;; amdgpu-corpus repo=ROCm/rocBLAS kind=compiled arch=gfx950 opt=O3
	.amdgcn_target "amdgcn-amd-amdhsa--gfx950"
	.amdhsa_code_object_version 6
	.section	.text._ZL23rocblas_set_matrix_trsmILi128ELi8EfPKPfEvlliT2_llT1_li,"axG",@progbits,_ZL23rocblas_set_matrix_trsmILi128ELi8EfPKPfEvlliT2_llT1_li,comdat
	.globl	_ZL23rocblas_set_matrix_trsmILi128ELi8EfPKPfEvlliT2_llT1_li ; -- Begin function _ZL23rocblas_set_matrix_trsmILi128ELi8EfPKPfEvlliT2_llT1_li
	.p2align	8
	.type	_ZL23rocblas_set_matrix_trsmILi128ELi8EfPKPfEvlliT2_llT1_li,@function
_ZL23rocblas_set_matrix_trsmILi128ELi8EfPKPfEvlliT2_llT1_li: ; @_ZL23rocblas_set_matrix_trsmILi128ELi8EfPKPfEvlliT2_llT1_li
; %bb.0:
	s_load_dwordx4 s[8:11], s[0:1], 0x0
	v_and_b32_e32 v1, 0x3ff, v0
	v_mov_b32_e32 v3, 0
	v_bfe_u32 v0, v0, 10, 10
	v_lshl_add_u32 v2, s2, 7, v1
	v_lshl_add_u32 v0, s3, 3, v0
	v_mov_b32_e32 v1, v3
	s_waitcnt lgkmcnt(0)
	v_cmp_gt_u64_e32 vcc, s[8:9], v[2:3]
	v_cmp_gt_u64_e64 s[2:3], s[10:11], v[0:1]
	s_and_b64 s[2:3], vcc, s[2:3]
	s_and_saveexec_b64 s[6:7], s[2:3]
	s_cbranch_execz .LBB0_2
; %bb.1:
	s_load_dwordx4 s[8:11], s[0:1], 0x18
	s_load_dwordx2 s[2:3], s[0:1], 0x38
	s_mov_b32 s5, 0
	s_lshl_b64 s[0:1], s[4:5], 3
	s_waitcnt lgkmcnt(0)
	s_add_u32 s0, s8, s0
	s_addc_u32 s1, s9, s1
	s_load_dwordx2 s[0:1], s[0:1], 0x0
	v_mad_u64_u32 v[4:5], s[4:5], s10, v0, 0
	s_lshl_b64 s[2:3], s[2:3], 2
	v_mov_b32_e32 v6, v5
	s_waitcnt lgkmcnt(0)
	s_add_u32 s0, s0, s2
	s_addc_u32 s1, s1, s3
	v_mad_u64_u32 v[0:1], s[2:3], s11, v0, v[6:7]
	v_mov_b32_e32 v5, v0
	v_lshl_add_u64 v[0:1], v[4:5], 2, s[0:1]
	v_lshl_add_u64 v[0:1], v[2:3], 2, v[0:1]
	flat_store_dword v[0:1], v3
.LBB0_2:
	s_endpgm
	.section	.rodata,"a",@progbits
	.p2align	6, 0x0
	.amdhsa_kernel _ZL23rocblas_set_matrix_trsmILi128ELi8EfPKPfEvlliT2_llT1_li
		.amdhsa_group_segment_fixed_size 0
		.amdhsa_private_segment_fixed_size 0
		.amdhsa_kernarg_size 68
		.amdhsa_user_sgpr_count 2
		.amdhsa_user_sgpr_dispatch_ptr 0
		.amdhsa_user_sgpr_queue_ptr 0
		.amdhsa_user_sgpr_kernarg_segment_ptr 1
		.amdhsa_user_sgpr_dispatch_id 0
		.amdhsa_user_sgpr_kernarg_preload_length 0
		.amdhsa_user_sgpr_kernarg_preload_offset 0
		.amdhsa_user_sgpr_private_segment_size 0
		.amdhsa_uses_dynamic_stack 0
		.amdhsa_enable_private_segment 0
		.amdhsa_system_sgpr_workgroup_id_x 1
		.amdhsa_system_sgpr_workgroup_id_y 1
		.amdhsa_system_sgpr_workgroup_id_z 1
		.amdhsa_system_sgpr_workgroup_info 0
		.amdhsa_system_vgpr_workitem_id 1
		.amdhsa_next_free_vgpr 8
		.amdhsa_next_free_sgpr 12
		.amdhsa_accum_offset 8
		.amdhsa_reserve_vcc 1
		.amdhsa_float_round_mode_32 0
		.amdhsa_float_round_mode_16_64 0
		.amdhsa_float_denorm_mode_32 3
		.amdhsa_float_denorm_mode_16_64 3
		.amdhsa_dx10_clamp 1
		.amdhsa_ieee_mode 1
		.amdhsa_fp16_overflow 0
		.amdhsa_tg_split 0
		.amdhsa_exception_fp_ieee_invalid_op 0
		.amdhsa_exception_fp_denorm_src 0
		.amdhsa_exception_fp_ieee_div_zero 0
		.amdhsa_exception_fp_ieee_overflow 0
		.amdhsa_exception_fp_ieee_underflow 0
		.amdhsa_exception_fp_ieee_inexact 0
		.amdhsa_exception_int_div_zero 0
	.end_amdhsa_kernel
	.section	.text._ZL23rocblas_set_matrix_trsmILi128ELi8EfPKPfEvlliT2_llT1_li,"axG",@progbits,_ZL23rocblas_set_matrix_trsmILi128ELi8EfPKPfEvlliT2_llT1_li,comdat
.Lfunc_end0:
	.size	_ZL23rocblas_set_matrix_trsmILi128ELi8EfPKPfEvlliT2_llT1_li, .Lfunc_end0-_ZL23rocblas_set_matrix_trsmILi128ELi8EfPKPfEvlliT2_llT1_li
                                        ; -- End function
	.set _ZL23rocblas_set_matrix_trsmILi128ELi8EfPKPfEvlliT2_llT1_li.num_vgpr, 8
	.set _ZL23rocblas_set_matrix_trsmILi128ELi8EfPKPfEvlliT2_llT1_li.num_agpr, 0
	.set _ZL23rocblas_set_matrix_trsmILi128ELi8EfPKPfEvlliT2_llT1_li.numbered_sgpr, 12
	.set _ZL23rocblas_set_matrix_trsmILi128ELi8EfPKPfEvlliT2_llT1_li.num_named_barrier, 0
	.set _ZL23rocblas_set_matrix_trsmILi128ELi8EfPKPfEvlliT2_llT1_li.private_seg_size, 0
	.set _ZL23rocblas_set_matrix_trsmILi128ELi8EfPKPfEvlliT2_llT1_li.uses_vcc, 1
	.set _ZL23rocblas_set_matrix_trsmILi128ELi8EfPKPfEvlliT2_llT1_li.uses_flat_scratch, 0
	.set _ZL23rocblas_set_matrix_trsmILi128ELi8EfPKPfEvlliT2_llT1_li.has_dyn_sized_stack, 0
	.set _ZL23rocblas_set_matrix_trsmILi128ELi8EfPKPfEvlliT2_llT1_li.has_recursion, 0
	.set _ZL23rocblas_set_matrix_trsmILi128ELi8EfPKPfEvlliT2_llT1_li.has_indirect_call, 0
	.section	.AMDGPU.csdata,"",@progbits
; Kernel info:
; codeLenInByte = 188
; TotalNumSgprs: 18
; NumVgprs: 8
; NumAgprs: 0
; TotalNumVgprs: 8
; ScratchSize: 0
; MemoryBound: 0
; FloatMode: 240
; IeeeMode: 1
; LDSByteSize: 0 bytes/workgroup (compile time only)
; SGPRBlocks: 2
; VGPRBlocks: 0
; NumSGPRsForWavesPerEU: 18
; NumVGPRsForWavesPerEU: 8
; AccumOffset: 8
; Occupancy: 8
; WaveLimiterHint : 1
; COMPUTE_PGM_RSRC2:SCRATCH_EN: 0
; COMPUTE_PGM_RSRC2:USER_SGPR: 2
; COMPUTE_PGM_RSRC2:TRAP_HANDLER: 0
; COMPUTE_PGM_RSRC2:TGID_X_EN: 1
; COMPUTE_PGM_RSRC2:TGID_Y_EN: 1
; COMPUTE_PGM_RSRC2:TGID_Z_EN: 1
; COMPUTE_PGM_RSRC2:TIDIG_COMP_CNT: 1
; COMPUTE_PGM_RSRC3_GFX90A:ACCUM_OFFSET: 1
; COMPUTE_PGM_RSRC3_GFX90A:TG_SPLIT: 0
	.section	.text._ZL38rocblas_trsm_small_left_device_sharedBILi4ELi4ELb0EffPKPKfPKPfEv13rocblas_fill_18rocblas_operation_17rocblas_diagonal_iiT3_T4_lilT5_lili,"axG",@progbits,_ZL38rocblas_trsm_small_left_device_sharedBILi4ELi4ELb0EffPKPKfPKPfEv13rocblas_fill_18rocblas_operation_17rocblas_diagonal_iiT3_T4_lilT5_lili,comdat
	.globl	_ZL38rocblas_trsm_small_left_device_sharedBILi4ELi4ELb0EffPKPKfPKPfEv13rocblas_fill_18rocblas_operation_17rocblas_diagonal_iiT3_T4_lilT5_lili ; -- Begin function _ZL38rocblas_trsm_small_left_device_sharedBILi4ELi4ELb0EffPKPKfPKPfEv13rocblas_fill_18rocblas_operation_17rocblas_diagonal_iiT3_T4_lilT5_lili
	.p2align	8
	.type	_ZL38rocblas_trsm_small_left_device_sharedBILi4ELi4ELb0EffPKPKfPKPfEv13rocblas_fill_18rocblas_operation_17rocblas_diagonal_iiT3_T4_lilT5_lili,@function
_ZL38rocblas_trsm_small_left_device_sharedBILi4ELi4ELb0EffPKPKfPKPfEv13rocblas_fill_18rocblas_operation_17rocblas_diagonal_iiT3_T4_lilT5_lili: ; @_ZL38rocblas_trsm_small_left_device_sharedBILi4ELi4ELb0EffPKPKfPKPfEv13rocblas_fill_18rocblas_operation_17rocblas_diagonal_iiT3_T4_lilT5_lili
; %bb.0:
	s_load_dwordx4 s[8:11], s[0:1], 0x38
	s_load_dwordx4 s[4:7], s[0:1], 0x4
	s_load_dword s24, s[0:1], 0x14
	s_mov_b32 s18, s3
	s_mov_b32 s19, 0
	s_lshl_b64 s[22:23], s[18:19], 3
	s_waitcnt lgkmcnt(0)
	s_add_u32 s8, s8, s22
	s_addc_u32 s9, s9, s23
	s_load_dwordx2 s[8:9], s[8:9], 0x0
	s_min_i32 s18, s6, 4
	v_cmp_gt_i32_e32 vcc, s18, v0
	s_and_saveexec_b64 s[16:17], vcc
	s_cbranch_execz .LBB1_11
; %bb.1:
	s_load_dwordx4 s[12:15], s[0:1], 0x18
	s_load_dword s20, s[0:1], 0x28
	v_lshlrev_b32_e32 v2, 2, v0
	v_mov_b32_e32 v3, 0
	s_mov_b32 s3, 1
	s_waitcnt lgkmcnt(0)
	s_add_u32 s12, s12, s22
	s_addc_u32 s13, s13, s23
	s_load_dwordx2 s[12:13], s[12:13], 0x0
	s_cmp_lt_u32 s18, 2
	s_cselect_b64 s[26:27], -1, 0
	s_cmp_lg_u32 s20, 1
	s_cselect_b64 s[28:29], -1, 0
	s_or_b64 s[26:27], s[26:27], s[28:29]
	s_mov_b64 s[22:23], -1
	s_and_b64 vcc, exec, s[26:27]
	s_cbranch_vccnz .LBB1_5
; %bb.2:
	s_lshl_b64 s[22:23], s[14:15], 2
	s_waitcnt lgkmcnt(0)
	s_add_u32 s22, s12, s22
	s_addc_u32 s23, s13, s23
	s_and_b32 s19, s18, -2
	v_lshl_add_u64 v[4:5], s[22:23], 0, v[2:3]
	s_mov_b32 s21, 0
	s_mov_b32 s22, s19
.LBB1_3:                                ; =>This Inner Loop Header: Depth=1
	flat_load_dwordx2 v[6:7], v[4:5]
	v_lshl_or_b32 v1, s21, 4, v2
	v_lshl_or_b32 v3, s3, 4, v2
	s_add_i32 s21, s21, 2
	s_add_i32 s3, s3, 2
	s_add_i32 s22, s22, -2
	v_lshl_add_u64 v[4:5], v[4:5], 0, 8
	s_cmp_lg_u32 s22, 0
	s_waitcnt vmcnt(0) lgkmcnt(0)
	ds_write_b32 v1, v6
	ds_write_b32 v3, v7
	s_cbranch_scc1 .LBB1_3
; %bb.4:
	s_cmp_lg_u32 s18, s19
	s_cselect_b64 s[22:23], -1, 0
.LBB1_5:
	s_and_b64 vcc, exec, s[22:23]
	s_cbranch_vccz .LBB1_8
; %bb.6:
	s_ashr_i32 s21, s20, 31
	s_mul_hi_u32 s3, s20, s19
	s_mul_i32 s22, s21, s19
	s_add_i32 s23, s3, s22
	s_mul_i32 s22, s20, s19
	s_lshl_b64 s[22:23], s[22:23], 2
	s_lshl_b64 s[14:15], s[14:15], 2
	s_add_u32 s3, s22, s14
	s_addc_u32 s14, s23, s15
	s_waitcnt lgkmcnt(0)
	s_add_u32 s12, s12, s3
	v_mov_b32_e32 v3, 0
	s_addc_u32 s13, s13, s14
	v_lshl_add_u64 v[4:5], s[12:13], 0, v[2:3]
	s_lshl_b64 s[12:13], s[20:21], 2
	s_sub_i32 s3, s18, s19
	v_lshl_or_b32 v1, s19, 4, v2
.LBB1_7:                                ; =>This Inner Loop Header: Depth=1
	flat_load_dword v3, v[4:5]
	s_add_i32 s3, s3, -1
	v_lshl_add_u64 v[4:5], v[4:5], 0, s[12:13]
	s_cmp_eq_u32 s3, 0
	s_waitcnt vmcnt(0) lgkmcnt(0)
	ds_write_b32 v1, v3
	v_add_u32_e32 v1, 16, v1
	s_cbranch_scc0 .LBB1_7
.LBB1_8:
	v_lshlrev_b32_e32 v1, 4, v0
	s_cmpk_lg_i32 s5, 0x84
	v_mov_b32_e32 v3, 1.0
	v_add_u32_e32 v1, v2, v1
	s_cbranch_scc0 .LBB1_10
; %bb.9:
	ds_read_b32 v2, v1
	s_waitcnt lgkmcnt(0)
	v_div_scale_f32 v3, s[12:13], v2, v2, 1.0
	v_rcp_f32_e32 v4, v3
	v_div_scale_f32 v5, vcc, 1.0, v2, 1.0
	v_fma_f32 v6, -v3, v4, 1.0
	v_fmac_f32_e32 v4, v6, v4
	v_mul_f32_e32 v6, v5, v4
	v_fma_f32 v7, -v3, v6, v5
	v_fmac_f32_e32 v6, v7, v4
	v_fma_f32 v3, -v3, v6, v5
	v_div_fmas_f32 v3, v3, v4, v6
	v_div_fixup_f32 v3, v3, v2, 1.0
.LBB1_10:
	ds_write_b32 v1, v3
.LBB1_11:
	s_or_b64 exec, exec, s[16:17]
	s_load_dword s3, s[0:1], 0x60
	s_waitcnt lgkmcnt(0)
	s_load_dword s12, s[0:1], 0x48
	s_lshl_b64 s[0:1], s[10:11], 2
	s_add_u32 s5, s8, s0
	s_addc_u32 s8, s9, s1
	s_lshl_b32 s0, s2, 2
	s_add_i32 s3, s3, -1
	s_sub_i32 s1, s7, s0
	s_cmp_ge_u32 s2, s3
	s_cselect_b32 s7, s1, 4
	s_waitcnt lgkmcnt(0)
	s_mul_hi_i32 s1, s12, s0
	s_mul_i32 s0, s12, s0
	s_lshl_b64 s[0:1], s[0:1], 2
	s_add_u32 s2, s5, s0
	s_addc_u32 s3, s8, s1
	s_cmp_gt_i32 s6, 0
	v_cmp_gt_i32_e64 s[0:1], s7, v0
	s_cselect_b64 s[8:9], -1, 0
	s_and_b64 s[14:15], s[0:1], s[8:9]
	v_lshl_or_b32 v5, v0, 2, 64
	s_and_saveexec_b64 s[10:11], s[14:15]
	s_cbranch_execz .LBB1_14
; %bb.12:
	v_mad_i64_i32 v[2:3], s[14:15], s12, v0, 0
	v_lshl_add_u64 v[2:3], v[2:3], 2, s[2:3]
	v_lshl_or_b32 v1, v0, 2, 64
	s_mov_b32 s5, s18
.LBB1_13:                               ; =>This Inner Loop Header: Depth=1
	flat_load_dword v4, v[2:3]
	s_add_i32 s5, s5, -1
	v_lshl_add_u64 v[2:3], v[2:3], 0, 4
	s_cmp_lg_u32 s5, 0
	s_waitcnt vmcnt(0) lgkmcnt(0)
	v_mul_f32_e32 v4, s24, v4
	ds_write_b32 v1, v4
	v_add_u32_e32 v1, 16, v1
	s_cbranch_scc1 .LBB1_13
.LBB1_14:
	s_or_b64 exec, exec, s[10:11]
	s_cmpk_eq_i32 s4, 0x6f
	s_mov_b64 s[4:5], -1
	s_waitcnt lgkmcnt(0)
	; wave barrier
	s_cbranch_scc1 .LBB1_23
; %bb.15:
	s_cmp_gt_i32 s6, 3
	s_cbranch_scc0 .LBB1_17
; %bb.16:
	ds_read2_b32 v[10:11], v5 offset1:4
	v_mov_b32_e32 v1, 0
	ds_read_b128 v[6:9], v1 offset:48
	ds_read2_b32 v[12:13], v5 offset0:8 offset1:12
	ds_read_b32 v18, v1
	ds_read_b64 v[14:15], v1 offset:16
	ds_read_b96 v[2:4], v1 offset:32
	s_waitcnt lgkmcnt(4)
	v_mov_b32_e32 v16, v7
	v_mov_b32_e32 v17, v8
	s_waitcnt lgkmcnt(2)
	v_mul_f32_e32 v10, v10, v18
	s_waitcnt lgkmcnt(1)
	v_fma_f32 v1, -v10, v14, v11
	v_mul_f32_e32 v11, v1, v15
	s_waitcnt lgkmcnt(0)
	v_pk_mul_f32 v[2:3], v[10:11], v[2:3]
	v_fma_f32 v8, -v10, v6, v13
	v_sub_f32_e32 v1, v12, v2
	v_sub_f32_e32 v1, v1, v3
	v_mul_f32_e32 v3, v1, v4
	v_mov_b32_e32 v2, v11
	v_pk_mul_f32 v[6:7], v[2:3], v[16:17]
	s_mov_b32 s4, 4
	v_sub_f32_e32 v1, v8, v6
	v_sub_f32_e32 v1, v1, v7
	v_mul_f32_e32 v1, v1, v9
	ds_write2_b32 v5, v10, v11 offset1:4
	ds_write2_b32 v5, v3, v1 offset0:8 offset1:12
	s_cmp_ge_i32 s4, s18
	s_cbranch_scc0 .LBB1_18
	s_branch .LBB1_22
.LBB1_17:
	s_mov_b32 s4, 0
	s_cmp_ge_i32 s4, s18
	s_cbranch_scc1 .LBB1_22
.LBB1_18:
	s_lshl_b32 s5, s4, 4
	v_lshl_or_b32 v1, v0, 2, 64
	s_branch .LBB1_20
.LBB1_19:                               ;   in Loop: Header=BB1_20 Depth=1
	s_mul_i32 s7, s4, 20
	v_mov_b32_e32 v4, s7
	ds_read_b32 v4, v4
	s_add_i32 s4, s4, 1
	s_add_i32 s5, s5, 16
	s_cmp_ge_i32 s4, s18
	s_waitcnt lgkmcnt(0)
	v_mul_f32_e32 v2, v2, v4
	ds_write_b32 v3, v2
	s_cbranch_scc1 .LBB1_22
.LBB1_20:                               ; =>This Loop Header: Depth=1
                                        ;     Child Loop BB1_21 Depth 2
	s_lshl_b32 s7, s4, 4
	v_add_u32_e32 v3, s7, v5
	ds_read_b32 v2, v3
	s_cmp_eq_u32 s4, 0
	v_mov_b32_e32 v4, v1
	s_mov_b32 s7, s4
	s_mov_b32 s10, s5
	s_cbranch_scc1 .LBB1_19
.LBB1_21:                               ;   Parent Loop BB1_20 Depth=1
                                        ; =>  This Inner Loop Header: Depth=2
	v_mov_b32_e32 v7, s10
	ds_read_b32 v6, v4
	ds_read_b32 v7, v7
	s_add_i32 s10, s10, 4
	s_add_i32 s7, s7, -1
	v_add_u32_e32 v4, 16, v4
	s_cmp_lg_u32 s7, 0
	s_waitcnt lgkmcnt(0)
	v_fma_f32 v2, -v6, v7, v2
	s_cbranch_scc1 .LBB1_21
	s_branch .LBB1_19
.LBB1_22:
	s_mov_b64 s[4:5], 0
.LBB1_23:
	s_and_b64 vcc, exec, s[4:5]
	s_cbranch_vccz .LBB1_43
; %bb.24:
	s_add_i32 s4, s18, -1
	s_cmp_gt_i32 s6, 3
	s_mov_b32 s6, -1
	s_cbranch_scc0 .LBB1_26
; %bb.25:
	v_mov_b32_e32 v1, 0
	ds_read2_b32 v[10:11], v5 offset0:8 offset1:12
	ds_read_b96 v[2:4], v1 offset:48
	ds_read_b64 v[12:13], v1 offset:56
	s_waitcnt lgkmcnt(1)
	ds_read_b32 v4, v1
	ds_read2_b32 v[14:15], v1 offset0:9 offset1:10
	ds_read2_b32 v[16:17], v5 offset1:4
	ds_read2_b64 v[6:9], v1 offset0:2 offset1:4
	s_waitcnt lgkmcnt(4)
	v_mul_f32_e32 v18, v11, v13
	v_fma_f32 v1, -v18, v12, v10
	s_waitcnt lgkmcnt(2)
	v_mul_f32_e32 v19, v1, v15
	v_mov_b32_e32 v10, v3
	v_mov_b32_e32 v11, v14
	v_pk_mul_f32 v[10:11], v[18:19], v[10:11]
	s_waitcnt lgkmcnt(0)
	v_mov_b32_e32 v9, v6
	v_sub_f32_e32 v1, v17, v10
	v_sub_f32_e32 v1, v1, v11
	v_fma_f32 v10, -v18, v2, v16
	v_mul_f32_e32 v3, v1, v7
	v_mov_b32_e32 v2, v19
	v_pk_mul_f32 v[6:7], v[2:3], v[8:9]
	ds_write2_b32 v5, v19, v18 offset0:8 offset1:12
	v_sub_f32_e32 v1, v10, v6
	v_sub_f32_e32 v1, v1, v7
	v_mul_f32_e32 v1, v1, v4
	ds_write2_b32 v5, v1, v3 offset1:4
	s_cmp_lt_i32 s6, 0
	s_cbranch_scc0 .LBB1_27
	s_branch .LBB1_43
.LBB1_26:
	s_mov_b32 s6, s4
	s_cmp_lt_i32 s6, 0
	s_cbranch_scc1 .LBB1_43
.LBB1_27:
	s_and_b32 s5, s6, 3
	s_cmp_eq_u32 s5, 3
	s_mov_b32 s5, s6
	s_cbranch_scc1 .LBB1_32
; %bb.28:
	s_add_i32 s5, s6, 1
	s_and_b32 s7, s5, 3
	s_lshl_b32 s5, s18, 4
	s_lshl_b32 s10, s6, 2
	s_add_i32 s10, s5, s10
	v_lshl_or_b32 v1, v0, 2, s5
	s_add_i32 s10, s10, -16
	v_add_u32_e32 v1, 48, v1
	s_mov_b32 s11, 0
	s_mov_b32 s5, s6
	s_branch .LBB1_30
.LBB1_29:                               ;   in Loop: Header=BB1_30 Depth=1
	s_mul_i32 s13, s5, 20
	v_mov_b32_e32 v4, s13
	ds_read_b32 v4, v4
	s_add_i32 s5, s5, -1
	s_add_i32 s11, s11, 1
	s_add_i32 s10, s10, -4
	s_cmp_lg_u32 s11, s7
	s_waitcnt lgkmcnt(0)
	v_mul_f32_e32 v2, v2, v4
	ds_write_b32 v3, v2
	s_cbranch_scc0 .LBB1_32
.LBB1_30:                               ; =>This Loop Header: Depth=1
                                        ;     Child Loop BB1_31 Depth 2
	s_lshl_b32 s13, s5, 4
	v_add_u32_e32 v3, s13, v5
	ds_read_b32 v2, v3
	s_cmp_le_i32 s4, s5
	v_mov_b32_e32 v4, v1
	s_mov_b32 s13, s10
	s_mov_b32 s14, s4
	s_cbranch_scc1 .LBB1_29
.LBB1_31:                               ;   Parent Loop BB1_30 Depth=1
                                        ; =>  This Inner Loop Header: Depth=2
	v_mov_b32_e32 v7, s13
	ds_read_b32 v6, v4
	ds_read_b32 v7, v7
	s_add_i32 s14, s14, -1
	s_add_i32 s13, s13, -16
	v_add_u32_e32 v4, -16, v4
	s_cmp_gt_i32 s14, s5
	s_waitcnt lgkmcnt(0)
	v_fma_f32 v2, -v6, v7, v2
	s_cbranch_scc1 .LBB1_31
	s_branch .LBB1_29
.LBB1_32:
	s_cmp_lt_u32 s6, 3
	s_cbranch_scc1 .LBB1_43
; %bb.33:
	s_lshl_b32 s7, s18, 4
	s_lshl_b32 s6, s5, 2
	s_add_i32 s11, s7, s6
	v_lshl_or_b32 v1, v0, 2, s7
	s_add_i32 s6, s11, -16
	v_add_u32_e32 v1, 48, v1
	s_sub_i32 s7, s11, 20
	s_sub_i32 s10, s11, 24
	;; [unrolled: 1-line block ×3, first 2 shown]
	s_branch .LBB1_35
.LBB1_34:                               ;   in Loop: Header=BB1_35 Depth=1
	s_sub_i32 s13, s13, 20
	v_mov_b32_e32 v2, s13
	ds_read_b32 v2, v2
	s_add_i32 s13, s5, -4
	s_add_i32 s6, s6, -16
	;; [unrolled: 1-line block ×5, first 2 shown]
	s_waitcnt lgkmcnt(0)
	v_mul_f32_e32 v2, v4, v2
	s_cmp_lt_i32 s5, 4
	s_mov_b32 s5, s13
	ds_write_b32 v3, v2
	s_cbranch_scc1 .LBB1_43
.LBB1_35:                               ; =>This Loop Header: Depth=1
                                        ;     Child Loop BB1_36 Depth 2
                                        ;     Child Loop BB1_38 Depth 2
	;; [unrolled: 1-line block ×4, first 2 shown]
	s_lshl_b32 s14, s5, 4
	v_add_u32_e32 v6, s14, v5
	ds_read_b32 v2, v6
	s_cmp_le_i32 s4, s5
	v_mov_b32_e32 v3, v1
	s_mov_b32 s13, s6
	s_mov_b32 s15, s4
	s_cbranch_scc1 .LBB1_37
.LBB1_36:                               ;   Parent Loop BB1_35 Depth=1
                                        ; =>  This Inner Loop Header: Depth=2
	v_mov_b32_e32 v7, s13
	ds_read_b32 v4, v3
	ds_read_b32 v7, v7
	s_add_i32 s15, s15, -1
	s_add_i32 s13, s13, -16
	v_add_u32_e32 v3, -16, v3
	s_cmp_gt_i32 s15, s5
	s_waitcnt lgkmcnt(0)
	v_fma_f32 v2, -v4, v7, v2
	s_cbranch_scc1 .LBB1_36
.LBB1_37:                               ;   in Loop: Header=BB1_35 Depth=1
	s_mul_i32 s13, s5, 20
	v_mov_b32_e32 v3, s13
	ds_read_b32 v7, v3
	s_add_i32 s14, s14, -16
	v_add_u32_e32 v3, s14, v5
	ds_read_b32 v4, v3
	s_cmp_le_i32 s18, s5
	s_waitcnt lgkmcnt(1)
	v_mul_f32_e32 v2, v2, v7
	ds_write_b32 v6, v2
	v_mov_b32_e32 v2, v1
	s_mov_b32 s14, s7
	s_mov_b32 s15, s18
	s_cbranch_scc1 .LBB1_39
.LBB1_38:                               ;   Parent Loop BB1_35 Depth=1
                                        ; =>  This Inner Loop Header: Depth=2
	v_mov_b32_e32 v7, s14
	ds_read_b32 v6, v2
	ds_read_b32 v7, v7
	s_add_i32 s15, s15, -1
	s_add_i32 s14, s14, -16
	v_add_u32_e32 v2, -16, v2
	s_cmp_gt_i32 s15, s5
	s_waitcnt lgkmcnt(0)
	v_fma_f32 v4, -v6, v7, v4
	s_cbranch_scc1 .LBB1_38
.LBB1_39:                               ;   in Loop: Header=BB1_35 Depth=1
	s_sub_i32 s13, s13, 20
	v_mov_b32_e32 v2, s13
	s_add_i32 s14, s5, -2
	ds_read_b32 v7, v2
	s_lshl_b32 s15, s14, 4
	v_add_u32_e32 v6, s15, v5
	ds_read_b32 v2, v6
	s_cmp_le_i32 s4, s14
	s_waitcnt lgkmcnt(1)
	v_mul_f32_e32 v4, v4, v7
	ds_write_b32 v3, v4
	v_mov_b32_e32 v3, v1
	s_mov_b32 s15, s10
	s_mov_b32 s16, s4
	s_cbranch_scc1 .LBB1_41
.LBB1_40:                               ;   Parent Loop BB1_35 Depth=1
                                        ; =>  This Inner Loop Header: Depth=2
	v_mov_b32_e32 v7, s15
	ds_read_b32 v4, v3
	ds_read_b32 v7, v7
	s_add_i32 s16, s16, -1
	s_add_i32 s15, s15, -16
	v_add_u32_e32 v3, -16, v3
	s_cmp_gt_i32 s16, s14
	s_waitcnt lgkmcnt(0)
	v_fma_f32 v2, -v4, v7, v2
	s_cbranch_scc1 .LBB1_40
.LBB1_41:                               ;   in Loop: Header=BB1_35 Depth=1
	s_sub_i32 s13, s13, 20
	v_mov_b32_e32 v3, s13
	s_add_i32 s14, s5, -3
	ds_read_b32 v7, v3
	s_lshl_b32 s15, s14, 4
	v_add_u32_e32 v3, s15, v5
	ds_read_b32 v4, v3
	s_cmp_le_i32 s4, s14
	s_waitcnt lgkmcnt(1)
	v_mul_f32_e32 v2, v2, v7
	ds_write_b32 v6, v2
	v_mov_b32_e32 v2, v1
	s_mov_b32 s15, s11
	s_mov_b32 s16, s4
	s_cbranch_scc1 .LBB1_34
.LBB1_42:                               ;   Parent Loop BB1_35 Depth=1
                                        ; =>  This Inner Loop Header: Depth=2
	v_mov_b32_e32 v7, s15
	ds_read_b32 v6, v2
	ds_read_b32 v7, v7
	s_add_i32 s16, s16, -1
	s_add_i32 s15, s15, -16
	v_add_u32_e32 v2, -16, v2
	s_cmp_gt_i32 s16, s14
	s_waitcnt lgkmcnt(0)
	v_fma_f32 v4, -v6, v7, v4
	s_cbranch_scc1 .LBB1_42
	s_branch .LBB1_34
.LBB1_43:
	s_waitcnt lgkmcnt(0)
	; wave barrier
	s_and_saveexec_b64 s[4:5], s[0:1]
	s_cbranch_execz .LBB1_47
; %bb.44:
	s_andn2_b64 vcc, exec, s[8:9]
	s_cbranch_vccnz .LBB1_47
; %bb.45:
	v_mad_i64_i32 v[0:1], s[0:1], s12, v0, 0
	v_lshl_add_u64 v[0:1], v[0:1], 2, s[2:3]
.LBB1_46:                               ; =>This Inner Loop Header: Depth=1
	ds_read_b32 v2, v5
	s_add_i32 s18, s18, -1
	v_add_u32_e32 v5, 16, v5
	s_cmp_lg_u32 s18, 0
	s_waitcnt lgkmcnt(0)
	flat_store_dword v[0:1], v2
	v_lshl_add_u64 v[0:1], v[0:1], 0, 4
	s_cbranch_scc1 .LBB1_46
.LBB1_47:
	s_endpgm
	.section	.rodata,"a",@progbits
	.p2align	6, 0x0
	.amdhsa_kernel _ZL38rocblas_trsm_small_left_device_sharedBILi4ELi4ELb0EffPKPKfPKPfEv13rocblas_fill_18rocblas_operation_17rocblas_diagonal_iiT3_T4_lilT5_lili
		.amdhsa_group_segment_fixed_size 128
		.amdhsa_private_segment_fixed_size 0
		.amdhsa_kernarg_size 352
		.amdhsa_user_sgpr_count 2
		.amdhsa_user_sgpr_dispatch_ptr 0
		.amdhsa_user_sgpr_queue_ptr 0
		.amdhsa_user_sgpr_kernarg_segment_ptr 1
		.amdhsa_user_sgpr_dispatch_id 0
		.amdhsa_user_sgpr_kernarg_preload_length 0
		.amdhsa_user_sgpr_kernarg_preload_offset 0
		.amdhsa_user_sgpr_private_segment_size 0
		.amdhsa_uses_dynamic_stack 0
		.amdhsa_enable_private_segment 0
		.amdhsa_system_sgpr_workgroup_id_x 1
		.amdhsa_system_sgpr_workgroup_id_y 0
		.amdhsa_system_sgpr_workgroup_id_z 1
		.amdhsa_system_sgpr_workgroup_info 0
		.amdhsa_system_vgpr_workitem_id 0
		.amdhsa_next_free_vgpr 20
		.amdhsa_next_free_sgpr 30
		.amdhsa_accum_offset 20
		.amdhsa_reserve_vcc 1
		.amdhsa_float_round_mode_32 0
		.amdhsa_float_round_mode_16_64 0
		.amdhsa_float_denorm_mode_32 3
		.amdhsa_float_denorm_mode_16_64 3
		.amdhsa_dx10_clamp 1
		.amdhsa_ieee_mode 1
		.amdhsa_fp16_overflow 0
		.amdhsa_tg_split 0
		.amdhsa_exception_fp_ieee_invalid_op 0
		.amdhsa_exception_fp_denorm_src 0
		.amdhsa_exception_fp_ieee_div_zero 0
		.amdhsa_exception_fp_ieee_overflow 0
		.amdhsa_exception_fp_ieee_underflow 0
		.amdhsa_exception_fp_ieee_inexact 0
		.amdhsa_exception_int_div_zero 0
	.end_amdhsa_kernel
	.section	.text._ZL38rocblas_trsm_small_left_device_sharedBILi4ELi4ELb0EffPKPKfPKPfEv13rocblas_fill_18rocblas_operation_17rocblas_diagonal_iiT3_T4_lilT5_lili,"axG",@progbits,_ZL38rocblas_trsm_small_left_device_sharedBILi4ELi4ELb0EffPKPKfPKPfEv13rocblas_fill_18rocblas_operation_17rocblas_diagonal_iiT3_T4_lilT5_lili,comdat
.Lfunc_end1:
	.size	_ZL38rocblas_trsm_small_left_device_sharedBILi4ELi4ELb0EffPKPKfPKPfEv13rocblas_fill_18rocblas_operation_17rocblas_diagonal_iiT3_T4_lilT5_lili, .Lfunc_end1-_ZL38rocblas_trsm_small_left_device_sharedBILi4ELi4ELb0EffPKPKfPKPfEv13rocblas_fill_18rocblas_operation_17rocblas_diagonal_iiT3_T4_lilT5_lili
                                        ; -- End function
	.set _ZL38rocblas_trsm_small_left_device_sharedBILi4ELi4ELb0EffPKPKfPKPfEv13rocblas_fill_18rocblas_operation_17rocblas_diagonal_iiT3_T4_lilT5_lili.num_vgpr, 20
	.set _ZL38rocblas_trsm_small_left_device_sharedBILi4ELi4ELb0EffPKPKfPKPfEv13rocblas_fill_18rocblas_operation_17rocblas_diagonal_iiT3_T4_lilT5_lili.num_agpr, 0
	.set _ZL38rocblas_trsm_small_left_device_sharedBILi4ELi4ELb0EffPKPKfPKPfEv13rocblas_fill_18rocblas_operation_17rocblas_diagonal_iiT3_T4_lilT5_lili.numbered_sgpr, 30
	.set _ZL38rocblas_trsm_small_left_device_sharedBILi4ELi4ELb0EffPKPKfPKPfEv13rocblas_fill_18rocblas_operation_17rocblas_diagonal_iiT3_T4_lilT5_lili.num_named_barrier, 0
	.set _ZL38rocblas_trsm_small_left_device_sharedBILi4ELi4ELb0EffPKPKfPKPfEv13rocblas_fill_18rocblas_operation_17rocblas_diagonal_iiT3_T4_lilT5_lili.private_seg_size, 0
	.set _ZL38rocblas_trsm_small_left_device_sharedBILi4ELi4ELb0EffPKPKfPKPfEv13rocblas_fill_18rocblas_operation_17rocblas_diagonal_iiT3_T4_lilT5_lili.uses_vcc, 1
	.set _ZL38rocblas_trsm_small_left_device_sharedBILi4ELi4ELb0EffPKPKfPKPfEv13rocblas_fill_18rocblas_operation_17rocblas_diagonal_iiT3_T4_lilT5_lili.uses_flat_scratch, 0
	.set _ZL38rocblas_trsm_small_left_device_sharedBILi4ELi4ELb0EffPKPKfPKPfEv13rocblas_fill_18rocblas_operation_17rocblas_diagonal_iiT3_T4_lilT5_lili.has_dyn_sized_stack, 0
	.set _ZL38rocblas_trsm_small_left_device_sharedBILi4ELi4ELb0EffPKPKfPKPfEv13rocblas_fill_18rocblas_operation_17rocblas_diagonal_iiT3_T4_lilT5_lili.has_recursion, 0
	.set _ZL38rocblas_trsm_small_left_device_sharedBILi4ELi4ELb0EffPKPKfPKPfEv13rocblas_fill_18rocblas_operation_17rocblas_diagonal_iiT3_T4_lilT5_lili.has_indirect_call, 0
	.section	.AMDGPU.csdata,"",@progbits
; Kernel info:
; codeLenInByte = 2164
; TotalNumSgprs: 36
; NumVgprs: 20
; NumAgprs: 0
; TotalNumVgprs: 20
; ScratchSize: 0
; MemoryBound: 0
; FloatMode: 240
; IeeeMode: 1
; LDSByteSize: 128 bytes/workgroup (compile time only)
; SGPRBlocks: 4
; VGPRBlocks: 2
; NumSGPRsForWavesPerEU: 36
; NumVGPRsForWavesPerEU: 20
; AccumOffset: 20
; Occupancy: 8
; WaveLimiterHint : 0
; COMPUTE_PGM_RSRC2:SCRATCH_EN: 0
; COMPUTE_PGM_RSRC2:USER_SGPR: 2
; COMPUTE_PGM_RSRC2:TRAP_HANDLER: 0
; COMPUTE_PGM_RSRC2:TGID_X_EN: 1
; COMPUTE_PGM_RSRC2:TGID_Y_EN: 0
; COMPUTE_PGM_RSRC2:TGID_Z_EN: 1
; COMPUTE_PGM_RSRC2:TIDIG_COMP_CNT: 0
; COMPUTE_PGM_RSRC3_GFX90A:ACCUM_OFFSET: 4
; COMPUTE_PGM_RSRC3_GFX90A:TG_SPLIT: 0
	.section	.text._ZL30rocblas_trsm_small_left_deviceILi4ELi4ELb0EffPKPKfPKPfEv13rocblas_fill_18rocblas_operation_17rocblas_diagonal_iiT3_T4_lilT5_lili,"axG",@progbits,_ZL30rocblas_trsm_small_left_deviceILi4ELi4ELb0EffPKPKfPKPfEv13rocblas_fill_18rocblas_operation_17rocblas_diagonal_iiT3_T4_lilT5_lili,comdat
	.globl	_ZL30rocblas_trsm_small_left_deviceILi4ELi4ELb0EffPKPKfPKPfEv13rocblas_fill_18rocblas_operation_17rocblas_diagonal_iiT3_T4_lilT5_lili ; -- Begin function _ZL30rocblas_trsm_small_left_deviceILi4ELi4ELb0EffPKPKfPKPfEv13rocblas_fill_18rocblas_operation_17rocblas_diagonal_iiT3_T4_lilT5_lili
	.p2align	8
	.type	_ZL30rocblas_trsm_small_left_deviceILi4ELi4ELb0EffPKPKfPKPfEv13rocblas_fill_18rocblas_operation_17rocblas_diagonal_iiT3_T4_lilT5_lili,@function
_ZL30rocblas_trsm_small_left_deviceILi4ELi4ELb0EffPKPKfPKPfEv13rocblas_fill_18rocblas_operation_17rocblas_diagonal_iiT3_T4_lilT5_lili: ; @_ZL30rocblas_trsm_small_left_deviceILi4ELi4ELb0EffPKPKfPKPfEv13rocblas_fill_18rocblas_operation_17rocblas_diagonal_iiT3_T4_lilT5_lili
; %bb.0:
	s_load_dwordx4 s[8:11], s[0:1], 0x38
	s_load_dwordx4 s[4:7], s[0:1], 0x4
	s_load_dword s24, s[0:1], 0x14
	s_mov_b32 s18, s3
	s_mov_b32 s19, 0
	s_lshl_b64 s[22:23], s[18:19], 3
	s_waitcnt lgkmcnt(0)
	s_add_u32 s8, s8, s22
	s_addc_u32 s9, s9, s23
	s_load_dwordx2 s[8:9], s[8:9], 0x0
	s_min_i32 s18, s6, 4
	v_cmp_gt_i32_e32 vcc, s18, v0
	s_and_saveexec_b64 s[16:17], vcc
	s_cbranch_execz .LBB2_11
; %bb.1:
	s_load_dwordx4 s[12:15], s[0:1], 0x18
	s_load_dword s20, s[0:1], 0x28
	v_lshlrev_b32_e32 v2, 2, v0
	v_mov_b32_e32 v3, 0
	s_mov_b32 s3, 1
	s_waitcnt lgkmcnt(0)
	s_add_u32 s12, s12, s22
	s_addc_u32 s13, s13, s23
	s_load_dwordx2 s[12:13], s[12:13], 0x0
	s_cmp_lt_u32 s18, 2
	s_cselect_b64 s[26:27], -1, 0
	s_cmp_lg_u32 s20, 1
	s_cselect_b64 s[28:29], -1, 0
	s_or_b64 s[26:27], s[26:27], s[28:29]
	s_mov_b64 s[22:23], -1
	s_and_b64 vcc, exec, s[26:27]
	s_cbranch_vccnz .LBB2_5
; %bb.2:
	s_lshl_b64 s[22:23], s[14:15], 2
	s_waitcnt lgkmcnt(0)
	s_add_u32 s22, s12, s22
	s_addc_u32 s23, s13, s23
	s_and_b32 s19, s18, -2
	v_lshl_add_u64 v[4:5], s[22:23], 0, v[2:3]
	s_mov_b32 s21, 0
	s_mov_b32 s22, s19
.LBB2_3:                                ; =>This Inner Loop Header: Depth=1
	flat_load_dwordx2 v[6:7], v[4:5]
	v_lshl_or_b32 v1, s21, 4, v2
	v_lshl_or_b32 v3, s3, 4, v2
	s_add_i32 s21, s21, 2
	s_add_i32 s3, s3, 2
	s_add_i32 s22, s22, -2
	v_lshl_add_u64 v[4:5], v[4:5], 0, 8
	s_cmp_lg_u32 s22, 0
	s_waitcnt vmcnt(0) lgkmcnt(0)
	ds_write_b32 v1, v6
	ds_write_b32 v3, v7
	s_cbranch_scc1 .LBB2_3
; %bb.4:
	s_cmp_lg_u32 s18, s19
	s_cselect_b64 s[22:23], -1, 0
.LBB2_5:
	s_and_b64 vcc, exec, s[22:23]
	s_cbranch_vccz .LBB2_8
; %bb.6:
	s_ashr_i32 s21, s20, 31
	s_mul_hi_u32 s3, s20, s19
	s_mul_i32 s22, s21, s19
	s_add_i32 s23, s3, s22
	s_mul_i32 s22, s20, s19
	s_lshl_b64 s[22:23], s[22:23], 2
	s_lshl_b64 s[14:15], s[14:15], 2
	s_add_u32 s3, s22, s14
	s_addc_u32 s14, s23, s15
	s_waitcnt lgkmcnt(0)
	s_add_u32 s12, s12, s3
	v_mov_b32_e32 v3, 0
	s_addc_u32 s13, s13, s14
	v_lshl_add_u64 v[4:5], s[12:13], 0, v[2:3]
	s_lshl_b64 s[12:13], s[20:21], 2
	s_sub_i32 s3, s18, s19
	v_lshl_or_b32 v1, s19, 4, v2
.LBB2_7:                                ; =>This Inner Loop Header: Depth=1
	flat_load_dword v3, v[4:5]
	s_add_i32 s3, s3, -1
	v_lshl_add_u64 v[4:5], v[4:5], 0, s[12:13]
	s_cmp_eq_u32 s3, 0
	s_waitcnt vmcnt(0) lgkmcnt(0)
	ds_write_b32 v1, v3
	v_add_u32_e32 v1, 16, v1
	s_cbranch_scc0 .LBB2_7
.LBB2_8:
	v_lshlrev_b32_e32 v1, 4, v0
	s_cmpk_lg_i32 s5, 0x84
	v_mov_b32_e32 v3, 1.0
	v_add_u32_e32 v1, v2, v1
	s_cbranch_scc0 .LBB2_10
; %bb.9:
	ds_read_b32 v2, v1
	s_waitcnt lgkmcnt(0)
	v_div_scale_f32 v3, s[12:13], v2, v2, 1.0
	v_rcp_f32_e32 v4, v3
	v_div_scale_f32 v5, vcc, 1.0, v2, 1.0
	v_fma_f32 v6, -v3, v4, 1.0
	v_fmac_f32_e32 v4, v6, v4
	v_mul_f32_e32 v6, v5, v4
	v_fma_f32 v7, -v3, v6, v5
	v_fmac_f32_e32 v6, v7, v4
	v_fma_f32 v3, -v3, v6, v5
	v_div_fmas_f32 v3, v3, v4, v6
	v_div_fixup_f32 v3, v3, v2, 1.0
.LBB2_10:
	ds_write_b32 v1, v3
.LBB2_11:
	s_or_b64 exec, exec, s[16:17]
	s_load_dword s3, s[0:1], 0x60
	s_waitcnt lgkmcnt(0)
	; wave barrier
	s_add_i32 s5, s3, -1
	s_lshl_b32 s3, s2, 2
	s_sub_i32 s7, s7, s3
	s_cmp_ge_u32 s2, s5
	s_cselect_b32 s2, s7, 4
	v_cmp_gt_i32_e32 vcc, s2, v0
	s_and_saveexec_b64 s[12:13], vcc
	s_cbranch_execz .LBB2_41
; %bb.12:
	s_load_dword s2, s[0:1], 0x48
	s_lshl_b64 s[0:1], s[10:11], 2
	s_add_u32 s0, s8, s0
	v_add_u32_e32 v0, s3, v0
	s_addc_u32 s1, s9, s1
	s_waitcnt lgkmcnt(0)
	v_mad_i64_i32 v[0:1], s[2:3], s2, v0, 0
	v_lshl_add_u64 v[2:3], v[0:1], 2, s[0:1]
	s_cmpk_eq_i32 s4, 0x6f
	s_mov_b64 s[0:1], -1
	s_cbranch_scc1 .LBB2_21
; %bb.13:
	s_cmp_gt_i32 s6, 3
	s_cbranch_scc0 .LBB2_15
; %bb.14:
	flat_load_dwordx4 v[4:7], v[2:3]
	v_mov_b32_e32 v11, 0
	ds_read_b64 v[0:1], v11 offset:16
	ds_read_b32 v13, v11
	ds_read_b96 v[8:10], v11 offset:32
	ds_read_b32 v15, v11 offset:48
	v_mov_b32_e32 v12, s24
	s_mov_b32 s0, 4
	s_waitcnt lgkmcnt(0)
	v_mov_b32_e32 v17, v0
	s_waitcnt vmcnt(0)
	v_mul_f32_e32 v0, s24, v4
	v_mov_b32_e32 v16, v5
	v_mul_f32_e32 v13, v0, v13
	v_pk_mul_f32 v[4:5], v[12:13], v[16:17]
	v_mov_b32_e32 v0, v13
	v_sub_f32_e32 v4, v4, v5
	v_mul_f32_e32 v1, v4, v1
	v_pk_mul_f32 v[4:5], v[0:1], v[8:9]
	flat_store_dwordx2 v[2:3], v[0:1]
	v_mov_b32_e32 v14, v7
	v_mov_b32_e32 v0, v1
	v_fma_f32 v1, s24, v6, -v4
	ds_read2_b32 v[6:7], v11 offset0:13 offset1:14
	ds_read_b32 v8, v11 offset:60
	v_sub_f32_e32 v1, v1, v5
	v_pk_mul_f32 v[12:13], v[12:13], v[14:15]
	v_mul_f32_e32 v1, v1, v10
	v_sub_f32_e32 v12, v12, v13
	v_mov_b32_e32 v4, v1
	s_waitcnt lgkmcnt(0)
	v_pk_mul_f32 v[0:1], v[0:1], v[6:7]
	s_nop 0
	v_sub_f32_e32 v0, v12, v0
	v_sub_f32_e32 v0, v0, v1
	v_mul_f32_e32 v5, v0, v8
	flat_store_dwordx2 v[2:3], v[4:5] offset:8
	s_cmp_ge_i32 s0, s18
	s_cbranch_scc0 .LBB2_16
	s_branch .LBB2_20
.LBB2_15:
	s_mov_b32 s0, 0
	s_cmp_ge_i32 s0, s18
	s_cbranch_scc1 .LBB2_20
.LBB2_16:
	s_lshl_b32 s2, s0, 4
	s_mov_b32 s1, 0
	s_branch .LBB2_18
.LBB2_17:                               ;   in Loop: Header=BB2_18 Depth=1
	s_mul_i32 s3, s0, 20
	v_mov_b32_e32 v1, s3
	ds_read_b32 v1, v1
	s_add_i32 s0, s0, 1
	s_add_i32 s2, s2, 16
	s_cmp_ge_i32 s0, s18
	s_waitcnt lgkmcnt(0)
	v_mul_f32_e32 v0, v0, v1
	flat_store_dword v[4:5], v0
	s_cbranch_scc1 .LBB2_20
.LBB2_18:                               ; =>This Loop Header: Depth=1
                                        ;     Child Loop BB2_19 Depth 2
	v_lshl_add_u64 v[4:5], s[0:1], 2, v[2:3]
	flat_load_dword v0, v[4:5]
	s_cmp_eq_u32 s0, 0
	v_mov_b64_e32 v[6:7], v[2:3]
	s_mov_b32 s3, s0
	s_mov_b32 s4, s2
	s_waitcnt vmcnt(0) lgkmcnt(0)
	v_mul_f32_e32 v0, s24, v0
	s_cbranch_scc1 .LBB2_17
.LBB2_19:                               ;   Parent Loop BB2_18 Depth=1
                                        ; =>  This Inner Loop Header: Depth=2
	flat_load_dword v1, v[6:7]
	v_mov_b32_e32 v8, s4
	ds_read_b32 v8, v8
	s_add_i32 s4, s4, 4
	s_add_i32 s3, s3, -1
	v_lshl_add_u64 v[6:7], v[6:7], 0, 4
	s_cmp_lg_u32 s3, 0
	s_waitcnt vmcnt(0) lgkmcnt(0)
	v_fma_f32 v0, -v1, v8, v0
	s_cbranch_scc1 .LBB2_19
	s_branch .LBB2_17
.LBB2_20:
	s_mov_b64 s[0:1], 0
.LBB2_21:
	s_and_b64 vcc, exec, s[0:1]
	s_cbranch_vccz .LBB2_41
; %bb.22:
	s_add_i32 s7, s18, -1
	s_cmp_gt_i32 s6, 3
	s_mov_b32 s4, -1
	s_cbranch_scc0 .LBB2_24
; %bb.23:
	flat_load_dwordx4 v[4:7], v[2:3]
	v_mov_b32_e32 v18, 0
	ds_read_b128 v[8:11], v18 offset:48
	ds_read_b96 v[20:22], v18 offset:32
	ds_read_b64 v[0:1], v18 offset:16
	ds_read2_b32 v[14:15], v18 offset0:5 offset1:10
	v_mov_b32_e32 v12, s24
	s_waitcnt lgkmcnt(0)
	v_mov_b32_e32 v17, v8
	v_mov_b32_e32 v8, v21
	;; [unrolled: 1-line block ×3, first 2 shown]
	s_waitcnt vmcnt(0)
	v_mul_f32_e32 v13, s24, v7
	v_mov_b32_e32 v7, v10
	v_mul_f32_e32 v13, v13, v11
	v_pk_mul_f32 v[6:7], v[12:13], v[6:7]
	v_mov_b32_e32 v16, v4
	v_sub_f32_e32 v4, v6, v7
	v_mov_b32_e32 v11, v13
	v_mul_f32_e32 v10, v4, v15
	v_pk_mul_f32 v[6:7], v[10:11], v[8:9]
	flat_store_dwordx2 v[2:3], v[10:11] offset:8
	v_fma_f32 v4, s24, v5, -v7
	ds_read_b32 v5, v18
	v_sub_f32_e32 v4, v4, v6
	v_pk_mul_f32 v[12:13], v[12:13], v[16:17]
	v_mov_b32_e32 v9, v10
	v_mul_f32_e32 v8, v4, v14
	v_sub_f32_e32 v12, v12, v13
	v_pk_mul_f32 v[0:1], v[8:9], v[0:1]
	s_nop 0
	v_sub_f32_e32 v1, v12, v1
	v_sub_f32_e32 v0, v1, v0
	s_waitcnt lgkmcnt(0)
	v_mul_f32_e32 v0, v0, v5
	v_mov_b32_e32 v1, v8
	flat_store_dwordx2 v[2:3], v[0:1]
	s_cmp_lt_i32 s4, 0
	s_cbranch_scc0 .LBB2_25
	s_branch .LBB2_41
.LBB2_24:
	s_mov_b32 s4, s7
	s_cmp_lt_i32 s4, 0
	s_cbranch_scc1 .LBB2_41
.LBB2_25:
	s_and_b32 s0, s4, 3
	s_cmp_eq_u32 s0, 3
	s_mov_b32 s0, s4
	s_cbranch_scc1 .LBB2_30
; %bb.26:
	s_add_i32 s0, s4, 1
	s_and_b32 s5, s0, 3
	s_lshl_b32 s0, s18, 4
	s_lshl_b32 s1, s4, 2
	s_add_i32 s0, s0, s1
	s_add_i32 s6, s0, -16
	s_mov_b32 s3, 0
	s_mov_b32 s0, s4
	;; [unrolled: 1-line block ×3, first 2 shown]
	s_branch .LBB2_28
.LBB2_27:                               ;   in Loop: Header=BB2_28 Depth=1
	s_mul_i32 s1, s0, 20
	v_mov_b32_e32 v1, s1
	ds_read_b32 v1, v1
	s_add_i32 s0, s0, -1
	s_add_i32 s8, s8, 1
	s_add_i32 s6, s6, -4
	s_cmp_lg_u32 s8, s5
	s_waitcnt lgkmcnt(0)
	v_mul_f32_e32 v0, v0, v1
	flat_store_dword v[4:5], v0
	s_cbranch_scc0 .LBB2_30
.LBB2_28:                               ; =>This Loop Header: Depth=1
                                        ;     Child Loop BB2_29 Depth 2
	s_mov_b32 s1, s3
	v_lshl_add_u64 v[4:5], s[0:1], 2, v[2:3]
	flat_load_dword v0, v[4:5]
	s_cmp_le_i32 s7, s0
	s_mov_b32 s1, s6
	s_mov_b32 s2, s7
	s_waitcnt vmcnt(0) lgkmcnt(0)
	v_mul_f32_e32 v0, s24, v0
	s_cbranch_scc1 .LBB2_27
.LBB2_29:                               ;   Parent Loop BB2_28 Depth=1
                                        ; =>  This Inner Loop Header: Depth=2
	v_lshl_add_u64 v[6:7], s[2:3], 2, v[2:3]
	flat_load_dword v1, v[6:7]
	v_mov_b32_e32 v6, s1
	ds_read_b32 v6, v6
	s_add_i32 s2, s2, -1
	s_add_i32 s1, s1, -16
	s_cmp_gt_i32 s2, s0
	s_waitcnt vmcnt(0) lgkmcnt(0)
	v_fma_f32 v0, -v1, v6, v0
	s_cbranch_scc1 .LBB2_29
	s_branch .LBB2_27
.LBB2_30:
	s_cmp_lt_u32 s4, 3
	s_cbranch_scc1 .LBB2_41
; %bb.31:
	s_lshl_b32 s1, s18, 4
	s_lshl_b32 s2, s0, 2
	s_add_i32 s1, s1, s2
	s_add_i32 s6, s1, -16
	s_sub_i32 s8, s1, 20
	s_sub_i32 s9, s1, 24
	;; [unrolled: 1-line block ×3, first 2 shown]
	s_mov_b32 s3, 0
	s_branch .LBB2_33
.LBB2_32:                               ;   in Loop: Header=BB2_33 Depth=1
	s_sub_i32 s1, s1, 20
	v_mov_b32_e32 v1, s1
	ds_read_b32 v1, v1
	s_add_i32 s1, s0, -4
	s_add_i32 s6, s6, -16
	;; [unrolled: 1-line block ×5, first 2 shown]
	s_waitcnt lgkmcnt(0)
	v_mul_f32_e32 v0, v0, v1
	s_cmp_lt_i32 s0, 4
	s_mov_b32 s0, s1
	flat_store_dword v[4:5], v0
	s_cbranch_scc1 .LBB2_41
.LBB2_33:                               ; =>This Loop Header: Depth=1
                                        ;     Child Loop BB2_34 Depth 2
                                        ;     Child Loop BB2_36 Depth 2
	;; [unrolled: 1-line block ×4, first 2 shown]
	s_mov_b32 s1, s3
	v_lshl_add_u64 v[6:7], s[0:1], 2, v[2:3]
	flat_load_dword v0, v[6:7]
	s_cmp_le_i32 s7, s0
	s_mov_b32 s1, s6
	s_mov_b32 s2, s7
	s_waitcnt vmcnt(0) lgkmcnt(0)
	v_mul_f32_e32 v0, s24, v0
	s_cbranch_scc1 .LBB2_35
.LBB2_34:                               ;   Parent Loop BB2_33 Depth=1
                                        ; =>  This Inner Loop Header: Depth=2
	v_lshl_add_u64 v[4:5], s[2:3], 2, v[2:3]
	flat_load_dword v1, v[4:5]
	v_mov_b32_e32 v4, s1
	ds_read_b32 v4, v4
	s_add_i32 s2, s2, -1
	s_add_i32 s1, s1, -16
	s_cmp_gt_i32 s2, s0
	s_waitcnt vmcnt(0) lgkmcnt(0)
	v_fma_f32 v0, -v1, v4, v0
	s_cbranch_scc1 .LBB2_34
.LBB2_35:                               ;   in Loop: Header=BB2_33 Depth=1
	s_add_i32 s2, s0, -1
	v_lshl_add_u64 v[4:5], s[2:3], 2, v[2:3]
	flat_load_dword v1, v[4:5]
	s_mul_i32 s1, s0, 20
	v_mov_b32_e32 v8, s1
	ds_read_b32 v8, v8
	s_mov_b32 s4, s8
	s_cmp_le_i32 s18, s0
	s_mov_b32 s2, s18
	s_waitcnt lgkmcnt(0)
	v_mul_f32_e32 v0, v0, v8
	flat_store_dword v[6:7], v0
	s_waitcnt vmcnt(0)
	v_mul_f32_e32 v0, s24, v1
	s_cbranch_scc1 .LBB2_37
.LBB2_36:                               ;   Parent Loop BB2_33 Depth=1
                                        ; =>  This Inner Loop Header: Depth=2
	s_add_i32 s2, s2, -1
	v_lshl_add_u64 v[6:7], s[2:3], 2, v[2:3]
	flat_load_dword v1, v[6:7]
	v_mov_b32_e32 v6, s4
	ds_read_b32 v6, v6
	s_add_i32 s4, s4, -16
	s_cmp_gt_i32 s2, s0
	s_waitcnt vmcnt(0) lgkmcnt(0)
	v_fma_f32 v0, -v1, v6, v0
	s_cbranch_scc1 .LBB2_36
.LBB2_37:                               ;   in Loop: Header=BB2_33 Depth=1
	s_add_i32 s4, s0, -2
	s_mov_b32 s5, s3
	v_lshl_add_u64 v[6:7], s[4:5], 2, v[2:3]
	flat_load_dword v1, v[6:7]
	s_sub_i32 s1, s1, 20
	v_mov_b32_e32 v8, s1
	ds_read_b32 v8, v8
	s_mov_b32 s5, s9
	s_cmp_le_i32 s7, s4
	s_mov_b32 s2, s7
	s_waitcnt lgkmcnt(0)
	v_mul_f32_e32 v0, v0, v8
	flat_store_dword v[4:5], v0
	s_waitcnt vmcnt(0)
	v_mul_f32_e32 v0, s24, v1
	s_cbranch_scc1 .LBB2_39
.LBB2_38:                               ;   Parent Loop BB2_33 Depth=1
                                        ; =>  This Inner Loop Header: Depth=2
	v_lshl_add_u64 v[4:5], s[2:3], 2, v[2:3]
	flat_load_dword v1, v[4:5]
	v_mov_b32_e32 v4, s5
	ds_read_b32 v4, v4
	s_add_i32 s2, s2, -1
	s_add_i32 s5, s5, -16
	s_cmp_gt_i32 s2, s4
	s_waitcnt vmcnt(0) lgkmcnt(0)
	v_fma_f32 v0, -v1, v4, v0
	s_cbranch_scc1 .LBB2_38
.LBB2_39:                               ;   in Loop: Header=BB2_33 Depth=1
	s_add_i32 s4, s0, -3
	s_mov_b32 s5, s3
	v_lshl_add_u64 v[4:5], s[4:5], 2, v[2:3]
	flat_load_dword v1, v[4:5]
	s_sub_i32 s1, s1, 20
	v_mov_b32_e32 v8, s1
	ds_read_b32 v8, v8
	s_mov_b32 s5, s10
	s_cmp_le_i32 s7, s4
	s_mov_b32 s2, s7
	s_waitcnt lgkmcnt(0)
	v_mul_f32_e32 v0, v0, v8
	flat_store_dword v[6:7], v0
	s_waitcnt vmcnt(0)
	v_mul_f32_e32 v0, s24, v1
	s_cbranch_scc1 .LBB2_32
.LBB2_40:                               ;   Parent Loop BB2_33 Depth=1
                                        ; =>  This Inner Loop Header: Depth=2
	v_lshl_add_u64 v[6:7], s[2:3], 2, v[2:3]
	flat_load_dword v1, v[6:7]
	v_mov_b32_e32 v6, s5
	ds_read_b32 v6, v6
	s_add_i32 s2, s2, -1
	s_add_i32 s5, s5, -16
	s_cmp_gt_i32 s2, s4
	s_waitcnt vmcnt(0) lgkmcnt(0)
	v_fma_f32 v0, -v1, v6, v0
	s_cbranch_scc1 .LBB2_40
	s_branch .LBB2_32
.LBB2_41:
	s_endpgm
	.section	.rodata,"a",@progbits
	.p2align	6, 0x0
	.amdhsa_kernel _ZL30rocblas_trsm_small_left_deviceILi4ELi4ELb0EffPKPKfPKPfEv13rocblas_fill_18rocblas_operation_17rocblas_diagonal_iiT3_T4_lilT5_lili
		.amdhsa_group_segment_fixed_size 64
		.amdhsa_private_segment_fixed_size 0
		.amdhsa_kernarg_size 352
		.amdhsa_user_sgpr_count 2
		.amdhsa_user_sgpr_dispatch_ptr 0
		.amdhsa_user_sgpr_queue_ptr 0
		.amdhsa_user_sgpr_kernarg_segment_ptr 1
		.amdhsa_user_sgpr_dispatch_id 0
		.amdhsa_user_sgpr_kernarg_preload_length 0
		.amdhsa_user_sgpr_kernarg_preload_offset 0
		.amdhsa_user_sgpr_private_segment_size 0
		.amdhsa_uses_dynamic_stack 0
		.amdhsa_enable_private_segment 0
		.amdhsa_system_sgpr_workgroup_id_x 1
		.amdhsa_system_sgpr_workgroup_id_y 0
		.amdhsa_system_sgpr_workgroup_id_z 1
		.amdhsa_system_sgpr_workgroup_info 0
		.amdhsa_system_vgpr_workitem_id 0
		.amdhsa_next_free_vgpr 23
		.amdhsa_next_free_sgpr 30
		.amdhsa_accum_offset 24
		.amdhsa_reserve_vcc 1
		.amdhsa_float_round_mode_32 0
		.amdhsa_float_round_mode_16_64 0
		.amdhsa_float_denorm_mode_32 3
		.amdhsa_float_denorm_mode_16_64 3
		.amdhsa_dx10_clamp 1
		.amdhsa_ieee_mode 1
		.amdhsa_fp16_overflow 0
		.amdhsa_tg_split 0
		.amdhsa_exception_fp_ieee_invalid_op 0
		.amdhsa_exception_fp_denorm_src 0
		.amdhsa_exception_fp_ieee_div_zero 0
		.amdhsa_exception_fp_ieee_overflow 0
		.amdhsa_exception_fp_ieee_underflow 0
		.amdhsa_exception_fp_ieee_inexact 0
		.amdhsa_exception_int_div_zero 0
	.end_amdhsa_kernel
	.section	.text._ZL30rocblas_trsm_small_left_deviceILi4ELi4ELb0EffPKPKfPKPfEv13rocblas_fill_18rocblas_operation_17rocblas_diagonal_iiT3_T4_lilT5_lili,"axG",@progbits,_ZL30rocblas_trsm_small_left_deviceILi4ELi4ELb0EffPKPKfPKPfEv13rocblas_fill_18rocblas_operation_17rocblas_diagonal_iiT3_T4_lilT5_lili,comdat
.Lfunc_end2:
	.size	_ZL30rocblas_trsm_small_left_deviceILi4ELi4ELb0EffPKPKfPKPfEv13rocblas_fill_18rocblas_operation_17rocblas_diagonal_iiT3_T4_lilT5_lili, .Lfunc_end2-_ZL30rocblas_trsm_small_left_deviceILi4ELi4ELb0EffPKPKfPKPfEv13rocblas_fill_18rocblas_operation_17rocblas_diagonal_iiT3_T4_lilT5_lili
                                        ; -- End function
	.set _ZL30rocblas_trsm_small_left_deviceILi4ELi4ELb0EffPKPKfPKPfEv13rocblas_fill_18rocblas_operation_17rocblas_diagonal_iiT3_T4_lilT5_lili.num_vgpr, 23
	.set _ZL30rocblas_trsm_small_left_deviceILi4ELi4ELb0EffPKPKfPKPfEv13rocblas_fill_18rocblas_operation_17rocblas_diagonal_iiT3_T4_lilT5_lili.num_agpr, 0
	.set _ZL30rocblas_trsm_small_left_deviceILi4ELi4ELb0EffPKPKfPKPfEv13rocblas_fill_18rocblas_operation_17rocblas_diagonal_iiT3_T4_lilT5_lili.numbered_sgpr, 30
	.set _ZL30rocblas_trsm_small_left_deviceILi4ELi4ELb0EffPKPKfPKPfEv13rocblas_fill_18rocblas_operation_17rocblas_diagonal_iiT3_T4_lilT5_lili.num_named_barrier, 0
	.set _ZL30rocblas_trsm_small_left_deviceILi4ELi4ELb0EffPKPKfPKPfEv13rocblas_fill_18rocblas_operation_17rocblas_diagonal_iiT3_T4_lilT5_lili.private_seg_size, 0
	.set _ZL30rocblas_trsm_small_left_deviceILi4ELi4ELb0EffPKPKfPKPfEv13rocblas_fill_18rocblas_operation_17rocblas_diagonal_iiT3_T4_lilT5_lili.uses_vcc, 1
	.set _ZL30rocblas_trsm_small_left_deviceILi4ELi4ELb0EffPKPKfPKPfEv13rocblas_fill_18rocblas_operation_17rocblas_diagonal_iiT3_T4_lilT5_lili.uses_flat_scratch, 0
	.set _ZL30rocblas_trsm_small_left_deviceILi4ELi4ELb0EffPKPKfPKPfEv13rocblas_fill_18rocblas_operation_17rocblas_diagonal_iiT3_T4_lilT5_lili.has_dyn_sized_stack, 0
	.set _ZL30rocblas_trsm_small_left_deviceILi4ELi4ELb0EffPKPKfPKPfEv13rocblas_fill_18rocblas_operation_17rocblas_diagonal_iiT3_T4_lilT5_lili.has_recursion, 0
	.set _ZL30rocblas_trsm_small_left_deviceILi4ELi4ELb0EffPKPKfPKPfEv13rocblas_fill_18rocblas_operation_17rocblas_diagonal_iiT3_T4_lilT5_lili.has_indirect_call, 0
	.section	.AMDGPU.csdata,"",@progbits
; Kernel info:
; codeLenInByte = 2096
; TotalNumSgprs: 36
; NumVgprs: 23
; NumAgprs: 0
; TotalNumVgprs: 23
; ScratchSize: 0
; MemoryBound: 0
; FloatMode: 240
; IeeeMode: 1
; LDSByteSize: 64 bytes/workgroup (compile time only)
; SGPRBlocks: 4
; VGPRBlocks: 2
; NumSGPRsForWavesPerEU: 36
; NumVGPRsForWavesPerEU: 23
; AccumOffset: 24
; Occupancy: 8
; WaveLimiterHint : 1
; COMPUTE_PGM_RSRC2:SCRATCH_EN: 0
; COMPUTE_PGM_RSRC2:USER_SGPR: 2
; COMPUTE_PGM_RSRC2:TRAP_HANDLER: 0
; COMPUTE_PGM_RSRC2:TGID_X_EN: 1
; COMPUTE_PGM_RSRC2:TGID_Y_EN: 0
; COMPUTE_PGM_RSRC2:TGID_Z_EN: 1
; COMPUTE_PGM_RSRC2:TIDIG_COMP_CNT: 0
; COMPUTE_PGM_RSRC3_GFX90A:ACCUM_OFFSET: 5
; COMPUTE_PGM_RSRC3_GFX90A:TG_SPLIT: 0
	.section	.text._ZL38rocblas_trsm_small_left_device_sharedBILi4ELi4ELb1EffPKPKfPKPfEv13rocblas_fill_18rocblas_operation_17rocblas_diagonal_iiT3_T4_lilT5_lili,"axG",@progbits,_ZL38rocblas_trsm_small_left_device_sharedBILi4ELi4ELb1EffPKPKfPKPfEv13rocblas_fill_18rocblas_operation_17rocblas_diagonal_iiT3_T4_lilT5_lili,comdat
	.globl	_ZL38rocblas_trsm_small_left_device_sharedBILi4ELi4ELb1EffPKPKfPKPfEv13rocblas_fill_18rocblas_operation_17rocblas_diagonal_iiT3_T4_lilT5_lili ; -- Begin function _ZL38rocblas_trsm_small_left_device_sharedBILi4ELi4ELb1EffPKPKfPKPfEv13rocblas_fill_18rocblas_operation_17rocblas_diagonal_iiT3_T4_lilT5_lili
	.p2align	8
	.type	_ZL38rocblas_trsm_small_left_device_sharedBILi4ELi4ELb1EffPKPKfPKPfEv13rocblas_fill_18rocblas_operation_17rocblas_diagonal_iiT3_T4_lilT5_lili,@function
_ZL38rocblas_trsm_small_left_device_sharedBILi4ELi4ELb1EffPKPKfPKPfEv13rocblas_fill_18rocblas_operation_17rocblas_diagonal_iiT3_T4_lilT5_lili: ; @_ZL38rocblas_trsm_small_left_device_sharedBILi4ELi4ELb1EffPKPKfPKPfEv13rocblas_fill_18rocblas_operation_17rocblas_diagonal_iiT3_T4_lilT5_lili
; %bb.0:
	s_load_dwordx4 s[8:11], s[0:1], 0x38
	s_load_dwordx4 s[4:7], s[0:1], 0x4
	s_load_dword s24, s[0:1], 0x14
	s_mov_b32 s18, s3
	s_mov_b32 s19, 0
	s_lshl_b64 s[22:23], s[18:19], 3
	s_waitcnt lgkmcnt(0)
	s_add_u32 s8, s8, s22
	s_addc_u32 s9, s9, s23
	s_load_dwordx2 s[8:9], s[8:9], 0x0
	s_min_i32 s18, s6, 4
	v_cmp_gt_i32_e32 vcc, s18, v0
	s_and_saveexec_b64 s[16:17], vcc
	s_cbranch_execz .LBB3_11
; %bb.1:
	s_load_dwordx4 s[12:15], s[0:1], 0x18
	s_load_dword s20, s[0:1], 0x28
	v_lshlrev_b32_e32 v2, 2, v0
	v_mov_b32_e32 v3, 0
	s_mov_b32 s3, 1
	s_waitcnt lgkmcnt(0)
	s_add_u32 s12, s12, s22
	s_addc_u32 s13, s13, s23
	s_load_dwordx2 s[12:13], s[12:13], 0x0
	s_cmp_lt_u32 s18, 2
	s_cselect_b64 s[26:27], -1, 0
	s_cmp_lg_u32 s20, 1
	s_cselect_b64 s[28:29], -1, 0
	s_or_b64 s[26:27], s[26:27], s[28:29]
	s_mov_b64 s[22:23], -1
	s_and_b64 vcc, exec, s[26:27]
	s_cbranch_vccnz .LBB3_5
; %bb.2:
	s_lshl_b64 s[22:23], s[14:15], 2
	s_waitcnt lgkmcnt(0)
	s_add_u32 s22, s12, s22
	s_addc_u32 s23, s13, s23
	s_and_b32 s19, s18, -2
	v_lshl_add_u64 v[4:5], s[22:23], 0, v[2:3]
	s_mov_b32 s21, 0
	s_mov_b32 s22, s19
.LBB3_3:                                ; =>This Inner Loop Header: Depth=1
	flat_load_dwordx2 v[6:7], v[4:5]
	v_lshl_or_b32 v1, s21, 4, v2
	v_lshl_or_b32 v3, s3, 4, v2
	s_add_i32 s21, s21, 2
	s_add_i32 s3, s3, 2
	s_add_i32 s22, s22, -2
	v_lshl_add_u64 v[4:5], v[4:5], 0, 8
	s_cmp_lg_u32 s22, 0
	s_waitcnt vmcnt(0) lgkmcnt(0)
	ds_write_b32 v1, v6
	ds_write_b32 v3, v7
	s_cbranch_scc1 .LBB3_3
; %bb.4:
	s_cmp_lg_u32 s18, s19
	s_cselect_b64 s[22:23], -1, 0
.LBB3_5:
	s_and_b64 vcc, exec, s[22:23]
	s_cbranch_vccz .LBB3_8
; %bb.6:
	s_ashr_i32 s21, s20, 31
	s_mul_hi_u32 s3, s20, s19
	s_mul_i32 s22, s21, s19
	s_add_i32 s23, s3, s22
	s_mul_i32 s22, s20, s19
	s_lshl_b64 s[22:23], s[22:23], 2
	s_lshl_b64 s[14:15], s[14:15], 2
	s_add_u32 s3, s22, s14
	s_addc_u32 s14, s23, s15
	s_waitcnt lgkmcnt(0)
	s_add_u32 s12, s12, s3
	v_mov_b32_e32 v3, 0
	s_addc_u32 s13, s13, s14
	v_lshl_add_u64 v[4:5], s[12:13], 0, v[2:3]
	s_lshl_b64 s[12:13], s[20:21], 2
	s_sub_i32 s3, s18, s19
	v_lshl_or_b32 v1, s19, 4, v2
.LBB3_7:                                ; =>This Inner Loop Header: Depth=1
	flat_load_dword v3, v[4:5]
	s_add_i32 s3, s3, -1
	v_lshl_add_u64 v[4:5], v[4:5], 0, s[12:13]
	s_cmp_eq_u32 s3, 0
	s_waitcnt vmcnt(0) lgkmcnt(0)
	ds_write_b32 v1, v3
	v_add_u32_e32 v1, 16, v1
	s_cbranch_scc0 .LBB3_7
.LBB3_8:
	v_lshlrev_b32_e32 v1, 4, v0
	s_cmpk_lg_i32 s5, 0x84
	v_mov_b32_e32 v3, 1.0
	v_add_u32_e32 v1, v2, v1
	s_cbranch_scc0 .LBB3_10
; %bb.9:
	ds_read_b32 v2, v1
	s_waitcnt lgkmcnt(0)
	v_div_scale_f32 v3, s[12:13], v2, v2, 1.0
	v_rcp_f32_e32 v4, v3
	v_div_scale_f32 v5, vcc, 1.0, v2, 1.0
	v_fma_f32 v6, -v3, v4, 1.0
	v_fmac_f32_e32 v4, v6, v4
	v_mul_f32_e32 v6, v5, v4
	v_fma_f32 v7, -v3, v6, v5
	v_fmac_f32_e32 v6, v7, v4
	v_fma_f32 v3, -v3, v6, v5
	v_div_fmas_f32 v3, v3, v4, v6
	v_div_fixup_f32 v3, v3, v2, 1.0
.LBB3_10:
	ds_write_b32 v1, v3
.LBB3_11:
	s_or_b64 exec, exec, s[16:17]
	s_load_dword s3, s[0:1], 0x60
	s_waitcnt lgkmcnt(0)
	s_load_dword s12, s[0:1], 0x48
	s_lshl_b64 s[0:1], s[10:11], 2
	s_add_u32 s5, s8, s0
	s_addc_u32 s8, s9, s1
	s_lshl_b32 s0, s2, 2
	s_add_i32 s3, s3, -1
	s_sub_i32 s1, s7, s0
	s_cmp_ge_u32 s2, s3
	s_cselect_b32 s7, s1, 4
	s_waitcnt lgkmcnt(0)
	s_mul_hi_i32 s1, s12, s0
	s_mul_i32 s0, s12, s0
	s_lshl_b64 s[0:1], s[0:1], 2
	s_add_u32 s2, s5, s0
	s_addc_u32 s3, s8, s1
	s_cmp_gt_i32 s6, 0
	v_cmp_gt_i32_e64 s[0:1], s7, v0
	s_cselect_b64 s[8:9], -1, 0
	s_and_b64 s[14:15], s[0:1], s[8:9]
	v_lshl_or_b32 v5, v0, 2, 64
	s_and_saveexec_b64 s[10:11], s[14:15]
	s_cbranch_execz .LBB3_14
; %bb.12:
	v_mad_i64_i32 v[2:3], s[14:15], s12, v0, 0
	v_lshl_add_u64 v[2:3], v[2:3], 2, s[2:3]
	v_lshl_or_b32 v1, v0, 2, 64
	s_mov_b32 s5, s18
.LBB3_13:                               ; =>This Inner Loop Header: Depth=1
	flat_load_dword v4, v[2:3]
	s_add_i32 s5, s5, -1
	v_lshl_add_u64 v[2:3], v[2:3], 0, 4
	s_cmp_lg_u32 s5, 0
	s_waitcnt vmcnt(0) lgkmcnt(0)
	v_mul_f32_e32 v4, s24, v4
	ds_write_b32 v1, v4
	v_add_u32_e32 v1, 16, v1
	s_cbranch_scc1 .LBB3_13
.LBB3_14:
	s_or_b64 exec, exec, s[10:11]
	s_cmpk_eq_i32 s4, 0x6f
	s_mov_b64 s[4:5], -1
	s_waitcnt lgkmcnt(0)
	; wave barrier
	s_cbranch_scc1 .LBB3_35
; %bb.15:
	s_add_i32 s4, s18, -1
	s_cmp_gt_i32 s6, 3
	s_mov_b32 s7, -1
	s_cbranch_scc0 .LBB3_17
; %bb.16:
	ds_read2_b32 v[2:3], v5 offset0:8 offset1:12
	v_mov_b32_e32 v1, 0
	ds_read_b128 v[6:9], v1
	ds_read_b32 v4, v1 offset:20
	ds_read_b32 v18, v1 offset:60
	ds_read2_b64 v[10:13], v1 offset0:3 offset1:5
	ds_read2_b32 v[14:15], v5 offset1:4
	s_waitcnt lgkmcnt(4)
	v_mov_b32_e32 v16, v7
	v_mov_b32_e32 v17, v8
	s_waitcnt lgkmcnt(2)
	v_mul_f32_e32 v3, v3, v18
	s_waitcnt lgkmcnt(1)
	v_fma_f32 v1, -v3, v13, v2
	v_mul_f32_e32 v2, v1, v12
	v_pk_mul_f32 v[10:11], v[2:3], v[10:11]
	s_waitcnt lgkmcnt(0)
	v_fma_f32 v7, -v3, v9, v14
	v_sub_f32_e32 v1, v15, v11
	v_sub_f32_e32 v1, v1, v10
	v_mul_f32_e32 v8, v1, v4
	v_mov_b32_e32 v9, v2
	ds_write2_b32 v5, v2, v3 offset0:8 offset1:12
	v_pk_mul_f32 v[2:3], v[8:9], v[16:17]
	s_nop 0
	v_sub_f32_e32 v1, v7, v3
	v_sub_f32_e32 v1, v1, v2
	v_mul_f32_e32 v1, v1, v6
	ds_write2_b32 v5, v1, v8 offset1:4
	s_cmp_lt_i32 s7, 0
	s_cbranch_scc0 .LBB3_18
	s_branch .LBB3_34
.LBB3_17:
	s_mov_b32 s7, s4
	s_cmp_lt_i32 s7, 0
	s_cbranch_scc1 .LBB3_34
.LBB3_18:
	s_and_b32 s5, s7, 3
	s_cmp_eq_u32 s5, 3
	v_lshlrev_b32_e32 v1, 2, v0
	s_mov_b32 s5, s7
	s_cbranch_scc1 .LBB3_23
; %bb.19:
	s_add_i32 s5, s7, 1
	s_and_b32 s10, s5, 3
	s_lshl_b32 s5, s7, 4
	s_lshl_b32 s11, s18, 2
	s_add_i32 s5, s5, s11
	v_lshl_or_b32 v2, s18, 4, v1
	s_add_i32 s11, s5, -4
	v_add_u32_e32 v3, 48, v2
	s_mov_b32 s13, 0
	s_mov_b32 s5, s7
	s_branch .LBB3_21
.LBB3_20:                               ;   in Loop: Header=BB3_21 Depth=1
	s_mul_i32 s14, s5, 20
	v_mov_b32_e32 v6, s14
	ds_read_b32 v6, v6
	s_add_i32 s5, s5, -1
	s_add_i32 s13, s13, 1
	s_add_i32 s11, s11, -16
	s_cmp_lg_u32 s13, s10
	s_waitcnt lgkmcnt(0)
	v_mul_f32_e32 v2, v2, v6
	ds_write_b32 v4, v2
	s_cbranch_scc0 .LBB3_23
.LBB3_21:                               ; =>This Loop Header: Depth=1
                                        ;     Child Loop BB3_22 Depth 2
	s_lshl_b32 s14, s5, 4
	v_add_u32_e32 v4, s14, v5
	ds_read_b32 v2, v4
	s_cmp_le_i32 s4, s5
	v_mov_b32_e32 v6, v3
	s_mov_b32 s14, s11
	s_mov_b32 s15, s4
	s_cbranch_scc1 .LBB3_20
.LBB3_22:                               ;   Parent Loop BB3_21 Depth=1
                                        ; =>  This Inner Loop Header: Depth=2
	v_mov_b32_e32 v8, s14
	ds_read_b32 v7, v6
	ds_read_b32 v8, v8
	s_add_i32 s15, s15, -1
	s_add_i32 s14, s14, -4
	v_add_u32_e32 v6, -16, v6
	s_cmp_gt_i32 s15, s5
	s_waitcnt lgkmcnt(0)
	v_fma_f32 v2, -v7, v8, v2
	s_cbranch_scc1 .LBB3_22
	s_branch .LBB3_20
.LBB3_23:
	s_cmp_lt_u32 s7, 3
	s_cbranch_scc1 .LBB3_34
; %bb.24:
	s_lshl_b32 s7, s5, 4
	s_lshl_b32 s10, s18, 2
	s_add_i32 s13, s7, s10
	v_lshl_or_b32 v1, s18, 4, v1
	s_add_i32 s7, s13, -4
	v_add_u32_e32 v1, 48, v1
	s_sub_i32 s10, s13, 20
	s_sub_i32 s11, s13, 36
	;; [unrolled: 1-line block ×3, first 2 shown]
	s_branch .LBB3_26
.LBB3_25:                               ;   in Loop: Header=BB3_26 Depth=1
	s_sub_i32 s14, s14, 20
	v_mov_b32_e32 v2, s14
	ds_read_b32 v2, v2
	s_add_i32 s14, s5, -4
	s_sub_i32 s7, s7, 64
	s_sub_i32 s10, s10, 64
	;; [unrolled: 1-line block ×4, first 2 shown]
	s_waitcnt lgkmcnt(0)
	v_mul_f32_e32 v2, v4, v2
	s_cmp_lt_i32 s5, 4
	s_mov_b32 s5, s14
	ds_write_b32 v3, v2
	s_cbranch_scc1 .LBB3_34
.LBB3_26:                               ; =>This Loop Header: Depth=1
                                        ;     Child Loop BB3_27 Depth 2
                                        ;     Child Loop BB3_29 Depth 2
	;; [unrolled: 1-line block ×4, first 2 shown]
	s_lshl_b32 s15, s5, 4
	v_add_u32_e32 v6, s15, v5
	ds_read_b32 v2, v6
	s_cmp_le_i32 s4, s5
	v_mov_b32_e32 v3, v1
	s_mov_b32 s14, s7
	s_mov_b32 s16, s4
	s_cbranch_scc1 .LBB3_28
.LBB3_27:                               ;   Parent Loop BB3_26 Depth=1
                                        ; =>  This Inner Loop Header: Depth=2
	v_mov_b32_e32 v7, s14
	ds_read_b32 v4, v3
	ds_read_b32 v7, v7
	s_add_i32 s16, s16, -1
	s_add_i32 s14, s14, -4
	v_add_u32_e32 v3, -16, v3
	s_cmp_gt_i32 s16, s5
	s_waitcnt lgkmcnt(0)
	v_fma_f32 v2, -v4, v7, v2
	s_cbranch_scc1 .LBB3_27
.LBB3_28:                               ;   in Loop: Header=BB3_26 Depth=1
	s_mul_i32 s14, s5, 20
	v_mov_b32_e32 v3, s14
	ds_read_b32 v7, v3
	s_add_i32 s15, s15, -16
	v_add_u32_e32 v3, s15, v5
	ds_read_b32 v4, v3
	s_cmp_le_i32 s18, s5
	s_waitcnt lgkmcnt(1)
	v_mul_f32_e32 v2, v2, v7
	ds_write_b32 v6, v2
	v_mov_b32_e32 v2, v1
	s_mov_b32 s15, s10
	s_mov_b32 s16, s18
	s_cbranch_scc1 .LBB3_30
.LBB3_29:                               ;   Parent Loop BB3_26 Depth=1
                                        ; =>  This Inner Loop Header: Depth=2
	v_mov_b32_e32 v7, s15
	ds_read_b32 v6, v2
	ds_read_b32 v7, v7
	s_add_i32 s16, s16, -1
	s_add_i32 s15, s15, -4
	v_add_u32_e32 v2, -16, v2
	s_cmp_gt_i32 s16, s5
	s_waitcnt lgkmcnt(0)
	v_fma_f32 v4, -v6, v7, v4
	s_cbranch_scc1 .LBB3_29
.LBB3_30:                               ;   in Loop: Header=BB3_26 Depth=1
	s_sub_i32 s14, s14, 20
	v_mov_b32_e32 v2, s14
	s_add_i32 s15, s5, -2
	ds_read_b32 v7, v2
	s_lshl_b32 s16, s15, 4
	v_add_u32_e32 v6, s16, v5
	ds_read_b32 v2, v6
	s_cmp_le_i32 s4, s15
	s_waitcnt lgkmcnt(1)
	v_mul_f32_e32 v4, v4, v7
	ds_write_b32 v3, v4
	v_mov_b32_e32 v3, v1
	s_mov_b32 s16, s11
	s_mov_b32 s17, s4
	s_cbranch_scc1 .LBB3_32
.LBB3_31:                               ;   Parent Loop BB3_26 Depth=1
                                        ; =>  This Inner Loop Header: Depth=2
	v_mov_b32_e32 v7, s16
	ds_read_b32 v4, v3
	ds_read_b32 v7, v7
	s_add_i32 s17, s17, -1
	s_add_i32 s16, s16, -4
	v_add_u32_e32 v3, -16, v3
	s_cmp_gt_i32 s17, s15
	s_waitcnt lgkmcnt(0)
	v_fma_f32 v2, -v4, v7, v2
	s_cbranch_scc1 .LBB3_31
.LBB3_32:                               ;   in Loop: Header=BB3_26 Depth=1
	s_sub_i32 s14, s14, 20
	v_mov_b32_e32 v3, s14
	s_add_i32 s15, s5, -3
	ds_read_b32 v7, v3
	s_lshl_b32 s16, s15, 4
	v_add_u32_e32 v3, s16, v5
	ds_read_b32 v4, v3
	s_cmp_le_i32 s4, s15
	s_waitcnt lgkmcnt(1)
	v_mul_f32_e32 v2, v2, v7
	ds_write_b32 v6, v2
	v_mov_b32_e32 v2, v1
	s_mov_b32 s16, s13
	s_mov_b32 s17, s4
	s_cbranch_scc1 .LBB3_25
.LBB3_33:                               ;   Parent Loop BB3_26 Depth=1
                                        ; =>  This Inner Loop Header: Depth=2
	v_mov_b32_e32 v7, s16
	ds_read_b32 v6, v2
	ds_read_b32 v7, v7
	s_add_i32 s17, s17, -1
	s_add_i32 s16, s16, -4
	v_add_u32_e32 v2, -16, v2
	s_cmp_gt_i32 s17, s15
	s_waitcnt lgkmcnt(0)
	v_fma_f32 v4, -v6, v7, v4
	s_cbranch_scc1 .LBB3_33
	s_branch .LBB3_25
.LBB3_34:
	s_mov_b64 s[4:5], 0
.LBB3_35:
	s_and_b64 vcc, exec, s[4:5]
	s_cbranch_vccz .LBB3_43
; %bb.36:
	s_cmp_gt_i32 s6, 3
	s_cbranch_scc0 .LBB3_38
; %bb.37:
	ds_read2_b32 v[2:3], v5 offset1:4
	ds_read2_b32 v[10:11], v5 offset0:8 offset1:12
	v_mov_b32_e32 v1, 0
	ds_read_b128 v[6:9], v1
	ds_read2_b32 v[12:13], v1 offset0:5 offset1:6
	ds_read_b64 v[14:15], v1 offset:40
	ds_read_b32 v4, v1 offset:60
	ds_read2_b32 v[16:17], v1 offset0:7 offset1:8
	s_mov_b32 s4, 4
	s_waitcnt lgkmcnt(4)
	v_mul_f32_e32 v2, v2, v6
	v_fma_f32 v1, -v2, v7, v3
	s_waitcnt lgkmcnt(3)
	v_mul_f32_e32 v3, v1, v12
	v_mov_b32_e32 v12, v8
	v_pk_mul_f32 v[6:7], v[2:3], v[12:13]
	s_waitcnt lgkmcnt(0)
	v_mov_b32_e32 v17, v15
	v_sub_f32_e32 v1, v10, v6
	v_sub_f32_e32 v1, v1, v7
	v_mul_f32_e32 v7, v1, v14
	v_mov_b32_e32 v6, v3
	v_fma_f32 v8, -v2, v9, v11
	ds_write2_b32 v5, v2, v3 offset1:4
	v_pk_mul_f32 v[2:3], v[6:7], v[16:17]
	s_nop 0
	v_sub_f32_e32 v1, v8, v2
	v_sub_f32_e32 v1, v1, v3
	v_mul_f32_e32 v1, v1, v4
	ds_write2_b32 v5, v7, v1 offset0:8 offset1:12
	s_cmp_ge_i32 s4, s18
	s_cbranch_scc0 .LBB3_39
	s_branch .LBB3_43
.LBB3_38:
	s_mov_b32 s4, 0
	s_cmp_ge_i32 s4, s18
	s_cbranch_scc1 .LBB3_43
.LBB3_39:
	s_lshl_b32 s5, s4, 2
	v_lshl_or_b32 v1, v0, 2, 64
	s_branch .LBB3_41
.LBB3_40:                               ;   in Loop: Header=BB3_41 Depth=1
	s_lshl_b32 s7, s4, 2
	s_add_i32 s6, s7, s6
	v_mov_b32_e32 v4, s6
	ds_read_b32 v4, v4
	s_add_i32 s4, s4, 1
	s_add_i32 s5, s5, 4
	s_cmp_ge_i32 s4, s18
	s_waitcnt lgkmcnt(0)
	v_mul_f32_e32 v2, v2, v4
	ds_write_b32 v3, v2
	s_cbranch_scc1 .LBB3_43
.LBB3_41:                               ; =>This Loop Header: Depth=1
                                        ;     Child Loop BB3_42 Depth 2
	s_lshl_b32 s6, s4, 4
	v_add_u32_e32 v3, s6, v5
	ds_read_b32 v2, v3
	s_cmp_eq_u32 s4, 0
	v_mov_b32_e32 v4, v1
	s_mov_b32 s7, s5
	s_mov_b32 s10, s4
	s_cbranch_scc1 .LBB3_40
.LBB3_42:                               ;   Parent Loop BB3_41 Depth=1
                                        ; =>  This Inner Loop Header: Depth=2
	v_mov_b32_e32 v7, s7
	ds_read_b32 v6, v4
	ds_read_b32 v7, v7
	s_add_i32 s10, s10, -1
	s_add_i32 s7, s7, 16
	v_add_u32_e32 v4, 16, v4
	s_cmp_lg_u32 s10, 0
	s_waitcnt lgkmcnt(0)
	v_fma_f32 v2, -v6, v7, v2
	s_cbranch_scc1 .LBB3_42
	s_branch .LBB3_40
.LBB3_43:
	s_waitcnt lgkmcnt(0)
	; wave barrier
	s_and_saveexec_b64 s[4:5], s[0:1]
	s_cbranch_execz .LBB3_47
; %bb.44:
	s_andn2_b64 vcc, exec, s[8:9]
	s_cbranch_vccnz .LBB3_47
; %bb.45:
	v_mad_i64_i32 v[0:1], s[0:1], s12, v0, 0
	v_lshl_add_u64 v[0:1], v[0:1], 2, s[2:3]
.LBB3_46:                               ; =>This Inner Loop Header: Depth=1
	ds_read_b32 v2, v5
	s_add_i32 s18, s18, -1
	v_add_u32_e32 v5, 16, v5
	s_cmp_lg_u32 s18, 0
	s_waitcnt lgkmcnt(0)
	flat_store_dword v[0:1], v2
	v_lshl_add_u64 v[0:1], v[0:1], 0, 4
	s_cbranch_scc1 .LBB3_46
.LBB3_47:
	s_endpgm
	.section	.rodata,"a",@progbits
	.p2align	6, 0x0
	.amdhsa_kernel _ZL38rocblas_trsm_small_left_device_sharedBILi4ELi4ELb1EffPKPKfPKPfEv13rocblas_fill_18rocblas_operation_17rocblas_diagonal_iiT3_T4_lilT5_lili
		.amdhsa_group_segment_fixed_size 128
		.amdhsa_private_segment_fixed_size 0
		.amdhsa_kernarg_size 352
		.amdhsa_user_sgpr_count 2
		.amdhsa_user_sgpr_dispatch_ptr 0
		.amdhsa_user_sgpr_queue_ptr 0
		.amdhsa_user_sgpr_kernarg_segment_ptr 1
		.amdhsa_user_sgpr_dispatch_id 0
		.amdhsa_user_sgpr_kernarg_preload_length 0
		.amdhsa_user_sgpr_kernarg_preload_offset 0
		.amdhsa_user_sgpr_private_segment_size 0
		.amdhsa_uses_dynamic_stack 0
		.amdhsa_enable_private_segment 0
		.amdhsa_system_sgpr_workgroup_id_x 1
		.amdhsa_system_sgpr_workgroup_id_y 0
		.amdhsa_system_sgpr_workgroup_id_z 1
		.amdhsa_system_sgpr_workgroup_info 0
		.amdhsa_system_vgpr_workitem_id 0
		.amdhsa_next_free_vgpr 19
		.amdhsa_next_free_sgpr 30
		.amdhsa_accum_offset 20
		.amdhsa_reserve_vcc 1
		.amdhsa_float_round_mode_32 0
		.amdhsa_float_round_mode_16_64 0
		.amdhsa_float_denorm_mode_32 3
		.amdhsa_float_denorm_mode_16_64 3
		.amdhsa_dx10_clamp 1
		.amdhsa_ieee_mode 1
		.amdhsa_fp16_overflow 0
		.amdhsa_tg_split 0
		.amdhsa_exception_fp_ieee_invalid_op 0
		.amdhsa_exception_fp_denorm_src 0
		.amdhsa_exception_fp_ieee_div_zero 0
		.amdhsa_exception_fp_ieee_overflow 0
		.amdhsa_exception_fp_ieee_underflow 0
		.amdhsa_exception_fp_ieee_inexact 0
		.amdhsa_exception_int_div_zero 0
	.end_amdhsa_kernel
	.section	.text._ZL38rocblas_trsm_small_left_device_sharedBILi4ELi4ELb1EffPKPKfPKPfEv13rocblas_fill_18rocblas_operation_17rocblas_diagonal_iiT3_T4_lilT5_lili,"axG",@progbits,_ZL38rocblas_trsm_small_left_device_sharedBILi4ELi4ELb1EffPKPKfPKPfEv13rocblas_fill_18rocblas_operation_17rocblas_diagonal_iiT3_T4_lilT5_lili,comdat
.Lfunc_end3:
	.size	_ZL38rocblas_trsm_small_left_device_sharedBILi4ELi4ELb1EffPKPKfPKPfEv13rocblas_fill_18rocblas_operation_17rocblas_diagonal_iiT3_T4_lilT5_lili, .Lfunc_end3-_ZL38rocblas_trsm_small_left_device_sharedBILi4ELi4ELb1EffPKPKfPKPfEv13rocblas_fill_18rocblas_operation_17rocblas_diagonal_iiT3_T4_lilT5_lili
                                        ; -- End function
	.set _ZL38rocblas_trsm_small_left_device_sharedBILi4ELi4ELb1EffPKPKfPKPfEv13rocblas_fill_18rocblas_operation_17rocblas_diagonal_iiT3_T4_lilT5_lili.num_vgpr, 19
	.set _ZL38rocblas_trsm_small_left_device_sharedBILi4ELi4ELb1EffPKPKfPKPfEv13rocblas_fill_18rocblas_operation_17rocblas_diagonal_iiT3_T4_lilT5_lili.num_agpr, 0
	.set _ZL38rocblas_trsm_small_left_device_sharedBILi4ELi4ELb1EffPKPKfPKPfEv13rocblas_fill_18rocblas_operation_17rocblas_diagonal_iiT3_T4_lilT5_lili.numbered_sgpr, 30
	.set _ZL38rocblas_trsm_small_left_device_sharedBILi4ELi4ELb1EffPKPKfPKPfEv13rocblas_fill_18rocblas_operation_17rocblas_diagonal_iiT3_T4_lilT5_lili.num_named_barrier, 0
	.set _ZL38rocblas_trsm_small_left_device_sharedBILi4ELi4ELb1EffPKPKfPKPfEv13rocblas_fill_18rocblas_operation_17rocblas_diagonal_iiT3_T4_lilT5_lili.private_seg_size, 0
	.set _ZL38rocblas_trsm_small_left_device_sharedBILi4ELi4ELb1EffPKPKfPKPfEv13rocblas_fill_18rocblas_operation_17rocblas_diagonal_iiT3_T4_lilT5_lili.uses_vcc, 1
	.set _ZL38rocblas_trsm_small_left_device_sharedBILi4ELi4ELb1EffPKPKfPKPfEv13rocblas_fill_18rocblas_operation_17rocblas_diagonal_iiT3_T4_lilT5_lili.uses_flat_scratch, 0
	.set _ZL38rocblas_trsm_small_left_device_sharedBILi4ELi4ELb1EffPKPKfPKPfEv13rocblas_fill_18rocblas_operation_17rocblas_diagonal_iiT3_T4_lilT5_lili.has_dyn_sized_stack, 0
	.set _ZL38rocblas_trsm_small_left_device_sharedBILi4ELi4ELb1EffPKPKfPKPfEv13rocblas_fill_18rocblas_operation_17rocblas_diagonal_iiT3_T4_lilT5_lili.has_recursion, 0
	.set _ZL38rocblas_trsm_small_left_device_sharedBILi4ELi4ELb1EffPKPKfPKPfEv13rocblas_fill_18rocblas_operation_17rocblas_diagonal_iiT3_T4_lilT5_lili.has_indirect_call, 0
	.section	.AMDGPU.csdata,"",@progbits
; Kernel info:
; codeLenInByte = 2172
; TotalNumSgprs: 36
; NumVgprs: 19
; NumAgprs: 0
; TotalNumVgprs: 19
; ScratchSize: 0
; MemoryBound: 0
; FloatMode: 240
; IeeeMode: 1
; LDSByteSize: 128 bytes/workgroup (compile time only)
; SGPRBlocks: 4
; VGPRBlocks: 2
; NumSGPRsForWavesPerEU: 36
; NumVGPRsForWavesPerEU: 19
; AccumOffset: 20
; Occupancy: 8
; WaveLimiterHint : 0
; COMPUTE_PGM_RSRC2:SCRATCH_EN: 0
; COMPUTE_PGM_RSRC2:USER_SGPR: 2
; COMPUTE_PGM_RSRC2:TRAP_HANDLER: 0
; COMPUTE_PGM_RSRC2:TGID_X_EN: 1
; COMPUTE_PGM_RSRC2:TGID_Y_EN: 0
; COMPUTE_PGM_RSRC2:TGID_Z_EN: 1
; COMPUTE_PGM_RSRC2:TIDIG_COMP_CNT: 0
; COMPUTE_PGM_RSRC3_GFX90A:ACCUM_OFFSET: 4
; COMPUTE_PGM_RSRC3_GFX90A:TG_SPLIT: 0
	.section	.text._ZL30rocblas_trsm_small_left_deviceILi4ELi4ELb1EffPKPKfPKPfEv13rocblas_fill_18rocblas_operation_17rocblas_diagonal_iiT3_T4_lilT5_lili,"axG",@progbits,_ZL30rocblas_trsm_small_left_deviceILi4ELi4ELb1EffPKPKfPKPfEv13rocblas_fill_18rocblas_operation_17rocblas_diagonal_iiT3_T4_lilT5_lili,comdat
	.globl	_ZL30rocblas_trsm_small_left_deviceILi4ELi4ELb1EffPKPKfPKPfEv13rocblas_fill_18rocblas_operation_17rocblas_diagonal_iiT3_T4_lilT5_lili ; -- Begin function _ZL30rocblas_trsm_small_left_deviceILi4ELi4ELb1EffPKPKfPKPfEv13rocblas_fill_18rocblas_operation_17rocblas_diagonal_iiT3_T4_lilT5_lili
	.p2align	8
	.type	_ZL30rocblas_trsm_small_left_deviceILi4ELi4ELb1EffPKPKfPKPfEv13rocblas_fill_18rocblas_operation_17rocblas_diagonal_iiT3_T4_lilT5_lili,@function
_ZL30rocblas_trsm_small_left_deviceILi4ELi4ELb1EffPKPKfPKPfEv13rocblas_fill_18rocblas_operation_17rocblas_diagonal_iiT3_T4_lilT5_lili: ; @_ZL30rocblas_trsm_small_left_deviceILi4ELi4ELb1EffPKPKfPKPfEv13rocblas_fill_18rocblas_operation_17rocblas_diagonal_iiT3_T4_lilT5_lili
; %bb.0:
	s_load_dwordx4 s[8:11], s[0:1], 0x38
	s_load_dwordx4 s[4:7], s[0:1], 0x4
	s_load_dword s24, s[0:1], 0x14
	s_mov_b32 s18, s3
	s_mov_b32 s19, 0
	s_lshl_b64 s[22:23], s[18:19], 3
	s_waitcnt lgkmcnt(0)
	s_add_u32 s8, s8, s22
	s_addc_u32 s9, s9, s23
	s_load_dwordx2 s[8:9], s[8:9], 0x0
	s_min_i32 s18, s6, 4
	v_cmp_gt_i32_e32 vcc, s18, v0
	s_and_saveexec_b64 s[16:17], vcc
	s_cbranch_execz .LBB4_11
; %bb.1:
	s_load_dwordx4 s[12:15], s[0:1], 0x18
	s_load_dword s20, s[0:1], 0x28
	v_lshlrev_b32_e32 v2, 2, v0
	v_mov_b32_e32 v3, 0
	s_mov_b32 s3, 1
	s_waitcnt lgkmcnt(0)
	s_add_u32 s12, s12, s22
	s_addc_u32 s13, s13, s23
	s_load_dwordx2 s[12:13], s[12:13], 0x0
	s_cmp_lt_u32 s18, 2
	s_cselect_b64 s[26:27], -1, 0
	s_cmp_lg_u32 s20, 1
	s_cselect_b64 s[28:29], -1, 0
	s_or_b64 s[26:27], s[26:27], s[28:29]
	s_mov_b64 s[22:23], -1
	s_and_b64 vcc, exec, s[26:27]
	s_cbranch_vccnz .LBB4_5
; %bb.2:
	s_lshl_b64 s[22:23], s[14:15], 2
	s_waitcnt lgkmcnt(0)
	s_add_u32 s22, s12, s22
	s_addc_u32 s23, s13, s23
	s_and_b32 s19, s18, -2
	v_lshl_add_u64 v[4:5], s[22:23], 0, v[2:3]
	s_mov_b32 s21, 0
	s_mov_b32 s22, s19
.LBB4_3:                                ; =>This Inner Loop Header: Depth=1
	flat_load_dwordx2 v[6:7], v[4:5]
	v_lshl_or_b32 v1, s21, 4, v2
	v_lshl_or_b32 v3, s3, 4, v2
	s_add_i32 s21, s21, 2
	s_add_i32 s3, s3, 2
	s_add_i32 s22, s22, -2
	v_lshl_add_u64 v[4:5], v[4:5], 0, 8
	s_cmp_lg_u32 s22, 0
	s_waitcnt vmcnt(0) lgkmcnt(0)
	ds_write_b32 v1, v6
	ds_write_b32 v3, v7
	s_cbranch_scc1 .LBB4_3
; %bb.4:
	s_cmp_lg_u32 s18, s19
	s_cselect_b64 s[22:23], -1, 0
.LBB4_5:
	s_and_b64 vcc, exec, s[22:23]
	s_cbranch_vccz .LBB4_8
; %bb.6:
	s_ashr_i32 s21, s20, 31
	s_mul_hi_u32 s3, s20, s19
	s_mul_i32 s22, s21, s19
	s_add_i32 s23, s3, s22
	s_mul_i32 s22, s20, s19
	s_lshl_b64 s[22:23], s[22:23], 2
	s_lshl_b64 s[14:15], s[14:15], 2
	s_add_u32 s3, s22, s14
	s_addc_u32 s14, s23, s15
	s_waitcnt lgkmcnt(0)
	s_add_u32 s12, s12, s3
	v_mov_b32_e32 v3, 0
	s_addc_u32 s13, s13, s14
	v_lshl_add_u64 v[4:5], s[12:13], 0, v[2:3]
	s_lshl_b64 s[12:13], s[20:21], 2
	s_sub_i32 s3, s18, s19
	v_lshl_or_b32 v1, s19, 4, v2
.LBB4_7:                                ; =>This Inner Loop Header: Depth=1
	flat_load_dword v3, v[4:5]
	s_add_i32 s3, s3, -1
	v_lshl_add_u64 v[4:5], v[4:5], 0, s[12:13]
	s_cmp_eq_u32 s3, 0
	s_waitcnt vmcnt(0) lgkmcnt(0)
	ds_write_b32 v1, v3
	v_add_u32_e32 v1, 16, v1
	s_cbranch_scc0 .LBB4_7
.LBB4_8:
	v_lshlrev_b32_e32 v1, 4, v0
	s_cmpk_lg_i32 s5, 0x84
	v_mov_b32_e32 v3, 1.0
	v_add_u32_e32 v1, v2, v1
	s_cbranch_scc0 .LBB4_10
; %bb.9:
	ds_read_b32 v2, v1
	s_waitcnt lgkmcnt(0)
	v_div_scale_f32 v3, s[12:13], v2, v2, 1.0
	v_rcp_f32_e32 v4, v3
	v_div_scale_f32 v5, vcc, 1.0, v2, 1.0
	v_fma_f32 v6, -v3, v4, 1.0
	v_fmac_f32_e32 v4, v6, v4
	v_mul_f32_e32 v6, v5, v4
	v_fma_f32 v7, -v3, v6, v5
	v_fmac_f32_e32 v6, v7, v4
	v_fma_f32 v3, -v3, v6, v5
	v_div_fmas_f32 v3, v3, v4, v6
	v_div_fixup_f32 v3, v3, v2, 1.0
.LBB4_10:
	ds_write_b32 v1, v3
.LBB4_11:
	s_or_b64 exec, exec, s[16:17]
	s_load_dword s3, s[0:1], 0x60
	s_waitcnt lgkmcnt(0)
	; wave barrier
	s_add_i32 s5, s3, -1
	s_lshl_b32 s3, s2, 2
	s_sub_i32 s7, s7, s3
	s_cmp_ge_u32 s2, s5
	s_cselect_b32 s2, s7, 4
	v_cmp_gt_i32_e32 vcc, s2, v0
	s_and_saveexec_b64 s[12:13], vcc
	s_cbranch_execz .LBB4_41
; %bb.12:
	s_load_dword s2, s[0:1], 0x48
	s_lshl_b64 s[0:1], s[10:11], 2
	s_add_u32 s0, s8, s0
	v_add_u32_e32 v0, s3, v0
	s_addc_u32 s1, s9, s1
	s_waitcnt lgkmcnt(0)
	v_mad_i64_i32 v[0:1], s[2:3], s2, v0, 0
	v_lshl_add_u64 v[2:3], v[0:1], 2, s[0:1]
	s_cmpk_eq_i32 s4, 0x6f
	s_mov_b64 s[0:1], -1
	s_cbranch_scc1 .LBB4_33
; %bb.13:
	s_add_i32 s7, s18, -1
	s_cmp_gt_i32 s6, 3
	s_mov_b32 s4, -1
	s_cbranch_scc0 .LBB4_15
; %bb.14:
	flat_load_dwordx4 v[4:7], v[2:3]
	v_mov_b32_e32 v16, 0
	ds_read2_b32 v[0:1], v16 offset0:3 offset1:5
	ds_read2_b64 v[8:11], v16 offset0:3 offset1:5
	ds_read_b32 v13, v16 offset:60
	v_mov_b32_e32 v12, s24
	s_waitcnt lgkmcnt(0)
	v_mov_b32_e32 v15, v0
	s_waitcnt vmcnt(0)
	v_mul_f32_e32 v0, s24, v7
	v_mov_b32_e32 v7, v11
	v_mul_f32_e32 v13, v0, v13
	v_pk_mul_f32 v[6:7], v[12:13], v[6:7]
	v_mov_b32_e32 v14, v4
	v_sub_f32_e32 v0, v6, v7
	v_mov_b32_e32 v11, v13
	v_mul_f32_e32 v10, v0, v10
	v_pk_mul_f32 v[12:13], v[12:13], v[14:15]
	flat_store_dwordx2 v[2:3], v[10:11] offset:8
	v_sub_f32_e32 v4, v12, v13
	v_pk_mul_f32 v[12:13], v[10:11], v[8:9]
	ds_read_b96 v[6:8], v16
	v_fma_f32 v0, s24, v5, -v13
	v_sub_f32_e32 v0, v0, v12
	v_mov_b32_e32 v11, v10
	v_mul_f32_e32 v10, v0, v1
	s_waitcnt lgkmcnt(0)
	v_mov_b32_e32 v0, v7
	v_mov_b32_e32 v1, v8
	v_pk_mul_f32 v[0:1], v[10:11], v[0:1]
	s_nop 0
	v_sub_f32_e32 v1, v4, v1
	v_sub_f32_e32 v0, v1, v0
	v_mul_f32_e32 v0, v0, v6
	v_mov_b32_e32 v1, v10
	flat_store_dwordx2 v[2:3], v[0:1]
	s_cmp_lt_i32 s4, 0
	s_cbranch_scc0 .LBB4_16
	s_branch .LBB4_32
.LBB4_15:
	s_mov_b32 s4, s7
	s_cmp_lt_i32 s4, 0
	s_cbranch_scc1 .LBB4_32
.LBB4_16:
	s_and_b32 s0, s4, 3
	s_cmp_eq_u32 s0, 3
	s_mov_b32 s0, s4
	s_cbranch_scc1 .LBB4_21
; %bb.17:
	s_add_i32 s0, s4, 1
	s_and_b32 s5, s0, 3
	s_lshl_b32 s0, s4, 4
	s_lshl_b32 s1, s18, 2
	s_add_i32 s0, s0, s1
	s_add_i32 s8, s0, -4
	s_mov_b32 s3, 0
	s_mov_b32 s0, s4
	;; [unrolled: 1-line block ×3, first 2 shown]
	s_branch .LBB4_19
.LBB4_18:                               ;   in Loop: Header=BB4_19 Depth=1
	s_mul_i32 s1, s0, 20
	v_mov_b32_e32 v1, s1
	ds_read_b32 v1, v1
	s_add_i32 s0, s0, -1
	s_add_i32 s9, s9, 1
	s_add_i32 s8, s8, -16
	s_cmp_lg_u32 s9, s5
	s_waitcnt lgkmcnt(0)
	v_mul_f32_e32 v0, v0, v1
	flat_store_dword v[4:5], v0
	s_cbranch_scc0 .LBB4_21
.LBB4_19:                               ; =>This Loop Header: Depth=1
                                        ;     Child Loop BB4_20 Depth 2
	s_mov_b32 s1, s3
	v_lshl_add_u64 v[4:5], s[0:1], 2, v[2:3]
	flat_load_dword v0, v[4:5]
	s_cmp_le_i32 s7, s0
	s_mov_b32 s1, s8
	s_mov_b32 s2, s7
	s_waitcnt vmcnt(0) lgkmcnt(0)
	v_mul_f32_e32 v0, s24, v0
	s_cbranch_scc1 .LBB4_18
.LBB4_20:                               ;   Parent Loop BB4_19 Depth=1
                                        ; =>  This Inner Loop Header: Depth=2
	v_lshl_add_u64 v[6:7], s[2:3], 2, v[2:3]
	flat_load_dword v1, v[6:7]
	v_mov_b32_e32 v6, s1
	ds_read_b32 v6, v6
	s_add_i32 s2, s2, -1
	s_add_i32 s1, s1, -4
	s_cmp_gt_i32 s2, s0
	s_waitcnt vmcnt(0) lgkmcnt(0)
	v_fma_f32 v0, -v1, v6, v0
	s_cbranch_scc1 .LBB4_20
	s_branch .LBB4_18
.LBB4_21:
	s_cmp_lt_u32 s4, 3
	s_cbranch_scc1 .LBB4_32
; %bb.22:
	s_lshl_b32 s1, s0, 4
	s_lshl_b32 s2, s18, 2
	s_add_i32 s1, s1, s2
	s_add_i32 s8, s1, -4
	s_sub_i32 s9, s1, 20
	s_sub_i32 s10, s1, 36
	;; [unrolled: 1-line block ×3, first 2 shown]
	s_mov_b32 s3, 0
	s_branch .LBB4_24
.LBB4_23:                               ;   in Loop: Header=BB4_24 Depth=1
	s_sub_i32 s1, s1, 20
	v_mov_b32_e32 v1, s1
	ds_read_b32 v1, v1
	s_add_i32 s1, s0, -4
	s_sub_i32 s8, s8, 64
	s_sub_i32 s9, s9, 64
	;; [unrolled: 1-line block ×4, first 2 shown]
	s_waitcnt lgkmcnt(0)
	v_mul_f32_e32 v0, v0, v1
	s_cmp_lt_i32 s0, 4
	s_mov_b32 s0, s1
	flat_store_dword v[4:5], v0
	s_cbranch_scc1 .LBB4_32
.LBB4_24:                               ; =>This Loop Header: Depth=1
                                        ;     Child Loop BB4_25 Depth 2
                                        ;     Child Loop BB4_27 Depth 2
	;; [unrolled: 1-line block ×4, first 2 shown]
	s_mov_b32 s1, s3
	v_lshl_add_u64 v[6:7], s[0:1], 2, v[2:3]
	flat_load_dword v0, v[6:7]
	s_cmp_le_i32 s7, s0
	s_mov_b32 s1, s8
	s_mov_b32 s2, s7
	s_waitcnt vmcnt(0) lgkmcnt(0)
	v_mul_f32_e32 v0, s24, v0
	s_cbranch_scc1 .LBB4_26
.LBB4_25:                               ;   Parent Loop BB4_24 Depth=1
                                        ; =>  This Inner Loop Header: Depth=2
	v_lshl_add_u64 v[4:5], s[2:3], 2, v[2:3]
	flat_load_dword v1, v[4:5]
	v_mov_b32_e32 v4, s1
	ds_read_b32 v4, v4
	s_add_i32 s2, s2, -1
	s_add_i32 s1, s1, -4
	s_cmp_gt_i32 s2, s0
	s_waitcnt vmcnt(0) lgkmcnt(0)
	v_fma_f32 v0, -v1, v4, v0
	s_cbranch_scc1 .LBB4_25
.LBB4_26:                               ;   in Loop: Header=BB4_24 Depth=1
	s_add_i32 s2, s0, -1
	v_lshl_add_u64 v[4:5], s[2:3], 2, v[2:3]
	flat_load_dword v1, v[4:5]
	s_mul_i32 s1, s0, 20
	v_mov_b32_e32 v8, s1
	ds_read_b32 v8, v8
	s_mov_b32 s4, s9
	s_cmp_le_i32 s18, s0
	s_mov_b32 s2, s18
	s_waitcnt lgkmcnt(0)
	v_mul_f32_e32 v0, v0, v8
	flat_store_dword v[6:7], v0
	s_waitcnt vmcnt(0)
	v_mul_f32_e32 v0, s24, v1
	s_cbranch_scc1 .LBB4_28
.LBB4_27:                               ;   Parent Loop BB4_24 Depth=1
                                        ; =>  This Inner Loop Header: Depth=2
	s_add_i32 s2, s2, -1
	v_lshl_add_u64 v[6:7], s[2:3], 2, v[2:3]
	flat_load_dword v1, v[6:7]
	v_mov_b32_e32 v6, s4
	ds_read_b32 v6, v6
	s_add_i32 s4, s4, -4
	s_cmp_gt_i32 s2, s0
	s_waitcnt vmcnt(0) lgkmcnt(0)
	v_fma_f32 v0, -v1, v6, v0
	s_cbranch_scc1 .LBB4_27
.LBB4_28:                               ;   in Loop: Header=BB4_24 Depth=1
	s_add_i32 s4, s0, -2
	s_mov_b32 s5, s3
	v_lshl_add_u64 v[6:7], s[4:5], 2, v[2:3]
	flat_load_dword v1, v[6:7]
	s_sub_i32 s1, s1, 20
	v_mov_b32_e32 v8, s1
	ds_read_b32 v8, v8
	s_mov_b32 s5, s10
	s_cmp_le_i32 s7, s4
	s_mov_b32 s2, s7
	s_waitcnt lgkmcnt(0)
	v_mul_f32_e32 v0, v0, v8
	flat_store_dword v[4:5], v0
	s_waitcnt vmcnt(0)
	v_mul_f32_e32 v0, s24, v1
	s_cbranch_scc1 .LBB4_30
.LBB4_29:                               ;   Parent Loop BB4_24 Depth=1
                                        ; =>  This Inner Loop Header: Depth=2
	v_lshl_add_u64 v[4:5], s[2:3], 2, v[2:3]
	flat_load_dword v1, v[4:5]
	v_mov_b32_e32 v4, s5
	ds_read_b32 v4, v4
	s_add_i32 s2, s2, -1
	s_add_i32 s5, s5, -4
	s_cmp_gt_i32 s2, s4
	s_waitcnt vmcnt(0) lgkmcnt(0)
	v_fma_f32 v0, -v1, v4, v0
	s_cbranch_scc1 .LBB4_29
.LBB4_30:                               ;   in Loop: Header=BB4_24 Depth=1
	s_add_i32 s4, s0, -3
	s_mov_b32 s5, s3
	v_lshl_add_u64 v[4:5], s[4:5], 2, v[2:3]
	flat_load_dword v1, v[4:5]
	s_sub_i32 s1, s1, 20
	v_mov_b32_e32 v8, s1
	ds_read_b32 v8, v8
	s_mov_b32 s5, s11
	s_cmp_le_i32 s7, s4
	s_mov_b32 s2, s7
	s_waitcnt lgkmcnt(0)
	v_mul_f32_e32 v0, v0, v8
	flat_store_dword v[6:7], v0
	s_waitcnt vmcnt(0)
	v_mul_f32_e32 v0, s24, v1
	s_cbranch_scc1 .LBB4_23
.LBB4_31:                               ;   Parent Loop BB4_24 Depth=1
                                        ; =>  This Inner Loop Header: Depth=2
	v_lshl_add_u64 v[6:7], s[2:3], 2, v[2:3]
	flat_load_dword v1, v[6:7]
	v_mov_b32_e32 v6, s5
	ds_read_b32 v6, v6
	s_add_i32 s2, s2, -1
	s_add_i32 s5, s5, -4
	s_cmp_gt_i32 s2, s4
	s_waitcnt vmcnt(0) lgkmcnt(0)
	v_fma_f32 v0, -v1, v6, v0
	s_cbranch_scc1 .LBB4_31
	s_branch .LBB4_23
.LBB4_32:
	s_mov_b64 s[0:1], 0
.LBB4_33:
	s_and_b64 vcc, exec, s[0:1]
	s_cbranch_vccz .LBB4_41
; %bb.34:
	s_cmp_gt_i32 s6, 3
	s_cbranch_scc0 .LBB4_36
; %bb.35:
	flat_load_dwordx4 v[4:7], v[2:3]
	v_mov_b32_e32 v22, 0
	ds_read_b128 v[8:11], v22
	v_mov_b32_e32 v0, s24
	ds_read2_b32 v[12:13], v22 offset0:5 offset1:6
	ds_read_b64 v[14:15], v22 offset:40
	ds_read2_b32 v[16:17], v22 offset0:7 offset1:8
	s_mov_b32 s0, 4
	s_waitcnt lgkmcnt(0)
	v_mov_b32_e32 v21, v9
	v_mov_b32_e32 v19, v11
	;; [unrolled: 1-line block ×4, first 2 shown]
	s_waitcnt vmcnt(0)
	v_mul_f32_e32 v1, s24, v4
	v_mov_b32_e32 v20, v5
	v_mul_f32_e32 v1, v1, v8
	v_pk_mul_f32 v[4:5], v[0:1], v[20:21]
	v_mov_b32_e32 v18, v7
	v_sub_f32_e32 v4, v4, v5
	v_mov_b32_e32 v8, v1
	v_pk_mul_f32 v[0:1], v[0:1], v[18:19]
	v_mul_f32_e32 v9, v4, v12
	v_sub_f32_e32 v7, v0, v1
	v_pk_mul_f32 v[0:1], v[8:9], v[10:11]
	flat_store_dwordx2 v[2:3], v[8:9]
	v_fma_f32 v0, s24, v6, -v0
	ds_read_b32 v6, v22 offset:60
	v_sub_f32_e32 v0, v0, v1
	v_mov_b32_e32 v4, v9
	v_mul_f32_e32 v5, v0, v14
	v_pk_mul_f32 v[0:1], v[4:5], v[16:17]
	v_mov_b32_e32 v4, v5
	v_sub_f32_e32 v0, v7, v0
	v_sub_f32_e32 v0, v0, v1
	s_waitcnt lgkmcnt(0)
	v_mul_f32_e32 v5, v0, v6
	flat_store_dwordx2 v[2:3], v[4:5] offset:8
	s_cmp_ge_i32 s0, s18
	s_cbranch_scc0 .LBB4_37
	s_branch .LBB4_41
.LBB4_36:
	s_mov_b32 s0, 0
	s_cmp_ge_i32 s0, s18
	s_cbranch_scc1 .LBB4_41
.LBB4_37:
	s_lshl_b32 s2, s0, 2
	s_mov_b32 s1, 0
	s_branch .LBB4_39
.LBB4_38:                               ;   in Loop: Header=BB4_39 Depth=1
	s_mul_i32 s3, s0, 20
	v_mov_b32_e32 v1, s3
	ds_read_b32 v1, v1
	s_add_i32 s0, s0, 1
	s_add_i32 s2, s2, 4
	s_cmp_ge_i32 s0, s18
	s_waitcnt lgkmcnt(0)
	v_mul_f32_e32 v0, v0, v1
	flat_store_dword v[4:5], v0
	s_cbranch_scc1 .LBB4_41
.LBB4_39:                               ; =>This Loop Header: Depth=1
                                        ;     Child Loop BB4_40 Depth 2
	v_lshl_add_u64 v[4:5], s[0:1], 2, v[2:3]
	flat_load_dword v0, v[4:5]
	s_cmp_eq_u32 s0, 0
	v_mov_b64_e32 v[6:7], v[2:3]
	s_mov_b32 s3, s2
	s_mov_b32 s4, s0
	s_waitcnt vmcnt(0) lgkmcnt(0)
	v_mul_f32_e32 v0, s24, v0
	s_cbranch_scc1 .LBB4_38
.LBB4_40:                               ;   Parent Loop BB4_39 Depth=1
                                        ; =>  This Inner Loop Header: Depth=2
	flat_load_dword v1, v[6:7]
	v_mov_b32_e32 v8, s3
	ds_read_b32 v8, v8
	s_add_i32 s4, s4, -1
	s_add_i32 s3, s3, 16
	v_lshl_add_u64 v[6:7], v[6:7], 0, 4
	s_cmp_lg_u32 s4, 0
	s_waitcnt vmcnt(0) lgkmcnt(0)
	v_fma_f32 v0, -v1, v8, v0
	s_cbranch_scc1 .LBB4_40
	s_branch .LBB4_38
.LBB4_41:
	s_endpgm
	.section	.rodata,"a",@progbits
	.p2align	6, 0x0
	.amdhsa_kernel _ZL30rocblas_trsm_small_left_deviceILi4ELi4ELb1EffPKPKfPKPfEv13rocblas_fill_18rocblas_operation_17rocblas_diagonal_iiT3_T4_lilT5_lili
		.amdhsa_group_segment_fixed_size 64
		.amdhsa_private_segment_fixed_size 0
		.amdhsa_kernarg_size 352
		.amdhsa_user_sgpr_count 2
		.amdhsa_user_sgpr_dispatch_ptr 0
		.amdhsa_user_sgpr_queue_ptr 0
		.amdhsa_user_sgpr_kernarg_segment_ptr 1
		.amdhsa_user_sgpr_dispatch_id 0
		.amdhsa_user_sgpr_kernarg_preload_length 0
		.amdhsa_user_sgpr_kernarg_preload_offset 0
		.amdhsa_user_sgpr_private_segment_size 0
		.amdhsa_uses_dynamic_stack 0
		.amdhsa_enable_private_segment 0
		.amdhsa_system_sgpr_workgroup_id_x 1
		.amdhsa_system_sgpr_workgroup_id_y 0
		.amdhsa_system_sgpr_workgroup_id_z 1
		.amdhsa_system_sgpr_workgroup_info 0
		.amdhsa_system_vgpr_workitem_id 0
		.amdhsa_next_free_vgpr 23
		.amdhsa_next_free_sgpr 30
		.amdhsa_accum_offset 24
		.amdhsa_reserve_vcc 1
		.amdhsa_float_round_mode_32 0
		.amdhsa_float_round_mode_16_64 0
		.amdhsa_float_denorm_mode_32 3
		.amdhsa_float_denorm_mode_16_64 3
		.amdhsa_dx10_clamp 1
		.amdhsa_ieee_mode 1
		.amdhsa_fp16_overflow 0
		.amdhsa_tg_split 0
		.amdhsa_exception_fp_ieee_invalid_op 0
		.amdhsa_exception_fp_denorm_src 0
		.amdhsa_exception_fp_ieee_div_zero 0
		.amdhsa_exception_fp_ieee_overflow 0
		.amdhsa_exception_fp_ieee_underflow 0
		.amdhsa_exception_fp_ieee_inexact 0
		.amdhsa_exception_int_div_zero 0
	.end_amdhsa_kernel
	.section	.text._ZL30rocblas_trsm_small_left_deviceILi4ELi4ELb1EffPKPKfPKPfEv13rocblas_fill_18rocblas_operation_17rocblas_diagonal_iiT3_T4_lilT5_lili,"axG",@progbits,_ZL30rocblas_trsm_small_left_deviceILi4ELi4ELb1EffPKPKfPKPfEv13rocblas_fill_18rocblas_operation_17rocblas_diagonal_iiT3_T4_lilT5_lili,comdat
.Lfunc_end4:
	.size	_ZL30rocblas_trsm_small_left_deviceILi4ELi4ELb1EffPKPKfPKPfEv13rocblas_fill_18rocblas_operation_17rocblas_diagonal_iiT3_T4_lilT5_lili, .Lfunc_end4-_ZL30rocblas_trsm_small_left_deviceILi4ELi4ELb1EffPKPKfPKPfEv13rocblas_fill_18rocblas_operation_17rocblas_diagonal_iiT3_T4_lilT5_lili
                                        ; -- End function
	.set _ZL30rocblas_trsm_small_left_deviceILi4ELi4ELb1EffPKPKfPKPfEv13rocblas_fill_18rocblas_operation_17rocblas_diagonal_iiT3_T4_lilT5_lili.num_vgpr, 23
	.set _ZL30rocblas_trsm_small_left_deviceILi4ELi4ELb1EffPKPKfPKPfEv13rocblas_fill_18rocblas_operation_17rocblas_diagonal_iiT3_T4_lilT5_lili.num_agpr, 0
	.set _ZL30rocblas_trsm_small_left_deviceILi4ELi4ELb1EffPKPKfPKPfEv13rocblas_fill_18rocblas_operation_17rocblas_diagonal_iiT3_T4_lilT5_lili.numbered_sgpr, 30
	.set _ZL30rocblas_trsm_small_left_deviceILi4ELi4ELb1EffPKPKfPKPfEv13rocblas_fill_18rocblas_operation_17rocblas_diagonal_iiT3_T4_lilT5_lili.num_named_barrier, 0
	.set _ZL30rocblas_trsm_small_left_deviceILi4ELi4ELb1EffPKPKfPKPfEv13rocblas_fill_18rocblas_operation_17rocblas_diagonal_iiT3_T4_lilT5_lili.private_seg_size, 0
	.set _ZL30rocblas_trsm_small_left_deviceILi4ELi4ELb1EffPKPKfPKPfEv13rocblas_fill_18rocblas_operation_17rocblas_diagonal_iiT3_T4_lilT5_lili.uses_vcc, 1
	.set _ZL30rocblas_trsm_small_left_deviceILi4ELi4ELb1EffPKPKfPKPfEv13rocblas_fill_18rocblas_operation_17rocblas_diagonal_iiT3_T4_lilT5_lili.uses_flat_scratch, 0
	.set _ZL30rocblas_trsm_small_left_deviceILi4ELi4ELb1EffPKPKfPKPfEv13rocblas_fill_18rocblas_operation_17rocblas_diagonal_iiT3_T4_lilT5_lili.has_dyn_sized_stack, 0
	.set _ZL30rocblas_trsm_small_left_deviceILi4ELi4ELb1EffPKPKfPKPfEv13rocblas_fill_18rocblas_operation_17rocblas_diagonal_iiT3_T4_lilT5_lili.has_recursion, 0
	.set _ZL30rocblas_trsm_small_left_deviceILi4ELi4ELb1EffPKPKfPKPfEv13rocblas_fill_18rocblas_operation_17rocblas_diagonal_iiT3_T4_lilT5_lili.has_indirect_call, 0
	.section	.AMDGPU.csdata,"",@progbits
; Kernel info:
; codeLenInByte = 2088
; TotalNumSgprs: 36
; NumVgprs: 23
; NumAgprs: 0
; TotalNumVgprs: 23
; ScratchSize: 0
; MemoryBound: 0
; FloatMode: 240
; IeeeMode: 1
; LDSByteSize: 64 bytes/workgroup (compile time only)
; SGPRBlocks: 4
; VGPRBlocks: 2
; NumSGPRsForWavesPerEU: 36
; NumVGPRsForWavesPerEU: 23
; AccumOffset: 24
; Occupancy: 8
; WaveLimiterHint : 1
; COMPUTE_PGM_RSRC2:SCRATCH_EN: 0
; COMPUTE_PGM_RSRC2:USER_SGPR: 2
; COMPUTE_PGM_RSRC2:TRAP_HANDLER: 0
; COMPUTE_PGM_RSRC2:TGID_X_EN: 1
; COMPUTE_PGM_RSRC2:TGID_Y_EN: 0
; COMPUTE_PGM_RSRC2:TGID_Z_EN: 1
; COMPUTE_PGM_RSRC2:TIDIG_COMP_CNT: 0
; COMPUTE_PGM_RSRC3_GFX90A:ACCUM_OFFSET: 5
; COMPUTE_PGM_RSRC3_GFX90A:TG_SPLIT: 0
	.section	.text._ZL31rocblas_trsm_small_right_deviceIffPKPKfPKPfLi4EEv13rocblas_fill_18rocblas_operation_17rocblas_diagonal_iiT0_T1_lilT2_lili,"axG",@progbits,_ZL31rocblas_trsm_small_right_deviceIffPKPKfPKPfLi4EEv13rocblas_fill_18rocblas_operation_17rocblas_diagonal_iiT0_T1_lilT2_lili,comdat
	.globl	_ZL31rocblas_trsm_small_right_deviceIffPKPKfPKPfLi4EEv13rocblas_fill_18rocblas_operation_17rocblas_diagonal_iiT0_T1_lilT2_lili ; -- Begin function _ZL31rocblas_trsm_small_right_deviceIffPKPKfPKPfLi4EEv13rocblas_fill_18rocblas_operation_17rocblas_diagonal_iiT0_T1_lilT2_lili
	.p2align	8
	.type	_ZL31rocblas_trsm_small_right_deviceIffPKPKfPKPfLi4EEv13rocblas_fill_18rocblas_operation_17rocblas_diagonal_iiT0_T1_lilT2_lili,@function
_ZL31rocblas_trsm_small_right_deviceIffPKPKfPKPfLi4EEv13rocblas_fill_18rocblas_operation_17rocblas_diagonal_iiT0_T1_lilT2_lili: ; @_ZL31rocblas_trsm_small_right_deviceIffPKPKfPKPfLi4EEv13rocblas_fill_18rocblas_operation_17rocblas_diagonal_iiT0_T1_lilT2_lili
; %bb.0:
	s_load_dwordx4 s[8:11], s[0:1], 0x38
	s_load_dwordx4 s[4:7], s[0:1], 0x0
	s_load_dwordx2 s[16:17], s[0:1], 0x10
	s_mov_b32 s20, s3
	s_mov_b32 s21, 0
	s_lshl_b64 s[24:25], s[20:21], 3
	s_waitcnt lgkmcnt(0)
	s_add_u32 s8, s8, s24
	s_addc_u32 s9, s9, s25
	s_load_dwordx2 s[8:9], s[8:9], 0x0
	s_min_i32 s26, s16, 4
	v_cmp_gt_i32_e32 vcc, s26, v0
	s_and_saveexec_b64 s[18:19], vcc
	s_cbranch_execz .LBB5_10
; %bb.1:
	s_load_dwordx4 s[12:15], s[0:1], 0x18
	s_load_dword s22, s[0:1], 0x28
	v_lshlrev_b32_e32 v2, 2, v0
	v_mov_b32_e32 v3, 0
	s_mov_b32 s3, 1
	s_waitcnt lgkmcnt(0)
	s_add_u32 s12, s12, s24
	s_addc_u32 s13, s13, s25
	s_load_dwordx2 s[12:13], s[12:13], 0x0
	s_cmp_lt_u32 s26, 2
	s_cselect_b64 s[28:29], -1, 0
	s_cmp_lg_u32 s22, 1
	s_cselect_b64 s[30:31], -1, 0
	s_or_b64 s[28:29], s[28:29], s[30:31]
	s_mov_b64 s[24:25], -1
	s_and_b64 vcc, exec, s[28:29]
	s_cbranch_vccnz .LBB5_5
; %bb.2:
	s_lshl_b64 s[20:21], s[14:15], 2
	s_waitcnt lgkmcnt(0)
	s_add_u32 s20, s12, s20
	s_addc_u32 s21, s13, s21
	v_lshl_add_u64 v[4:5], s[20:21], 0, v[2:3]
	s_and_b32 s21, s26, -2
	s_mov_b32 s20, 0
	s_mov_b32 s23, s21
.LBB5_3:                                ; =>This Inner Loop Header: Depth=1
	flat_load_dwordx2 v[6:7], v[4:5]
	v_lshl_or_b32 v1, s20, 4, v2
	v_lshl_or_b32 v3, s3, 4, v2
	s_add_i32 s20, s20, 2
	s_add_i32 s3, s3, 2
	s_add_i32 s23, s23, -2
	v_lshl_add_u64 v[4:5], v[4:5], 0, 8
	s_cmp_lg_u32 s23, 0
	s_waitcnt vmcnt(0) lgkmcnt(0)
	ds_write_b32 v1, v6
	ds_write_b32 v3, v7
	s_cbranch_scc1 .LBB5_3
; %bb.4:
	s_cmp_lg_u32 s26, s21
	s_cselect_b64 s[24:25], -1, 0
.LBB5_5:
	s_and_b64 vcc, exec, s[24:25]
	s_cbranch_vccz .LBB5_8
; %bb.6:
	s_ashr_i32 s23, s22, 31
	s_mul_hi_u32 s3, s22, s21
	s_mul_i32 s20, s23, s21
	s_add_i32 s25, s3, s20
	s_mul_i32 s24, s22, s21
	s_lshl_b64 s[24:25], s[24:25], 2
	s_lshl_b64 s[14:15], s[14:15], 2
	s_add_u32 s3, s24, s14
	s_addc_u32 s14, s25, s15
	s_waitcnt lgkmcnt(0)
	s_add_u32 s12, s12, s3
	v_mov_b32_e32 v3, 0
	s_addc_u32 s13, s13, s14
	v_lshl_add_u64 v[4:5], s[12:13], 0, v[2:3]
	s_lshl_b64 s[12:13], s[22:23], 2
	s_sub_i32 s3, s26, s21
	v_lshl_or_b32 v1, s21, 4, v2
.LBB5_7:                                ; =>This Inner Loop Header: Depth=1
	flat_load_dword v3, v[4:5]
	s_add_i32 s3, s3, -1
	v_lshl_add_u64 v[4:5], v[4:5], 0, s[12:13]
	s_cmp_eq_u32 s3, 0
	s_waitcnt vmcnt(0) lgkmcnt(0)
	ds_write_b32 v1, v3
	v_add_u32_e32 v1, 16, v1
	s_cbranch_scc0 .LBB5_7
.LBB5_8:
	s_cmpk_eq_i32 s6, 0x84
	s_cbranch_scc0 .LBB5_10
; %bb.9:
	v_lshl_or_b32 v1, v0, 4, v2
	v_mov_b32_e32 v2, 1.0
	ds_write_b32 v1, v2
.LBB5_10:
	s_or_b64 exec, exec, s[18:19]
	s_load_dword s3, s[0:1], 0x60
	s_load_dword s6, s[0:1], 0x48
	s_lshl_b64 s[10:11], s[10:11], 2
	s_waitcnt lgkmcnt(0)
	s_add_u32 s0, s8, s10
	s_addc_u32 s1, s9, s11
	s_lshl_b32 s12, s2, 2
	s_add_i32 s3, s3, -1
	s_sub_i32 s7, s7, s12
	s_cmp_ge_u32 s2, s3
	s_cselect_b32 s7, s7, 4
	s_ashr_i32 s3, s2, 31
	s_lshl_b64 s[2:3], s[2:3], 4
	s_add_u32 s12, s0, s2
	s_addc_u32 s13, s1, s3
	v_cmp_gt_i32_e64 s[0:1], s7, v0
	s_and_saveexec_b64 s[14:15], s[0:1]
	s_cbranch_execz .LBB5_19
; %bb.11:
	s_cmp_lt_i32 s16, 1
	s_cbranch_scc1 .LBB5_19
; %bb.12:
	s_cmp_eq_u32 s16, 1
	s_cselect_b64 s[18:19], -1, 0
	s_cmp_lg_u32 s6, 1
	s_cselect_b64 s[20:21], -1, 0
	s_or_b64 s[18:19], s[18:19], s[20:21]
	v_mov_b32_e32 v3, 0
	s_and_b64 vcc, exec, s[18:19]
	s_cbranch_vccnz .LBB5_16
; %bb.13:
	v_lshlrev_b32_e32 v2, 2, v0
	s_and_b32 s20, s16, 0x7ffffffe
	v_lshl_add_u64 v[2:3], s[12:13], 0, v[2:3]
	v_lshl_or_b32 v1, v0, 2, 64
	s_mov_b32 s18, s17
	s_mov_b32 s19, s17
	;; [unrolled: 1-line block ×5, first 2 shown]
.LBB5_14:                               ; =>This Inner Loop Header: Depth=1
	flat_load_dwordx2 v[4:5], v[2:3]
	v_lshl_add_u32 v6, s21, 4, v1
	v_lshl_add_u32 v7, s7, 4, v1
	s_add_i32 s21, s21, 2
	s_add_i32 s7, s7, 2
	s_add_i32 s22, s22, -2
	v_lshl_add_u64 v[2:3], v[2:3], 0, 8
	s_cmp_lg_u32 s22, 0
	s_waitcnt vmcnt(0) lgkmcnt(0)
	v_pk_mul_f32 v[4:5], s[18:19], v[4:5]
	ds_write_b32 v6, v4
	ds_write_b32 v7, v5
	s_cbranch_scc1 .LBB5_14
; %bb.15:
	s_cmp_lg_u32 s16, s20
	s_cselect_b64 s[18:19], -1, 0
	s_and_b64 vcc, exec, s[18:19]
	s_cbranch_vccnz .LBB5_17
	s_branch .LBB5_19
.LBB5_16:
	s_mov_b32 s20, 0
	s_cbranch_execz .LBB5_19
.LBB5_17:
	s_mul_hi_i32 s19, s6, s20
	s_mul_i32 s18, s6, s20
	s_ashr_i32 s7, s6, 31
	s_sub_i32 s21, s16, s20
	s_lshl_b64 s[18:19], s[18:19], 2
	s_add_u32 s18, s18, s2
	s_addc_u32 s19, s19, s3
	s_add_u32 s18, s18, s10
	s_addc_u32 s19, s19, s11
	v_lshlrev_b32_e32 v4, 2, v0
	s_add_u32 s18, s8, s18
	v_mov_b32_e32 v5, 0
	s_addc_u32 s19, s9, s19
	v_lshl_or_b32 v1, s20, 4, v4
	v_lshl_add_u64 v[2:3], s[18:19], 0, v[4:5]
	s_lshl_b64 s[18:19], s[6:7], 2
	v_add_u32_e32 v1, 64, v1
.LBB5_18:                               ; =>This Inner Loop Header: Depth=1
	flat_load_dword v4, v[2:3]
	s_add_i32 s21, s21, -1
	v_lshl_add_u64 v[2:3], v[2:3], 0, s[18:19]
	s_cmp_lg_u32 s21, 0
	s_waitcnt vmcnt(0) lgkmcnt(0)
	v_mul_f32_e32 v4, s17, v4
	ds_write_b32 v1, v4
	v_add_u32_e32 v1, 16, v1
	s_cbranch_scc1 .LBB5_18
.LBB5_19:
	s_or_b64 exec, exec, s[14:15]
	s_cmpk_eq_i32 s5, 0x6f
	s_cselect_b64 s[18:19], -1, 0
	s_cmpk_lg_i32 s4, 0x79
	s_cselect_b64 s[14:15], -1, 0
	s_cmpk_eq_i32 s4, 0x79
	s_cselect_b64 s[20:21], -1, 0
	s_and_b64 s[20:21], s[20:21], s[18:19]
	s_andn2_b64 vcc, exec, s[20:21]
	s_mov_b64 s[20:21], -1
	s_waitcnt lgkmcnt(0)
	; wave barrier
	s_cbranch_vccz .LBB5_64
; %bb.20:
	s_cmpk_lg_i32 s4, 0x7a
	s_cselect_b64 s[4:5], -1, 0
	s_xor_b64 s[18:19], s[18:19], -1
	s_add_i32 s7, s26, -1
	s_or_b64 s[18:19], s[4:5], s[18:19]
	s_cmp_gt_i32 s16, 3
	v_lshl_or_b32 v1, v0, 2, 64
	s_cselect_b64 s[4:5], -1, 0
	s_and_b64 vcc, exec, s[18:19]
	s_cbranch_vccz .LBB5_47
; %bb.21:
	s_andn2_b64 vcc, exec, s[14:15]
	s_mov_b64 s[14:15], -1
	s_cbranch_vccnz .LBB5_30
; %bb.22:
	s_mov_b32 s14, 0
	s_and_b64 vcc, exec, s[4:5]
	s_cbranch_vccz .LBB5_24
; %bb.23:
	v_mov_b32_e32 v10, 0
	ds_read2_b32 v[6:7], v1 offset1:4
	ds_read_b128 v[2:5], v10
	ds_read2_b32 v[8:9], v10 offset0:5 offset1:6
	s_waitcnt lgkmcnt(1)
	v_div_scale_f32 v11, s[14:15], v2, v2, v6
	v_rcp_f32_e32 v12, v11
	v_div_scale_f32 v13, vcc, v6, v2, v6
	v_fma_f32 v14, -v11, v12, 1.0
	v_fmac_f32_e32 v12, v14, v12
	v_mul_f32_e32 v14, v13, v12
	v_fma_f32 v15, -v11, v14, v13
	v_fmac_f32_e32 v14, v15, v12
	v_fma_f32 v11, -v11, v14, v13
	v_div_fmas_f32 v11, v11, v12, v14
	v_div_fixup_f32 v11, v11, v2, v6
	v_fma_f32 v12, -v11, v3, v7
	s_waitcnt lgkmcnt(0)
	v_div_scale_f32 v13, s[14:15], v8, v8, v12
	v_rcp_f32_e32 v14, v13
	ds_read2_b32 v[2:3], v1 offset0:8 offset1:12
	ds_read_b64 v[6:7], v10 offset:40
	ds_read_b32 v15, v10 offset:60
	ds_read_b32 v10, v10 offset:28
	v_fma_f32 v16, -v13, v14, 1.0
	v_fmac_f32_e32 v14, v16, v14
	v_div_scale_f32 v16, vcc, v12, v8, v12
	v_mul_f32_e32 v17, v16, v14
	v_fma_f32 v18, -v13, v17, v16
	v_fmac_f32_e32 v17, v18, v14
	v_fma_f32 v13, -v13, v17, v16
	v_div_fmas_f32 v13, v13, v14, v17
	v_div_fixup_f32 v8, v13, v8, v12
	s_waitcnt lgkmcnt(3)
	v_fma_f32 v2, -v11, v4, v2
	v_fma_f32 v2, -v8, v9, v2
	s_waitcnt lgkmcnt(2)
	v_div_scale_f32 v4, s[14:15], v6, v6, v2
	v_rcp_f32_e32 v9, v4
	v_fma_f32 v3, -v11, v5, v3
	s_waitcnt lgkmcnt(0)
	v_fma_f32 v3, -v8, v10, v3
	ds_write2_b32 v1, v11, v8 offset1:4
	v_fma_f32 v12, -v4, v9, 1.0
	v_fmac_f32_e32 v9, v12, v9
	v_div_scale_f32 v12, vcc, v2, v6, v2
	v_mul_f32_e32 v13, v12, v9
	v_fma_f32 v14, -v4, v13, v12
	v_fmac_f32_e32 v13, v14, v9
	v_fma_f32 v4, -v4, v13, v12
	v_div_fmas_f32 v4, v4, v9, v13
	v_div_fixup_f32 v2, v4, v6, v2
	v_fma_f32 v3, -v2, v7, v3
	v_div_scale_f32 v4, s[14:15], v15, v15, v3
	v_rcp_f32_e32 v5, v4
	s_mov_b32 s14, 4
	v_fma_f32 v6, -v4, v5, 1.0
	v_fmac_f32_e32 v5, v6, v5
	v_div_scale_f32 v6, vcc, v3, v15, v3
	v_mul_f32_e32 v7, v6, v5
	v_fma_f32 v8, -v4, v7, v6
	v_fmac_f32_e32 v7, v8, v5
	v_fma_f32 v4, -v4, v7, v6
	v_div_fmas_f32 v4, v4, v5, v7
	v_div_fixup_f32 v3, v4, v15, v3
	ds_write2_b32 v1, v2, v3 offset0:8 offset1:12
.LBB5_24:
	s_cmp_ge_i32 s14, s26
	s_cbranch_scc1 .LBB5_29
; %bb.25:
	s_lshl_b32 s15, s14, 2
	s_branch .LBB5_27
.LBB5_26:                               ;   in Loop: Header=BB5_27 Depth=1
	s_lshl_b32 s18, s14, 2
	s_add_i32 s17, s18, s17
	v_mov_b32_e32 v4, s17
	ds_read_b32 v4, v4
	s_add_i32 s14, s14, 1
	s_add_i32 s15, s15, 4
	s_cmp_ge_i32 s14, s26
	s_waitcnt lgkmcnt(0)
	v_div_scale_f32 v5, s[18:19], v4, v4, v3
	v_rcp_f32_e32 v6, v5
	v_div_scale_f32 v7, vcc, v3, v4, v3
	v_fma_f32 v8, -v5, v6, 1.0
	v_fmac_f32_e32 v6, v8, v6
	v_mul_f32_e32 v8, v7, v6
	v_fma_f32 v9, -v5, v8, v7
	v_fmac_f32_e32 v8, v9, v6
	v_fma_f32 v5, -v5, v8, v7
	v_div_fmas_f32 v5, v5, v6, v8
	v_div_fixup_f32 v3, v5, v4, v3
	ds_write_b32 v2, v3
	s_cbranch_scc1 .LBB5_29
.LBB5_27:                               ; =>This Loop Header: Depth=1
                                        ;     Child Loop BB5_28 Depth 2
	s_lshl_b32 s17, s14, 4
	v_add_u32_e32 v2, s17, v1
	ds_read_b32 v3, v2
	s_cmp_eq_u32 s14, 0
	v_mov_b32_e32 v4, v1
	s_mov_b32 s18, s15
	s_mov_b32 s19, s14
	s_cbranch_scc1 .LBB5_26
.LBB5_28:                               ;   Parent Loop BB5_27 Depth=1
                                        ; =>  This Inner Loop Header: Depth=2
	v_mov_b32_e32 v6, s18
	ds_read_b32 v5, v4
	ds_read_b32 v6, v6
	s_add_i32 s19, s19, -1
	s_add_i32 s18, s18, 16
	v_add_u32_e32 v4, 16, v4
	s_cmp_eq_u32 s19, 0
	s_waitcnt lgkmcnt(0)
	v_fma_f32 v3, -v5, v6, v3
	s_cbranch_scc0 .LBB5_28
	s_branch .LBB5_26
.LBB5_29:
	s_mov_b64 s[14:15], 0
.LBB5_30:
	s_and_b64 vcc, exec, s[14:15]
	s_cbranch_vccz .LBB5_46
; %bb.31:
	s_and_b64 vcc, exec, s[4:5]
	s_mov_b32 s15, s7
	s_cbranch_vccz .LBB5_33
; %bb.32:
	s_lshl_b32 s14, s7, 2
	s_add_i32 s15, s26, -2
	s_mul_i32 s18, s7, 20
	s_lshl_b32 s17, s15, 2
	s_sub_i32 s14, s18, s14
	v_lshl_add_u32 v2, s26, 4, v1
	s_add_i32 s14, s14, s17
	s_sub_i32 s19, s18, 20
	v_lshl_add_u32 v8, s7, 4, v1
	v_subrev_u32_e32 v10, 48, v2
	v_subrev_u32_e32 v11, 64, v2
	v_mov_b32_e32 v2, s14
	v_mov_b32_e32 v4, s19
	v_lshl_add_u32 v9, s15, 4, v1
	ds_read_b32 v5, v8
	ds_read_b32 v6, v9
	ds_read2_b32 v[2:3], v2 offset1:1
	ds_read_b32 v12, v10
	ds_read_b32 v13, v11
	;; [unrolled: 1-line block ×3, first 2 shown]
	s_waitcnt lgkmcnt(3)
	v_div_scale_f32 v7, s[14:15], v3, v3, v5
	v_rcp_f32_e32 v14, v7
	s_nop 0
	v_fma_f32 v15, -v7, v14, 1.0
	v_fmac_f32_e32 v14, v15, v14
	v_div_scale_f32 v15, vcc, v5, v3, v5
	v_mul_f32_e32 v16, v15, v14
	v_fma_f32 v17, -v7, v16, v15
	v_fmac_f32_e32 v16, v17, v14
	v_fma_f32 v7, -v7, v16, v15
	v_div_fmas_f32 v7, v7, v14, v16
	v_div_fixup_f32 v14, v7, v3, v5
	v_fma_f32 v2, -v14, v2, v6
	s_waitcnt lgkmcnt(0)
	v_div_scale_f32 v3, s[14:15], v4, v4, v2
	v_rcp_f32_e32 v5, v3
	s_sub_i32 s14, s19, s17
	s_lshl_b32 s15, s26, 2
	s_add_i32 s14, s14, s15
	v_fma_f32 v6, -v3, v5, 1.0
	v_fmac_f32_e32 v5, v6, v5
	v_div_scale_f32 v6, vcc, v2, v4, v2
	v_mul_f32_e32 v7, v6, v5
	v_fma_f32 v15, -v3, v7, v6
	v_fmac_f32_e32 v7, v15, v5
	v_fma_f32 v3, -v3, v7, v6
	v_div_fmas_f32 v3, v3, v5, v7
	s_add_i32 s15, s14, -16
	v_div_fixup_f32 v15, v3, v4, v2
	v_mov_b32_e32 v2, s14
	v_mov_b32_e32 v4, s15
	s_sub_i32 s14, s14, 32
	ds_read2_b32 v[2:3], v2 offset1:1
	ds_read2_b32 v[4:5], v4 offset1:1
	v_mov_b32_e32 v6, s14
	s_sub_i32 s14, s18, 60
	v_mov_b32_e32 v16, s14
	ds_read2_b32 v[6:7], v6 offset1:1
	ds_read_b32 v16, v16
	s_waitcnt lgkmcnt(3)
	v_fma_f32 v3, -v14, v3, v12
	s_waitcnt lgkmcnt(2)
	v_fma_f32 v3, -v15, v5, v3
	v_fma_f32 v2, -v14, v2, v13
	s_waitcnt lgkmcnt(1)
	v_div_scale_f32 v5, s[14:15], v7, v7, v3
	v_rcp_f32_e32 v12, v5
	v_fma_f32 v2, -v15, v4, v2
	v_fma_f32 v17, -v5, v12, 1.0
	v_fmac_f32_e32 v12, v17, v12
	v_div_scale_f32 v17, vcc, v3, v7, v3
	v_mul_f32_e32 v18, v17, v12
	v_fma_f32 v19, -v5, v18, v17
	v_fmac_f32_e32 v18, v19, v12
	v_fma_f32 v5, -v5, v18, v17
	v_div_fmas_f32 v5, v5, v12, v18
	v_div_fixup_f32 v3, v5, v7, v3
	v_fma_f32 v2, -v3, v6, v2
	s_waitcnt lgkmcnt(0)
	v_div_scale_f32 v4, s[14:15], v16, v16, v2
	v_rcp_f32_e32 v5, v4
	ds_write_b32 v8, v14
	ds_write_b32 v9, v15
	;; [unrolled: 1-line block ×3, first 2 shown]
	s_add_i32 s15, s26, -5
	v_fma_f32 v3, -v4, v5, 1.0
	v_fmac_f32_e32 v5, v3, v5
	v_div_scale_f32 v3, vcc, v2, v16, v2
	v_mul_f32_e32 v6, v3, v5
	v_fma_f32 v7, -v4, v6, v3
	v_fmac_f32_e32 v6, v7, v5
	v_fma_f32 v3, -v4, v6, v3
	v_div_fmas_f32 v3, v3, v5, v6
	v_div_fixup_f32 v2, v3, v16, v2
	ds_write_b32 v11, v2
.LBB5_33:
	s_cmp_lt_i32 s15, 0
	s_cbranch_scc1 .LBB5_46
; %bb.34:
	s_bitcmp1_b32 s15, 0
	s_cselect_b64 s[18:19], -1, 0
	s_and_b64 vcc, exec, s[18:19]
	s_mov_b32 s14, s15
	s_cbranch_vccnz .LBB5_39
; %bb.35:
	s_lshl_b32 s14, s15, 4
	v_add_u32_e32 v2, s14, v1
	ds_read_b32 v3, v2
	s_cmp_le_i32 s7, s15
	s_cbranch_scc1 .LBB5_38
; %bb.36:
	s_lshl_b32 s18, s26, 4
	s_lshl_b32 s17, s15, 2
	s_add_i32 s17, s18, s17
	v_lshl_or_b32 v4, v0, 2, s18
	s_add_i32 s17, s17, -16
	v_add_u32_e32 v4, 48, v4
	s_mov_b32 s18, s7
.LBB5_37:                               ; =>This Inner Loop Header: Depth=1
	v_mov_b32_e32 v6, s17
	ds_read_b32 v5, v4
	ds_read_b32 v6, v6
	s_add_i32 s18, s18, -1
	s_add_i32 s17, s17, -16
	v_add_u32_e32 v4, -16, v4
	s_cmp_gt_u32 s18, s15
	s_waitcnt lgkmcnt(0)
	v_fma_f32 v3, -v5, v6, v3
	s_cbranch_scc1 .LBB5_37
.LBB5_38:
	s_lshl_b32 s17, s15, 2
	s_add_i32 s14, s17, s14
	v_mov_b32_e32 v4, s14
	ds_read_b32 v4, v4
	s_add_i32 s14, s15, -1
	s_waitcnt lgkmcnt(0)
	v_div_scale_f32 v5, s[18:19], v4, v4, v3
	v_rcp_f32_e32 v6, v5
	v_div_scale_f32 v7, vcc, v3, v4, v3
	v_fma_f32 v8, -v5, v6, 1.0
	v_fmac_f32_e32 v6, v8, v6
	v_mul_f32_e32 v8, v7, v6
	v_fma_f32 v9, -v5, v8, v7
	v_fmac_f32_e32 v8, v9, v6
	v_fma_f32 v5, -v5, v8, v7
	v_div_fmas_f32 v5, v5, v6, v8
	v_div_fixup_f32 v3, v5, v4, v3
	ds_write_b32 v2, v3
.LBB5_39:
	s_cmp_eq_u32 s15, 0
	s_cbranch_scc1 .LBB5_46
; %bb.40:
	s_lshl_b32 s17, s26, 4
	s_lshl_b32 s15, s14, 2
	s_add_i32 s18, s17, s15
	v_lshl_or_b32 v2, v0, 2, s17
	s_add_i32 s15, s18, -16
	v_add_u32_e32 v2, 48, v2
	s_sub_i32 s17, s18, 20
	s_branch .LBB5_42
.LBB5_41:                               ;   in Loop: Header=BB5_42 Depth=1
	s_add_i32 s19, s19, s20
	s_add_i32 s19, s19, -4
	v_mov_b32_e32 v5, s19
	ds_read_b32 v5, v5
	s_add_i32 s14, s14, -2
	s_add_i32 s15, s15, -8
	;; [unrolled: 1-line block ×3, first 2 shown]
	s_cmp_eq_u32 s18, 0
	s_waitcnt lgkmcnt(0)
	v_div_scale_f32 v6, s[20:21], v5, v5, v4
	v_rcp_f32_e32 v7, v6
	v_div_scale_f32 v8, vcc, v4, v5, v4
	v_fma_f32 v9, -v6, v7, 1.0
	v_fmac_f32_e32 v7, v9, v7
	v_mul_f32_e32 v9, v8, v7
	v_fma_f32 v10, -v6, v9, v8
	v_fmac_f32_e32 v9, v10, v7
	v_fma_f32 v6, -v6, v9, v8
	v_div_fmas_f32 v6, v6, v7, v9
	v_div_fixup_f32 v4, v6, v5, v4
	ds_write_b32 v3, v4
	s_cbranch_scc1 .LBB5_46
.LBB5_42:                               ; =>This Loop Header: Depth=1
                                        ;     Child Loop BB5_43 Depth 2
                                        ;     Child Loop BB5_45 Depth 2
	s_lshl_b32 s18, s14, 4
	v_add_u32_e32 v5, s18, v1
	ds_read_b32 v6, v5
	s_cmp_le_i32 s7, s14
	v_mov_b32_e32 v3, v2
	s_mov_b32 s19, s15
	s_mov_b32 s20, s7
	s_cbranch_scc1 .LBB5_44
.LBB5_43:                               ;   Parent Loop BB5_42 Depth=1
                                        ; =>  This Inner Loop Header: Depth=2
	v_mov_b32_e32 v7, s19
	ds_read_b32 v4, v3
	ds_read_b32 v7, v7
	s_add_i32 s20, s20, -1
	s_add_i32 s19, s19, -16
	v_add_u32_e32 v3, -16, v3
	s_cmp_le_u32 s20, s14
	s_waitcnt lgkmcnt(0)
	v_fma_f32 v6, -v4, v7, v6
	s_cbranch_scc0 .LBB5_43
.LBB5_44:                               ;   in Loop: Header=BB5_42 Depth=1
	s_lshl_b32 s19, s14, 2
	s_add_i32 s18, s19, s18
	v_mov_b32_e32 v3, s18
	ds_read_b32 v7, v3
	s_add_i32 s18, s14, -1
	s_lshl_b32 s20, s18, 4
	v_add_u32_e32 v3, s20, v1
	ds_read_b32 v4, v3
	s_waitcnt lgkmcnt(1)
	v_div_scale_f32 v8, s[22:23], v7, v7, v6
	v_rcp_f32_e32 v9, v8
	v_div_scale_f32 v10, vcc, v6, v7, v6
	s_cmp_le_i32 s26, s14
	v_fma_f32 v11, -v8, v9, 1.0
	v_fmac_f32_e32 v9, v11, v9
	v_mul_f32_e32 v11, v10, v9
	v_fma_f32 v12, -v8, v11, v10
	v_fmac_f32_e32 v11, v12, v9
	v_fma_f32 v8, -v8, v11, v10
	v_div_fmas_f32 v8, v8, v9, v11
	v_div_fixup_f32 v6, v8, v7, v6
	ds_write_b32 v5, v6
	v_mov_b32_e32 v5, v2
	s_mov_b32 s21, s17
	s_mov_b32 s22, s7
	s_cbranch_scc1 .LBB5_41
.LBB5_45:                               ;   Parent Loop BB5_42 Depth=1
                                        ; =>  This Inner Loop Header: Depth=2
	v_mov_b32_e32 v7, s21
	ds_read_b32 v6, v5
	ds_read_b32 v7, v7
	s_add_i32 s22, s22, -1
	s_add_i32 s21, s21, -16
	v_add_u32_e32 v5, -16, v5
	s_cmp_gt_u32 s22, s18
	s_waitcnt lgkmcnt(0)
	v_fma_f32 v4, -v6, v7, v4
	s_cbranch_scc1 .LBB5_45
	s_branch .LBB5_41
.LBB5_46:
	s_mov_b64 s[20:21], 0
.LBB5_47:
	s_andn2_b64 vcc, exec, s[20:21]
	s_cbranch_vccnz .LBB5_63
; %bb.48:
	s_and_b64 vcc, exec, s[4:5]
	s_mov_b32 s5, s7
	s_cbranch_vccz .LBB5_50
; %bb.49:
	s_add_i32 s4, s26, -2
	s_lshl_b32 s14, s4, 2
	s_lshl_b32 s4, s4, 4
	v_add_u32_e32 v9, s4, v1
	s_add_i32 s15, s26, -3
	s_add_i32 s4, s4, s14
	s_lshl_b32 s17, s15, 4
	v_mov_b32_e32 v3, s4
	s_lshl_b32 s4, s7, 2
	s_add_i32 s18, s26, -4
	s_mul_i32 s5, s7, 20
	s_add_i32 s4, s17, s4
	v_lshl_add_u32 v8, s7, 4, v1
	s_lshl_b32 s19, s18, 4
	v_mov_b32_e32 v2, s5
	v_mov_b32_e32 v4, s4
	v_add_u32_e32 v10, s17, v1
	v_add_u32_e32 v11, s19, v1
	ds_read_b32 v5, v8
	ds_read_b32 v6, v9
	;; [unrolled: 1-line block ×5, first 2 shown]
	ds_read2_b32 v[2:3], v3 offset1:1
	ds_read_b32 v4, v4
	s_waitcnt lgkmcnt(3)
	v_div_scale_f32 v14, s[4:5], v12, v12, v5
	v_rcp_f32_e32 v15, v14
	s_nop 0
	v_fma_f32 v16, -v14, v15, 1.0
	v_fmac_f32_e32 v15, v16, v15
	v_div_scale_f32 v16, vcc, v5, v12, v5
	v_mul_f32_e32 v17, v16, v15
	v_fma_f32 v18, -v14, v17, v16
	v_fmac_f32_e32 v17, v18, v15
	v_fma_f32 v14, -v14, v17, v16
	v_div_fmas_f32 v14, v14, v15, v17
	v_div_fixup_f32 v12, v14, v12, v5
	s_waitcnt lgkmcnt(1)
	v_fma_f32 v3, -v12, v3, v6
	v_div_scale_f32 v5, s[4:5], v2, v2, v3
	v_rcp_f32_e32 v6, v5
	s_lshl_b32 s4, s15, 2
	s_add_i32 s4, s17, s4
	s_lshl_b32 s5, s18, 2
	v_fma_f32 v14, -v5, v6, 1.0
	v_fmac_f32_e32 v6, v14, v6
	v_div_scale_f32 v14, vcc, v3, v2, v3
	v_mul_f32_e32 v15, v14, v6
	v_fma_f32 v16, -v5, v15, v14
	v_fmac_f32_e32 v15, v16, v6
	v_fma_f32 v5, -v5, v15, v14
	v_div_fmas_f32 v5, v5, v6, v15
	v_div_fixup_f32 v14, v5, v2, v3
	v_mov_b32_e32 v2, s4
	ds_read2_b32 v[2:3], v2 offset1:1
	s_waitcnt lgkmcnt(1)
	v_fma_f32 v15, -v12, v4, v7
	s_add_i32 s4, s19, s14
	v_mov_b32_e32 v4, s4
	s_add_i32 s4, s19, s5
	s_waitcnt lgkmcnt(0)
	v_fma_f32 v3, -v14, v3, v15
	v_mov_b32_e32 v6, s4
	v_div_scale_f32 v15, s[4:5], v2, v2, v3
	v_rcp_f32_e32 v16, v15
	ds_read2_b32 v[4:5], v4 offset1:1
	ds_read2_b32 v[6:7], v6 offset1:1
	v_fma_f32 v17, -v15, v16, 1.0
	v_fmac_f32_e32 v16, v17, v16
	v_div_scale_f32 v17, vcc, v3, v2, v3
	v_mul_f32_e32 v18, v17, v16
	v_fma_f32 v19, -v15, v18, v17
	v_fmac_f32_e32 v18, v19, v16
	v_fma_f32 v15, -v15, v18, v17
	v_div_fmas_f32 v15, v15, v16, v18
	v_div_fixup_f32 v2, v15, v2, v3
	s_waitcnt lgkmcnt(1)
	v_fma_f32 v3, -v12, v5, v13
	v_fma_f32 v3, -v14, v4, v3
	s_waitcnt lgkmcnt(0)
	v_fma_f32 v3, -v2, v7, v3
	v_div_scale_f32 v4, s[4:5], v6, v6, v3
	v_rcp_f32_e32 v5, v4
	ds_write_b32 v8, v12
	ds_write_b32 v9, v14
	;; [unrolled: 1-line block ×3, first 2 shown]
	s_add_i32 s5, s26, -5
	v_fma_f32 v2, -v4, v5, 1.0
	v_fmac_f32_e32 v5, v2, v5
	v_div_scale_f32 v2, vcc, v3, v6, v3
	v_mul_f32_e32 v7, v2, v5
	v_fma_f32 v8, -v4, v7, v2
	v_fmac_f32_e32 v7, v8, v5
	v_fma_f32 v2, -v4, v7, v2
	v_div_fmas_f32 v2, v2, v5, v7
	v_div_fixup_f32 v2, v2, v6, v3
	ds_write_b32 v11, v2
.LBB5_50:
	s_cmp_lt_i32 s5, 0
	s_cbranch_scc1 .LBB5_63
; %bb.51:
	s_bitcmp1_b32 s5, 0
	s_cselect_b64 s[14:15], -1, 0
	s_and_b64 vcc, exec, s[14:15]
	s_mov_b32 s4, s5
	s_cbranch_vccnz .LBB5_56
; %bb.52:
	v_lshl_add_u32 v2, s5, 4, v1
	ds_read_b32 v3, v2
	s_cmp_le_i32 s7, s5
	s_cbranch_scc1 .LBB5_55
; %bb.53:
	s_lshl_b32 s4, s5, 4
	s_lshl_b32 s14, s26, 2
	v_lshlrev_b32_e32 v4, 2, v0
	s_add_i32 s4, s4, s14
	v_lshl_or_b32 v4, s26, 4, v4
	s_add_i32 s4, s4, -4
	v_add_u32_e32 v4, 48, v4
	s_mov_b32 s14, s7
.LBB5_54:                               ; =>This Inner Loop Header: Depth=1
	v_mov_b32_e32 v6, s4
	ds_read_b32 v5, v4
	ds_read_b32 v6, v6
	s_add_i32 s14, s14, -1
	s_add_i32 s4, s4, -4
	v_add_u32_e32 v4, -16, v4
	s_cmp_gt_u32 s14, s5
	s_waitcnt lgkmcnt(0)
	v_fma_f32 v3, -v5, v6, v3
	s_cbranch_scc1 .LBB5_54
.LBB5_55:
	s_mul_i32 s4, s5, 20
	v_mov_b32_e32 v4, s4
	ds_read_b32 v4, v4
	s_add_i32 s4, s5, -1
	s_waitcnt lgkmcnt(0)
	v_div_scale_f32 v5, s[14:15], v4, v4, v3
	v_rcp_f32_e32 v6, v5
	v_div_scale_f32 v7, vcc, v3, v4, v3
	v_fma_f32 v8, -v5, v6, 1.0
	v_fmac_f32_e32 v6, v8, v6
	v_mul_f32_e32 v8, v7, v6
	v_fma_f32 v9, -v5, v8, v7
	v_fmac_f32_e32 v8, v9, v6
	v_fma_f32 v5, -v5, v8, v7
	v_div_fmas_f32 v5, v5, v6, v8
	v_div_fixup_f32 v3, v5, v4, v3
	ds_write_b32 v2, v3
.LBB5_56:
	s_cmp_eq_u32 s5, 0
	s_cbranch_scc1 .LBB5_63
; %bb.57:
	v_lshlrev_b32_e32 v2, 2, v0
	s_lshl_b32 s5, s4, 4
	s_lshl_b32 s14, s26, 2
	v_lshl_or_b32 v2, s26, 4, v2
	s_add_i32 s14, s5, s14
	v_add_u32_e32 v2, 48, v2
	s_add_i32 s5, s14, -4
	s_sub_i32 s14, s14, 20
	s_branch .LBB5_59
.LBB5_58:                               ;   in Loop: Header=BB5_59 Depth=1
	s_sub_i32 s17, s17, 20
	v_mov_b32_e32 v5, s17
	ds_read_b32 v5, v5
	s_add_i32 s4, s4, -2
	s_sub_i32 s5, s5, 32
	s_sub_i32 s14, s14, 32
	s_cmp_eq_u32 s15, 0
	s_waitcnt lgkmcnt(0)
	v_div_scale_f32 v6, s[18:19], v5, v5, v4
	v_rcp_f32_e32 v7, v6
	v_div_scale_f32 v8, vcc, v4, v5, v4
	v_fma_f32 v9, -v6, v7, 1.0
	v_fmac_f32_e32 v7, v9, v7
	v_mul_f32_e32 v9, v8, v7
	v_fma_f32 v10, -v6, v9, v8
	v_fmac_f32_e32 v9, v10, v7
	v_fma_f32 v6, -v6, v9, v8
	v_div_fmas_f32 v6, v6, v7, v9
	v_div_fixup_f32 v4, v6, v5, v4
	ds_write_b32 v3, v4
	s_cbranch_scc1 .LBB5_63
.LBB5_59:                               ; =>This Loop Header: Depth=1
                                        ;     Child Loop BB5_60 Depth 2
                                        ;     Child Loop BB5_62 Depth 2
	v_lshl_add_u32 v5, s4, 4, v1
	ds_read_b32 v6, v5
	s_cmp_le_i32 s7, s4
	s_mov_b32 s15, s5
	v_mov_b32_e32 v3, v2
	s_mov_b32 s17, s7
	s_cbranch_scc1 .LBB5_61
.LBB5_60:                               ;   Parent Loop BB5_59 Depth=1
                                        ; =>  This Inner Loop Header: Depth=2
	v_mov_b32_e32 v7, s15
	ds_read_b32 v4, v3
	ds_read_b32 v7, v7
	s_add_i32 s17, s17, -1
	s_add_i32 s15, s15, -4
	v_add_u32_e32 v3, -16, v3
	s_cmp_le_u32 s17, s4
	s_waitcnt lgkmcnt(0)
	v_fma_f32 v6, -v4, v7, v6
	s_cbranch_scc0 .LBB5_60
.LBB5_61:                               ;   in Loop: Header=BB5_59 Depth=1
	s_mul_i32 s17, s4, 20
	v_mov_b32_e32 v3, s17
	ds_read_b32 v7, v3
	s_add_i32 s15, s4, -1
	v_lshl_add_u32 v3, s15, 4, v1
	ds_read_b32 v4, v3
	s_cmp_le_i32 s26, s4
	s_waitcnt lgkmcnt(1)
	v_div_scale_f32 v8, s[18:19], v7, v7, v6
	v_rcp_f32_e32 v9, v8
	v_div_scale_f32 v10, vcc, v6, v7, v6
	s_mov_b32 s18, s14
	v_fma_f32 v11, -v8, v9, 1.0
	v_fmac_f32_e32 v9, v11, v9
	v_mul_f32_e32 v11, v10, v9
	v_fma_f32 v12, -v8, v11, v10
	v_fmac_f32_e32 v11, v12, v9
	v_fma_f32 v8, -v8, v11, v10
	v_div_fmas_f32 v8, v8, v9, v11
	v_div_fixup_f32 v6, v8, v7, v6
	ds_write_b32 v5, v6
	v_mov_b32_e32 v5, v2
	s_mov_b32 s19, s7
	s_cbranch_scc1 .LBB5_58
.LBB5_62:                               ;   Parent Loop BB5_59 Depth=1
                                        ; =>  This Inner Loop Header: Depth=2
	v_mov_b32_e32 v7, s18
	ds_read_b32 v6, v5
	ds_read_b32 v7, v7
	s_add_i32 s19, s19, -1
	s_add_i32 s18, s18, -4
	v_add_u32_e32 v5, -16, v5
	s_cmp_gt_u32 s19, s15
	s_waitcnt lgkmcnt(0)
	v_fma_f32 v4, -v6, v7, v4
	s_cbranch_scc1 .LBB5_62
	s_branch .LBB5_58
.LBB5_63:
	s_mov_b64 s[20:21], 0
.LBB5_64:
	s_andn2_b64 vcc, exec, s[20:21]
	s_cbranch_vccnz .LBB5_72
; %bb.65:
	v_lshl_or_b32 v1, v0, 2, 64
	s_cmp_gt_i32 s16, 3
	s_mov_b32 s4, 0
	s_cbranch_scc0 .LBB5_67
; %bb.66:
	v_mov_b32_e32 v7, 0
	ds_read2_b32 v[2:3], v1 offset1:4
	ds_read_b32 v10, v7
	ds_read_b64 v[8:9], v7 offset:16
	ds_read_b96 v[4:6], v7 offset:32
	s_waitcnt lgkmcnt(2)
	v_div_scale_f32 v11, s[4:5], v10, v10, v2
	v_rcp_f32_e32 v12, v11
	v_div_scale_f32 v13, vcc, v2, v10, v2
	v_fma_f32 v14, -v11, v12, 1.0
	v_fmac_f32_e32 v12, v14, v12
	v_mul_f32_e32 v14, v13, v12
	v_fma_f32 v15, -v11, v14, v13
	v_fmac_f32_e32 v14, v15, v12
	v_fma_f32 v11, -v11, v14, v13
	v_div_fmas_f32 v11, v11, v12, v14
	v_div_fixup_f32 v12, v11, v10, v2
	s_waitcnt lgkmcnt(1)
	v_fma_f32 v2, -v12, v8, v3
	v_div_scale_f32 v3, s[4:5], v9, v9, v2
	v_rcp_f32_e32 v8, v3
	ds_read2_b32 v[10:11], v1 offset0:8 offset1:12
	v_fma_f32 v13, -v3, v8, 1.0
	v_fmac_f32_e32 v8, v13, v8
	v_div_scale_f32 v13, vcc, v2, v9, v2
	v_mul_f32_e32 v14, v13, v8
	v_fma_f32 v15, -v3, v14, v13
	v_fmac_f32_e32 v14, v15, v8
	v_fma_f32 v3, -v3, v14, v13
	v_div_fmas_f32 v3, v3, v8, v14
	v_div_fixup_f32 v8, v3, v9, v2
	s_waitcnt lgkmcnt(0)
	v_fma_f32 v2, -v12, v4, v10
	v_fma_f32 v9, -v8, v5, v2
	v_div_scale_f32 v10, s[4:5], v6, v6, v9
	v_rcp_f32_e32 v13, v10
	ds_read_b128 v[2:5], v7 offset:48
	ds_write2_b32 v1, v12, v8 offset1:4
	v_fma_f32 v7, -v10, v13, 1.0
	v_fmac_f32_e32 v13, v7, v13
	v_div_scale_f32 v7, vcc, v9, v6, v9
	v_mul_f32_e32 v14, v7, v13
	v_fma_f32 v15, -v10, v14, v7
	v_fmac_f32_e32 v14, v15, v13
	v_fma_f32 v7, -v10, v14, v7
	v_div_fmas_f32 v7, v7, v13, v14
	s_waitcnt lgkmcnt(1)
	v_fma_f32 v2, -v12, v2, v11
	v_div_fixup_f32 v6, v7, v6, v9
	v_fma_f32 v2, -v8, v3, v2
	v_fma_f32 v2, -v6, v4, v2
	v_div_scale_f32 v3, s[4:5], v5, v5, v2
	v_rcp_f32_e32 v4, v3
	s_mov_b32 s4, 4
	v_fma_f32 v7, -v3, v4, 1.0
	v_fmac_f32_e32 v4, v7, v4
	v_div_scale_f32 v7, vcc, v2, v5, v2
	v_mul_f32_e32 v8, v7, v4
	v_fma_f32 v9, -v3, v8, v7
	v_fmac_f32_e32 v8, v9, v4
	v_fma_f32 v3, -v3, v8, v7
	v_div_fmas_f32 v3, v3, v4, v8
	v_div_fixup_f32 v2, v3, v5, v2
	ds_write2_b32 v1, v6, v2 offset0:8 offset1:12
.LBB5_67:
	s_cmp_ge_i32 s4, s26
	s_cbranch_scc1 .LBB5_72
; %bb.68:
	s_lshl_b32 s5, s4, 4
	s_branch .LBB5_70
.LBB5_69:                               ;   in Loop: Header=BB5_70 Depth=1
	s_mul_i32 s7, s4, 20
	v_mov_b32_e32 v4, s7
	ds_read_b32 v4, v4
	s_add_i32 s4, s4, 1
	s_add_i32 s5, s5, 16
	s_cmp_ge_i32 s4, s26
	s_waitcnt lgkmcnt(0)
	v_div_scale_f32 v5, s[14:15], v4, v4, v3
	v_rcp_f32_e32 v6, v5
	v_div_scale_f32 v7, vcc, v3, v4, v3
	v_fma_f32 v8, -v5, v6, 1.0
	v_fmac_f32_e32 v6, v8, v6
	v_mul_f32_e32 v8, v7, v6
	v_fma_f32 v9, -v5, v8, v7
	v_fmac_f32_e32 v8, v9, v6
	v_fma_f32 v5, -v5, v8, v7
	v_div_fmas_f32 v5, v5, v6, v8
	v_div_fixup_f32 v3, v5, v4, v3
	ds_write_b32 v2, v3
	s_cbranch_scc1 .LBB5_72
.LBB5_70:                               ; =>This Loop Header: Depth=1
                                        ;     Child Loop BB5_71 Depth 2
	v_lshl_add_u32 v2, s4, 4, v1
	ds_read_b32 v3, v2
	s_cmp_eq_u32 s4, 0
	s_mov_b32 s7, s5
	v_mov_b32_e32 v4, v1
	s_mov_b32 s14, s4
	s_cbranch_scc1 .LBB5_69
.LBB5_71:                               ;   Parent Loop BB5_70 Depth=1
                                        ; =>  This Inner Loop Header: Depth=2
	v_mov_b32_e32 v6, s7
	ds_read_b32 v5, v4
	ds_read_b32 v6, v6
	s_add_i32 s14, s14, -1
	s_add_i32 s7, s7, 4
	v_add_u32_e32 v4, 16, v4
	s_cmp_eq_u32 s14, 0
	s_waitcnt lgkmcnt(0)
	v_fma_f32 v3, -v5, v6, v3
	s_cbranch_scc0 .LBB5_71
	s_branch .LBB5_69
.LBB5_72:
	s_and_saveexec_b64 s[4:5], s[0:1]
	s_cbranch_execz .LBB5_81
; %bb.73:
	s_cmp_lt_i32 s16, 1
	s_cbranch_scc1 .LBB5_81
; %bb.74:
	s_cmp_eq_u32 s16, 1
	s_cselect_b64 s[0:1], -1, 0
	s_cmp_lg_u32 s6, 1
	s_cselect_b64 s[4:5], -1, 0
	s_or_b64 s[0:1], s[0:1], s[4:5]
	v_mov_b32_e32 v3, 0
	s_and_b64 vcc, exec, s[0:1]
	v_lshlrev_b32_e32 v2, 2, v0
	s_cbranch_vccnz .LBB5_78
; %bb.75:
	s_and_b32 s4, s16, 0x7ffffffe
	v_lshl_add_u64 v[4:5], s[12:13], 0, v[2:3]
	v_lshl_or_b32 v0, v0, 2, 64
	s_mov_b32 s0, 1
	s_mov_b32 s1, 0
	;; [unrolled: 1-line block ×3, first 2 shown]
.LBB5_76:                               ; =>This Inner Loop Header: Depth=1
	v_lshl_add_u32 v1, s1, 4, v0
	v_lshl_add_u32 v3, s0, 4, v0
	ds_read_b32 v6, v1
	ds_read_b32 v7, v3
	s_add_i32 s1, s1, 2
	s_add_i32 s0, s0, 2
	s_add_i32 s5, s5, -2
	s_cmp_lg_u32 s5, 0
	s_waitcnt lgkmcnt(0)
	flat_store_dwordx2 v[4:5], v[6:7]
	v_lshl_add_u64 v[4:5], v[4:5], 0, 8
	s_cbranch_scc1 .LBB5_76
; %bb.77:
	s_cmp_lg_u32 s16, s4
	s_cselect_b64 s[0:1], -1, 0
	s_and_b64 vcc, exec, s[0:1]
	s_cbranch_vccnz .LBB5_79
	s_branch .LBB5_81
.LBB5_78:
	s_mov_b32 s4, 0
	s_cbranch_execz .LBB5_81
.LBB5_79:
	s_mul_hi_i32 s1, s6, s4
	s_mul_i32 s0, s6, s4
	s_ashr_i32 s7, s6, 31
	s_sub_i32 s5, s16, s4
	s_lshl_b64 s[0:1], s[0:1], 2
	s_add_u32 s0, s0, s2
	s_addc_u32 s1, s1, s3
	s_add_u32 s0, s0, s10
	s_addc_u32 s1, s1, s11
	s_add_u32 s0, s8, s0
	v_mov_b32_e32 v3, 0
	s_addc_u32 s1, s9, s1
	v_lshl_add_u64 v[0:1], s[0:1], 0, v[2:3]
	v_lshl_or_b32 v2, s4, 4, v2
	s_lshl_b64 s[0:1], s[6:7], 2
	v_add_u32_e32 v2, 64, v2
.LBB5_80:                               ; =>This Inner Loop Header: Depth=1
	ds_read_b32 v3, v2
	s_add_i32 s5, s5, -1
	v_add_u32_e32 v2, 16, v2
	s_cmp_lg_u32 s5, 0
	s_waitcnt lgkmcnt(0)
	flat_store_dword v[0:1], v3
	v_lshl_add_u64 v[0:1], v[0:1], 0, s[0:1]
	s_cbranch_scc1 .LBB5_80
.LBB5_81:
	s_endpgm
	.section	.rodata,"a",@progbits
	.p2align	6, 0x0
	.amdhsa_kernel _ZL31rocblas_trsm_small_right_deviceIffPKPKfPKPfLi4EEv13rocblas_fill_18rocblas_operation_17rocblas_diagonal_iiT0_T1_lilT2_lili
		.amdhsa_group_segment_fixed_size 128
		.amdhsa_private_segment_fixed_size 0
		.amdhsa_kernarg_size 352
		.amdhsa_user_sgpr_count 2
		.amdhsa_user_sgpr_dispatch_ptr 0
		.amdhsa_user_sgpr_queue_ptr 0
		.amdhsa_user_sgpr_kernarg_segment_ptr 1
		.amdhsa_user_sgpr_dispatch_id 0
		.amdhsa_user_sgpr_kernarg_preload_length 0
		.amdhsa_user_sgpr_kernarg_preload_offset 0
		.amdhsa_user_sgpr_private_segment_size 0
		.amdhsa_uses_dynamic_stack 0
		.amdhsa_enable_private_segment 0
		.amdhsa_system_sgpr_workgroup_id_x 1
		.amdhsa_system_sgpr_workgroup_id_y 0
		.amdhsa_system_sgpr_workgroup_id_z 1
		.amdhsa_system_sgpr_workgroup_info 0
		.amdhsa_system_vgpr_workitem_id 0
		.amdhsa_next_free_vgpr 20
		.amdhsa_next_free_sgpr 32
		.amdhsa_accum_offset 20
		.amdhsa_reserve_vcc 1
		.amdhsa_float_round_mode_32 0
		.amdhsa_float_round_mode_16_64 0
		.amdhsa_float_denorm_mode_32 3
		.amdhsa_float_denorm_mode_16_64 3
		.amdhsa_dx10_clamp 1
		.amdhsa_ieee_mode 1
		.amdhsa_fp16_overflow 0
		.amdhsa_tg_split 0
		.amdhsa_exception_fp_ieee_invalid_op 0
		.amdhsa_exception_fp_denorm_src 0
		.amdhsa_exception_fp_ieee_div_zero 0
		.amdhsa_exception_fp_ieee_overflow 0
		.amdhsa_exception_fp_ieee_underflow 0
		.amdhsa_exception_fp_ieee_inexact 0
		.amdhsa_exception_int_div_zero 0
	.end_amdhsa_kernel
	.section	.text._ZL31rocblas_trsm_small_right_deviceIffPKPKfPKPfLi4EEv13rocblas_fill_18rocblas_operation_17rocblas_diagonal_iiT0_T1_lilT2_lili,"axG",@progbits,_ZL31rocblas_trsm_small_right_deviceIffPKPKfPKPfLi4EEv13rocblas_fill_18rocblas_operation_17rocblas_diagonal_iiT0_T1_lilT2_lili,comdat
.Lfunc_end5:
	.size	_ZL31rocblas_trsm_small_right_deviceIffPKPKfPKPfLi4EEv13rocblas_fill_18rocblas_operation_17rocblas_diagonal_iiT0_T1_lilT2_lili, .Lfunc_end5-_ZL31rocblas_trsm_small_right_deviceIffPKPKfPKPfLi4EEv13rocblas_fill_18rocblas_operation_17rocblas_diagonal_iiT0_T1_lilT2_lili
                                        ; -- End function
	.set _ZL31rocblas_trsm_small_right_deviceIffPKPKfPKPfLi4EEv13rocblas_fill_18rocblas_operation_17rocblas_diagonal_iiT0_T1_lilT2_lili.num_vgpr, 20
	.set _ZL31rocblas_trsm_small_right_deviceIffPKPKfPKPfLi4EEv13rocblas_fill_18rocblas_operation_17rocblas_diagonal_iiT0_T1_lilT2_lili.num_agpr, 0
	.set _ZL31rocblas_trsm_small_right_deviceIffPKPKfPKPfLi4EEv13rocblas_fill_18rocblas_operation_17rocblas_diagonal_iiT0_T1_lilT2_lili.numbered_sgpr, 32
	.set _ZL31rocblas_trsm_small_right_deviceIffPKPKfPKPfLi4EEv13rocblas_fill_18rocblas_operation_17rocblas_diagonal_iiT0_T1_lilT2_lili.num_named_barrier, 0
	.set _ZL31rocblas_trsm_small_right_deviceIffPKPKfPKPfLi4EEv13rocblas_fill_18rocblas_operation_17rocblas_diagonal_iiT0_T1_lilT2_lili.private_seg_size, 0
	.set _ZL31rocblas_trsm_small_right_deviceIffPKPKfPKPfLi4EEv13rocblas_fill_18rocblas_operation_17rocblas_diagonal_iiT0_T1_lilT2_lili.uses_vcc, 1
	.set _ZL31rocblas_trsm_small_right_deviceIffPKPKfPKPfLi4EEv13rocblas_fill_18rocblas_operation_17rocblas_diagonal_iiT0_T1_lilT2_lili.uses_flat_scratch, 0
	.set _ZL31rocblas_trsm_small_right_deviceIffPKPKfPKPfLi4EEv13rocblas_fill_18rocblas_operation_17rocblas_diagonal_iiT0_T1_lilT2_lili.has_dyn_sized_stack, 0
	.set _ZL31rocblas_trsm_small_right_deviceIffPKPKfPKPfLi4EEv13rocblas_fill_18rocblas_operation_17rocblas_diagonal_iiT0_T1_lilT2_lili.has_recursion, 0
	.set _ZL31rocblas_trsm_small_right_deviceIffPKPKfPKPfLi4EEv13rocblas_fill_18rocblas_operation_17rocblas_diagonal_iiT0_T1_lilT2_lili.has_indirect_call, 0
	.section	.AMDGPU.csdata,"",@progbits
; Kernel info:
; codeLenInByte = 5220
; TotalNumSgprs: 38
; NumVgprs: 20
; NumAgprs: 0
; TotalNumVgprs: 20
; ScratchSize: 0
; MemoryBound: 0
; FloatMode: 240
; IeeeMode: 1
; LDSByteSize: 128 bytes/workgroup (compile time only)
; SGPRBlocks: 4
; VGPRBlocks: 2
; NumSGPRsForWavesPerEU: 38
; NumVGPRsForWavesPerEU: 20
; AccumOffset: 20
; Occupancy: 8
; WaveLimiterHint : 0
; COMPUTE_PGM_RSRC2:SCRATCH_EN: 0
; COMPUTE_PGM_RSRC2:USER_SGPR: 2
; COMPUTE_PGM_RSRC2:TRAP_HANDLER: 0
; COMPUTE_PGM_RSRC2:TGID_X_EN: 1
; COMPUTE_PGM_RSRC2:TGID_Y_EN: 0
; COMPUTE_PGM_RSRC2:TGID_Z_EN: 1
; COMPUTE_PGM_RSRC2:TIDIG_COMP_CNT: 0
; COMPUTE_PGM_RSRC3_GFX90A:ACCUM_OFFSET: 4
; COMPUTE_PGM_RSRC3_GFX90A:TG_SPLIT: 0
	.section	.text._ZL38rocblas_trsm_small_left_device_sharedBILi8ELi8ELb0EffPKPKfPKPfEv13rocblas_fill_18rocblas_operation_17rocblas_diagonal_iiT3_T4_lilT5_lili,"axG",@progbits,_ZL38rocblas_trsm_small_left_device_sharedBILi8ELi8ELb0EffPKPKfPKPfEv13rocblas_fill_18rocblas_operation_17rocblas_diagonal_iiT3_T4_lilT5_lili,comdat
	.globl	_ZL38rocblas_trsm_small_left_device_sharedBILi8ELi8ELb0EffPKPKfPKPfEv13rocblas_fill_18rocblas_operation_17rocblas_diagonal_iiT3_T4_lilT5_lili ; -- Begin function _ZL38rocblas_trsm_small_left_device_sharedBILi8ELi8ELb0EffPKPKfPKPfEv13rocblas_fill_18rocblas_operation_17rocblas_diagonal_iiT3_T4_lilT5_lili
	.p2align	8
	.type	_ZL38rocblas_trsm_small_left_device_sharedBILi8ELi8ELb0EffPKPKfPKPfEv13rocblas_fill_18rocblas_operation_17rocblas_diagonal_iiT3_T4_lilT5_lili,@function
_ZL38rocblas_trsm_small_left_device_sharedBILi8ELi8ELb0EffPKPKfPKPfEv13rocblas_fill_18rocblas_operation_17rocblas_diagonal_iiT3_T4_lilT5_lili: ; @_ZL38rocblas_trsm_small_left_device_sharedBILi8ELi8ELb0EffPKPKfPKPfEv13rocblas_fill_18rocblas_operation_17rocblas_diagonal_iiT3_T4_lilT5_lili
; %bb.0:
	s_load_dwordx4 s[8:11], s[0:1], 0x38
	s_load_dwordx4 s[4:7], s[0:1], 0x4
	s_load_dword s24, s[0:1], 0x14
	s_mov_b32 s18, s3
	s_mov_b32 s19, 0
	s_lshl_b64 s[22:23], s[18:19], 3
	s_waitcnt lgkmcnt(0)
	s_add_u32 s8, s8, s22
	s_addc_u32 s9, s9, s23
	s_load_dwordx2 s[8:9], s[8:9], 0x0
	s_min_i32 s18, s6, 8
	v_cmp_gt_i32_e32 vcc, s18, v0
	s_and_saveexec_b64 s[16:17], vcc
	s_cbranch_execz .LBB6_11
; %bb.1:
	s_load_dwordx4 s[12:15], s[0:1], 0x18
	s_load_dword s20, s[0:1], 0x28
	v_lshlrev_b32_e32 v2, 2, v0
	v_mov_b32_e32 v3, 0
	s_mov_b32 s3, 1
	s_waitcnt lgkmcnt(0)
	s_add_u32 s12, s12, s22
	s_addc_u32 s13, s13, s23
	s_load_dwordx2 s[12:13], s[12:13], 0x0
	s_cmp_lt_u32 s18, 2
	s_cselect_b64 s[26:27], -1, 0
	s_cmp_lg_u32 s20, 1
	s_cselect_b64 s[28:29], -1, 0
	s_or_b64 s[26:27], s[26:27], s[28:29]
	s_mov_b64 s[22:23], -1
	s_and_b64 vcc, exec, s[26:27]
	s_cbranch_vccnz .LBB6_5
; %bb.2:
	s_lshl_b64 s[22:23], s[14:15], 2
	s_waitcnt lgkmcnt(0)
	s_add_u32 s22, s12, s22
	s_addc_u32 s23, s13, s23
	s_and_b32 s19, s18, -2
	v_lshl_add_u64 v[4:5], s[22:23], 0, v[2:3]
	s_mov_b32 s21, 0
	s_mov_b32 s22, s19
.LBB6_3:                                ; =>This Inner Loop Header: Depth=1
	flat_load_dwordx2 v[6:7], v[4:5]
	v_lshl_or_b32 v1, s21, 5, v2
	v_lshl_or_b32 v3, s3, 5, v2
	s_add_i32 s21, s21, 2
	s_add_i32 s3, s3, 2
	s_add_i32 s22, s22, -2
	v_lshl_add_u64 v[4:5], v[4:5], 0, 8
	s_cmp_lg_u32 s22, 0
	s_waitcnt vmcnt(0) lgkmcnt(0)
	ds_write_b32 v1, v6
	ds_write_b32 v3, v7
	s_cbranch_scc1 .LBB6_3
; %bb.4:
	s_cmp_lg_u32 s18, s19
	s_cselect_b64 s[22:23], -1, 0
.LBB6_5:
	s_and_b64 vcc, exec, s[22:23]
	s_cbranch_vccz .LBB6_8
; %bb.6:
	s_ashr_i32 s21, s20, 31
	s_mul_hi_u32 s3, s20, s19
	s_mul_i32 s22, s21, s19
	s_add_i32 s23, s3, s22
	s_mul_i32 s22, s20, s19
	s_lshl_b64 s[22:23], s[22:23], 2
	s_lshl_b64 s[14:15], s[14:15], 2
	s_add_u32 s3, s22, s14
	s_addc_u32 s14, s23, s15
	s_waitcnt lgkmcnt(0)
	s_add_u32 s12, s12, s3
	v_mov_b32_e32 v3, 0
	s_addc_u32 s13, s13, s14
	v_lshl_add_u64 v[4:5], s[12:13], 0, v[2:3]
	s_lshl_b64 s[12:13], s[20:21], 2
	s_sub_i32 s3, s18, s19
	v_lshl_or_b32 v1, s19, 5, v2
.LBB6_7:                                ; =>This Inner Loop Header: Depth=1
	flat_load_dword v3, v[4:5]
	s_add_i32 s3, s3, -1
	v_lshl_add_u64 v[4:5], v[4:5], 0, s[12:13]
	s_cmp_eq_u32 s3, 0
	s_waitcnt vmcnt(0) lgkmcnt(0)
	ds_write_b32 v1, v3
	v_add_u32_e32 v1, 32, v1
	s_cbranch_scc0 .LBB6_7
.LBB6_8:
	v_lshlrev_b32_e32 v1, 5, v0
	s_cmpk_lg_i32 s5, 0x84
	v_mov_b32_e32 v3, 1.0
	v_add_u32_e32 v1, v2, v1
	s_cbranch_scc0 .LBB6_10
; %bb.9:
	ds_read_b32 v2, v1
	s_waitcnt lgkmcnt(0)
	v_div_scale_f32 v3, s[12:13], v2, v2, 1.0
	v_rcp_f32_e32 v4, v3
	v_div_scale_f32 v5, vcc, 1.0, v2, 1.0
	v_fma_f32 v6, -v3, v4, 1.0
	v_fmac_f32_e32 v4, v6, v4
	v_mul_f32_e32 v6, v5, v4
	v_fma_f32 v7, -v3, v6, v5
	v_fmac_f32_e32 v6, v7, v4
	v_fma_f32 v3, -v3, v6, v5
	v_div_fmas_f32 v3, v3, v4, v6
	v_div_fixup_f32 v3, v3, v2, 1.0
.LBB6_10:
	ds_write_b32 v1, v3
.LBB6_11:
	s_or_b64 exec, exec, s[16:17]
	s_load_dword s3, s[0:1], 0x60
	s_waitcnt lgkmcnt(0)
	s_load_dword s12, s[0:1], 0x48
	s_lshl_b64 s[0:1], s[10:11], 2
	s_add_u32 s5, s8, s0
	s_addc_u32 s8, s9, s1
	s_lshl_b32 s0, s2, 3
	s_add_i32 s3, s3, -1
	s_sub_i32 s1, s7, s0
	s_cmp_ge_u32 s2, s3
	s_cselect_b32 s7, s1, 8
	s_waitcnt lgkmcnt(0)
	s_mul_hi_i32 s1, s12, s0
	s_mul_i32 s0, s12, s0
	s_lshl_b64 s[0:1], s[0:1], 2
	s_add_u32 s2, s5, s0
	s_addc_u32 s3, s8, s1
	s_cmp_gt_i32 s6, 0
	v_cmp_gt_i32_e64 s[0:1], s7, v0
	s_cselect_b64 s[8:9], -1, 0
	s_and_b64 s[14:15], s[0:1], s[8:9]
	s_and_saveexec_b64 s[10:11], s[14:15]
	s_cbranch_execz .LBB6_14
; %bb.12:
	v_mad_i64_i32 v[2:3], s[14:15], s12, v0, 0
	v_mov_b32_e32 v1, 0x100
	v_lshl_add_u64 v[2:3], v[2:3], 2, s[2:3]
	v_lshl_or_b32 v1, v0, 2, v1
	s_mov_b32 s5, s18
.LBB6_13:                               ; =>This Inner Loop Header: Depth=1
	flat_load_dword v4, v[2:3]
	s_add_i32 s5, s5, -1
	v_lshl_add_u64 v[2:3], v[2:3], 0, 4
	s_cmp_lg_u32 s5, 0
	s_waitcnt vmcnt(0) lgkmcnt(0)
	v_mul_f32_e32 v4, s24, v4
	ds_write_b32 v1, v4
	v_add_u32_e32 v1, 32, v1
	s_cbranch_scc1 .LBB6_13
.LBB6_14:
	s_or_b64 exec, exec, s[10:11]
	v_mov_b32_e32 v1, 0x100
	s_cmpk_eq_i32 s4, 0x6f
	v_lshl_or_b32 v1, v0, 2, v1
	s_mov_b64 s[4:5], -1
	s_waitcnt lgkmcnt(0)
	; wave barrier
	s_cbranch_scc1 .LBB6_36
; %bb.15:
	s_cmp_gt_i32 s6, 7
	s_cbranch_scc0 .LBB6_17
; %bb.16:
	v_mov_b32_e32 v17, 0
	ds_read2_b32 v[28:29], v1 offset1:8
	ds_read2_b32 v[30:31], v1 offset0:16 offset1:24
	ds_read2_b32 v[32:33], v1 offset0:32 offset1:40
	;; [unrolled: 1-line block ×3, first 2 shown]
	ds_read_b128 v[2:5], v17 offset:96
	ds_read_b32 v27, v17
	ds_read_b64 v[36:37], v17 offset:32
	ds_read_b96 v[14:16], v17 offset:64
	ds_read_b128 v[6:9], v17 offset:128
	ds_read_b96 v[18:20], v17 offset:160
	ds_read2_b32 v[40:41], v17 offset0:36 offset1:45
	ds_read_b96 v[22:24], v17 offset:224
	ds_read2_b32 v[42:43], v17 offset0:43 offset1:44
	s_waitcnt lgkmcnt(7)
	v_mul_f32_e32 v28, v28, v27
	v_mov_b32_e32 v38, v3
	s_waitcnt lgkmcnt(6)
	v_fma_f32 v3, -v28, v36, v29
	s_waitcnt lgkmcnt(3)
	v_mov_b32_e32 v45, v20
	ds_read2_b32 v[20:21], v17 offset0:59 offset1:60
	s_waitcnt lgkmcnt(2)
	v_mov_b32_e32 v47, v24
	ds_read_b96 v[24:26], v17 offset:208
	ds_read_b128 v[10:13], v17 offset:192
	v_mul_f32_e32 v29, v3, v37
	v_pk_mul_f32 v[14:15], v[28:29], v[14:15]
	v_mov_b32_e32 v39, v4
	v_sub_f32_e32 v4, v30, v14
	v_sub_f32_e32 v4, v4, v15
	v_mov_b32_e32 v44, v19
	v_fma_f32 v19, -v28, v2, v31
	v_pk_mul_f32 v[2:3], v[28:29], v[6:7]
	s_waitcnt lgkmcnt(0)
	v_pk_mul_f32 v[6:7], v[28:29], v[10:11]
	v_mul_f32_e32 v11, v4, v16
	v_mov_b32_e32 v10, v29
	v_pk_mul_f32 v[14:15], v[10:11], v[38:39]
	v_sub_f32_e32 v2, v32, v2
	v_sub_f32_e32 v4, v19, v14
	;; [unrolled: 1-line block ×3, first 2 shown]
	v_mov_b32_e32 v46, v23
	v_fma_f32 v18, -v28, v18, v33
	v_sub_f32_e32 v6, v34, v6
	v_sub_f32_e32 v14, v2, v3
	v_pk_mul_f32 v[2:3], v[10:11], v[44:45]
	v_mul_f32_e32 v5, v4, v5
	v_mov_b32_e32 v4, v11
	v_fma_f32 v22, -v28, v22, v35
	v_sub_f32_e32 v2, v18, v2
	v_sub_f32_e32 v16, v6, v7
	v_pk_mul_f32 v[6:7], v[4:5], v[8:9]
	v_pk_mul_f32 v[8:9], v[10:11], v[46:47]
	v_sub_f32_e32 v6, v14, v6
	v_sub_f32_e32 v14, v2, v3
	v_pk_mul_f32 v[2:3], v[4:5], v[12:13]
	v_sub_f32_e32 v4, v22, v8
	v_sub_f32_e32 v10, v4, v9
	;; [unrolled: 1-line block ×3, first 2 shown]
	v_mul_f32_e32 v7, v4, v40
	v_mov_b32_e32 v6, v5
	ds_write2_b32 v1, v11, v5 offset0:16 offset1:24
	v_pk_mul_f32 v[4:5], v[6:7], v[42:43]
	v_sub_f32_e32 v2, v16, v2
	v_sub_f32_e32 v4, v14, v4
	v_sub_f32_e32 v8, v2, v3
	v_sub_f32_e32 v2, v4, v5
	v_mul_f32_e32 v3, v2, v41
	v_mov_b32_e32 v2, v7
	v_pk_mul_f32 v[4:5], v[2:3], v[24:25]
	ds_write2_b32 v1, v7, v3 offset0:32 offset1:40
	v_sub_f32_e32 v2, v8, v4
	v_pk_mul_f32 v[8:9], v[6:7], v[20:21]
	ds_read2_b32 v[6:7], v17 offset0:61 offset1:62
	v_sub_f32_e32 v4, v10, v8
	v_sub_f32_e32 v8, v4, v9
	;; [unrolled: 1-line block ×3, first 2 shown]
	ds_read_b32 v9, v17 offset:252
	v_mul_f32_e32 v5, v2, v26
	v_mov_b32_e32 v4, v3
	s_waitcnt lgkmcnt(1)
	v_pk_mul_f32 v[2:3], v[4:5], v[6:7]
	s_mov_b32 s7, 8
	v_sub_f32_e32 v2, v8, v2
	v_sub_f32_e32 v2, v2, v3
	s_waitcnt lgkmcnt(0)
	v_mul_f32_e32 v2, v2, v9
	ds_write2_b32 v1, v28, v29 offset1:8
	ds_write2_b32 v1, v5, v2 offset0:48 offset1:56
	s_cmp_lt_i32 s7, s18
	s_cbranch_scc1 .LBB6_18
	s_branch .LBB6_35
.LBB6_17:
	s_mov_b32 s7, 0
	s_cmp_lt_i32 s7, s18
	s_cbranch_scc0 .LBB6_35
.LBB6_18:
	s_or_b32 s4, s7, 3
	s_cmp_ge_u32 s4, s18
	s_cbranch_scc1 .LBB6_29
; %bb.19:
	s_add_i32 s10, s7, -1
	s_lshl_b32 s11, s7, 5
	v_mov_b32_e32 v2, 0x100
	s_bitcmp1_b32 s7, 2
	v_lshl_or_b32 v6, v0, 2, v2
	s_mov_b32 s13, 0
	s_cselect_b64 s[4:5], -1, 0
.LBB6_20:                               ; =>This Loop Header: Depth=1
                                        ;     Child Loop BB6_23 Depth 2
                                        ;     Child Loop BB6_26 Depth 2
	s_lshl_b32 s14, s7, 5
	v_add_u32_e32 v7, s14, v1
	ds_read2_b32 v[4:5], v7 offset1:8
	ds_read2_b32 v[2:3], v7 offset0:16 offset1:24
	s_cmp_eq_u32 s7, 0
	s_cbranch_scc1 .LBB6_27
; %bb.21:                               ;   in Loop: Header=BB6_20 Depth=1
	s_lshl_b32 s15, s13, 2
	s_add_i32 s15, s10, s15
	s_cmp_lt_u32 s15, 7
	s_mov_b32 s15, 0
	s_cbranch_scc1 .LBB6_24
; %bb.22:                               ;   in Loop: Header=BB6_20 Depth=1
	s_and_b32 s15, s7, -8
	s_mov_b32 s16, 0
	v_mov_b32_e32 v8, v6
	s_mov_b32 s17, s11
.LBB6_23:                               ;   Parent Loop BB6_20 Depth=1
                                        ; =>  This Inner Loop Header: Depth=2
	v_mov_b32_e32 v9, s17
	ds_read_b128 v[26:29], v9
	ds_read_b128 v[30:33], v9 offset:16
	ds_read_b128 v[10:13], v9 offset:32
	;; [unrolled: 1-line block ×3, first 2 shown]
	ds_read2_b32 v[22:23], v8 offset1:8
	s_waitcnt lgkmcnt(4)
	v_mov_b32_e32 v18, v26
	s_add_i32 s17, s17, 32
	s_waitcnt lgkmcnt(2)
	v_mov_b32_e32 v19, v10
	v_mov_b32_e32 v10, v27
	s_waitcnt lgkmcnt(0)
	v_pk_fma_f32 v[4:5], v[22:23], v[18:19], v[4:5] op_sel_hi:[0,1,1] neg_lo:[1,0,0] neg_hi:[1,0,0]
	ds_read_b128 v[34:37], v9 offset:64
	ds_read_b128 v[18:21], v9 offset:96
	s_add_i32 s16, s16, 8
	s_cmp_lg_u32 s15, s16
	s_waitcnt lgkmcnt(1)
	v_mov_b32_e32 v24, v34
	s_waitcnt lgkmcnt(0)
	v_mov_b32_e32 v25, v18
	v_pk_fma_f32 v[2:3], v[22:23], v[24:25], v[2:3] op_sel_hi:[0,1,1] neg_lo:[1,0,0] neg_hi:[1,0,0]
	v_mov_b32_e32 v22, v23
	v_pk_fma_f32 v[4:5], v[22:23], v[10:11], v[4:5] op_sel_hi:[0,1,1] neg_lo:[1,0,0] neg_hi:[1,0,0]
	ds_read2_b32 v[10:11], v8 offset0:16 offset1:24
	v_mov_b32_e32 v18, v35
	v_pk_fma_f32 v[2:3], v[22:23], v[18:19], v[2:3] op_sel_hi:[0,1,1] neg_lo:[1,0,0] neg_hi:[1,0,0]
	v_mov_b32_e32 v18, v28
	v_mov_b32_e32 v19, v12
	s_waitcnt lgkmcnt(0)
	v_pk_fma_f32 v[4:5], v[10:11], v[18:19], v[4:5] op_sel_hi:[0,1,1] neg_lo:[1,0,0] neg_hi:[1,0,0]
	v_mov_b32_e32 v18, v36
	v_mov_b32_e32 v19, v20
	v_pk_fma_f32 v[2:3], v[10:11], v[18:19], v[2:3] op_sel_hi:[0,1,1] neg_lo:[1,0,0] neg_hi:[1,0,0]
	ds_read2_b32 v[18:19], v8 offset0:32 offset1:40
	v_mov_b32_e32 v12, v29
	v_mov_b32_e32 v10, v11
	;; [unrolled: 1-line block ×3, first 2 shown]
	v_pk_fma_f32 v[4:5], v[10:11], v[12:13], v[4:5] op_sel_hi:[0,1,1] neg_lo:[1,0,0] neg_hi:[1,0,0]
	v_pk_fma_f32 v[2:3], v[10:11], v[20:21], v[2:3] op_sel_hi:[0,1,1] neg_lo:[1,0,0] neg_hi:[1,0,0]
	v_mov_b32_e32 v10, v30
	v_mov_b32_e32 v11, v14
	s_waitcnt lgkmcnt(0)
	v_pk_fma_f32 v[4:5], v[18:19], v[10:11], v[4:5] op_sel_hi:[0,1,1] neg_lo:[1,0,0] neg_hi:[1,0,0]
	ds_read_b128 v[22:25], v9 offset:80
	ds_read_b128 v[10:13], v9 offset:112
	v_mov_b32_e32 v14, v31
	s_waitcnt lgkmcnt(1)
	v_mov_b32_e32 v20, v22
	s_waitcnt lgkmcnt(0)
	v_mov_b32_e32 v21, v10
	v_pk_fma_f32 v[2:3], v[18:19], v[20:21], v[2:3] op_sel_hi:[0,1,1] neg_lo:[1,0,0] neg_hi:[1,0,0]
	v_mov_b32_e32 v18, v19
	v_mov_b32_e32 v10, v23
	v_pk_fma_f32 v[2:3], v[18:19], v[10:11], v[2:3] op_sel_hi:[0,1,1] neg_lo:[1,0,0] neg_hi:[1,0,0]
	ds_read2_b32 v[10:11], v8 offset0:48 offset1:56
	v_pk_fma_f32 v[4:5], v[18:19], v[14:15], v[4:5] op_sel_hi:[0,1,1] neg_lo:[1,0,0] neg_hi:[1,0,0]
	v_mov_b32_e32 v14, v32
	v_mov_b32_e32 v15, v16
	;; [unrolled: 1-line block ×3, first 2 shown]
	s_waitcnt lgkmcnt(0)
	v_pk_fma_f32 v[4:5], v[10:11], v[14:15], v[4:5] op_sel_hi:[0,1,1] neg_lo:[1,0,0] neg_hi:[1,0,0]
	v_mov_b32_e32 v14, v24
	v_mov_b32_e32 v15, v12
	v_pk_fma_f32 v[2:3], v[10:11], v[14:15], v[2:3] op_sel_hi:[0,1,1] neg_lo:[1,0,0] neg_hi:[1,0,0]
	v_mov_b32_e32 v10, v11
	v_mov_b32_e32 v12, v25
	v_pk_fma_f32 v[4:5], v[10:11], v[16:17], v[4:5] op_sel_hi:[0,1,1] neg_lo:[1,0,0] neg_hi:[1,0,0]
	v_pk_fma_f32 v[2:3], v[10:11], v[12:13], v[2:3] op_sel_hi:[0,1,1] neg_lo:[1,0,0] neg_hi:[1,0,0]
	v_add_u32_e32 v8, 0x100, v8
	s_cbranch_scc1 .LBB6_23
.LBB6_24:                               ;   in Loop: Header=BB6_20 Depth=1
	s_bitcmp0_b32 s7, 2
	s_cbranch_scc1 .LBB6_27
; %bb.25:                               ;   in Loop: Header=BB6_20 Depth=1
	v_cndmask_b32_e64 v8, 0, 1, s[4:5]
	s_lshl_b32 s17, s15, 2
	v_readfirstlane_b32 s16, v8
	s_lshl_b32 s16, s16, 2
	v_lshl_add_u32 v8, s15, 5, v6
.LBB6_26:                               ;   Parent Loop BB6_20 Depth=1
                                        ; =>  This Inner Loop Header: Depth=2
	s_add_i32 s15, s11, s17
	v_mov_b32_e32 v9, s15
	ds_read_b32 v10, v8
	ds_read2_b32 v[12:13], v9 offset1:8
	ds_read2_b32 v[14:15], v9 offset0:16 offset1:24
	s_add_i32 s17, s17, 4
	s_add_i32 s16, s16, -1
	v_add_u32_e32 v8, 32, v8
	s_cmp_lg_u32 s16, 0
	s_waitcnt lgkmcnt(1)
	v_pk_fma_f32 v[4:5], v[10:11], v[12:13], v[4:5] op_sel_hi:[0,1,1] neg_lo:[1,0,0] neg_hi:[1,0,0]
	s_waitcnt lgkmcnt(0)
	v_pk_fma_f32 v[2:3], v[10:11], v[14:15], v[2:3] op_sel_hi:[0,1,1] neg_lo:[1,0,0] neg_hi:[1,0,0]
	s_cbranch_scc1 .LBB6_26
.LBB6_27:                               ;   in Loop: Header=BB6_20 Depth=1
	s_lshl_b32 s15, s7, 2
	s_add_i32 s16, s15, s14
	v_mov_b32_e32 v12, s16
	s_or_b32 s16, s14, 32
	s_add_i32 s17, s15, s16
	v_add_u32_e32 v15, s16, v1
	s_or_b32 s16, s14, 64
	s_or_b32 s14, s14, 0x60
	v_mov_b32_e32 v13, s17
	s_add_i32 s17, s15, s16
	s_add_i32 s15, s15, s14
	v_mov_b32_e32 v14, s17
	v_mov_b32_e32 v8, s15
	ds_read_b128 v[8:11], v8
	ds_read_b32 v20, v12
	ds_read_b64 v[16:17], v13
	ds_read_b96 v[12:14], v14
	v_add_u32_e32 v21, s16, v1
	s_waitcnt lgkmcnt(3)
	v_mov_b32_e32 v18, v9
	s_waitcnt lgkmcnt(2)
	v_mul_f32_e32 v4, v4, v20
	s_waitcnt lgkmcnt(1)
	v_fma_f32 v5, -v4, v16, v5
	v_mul_f32_e32 v5, v5, v17
	s_waitcnt lgkmcnt(0)
	v_pk_mul_f32 v[12:13], v[4:5], v[12:13]
	v_mov_b32_e32 v19, v10
	v_sub_f32_e32 v2, v2, v12
	v_sub_f32_e32 v2, v2, v13
	ds_write_b32 v7, v4
	v_fma_f32 v4, -v4, v8, v3
	v_mul_f32_e32 v3, v2, v14
	v_mov_b32_e32 v2, v5
	ds_write_b32 v21, v3
	v_pk_mul_f32 v[2:3], v[2:3], v[18:19]
	s_add_i32 s13, s13, 1
	v_sub_f32_e32 v2, v4, v2
	v_sub_f32_e32 v2, v2, v3
	v_add_u32_e32 v3, s14, v1
	s_add_i32 s14, s7, 4
	s_add_i32 s7, s7, 7
	s_addk_i32 s11, 0x80
	s_xor_b64 s[4:5], s[4:5], -1
	v_mul_f32_e32 v2, v2, v11
	s_cmp_lt_i32 s7, s18
	ds_write_b32 v15, v5
	ds_write_b32 v3, v2
	s_cbranch_scc0 .LBB6_30
; %bb.28:                               ;   in Loop: Header=BB6_20 Depth=1
	s_mov_b32 s7, s14
	s_branch .LBB6_20
.LBB6_29:
	s_mov_b32 s14, s7
.LBB6_30:
	s_cmp_ge_i32 s14, s18
	s_cbranch_scc1 .LBB6_35
; %bb.31:
	v_mov_b32_e32 v2, 0x100
	s_lshl_b32 s4, s14, 5
	v_lshl_or_b32 v3, v0, 2, v2
	s_branch .LBB6_33
.LBB6_32:                               ;   in Loop: Header=BB6_33 Depth=1
	s_mul_i32 s5, s14, 36
	v_mov_b32_e32 v5, s5
	ds_read_b32 v5, v5
	s_add_i32 s14, s14, 1
	s_add_i32 s4, s4, 32
	s_cmp_ge_i32 s14, s18
	s_waitcnt lgkmcnt(0)
	v_mul_f32_e32 v2, v2, v5
	ds_write_b32 v4, v2
	s_cbranch_scc1 .LBB6_35
.LBB6_33:                               ; =>This Loop Header: Depth=1
                                        ;     Child Loop BB6_34 Depth 2
	s_lshl_b32 s5, s14, 5
	v_add_u32_e32 v4, s5, v1
	ds_read_b32 v2, v4
	s_cmp_eq_u32 s14, 0
	v_mov_b32_e32 v5, v3
	s_mov_b32 s5, s14
	s_mov_b32 s7, s4
	s_cbranch_scc1 .LBB6_32
.LBB6_34:                               ;   Parent Loop BB6_33 Depth=1
                                        ; =>  This Inner Loop Header: Depth=2
	v_mov_b32_e32 v7, s7
	ds_read_b32 v6, v5
	ds_read_b32 v7, v7
	s_add_i32 s7, s7, 4
	s_add_i32 s5, s5, -1
	v_add_u32_e32 v5, 32, v5
	s_cmp_lg_u32 s5, 0
	s_waitcnt lgkmcnt(0)
	v_fma_f32 v2, -v6, v7, v2
	s_cbranch_scc1 .LBB6_34
	s_branch .LBB6_32
.LBB6_35:
	s_mov_b64 s[4:5], 0
.LBB6_36:
	s_and_b64 vcc, exec, s[4:5]
	s_cbranch_vccz .LBB6_62
; %bb.37:
	s_add_i32 s4, s18, -1
	s_cmp_gt_i32 s6, 7
	s_mov_b32 s5, -1
	s_cbranch_scc0 .LBB6_39
; %bb.38:
	v_mov_b32_e32 v50, 0
	ds_read2_b32 v[20:21], v1 offset0:48 offset1:56
	ds_read2_b32 v[22:23], v1 offset0:32 offset1:40
	;; [unrolled: 1-line block ×3, first 2 shown]
	ds_read2_b32 v[26:27], v1 offset1:8
	ds_read_b64 v[28:29], v50 offset:248
	ds_read_b96 v[14:16], v50 offset:240
	ds_read2_b64 v[2:5], v50 offset0:22 offset1:24
	ds_read2_b64 v[6:9], v50 offset0:13 offset1:16
	ds_read2_b32 v[30:31], v50 offset0:59 offset1:60
	ds_read_b32 v42, v50 offset:232
	ds_read2_b32 v[32:33], v50 offset0:53 offset1:54
	ds_read_b64 v[34:35], v50 offset:208
	s_waitcnt lgkmcnt(3)
	ds_read_b32 v31, v50 offset:204
	ds_read_b64 v[36:37], v50 offset:200
	ds_read2_b32 v[38:39], v50 offset0:43 offset1:44
	ds_read_b32 v19, v50 offset:196
	s_waitcnt lgkmcnt(4)
	v_mov_b32_e32 v35, v2
	s_waitcnt lgkmcnt(2)
	ds_read_b32 v37, v50 offset:168
	ds_read_b96 v[52:54], v50 offset:160
	ds_read2_b32 v[40:41], v50 offset0:17 offset1:18
	ds_read_b32 v43, v50 offset:132
	v_mov_b32_e32 v49, v32
	v_mul_f32_e32 v32, v21, v29
	v_fma_f32 v2, -v32, v28, v20
	v_mov_b32_e32 v48, v15
	v_mul_f32_e32 v33, v2, v33
	s_waitcnt lgkmcnt(2)
	ds_read_b96 v[54:56], v50 offset:96
	ds_read2_b32 v[44:45], v50 offset0:35 offset1:36
	ds_read_b64 v[46:47], v50 offset:136
	ds_read_b96 v[16:18], v50 offset:224
	ds_read2_b64 v[10:13], v50 offset0:4 offset1:8
	v_pk_mul_f32 v[20:21], v[32:33], v[48:49]
	s_waitcnt lgkmcnt(2)
	v_mov_b32_e32 v47, v6
	v_sub_f32_e32 v2, v23, v20
	v_sub_f32_e32 v2, v2, v21
	v_mul_f32_e32 v3, v2, v3
	v_mov_b32_e32 v2, v33
	v_fma_f32 v6, -v32, v14, v22
	s_waitcnt lgkmcnt(1)
	v_mov_b32_e32 v18, v17
	v_fma_f32 v22, -v32, v16, v26
	v_pk_mul_f32 v[16:17], v[2:3], v[34:35]
	v_pk_mul_f32 v[14:15], v[32:33], v[30:31]
	v_sub_f32_e32 v6, v6, v16
	s_waitcnt lgkmcnt(0)
	v_sub_f32_e32 v13, v25, v14
	v_pk_mul_f32 v[18:19], v[32:33], v[18:19]
	v_sub_f32_e32 v6, v6, v17
	v_mov_b32_e32 v5, v52
	v_mov_b32_e32 v39, v44
	v_fma_f32 v20, -v32, v42, v24
	v_sub_f32_e32 v18, v27, v18
	v_sub_f32_e32 v13, v13, v15
	v_pk_mul_f32 v[14:15], v[2:3], v[36:37]
	v_mul_f32_e32 v17, v6, v45
	v_mov_b32_e32 v16, v3
	v_sub_f32_e32 v14, v20, v14
	v_sub_f32_e32 v20, v18, v19
	v_pk_mul_f32 v[18:19], v[16:17], v[38:39]
	v_pk_mul_f32 v[4:5], v[2:3], v[4:5]
	v_sub_f32_e32 v6, v13, v18
	v_mov_b32_e32 v42, v53
	v_sub_f32_e32 v2, v22, v4
	v_sub_f32_e32 v13, v14, v15
	v_pk_mul_f32 v[14:15], v[16:17], v[42:43]
	v_sub_f32_e32 v16, v2, v5
	v_sub_f32_e32 v2, v6, v19
	ds_write2_b32 v1, v17, v3 offset0:32 offset1:40
	v_mul_f32_e32 v3, v2, v7
	v_mov_b32_e32 v2, v17
	v_pk_mul_f32 v[4:5], v[2:3], v[46:47]
	v_mov_b32_e32 v9, v54
	v_sub_f32_e32 v4, v13, v4
	v_sub_f32_e32 v4, v4, v5
	;; [unrolled: 1-line block ×3, first 2 shown]
	v_mul_f32_e32 v5, v4, v41
	v_mov_b32_e32 v4, v3
	v_mov_b32_e32 v6, v55
	;; [unrolled: 1-line block ×3, first 2 shown]
	v_sub_f32_e32 v13, v14, v15
	v_pk_mul_f32 v[6:7], v[4:5], v[6:7]
	v_pk_mul_f32 v[8:9], v[2:3], v[8:9]
	v_sub_f32_e32 v4, v13, v6
	v_sub_f32_e32 v2, v16, v8
	ds_read_b32 v14, v50
	v_sub_f32_e32 v6, v2, v9
	v_sub_f32_e32 v2, v4, v7
	ds_write2_b32 v1, v5, v3 offset0:16 offset1:24
	v_mul_f32_e32 v3, v2, v11
	v_mov_b32_e32 v2, v5
	v_mov_b32_e32 v13, v10
	v_pk_mul_f32 v[4:5], v[2:3], v[12:13]
	ds_write2_b32 v1, v33, v32 offset0:48 offset1:56
	v_sub_f32_e32 v2, v6, v4
	v_sub_f32_e32 v2, v2, v5
	s_waitcnt lgkmcnt(2)
	v_mul_f32_e32 v2, v2, v14
	ds_write2_b32 v1, v2, v3 offset1:8
	s_cmp_gt_i32 s5, -1
	s_cbranch_scc1 .LBB6_40
	s_branch .LBB6_62
.LBB6_39:
	s_mov_b32 s5, s4
	s_cmp_gt_i32 s5, -1
	s_cbranch_scc0 .LBB6_62
.LBB6_40:
	s_cmp_lt_u32 s5, 3
	s_cbranch_scc1 .LBB6_45
; %bb.41:
	s_lshl_b32 s6, s5, 5
	v_add_u32_e32 v6, s6, v1
	v_subrev_u32_e32 v2, 32, v6
	v_subrev_u32_e32 v3, 64, v6
	v_add_u32_e32 v7, 0xffffffa0, v6
	ds_read_b32 v4, v6
	ds_read_b32 v5, v2
	;; [unrolled: 1-line block ×4, first 2 shown]
	s_cmp_le_i32 s4, s5
	s_cbranch_scc1 .LBB6_44
; %bb.42:
	s_lshl_b32 s10, s18, 5
	s_lshl_b32 s7, s5, 2
	s_add_i32 s7, s10, s7
	v_lshl_or_b32 v7, v0, 2, s10
	s_sub_i32 s7, s7, 44
	v_add_u32_e32 v7, 0xe0, v7
	s_mov_b32 s10, s4
.LBB6_43:                               ; =>This Inner Loop Header: Depth=1
	v_mov_b32_e32 v9, s7
	ds_read_b32 v8, v7
	ds_read2_b32 v[10:11], v9 offset0:2 offset1:3
	ds_read2_b32 v[12:13], v9 offset1:1
	s_add_i32 s10, s10, -1
	s_sub_i32 s7, s7, 32
	v_subrev_u32_e32 v7, 32, v7
	s_waitcnt lgkmcnt(1)
	v_pk_mul_f32 v[10:11], v[8:9], v[10:11] op_sel_hi:[0,1]
	s_waitcnt lgkmcnt(0)
	v_pk_mul_f32 v[8:9], v[8:9], v[12:13] op_sel_hi:[0,1]
	s_cmp_gt_i32 s10, s5
	v_pk_add_f32 v[4:5], v[4:5], v[10:11] op_sel:[0,1] op_sel_hi:[1,0] neg_lo:[0,1] neg_hi:[0,1]
	v_pk_add_f32 v[2:3], v[2:3], v[8:9] op_sel:[0,1] op_sel_hi:[1,0] neg_lo:[0,1] neg_hi:[0,1]
	s_cbranch_scc1 .LBB6_43
.LBB6_44:
	s_add_i32 s7, s5, -1
	s_lshl_b32 s10, s7, 2
	s_lshl_b32 s7, s7, 5
	s_add_i32 s11, s10, s6
	s_add_i32 s10, s10, s7
	v_mov_b32_e32 v10, s10
	s_add_i32 s10, s5, -3
	v_mov_b32_e32 v7, s11
	s_lshl_b32 s11, s10, 2
	v_add_u32_e32 v16, s7, v1
	s_add_i32 s13, s11, s6
	s_add_i32 s7, s11, s7
	v_mov_b32_e32 v11, s13
	v_mov_b32_e32 v12, s7
	ds_read2_b32 v[8:9], v7 offset1:1
	ds_read_b32 v7, v10
	ds_read2_b32 v[10:11], v11 offset1:1
	ds_read2_b32 v[12:13], v12 offset1:1
	s_sub_i32 s6, s6, 64
	s_add_i32 s7, s11, s6
	v_mov_b32_e32 v14, s7
	s_waitcnt lgkmcnt(3)
	v_mul_f32_e32 v4, v4, v9
	ds_read2_b32 v[14:15], v14 offset1:1
	v_fma_f32 v5, -v4, v8, v5
	v_add_u32_e32 v17, s6, v1
	ds_write_b32 v6, v4
	s_waitcnt lgkmcnt(4)
	v_mul_f32_e32 v5, v5, v7
	s_waitcnt lgkmcnt(3)
	v_mov_b32_e32 v6, v11
	s_waitcnt lgkmcnt(2)
	v_mov_b32_e32 v7, v13
	s_lshl_b32 s6, s10, 5
	v_pk_mul_f32 v[6:7], v[4:5], v[6:7]
	s_add_i32 s7, s11, s6
	v_sub_f32_e32 v2, v2, v6
	v_fma_f32 v4, -v4, v10, v3
	v_mov_b32_e32 v3, s7
	v_sub_f32_e32 v2, v2, v7
	ds_read_b32 v6, v3
	s_waitcnt lgkmcnt(2)
	v_mul_f32_e32 v3, v2, v15
	v_mov_b32_e32 v2, v5
	v_mov_b32_e32 v13, v14
	ds_write_b32 v17, v3
	v_pk_mul_f32 v[2:3], v[2:3], v[12:13]
	s_add_i32 s5, s5, -4
	v_sub_f32_e32 v2, v4, v2
	v_sub_f32_e32 v2, v2, v3
	s_waitcnt lgkmcnt(1)
	v_mul_f32_e32 v2, v2, v6
	v_add_u32_e32 v3, s6, v1
	ds_write_b32 v16, v5
	ds_write_b32 v3, v2
.LBB6_45:
	s_cmp_lt_i32 s5, 0
	s_cbranch_scc1 .LBB6_62
; %bb.46:
	s_and_b32 s6, s5, 3
	s_cmp_eq_u32 s6, 3
	s_mov_b32 s6, s5
	s_cbranch_scc1 .LBB6_51
; %bb.47:
	s_add_i32 s6, s5, 1
	s_and_b32 s7, s6, 3
	s_lshl_b32 s6, s18, 5
	s_lshl_b32 s10, s5, 2
	s_add_i32 s10, s6, s10
	v_lshl_or_b32 v2, v0, 2, s6
	s_sub_i32 s10, s10, 32
	v_add_u32_e32 v3, 0xe0, v2
	s_mov_b32 s11, 0
	s_mov_b32 s6, s5
	s_branch .LBB6_49
.LBB6_48:                               ;   in Loop: Header=BB6_49 Depth=1
	s_mul_i32 s13, s6, 36
	v_mov_b32_e32 v5, s13
	ds_read_b32 v5, v5
	s_add_i32 s6, s6, -1
	s_add_i32 s11, s11, 1
	s_add_i32 s10, s10, -4
	s_cmp_lg_u32 s11, s7
	s_waitcnt lgkmcnt(0)
	v_mul_f32_e32 v2, v2, v5
	ds_write_b32 v4, v2
	s_cbranch_scc0 .LBB6_51
.LBB6_49:                               ; =>This Loop Header: Depth=1
                                        ;     Child Loop BB6_50 Depth 2
	s_lshl_b32 s13, s6, 5
	v_add_u32_e32 v4, s13, v1
	ds_read_b32 v2, v4
	s_cmp_le_i32 s4, s6
	v_mov_b32_e32 v5, v3
	s_mov_b32 s13, s10
	s_mov_b32 s14, s4
	s_cbranch_scc1 .LBB6_48
.LBB6_50:                               ;   Parent Loop BB6_49 Depth=1
                                        ; =>  This Inner Loop Header: Depth=2
	v_mov_b32_e32 v7, s13
	ds_read_b32 v6, v5
	ds_read_b32 v7, v7
	s_add_i32 s14, s14, -1
	s_sub_i32 s13, s13, 32
	v_subrev_u32_e32 v5, 32, v5
	s_cmp_gt_i32 s14, s6
	s_waitcnt lgkmcnt(0)
	v_fma_f32 v2, -v6, v7, v2
	s_cbranch_scc1 .LBB6_50
	s_branch .LBB6_48
.LBB6_51:
	s_cmp_lt_u32 s5, 3
	s_cbranch_scc1 .LBB6_62
; %bb.52:
	s_lshl_b32 s7, s18, 5
	s_lshl_b32 s5, s6, 2
	s_add_i32 s11, s7, s5
	v_lshl_or_b32 v2, v0, 2, s7
	s_sub_i32 s5, s11, 32
	v_add_u32_e32 v3, 0xe0, v2
	s_sub_i32 s7, s11, 36
	s_sub_i32 s10, s11, 40
	;; [unrolled: 1-line block ×3, first 2 shown]
	s_branch .LBB6_54
.LBB6_53:                               ;   in Loop: Header=BB6_54 Depth=1
	s_sub_i32 s13, s13, 36
	v_mov_b32_e32 v2, s13
	ds_read_b32 v2, v2
	s_add_i32 s13, s6, -4
	s_add_i32 s5, s5, -16
	;; [unrolled: 1-line block ×5, first 2 shown]
	s_waitcnt lgkmcnt(0)
	v_mul_f32_e32 v2, v4, v2
	s_cmp_lt_i32 s6, 4
	s_mov_b32 s6, s13
	ds_write_b32 v5, v2
	s_cbranch_scc1 .LBB6_62
.LBB6_54:                               ; =>This Loop Header: Depth=1
                                        ;     Child Loop BB6_55 Depth 2
                                        ;     Child Loop BB6_57 Depth 2
	;; [unrolled: 1-line block ×4, first 2 shown]
	s_lshl_b32 s14, s6, 5
	v_add_u32_e32 v6, s14, v1
	ds_read_b32 v2, v6
	s_cmp_le_i32 s4, s6
	v_mov_b32_e32 v4, v3
	s_mov_b32 s13, s5
	s_mov_b32 s15, s4
	s_cbranch_scc1 .LBB6_56
.LBB6_55:                               ;   Parent Loop BB6_54 Depth=1
                                        ; =>  This Inner Loop Header: Depth=2
	v_mov_b32_e32 v7, s13
	ds_read_b32 v5, v4
	ds_read_b32 v7, v7
	s_add_i32 s15, s15, -1
	s_sub_i32 s13, s13, 32
	v_subrev_u32_e32 v4, 32, v4
	s_cmp_gt_i32 s15, s6
	s_waitcnt lgkmcnt(0)
	v_fma_f32 v2, -v5, v7, v2
	s_cbranch_scc1 .LBB6_55
.LBB6_56:                               ;   in Loop: Header=BB6_54 Depth=1
	s_mul_i32 s13, s6, 36
	v_mov_b32_e32 v4, s13
	ds_read_b32 v7, v4
	s_sub_i32 s14, s14, 32
	v_add_u32_e32 v5, s14, v1
	ds_read_b32 v4, v5
	s_cmp_le_i32 s18, s6
	s_waitcnt lgkmcnt(1)
	v_mul_f32_e32 v2, v2, v7
	ds_write_b32 v6, v2
	v_mov_b32_e32 v2, v3
	s_mov_b32 s14, s7
	s_mov_b32 s15, s18
	s_cbranch_scc1 .LBB6_58
.LBB6_57:                               ;   Parent Loop BB6_54 Depth=1
                                        ; =>  This Inner Loop Header: Depth=2
	v_mov_b32_e32 v7, s14
	ds_read_b32 v6, v2
	ds_read_b32 v7, v7
	s_add_i32 s15, s15, -1
	s_sub_i32 s14, s14, 32
	v_subrev_u32_e32 v2, 32, v2
	s_cmp_gt_i32 s15, s6
	s_waitcnt lgkmcnt(0)
	v_fma_f32 v4, -v6, v7, v4
	s_cbranch_scc1 .LBB6_57
.LBB6_58:                               ;   in Loop: Header=BB6_54 Depth=1
	s_sub_i32 s13, s13, 36
	v_mov_b32_e32 v2, s13
	s_add_i32 s14, s6, -2
	ds_read_b32 v7, v2
	s_lshl_b32 s15, s14, 5
	v_add_u32_e32 v6, s15, v1
	ds_read_b32 v2, v6
	s_cmp_le_i32 s4, s14
	s_waitcnt lgkmcnt(1)
	v_mul_f32_e32 v4, v4, v7
	ds_write_b32 v5, v4
	v_mov_b32_e32 v4, v3
	s_mov_b32 s15, s10
	s_mov_b32 s16, s4
	s_cbranch_scc1 .LBB6_60
.LBB6_59:                               ;   Parent Loop BB6_54 Depth=1
                                        ; =>  This Inner Loop Header: Depth=2
	v_mov_b32_e32 v7, s15
	ds_read_b32 v5, v4
	ds_read_b32 v7, v7
	s_add_i32 s16, s16, -1
	s_sub_i32 s15, s15, 32
	v_subrev_u32_e32 v4, 32, v4
	s_cmp_gt_i32 s16, s14
	s_waitcnt lgkmcnt(0)
	v_fma_f32 v2, -v5, v7, v2
	s_cbranch_scc1 .LBB6_59
.LBB6_60:                               ;   in Loop: Header=BB6_54 Depth=1
	s_sub_i32 s13, s13, 36
	v_mov_b32_e32 v4, s13
	s_add_i32 s14, s6, -3
	ds_read_b32 v7, v4
	s_lshl_b32 s15, s14, 5
	v_add_u32_e32 v5, s15, v1
	ds_read_b32 v4, v5
	s_cmp_le_i32 s4, s14
	s_waitcnt lgkmcnt(1)
	v_mul_f32_e32 v2, v2, v7
	ds_write_b32 v6, v2
	v_mov_b32_e32 v2, v3
	s_mov_b32 s15, s11
	s_mov_b32 s16, s4
	s_cbranch_scc1 .LBB6_53
.LBB6_61:                               ;   Parent Loop BB6_54 Depth=1
                                        ; =>  This Inner Loop Header: Depth=2
	v_mov_b32_e32 v7, s15
	ds_read_b32 v6, v2
	ds_read_b32 v7, v7
	s_add_i32 s16, s16, -1
	s_sub_i32 s15, s15, 32
	v_subrev_u32_e32 v2, 32, v2
	s_cmp_gt_i32 s16, s14
	s_waitcnt lgkmcnt(0)
	v_fma_f32 v4, -v6, v7, v4
	s_cbranch_scc1 .LBB6_61
	s_branch .LBB6_53
.LBB6_62:
	s_waitcnt lgkmcnt(0)
	; wave barrier
	s_and_saveexec_b64 s[4:5], s[0:1]
	s_cbranch_execz .LBB6_66
; %bb.63:
	s_andn2_b64 vcc, exec, s[8:9]
	s_cbranch_vccnz .LBB6_66
; %bb.64:
	v_mad_i64_i32 v[2:3], s[0:1], s12, v0, 0
	v_mov_b32_e32 v1, 0x100
	v_lshl_add_u64 v[2:3], v[2:3], 2, s[2:3]
	v_lshl_or_b32 v0, v0, 2, v1
.LBB6_65:                               ; =>This Inner Loop Header: Depth=1
	ds_read_b32 v1, v0
	s_add_i32 s18, s18, -1
	v_add_u32_e32 v0, 32, v0
	s_cmp_lg_u32 s18, 0
	s_waitcnt lgkmcnt(0)
	flat_store_dword v[2:3], v1
	v_lshl_add_u64 v[2:3], v[2:3], 0, 4
	s_cbranch_scc1 .LBB6_65
.LBB6_66:
	s_endpgm
	.section	.rodata,"a",@progbits
	.p2align	6, 0x0
	.amdhsa_kernel _ZL38rocblas_trsm_small_left_device_sharedBILi8ELi8ELb0EffPKPKfPKPfEv13rocblas_fill_18rocblas_operation_17rocblas_diagonal_iiT3_T4_lilT5_lili
		.amdhsa_group_segment_fixed_size 512
		.amdhsa_private_segment_fixed_size 0
		.amdhsa_kernarg_size 352
		.amdhsa_user_sgpr_count 2
		.amdhsa_user_sgpr_dispatch_ptr 0
		.amdhsa_user_sgpr_queue_ptr 0
		.amdhsa_user_sgpr_kernarg_segment_ptr 1
		.amdhsa_user_sgpr_dispatch_id 0
		.amdhsa_user_sgpr_kernarg_preload_length 0
		.amdhsa_user_sgpr_kernarg_preload_offset 0
		.amdhsa_user_sgpr_private_segment_size 0
		.amdhsa_uses_dynamic_stack 0
		.amdhsa_enable_private_segment 0
		.amdhsa_system_sgpr_workgroup_id_x 1
		.amdhsa_system_sgpr_workgroup_id_y 0
		.amdhsa_system_sgpr_workgroup_id_z 1
		.amdhsa_system_sgpr_workgroup_info 0
		.amdhsa_system_vgpr_workitem_id 0
		.amdhsa_next_free_vgpr 57
		.amdhsa_next_free_sgpr 30
		.amdhsa_accum_offset 60
		.amdhsa_reserve_vcc 1
		.amdhsa_float_round_mode_32 0
		.amdhsa_float_round_mode_16_64 0
		.amdhsa_float_denorm_mode_32 3
		.amdhsa_float_denorm_mode_16_64 3
		.amdhsa_dx10_clamp 1
		.amdhsa_ieee_mode 1
		.amdhsa_fp16_overflow 0
		.amdhsa_tg_split 0
		.amdhsa_exception_fp_ieee_invalid_op 0
		.amdhsa_exception_fp_denorm_src 0
		.amdhsa_exception_fp_ieee_div_zero 0
		.amdhsa_exception_fp_ieee_overflow 0
		.amdhsa_exception_fp_ieee_underflow 0
		.amdhsa_exception_fp_ieee_inexact 0
		.amdhsa_exception_int_div_zero 0
	.end_amdhsa_kernel
	.section	.text._ZL38rocblas_trsm_small_left_device_sharedBILi8ELi8ELb0EffPKPKfPKPfEv13rocblas_fill_18rocblas_operation_17rocblas_diagonal_iiT3_T4_lilT5_lili,"axG",@progbits,_ZL38rocblas_trsm_small_left_device_sharedBILi8ELi8ELb0EffPKPKfPKPfEv13rocblas_fill_18rocblas_operation_17rocblas_diagonal_iiT3_T4_lilT5_lili,comdat
.Lfunc_end6:
	.size	_ZL38rocblas_trsm_small_left_device_sharedBILi8ELi8ELb0EffPKPKfPKPfEv13rocblas_fill_18rocblas_operation_17rocblas_diagonal_iiT3_T4_lilT5_lili, .Lfunc_end6-_ZL38rocblas_trsm_small_left_device_sharedBILi8ELi8ELb0EffPKPKfPKPfEv13rocblas_fill_18rocblas_operation_17rocblas_diagonal_iiT3_T4_lilT5_lili
                                        ; -- End function
	.set _ZL38rocblas_trsm_small_left_device_sharedBILi8ELi8ELb0EffPKPKfPKPfEv13rocblas_fill_18rocblas_operation_17rocblas_diagonal_iiT3_T4_lilT5_lili.num_vgpr, 57
	.set _ZL38rocblas_trsm_small_left_device_sharedBILi8ELi8ELb0EffPKPKfPKPfEv13rocblas_fill_18rocblas_operation_17rocblas_diagonal_iiT3_T4_lilT5_lili.num_agpr, 0
	.set _ZL38rocblas_trsm_small_left_device_sharedBILi8ELi8ELb0EffPKPKfPKPfEv13rocblas_fill_18rocblas_operation_17rocblas_diagonal_iiT3_T4_lilT5_lili.numbered_sgpr, 30
	.set _ZL38rocblas_trsm_small_left_device_sharedBILi8ELi8ELb0EffPKPKfPKPfEv13rocblas_fill_18rocblas_operation_17rocblas_diagonal_iiT3_T4_lilT5_lili.num_named_barrier, 0
	.set _ZL38rocblas_trsm_small_left_device_sharedBILi8ELi8ELb0EffPKPKfPKPfEv13rocblas_fill_18rocblas_operation_17rocblas_diagonal_iiT3_T4_lilT5_lili.private_seg_size, 0
	.set _ZL38rocblas_trsm_small_left_device_sharedBILi8ELi8ELb0EffPKPKfPKPfEv13rocblas_fill_18rocblas_operation_17rocblas_diagonal_iiT3_T4_lilT5_lili.uses_vcc, 1
	.set _ZL38rocblas_trsm_small_left_device_sharedBILi8ELi8ELb0EffPKPKfPKPfEv13rocblas_fill_18rocblas_operation_17rocblas_diagonal_iiT3_T4_lilT5_lili.uses_flat_scratch, 0
	.set _ZL38rocblas_trsm_small_left_device_sharedBILi8ELi8ELb0EffPKPKfPKPfEv13rocblas_fill_18rocblas_operation_17rocblas_diagonal_iiT3_T4_lilT5_lili.has_dyn_sized_stack, 0
	.set _ZL38rocblas_trsm_small_left_device_sharedBILi8ELi8ELb0EffPKPKfPKPfEv13rocblas_fill_18rocblas_operation_17rocblas_diagonal_iiT3_T4_lilT5_lili.has_recursion, 0
	.set _ZL38rocblas_trsm_small_left_device_sharedBILi8ELi8ELb0EffPKPKfPKPfEv13rocblas_fill_18rocblas_operation_17rocblas_diagonal_iiT3_T4_lilT5_lili.has_indirect_call, 0
	.section	.AMDGPU.csdata,"",@progbits
; Kernel info:
; codeLenInByte = 4368
; TotalNumSgprs: 36
; NumVgprs: 57
; NumAgprs: 0
; TotalNumVgprs: 57
; ScratchSize: 0
; MemoryBound: 0
; FloatMode: 240
; IeeeMode: 1
; LDSByteSize: 512 bytes/workgroup (compile time only)
; SGPRBlocks: 4
; VGPRBlocks: 7
; NumSGPRsForWavesPerEU: 36
; NumVGPRsForWavesPerEU: 57
; AccumOffset: 60
; Occupancy: 8
; WaveLimiterHint : 0
; COMPUTE_PGM_RSRC2:SCRATCH_EN: 0
; COMPUTE_PGM_RSRC2:USER_SGPR: 2
; COMPUTE_PGM_RSRC2:TRAP_HANDLER: 0
; COMPUTE_PGM_RSRC2:TGID_X_EN: 1
; COMPUTE_PGM_RSRC2:TGID_Y_EN: 0
; COMPUTE_PGM_RSRC2:TGID_Z_EN: 1
; COMPUTE_PGM_RSRC2:TIDIG_COMP_CNT: 0
; COMPUTE_PGM_RSRC3_GFX90A:ACCUM_OFFSET: 14
; COMPUTE_PGM_RSRC3_GFX90A:TG_SPLIT: 0
	.section	.text._ZL30rocblas_trsm_small_left_deviceILi8ELi8ELb0EffPKPKfPKPfEv13rocblas_fill_18rocblas_operation_17rocblas_diagonal_iiT3_T4_lilT5_lili,"axG",@progbits,_ZL30rocblas_trsm_small_left_deviceILi8ELi8ELb0EffPKPKfPKPfEv13rocblas_fill_18rocblas_operation_17rocblas_diagonal_iiT3_T4_lilT5_lili,comdat
	.globl	_ZL30rocblas_trsm_small_left_deviceILi8ELi8ELb0EffPKPKfPKPfEv13rocblas_fill_18rocblas_operation_17rocblas_diagonal_iiT3_T4_lilT5_lili ; -- Begin function _ZL30rocblas_trsm_small_left_deviceILi8ELi8ELb0EffPKPKfPKPfEv13rocblas_fill_18rocblas_operation_17rocblas_diagonal_iiT3_T4_lilT5_lili
	.p2align	8
	.type	_ZL30rocblas_trsm_small_left_deviceILi8ELi8ELb0EffPKPKfPKPfEv13rocblas_fill_18rocblas_operation_17rocblas_diagonal_iiT3_T4_lilT5_lili,@function
_ZL30rocblas_trsm_small_left_deviceILi8ELi8ELb0EffPKPKfPKPfEv13rocblas_fill_18rocblas_operation_17rocblas_diagonal_iiT3_T4_lilT5_lili: ; @_ZL30rocblas_trsm_small_left_deviceILi8ELi8ELb0EffPKPKfPKPfEv13rocblas_fill_18rocblas_operation_17rocblas_diagonal_iiT3_T4_lilT5_lili
; %bb.0:
	s_load_dwordx4 s[8:11], s[0:1], 0x38
	s_load_dwordx4 s[4:7], s[0:1], 0x4
	s_load_dword s16, s[0:1], 0x14
	s_mov_b32 s20, s3
	s_mov_b32 s21, 0
	s_lshl_b64 s[24:25], s[20:21], 3
	s_waitcnt lgkmcnt(0)
	s_add_u32 s8, s8, s24
	s_addc_u32 s9, s9, s25
	s_load_dwordx2 s[8:9], s[8:9], 0x0
	s_min_i32 s20, s6, 8
	v_cmp_gt_i32_e32 vcc, s20, v0
	s_and_saveexec_b64 s[18:19], vcc
	s_cbranch_execz .LBB7_11
; %bb.1:
	s_load_dwordx4 s[12:15], s[0:1], 0x18
	s_load_dword s22, s[0:1], 0x28
	v_lshlrev_b32_e32 v2, 2, v0
	v_mov_b32_e32 v3, 0
	s_mov_b32 s3, 1
	s_waitcnt lgkmcnt(0)
	s_add_u32 s12, s12, s24
	s_addc_u32 s13, s13, s25
	s_load_dwordx2 s[12:13], s[12:13], 0x0
	s_cmp_lt_u32 s20, 2
	s_cselect_b64 s[26:27], -1, 0
	s_cmp_lg_u32 s22, 1
	s_cselect_b64 s[28:29], -1, 0
	s_or_b64 s[26:27], s[26:27], s[28:29]
	s_mov_b64 s[24:25], -1
	s_and_b64 vcc, exec, s[26:27]
	s_cbranch_vccnz .LBB7_5
; %bb.2:
	s_lshl_b64 s[24:25], s[14:15], 2
	s_waitcnt lgkmcnt(0)
	s_add_u32 s24, s12, s24
	s_addc_u32 s25, s13, s25
	s_and_b32 s21, s20, -2
	v_lshl_add_u64 v[4:5], s[24:25], 0, v[2:3]
	s_mov_b32 s17, 0
	s_mov_b32 s23, s21
.LBB7_3:                                ; =>This Inner Loop Header: Depth=1
	flat_load_dwordx2 v[6:7], v[4:5]
	v_lshl_or_b32 v1, s17, 5, v2
	v_lshl_or_b32 v3, s3, 5, v2
	s_add_i32 s17, s17, 2
	s_add_i32 s3, s3, 2
	s_add_i32 s23, s23, -2
	v_lshl_add_u64 v[4:5], v[4:5], 0, 8
	s_cmp_lg_u32 s23, 0
	s_waitcnt vmcnt(0) lgkmcnt(0)
	ds_write_b32 v1, v6
	ds_write_b32 v3, v7
	s_cbranch_scc1 .LBB7_3
; %bb.4:
	s_cmp_lg_u32 s20, s21
	s_cselect_b64 s[24:25], -1, 0
.LBB7_5:
	s_and_b64 vcc, exec, s[24:25]
	s_cbranch_vccz .LBB7_8
; %bb.6:
	s_ashr_i32 s23, s22, 31
	s_mul_hi_u32 s3, s22, s21
	s_mul_i32 s17, s23, s21
	s_add_i32 s25, s3, s17
	s_mul_i32 s24, s22, s21
	s_lshl_b64 s[24:25], s[24:25], 2
	s_lshl_b64 s[14:15], s[14:15], 2
	s_add_u32 s3, s24, s14
	s_addc_u32 s14, s25, s15
	s_waitcnt lgkmcnt(0)
	s_add_u32 s12, s12, s3
	v_mov_b32_e32 v3, 0
	s_addc_u32 s13, s13, s14
	v_lshl_add_u64 v[4:5], s[12:13], 0, v[2:3]
	s_lshl_b64 s[12:13], s[22:23], 2
	s_sub_i32 s3, s20, s21
	v_lshl_or_b32 v1, s21, 5, v2
.LBB7_7:                                ; =>This Inner Loop Header: Depth=1
	flat_load_dword v3, v[4:5]
	s_add_i32 s3, s3, -1
	v_lshl_add_u64 v[4:5], v[4:5], 0, s[12:13]
	s_cmp_eq_u32 s3, 0
	s_waitcnt vmcnt(0) lgkmcnt(0)
	ds_write_b32 v1, v3
	v_add_u32_e32 v1, 32, v1
	s_cbranch_scc0 .LBB7_7
.LBB7_8:
	v_lshlrev_b32_e32 v1, 5, v0
	s_cmpk_lg_i32 s5, 0x84
	v_mov_b32_e32 v3, 1.0
	v_add_u32_e32 v1, v2, v1
	s_cbranch_scc0 .LBB7_10
; %bb.9:
	ds_read_b32 v2, v1
	s_waitcnt lgkmcnt(0)
	v_div_scale_f32 v3, s[12:13], v2, v2, 1.0
	v_rcp_f32_e32 v4, v3
	v_div_scale_f32 v5, vcc, 1.0, v2, 1.0
	v_fma_f32 v6, -v3, v4, 1.0
	v_fmac_f32_e32 v4, v6, v4
	v_mul_f32_e32 v6, v5, v4
	v_fma_f32 v7, -v3, v6, v5
	v_fmac_f32_e32 v6, v7, v4
	v_fma_f32 v3, -v3, v6, v5
	v_div_fmas_f32 v3, v3, v4, v6
	v_div_fixup_f32 v3, v3, v2, 1.0
.LBB7_10:
	ds_write_b32 v1, v3
.LBB7_11:
	s_or_b64 exec, exec, s[18:19]
	s_load_dword s3, s[0:1], 0x60
	s_waitcnt lgkmcnt(0)
	; wave barrier
	s_add_i32 s5, s3, -1
	s_lshl_b32 s3, s2, 3
	s_sub_i32 s7, s7, s3
	s_cmp_ge_u32 s2, s5
	s_cselect_b32 s2, s7, 8
	v_cmp_gt_i32_e32 vcc, s2, v0
	s_and_saveexec_b64 s[12:13], vcc
	s_cbranch_execz .LBB7_63
; %bb.12:
	s_load_dword s2, s[0:1], 0x48
	s_lshl_b64 s[10:11], s[10:11], 2
	s_add_u32 s0, s8, s10
	v_add_u32_e32 v0, s3, v0
	s_addc_u32 s1, s9, s11
	s_waitcnt lgkmcnt(0)
	v_mad_i64_i32 v[0:1], s[2:3], s2, v0, 0
	v_lshl_add_u64 v[2:3], v[0:1], 2, s[0:1]
	s_cmpk_eq_i32 s4, 0x6f
	s_mov_b64 s[0:1], -1
	s_cbranch_scc1 .LBB7_37
; %bb.13:
	s_cmp_gt_i32 s6, 7
	s_cbranch_scc0 .LBB7_15
; %bb.14:
	flat_load_dwordx4 v[4:7], v[2:3]
	flat_load_dwordx4 v[8:11], v[2:3] offset:16
	v_mov_b32_e32 v27, 0
	ds_read_b32 v31, v27
	ds_read_b64 v[34:35], v27 offset:32
	ds_read_b96 v[24:26], v27 offset:64
	ds_read_b128 v[12:15], v27 offset:96
	ds_read2_b32 v[36:37], v27 offset0:36 offset1:45
	ds_read_b96 v[48:50], v27 offset:224
	ds_read2_b32 v[38:39], v27 offset0:59 offset1:60
	ds_read_b96 v[52:54], v27 offset:160
	ds_read2_b32 v[40:41], v27 offset0:43 offset1:44
	ds_read_b128 v[16:19], v27 offset:128
	ds_read_b96 v[28:30], v27 offset:208
	ds_read_b128 v[20:23], v27 offset:192
	v_mov_b32_e32 v32, s16
	s_waitcnt lgkmcnt(0)
	v_mov_b32_e32 v42, v13
	v_mov_b32_e32 v46, v49
	;; [unrolled: 1-line block ×10, first 2 shown]
	s_mov_b32 s0, 8
	s_waitcnt vmcnt(0)
	v_mul_f32_e32 v4, s16, v4
	v_mov_b32_e32 v48, v5
	v_mul_f32_e32 v33, v4, v31
	v_pk_mul_f32 v[48:49], v[32:33], v[48:49]
	v_mov_b32_e32 v12, v11
	v_sub_f32_e32 v5, v48, v49
	v_mov_b32_e32 v4, v33
	v_pk_mul_f32 v[12:13], v[32:33], v[12:13]
	v_mul_f32_e32 v5, v5, v35
	v_sub_f32_e32 v31, v12, v13
	v_pk_mul_f32 v[12:13], v[4:5], v[24:25]
	v_mov_b32_e32 v50, v7
	v_fma_f32 v6, s16, v6, -v12
	v_pk_mul_f32 v[16:17], v[4:5], v[16:17]
	v_pk_mul_f32 v[20:21], v[4:5], v[20:21]
	v_sub_f32_e32 v6, v6, v13
	v_mov_b32_e32 v52, v9
	v_pk_mul_f32 v[50:51], v[32:33], v[50:51]
	v_mov_b32_e32 v24, v5
	v_fma_f32 v8, s16, v8, -v16
	v_fma_f32 v9, s16, v10, -v20
	v_mul_f32_e32 v25, v6, v26
	v_sub_f32_e32 v7, v50, v51
	v_sub_f32_e32 v16, v8, v17
	;; [unrolled: 1-line block ×3, first 2 shown]
	v_pk_mul_f32 v[8:9], v[24:25], v[42:43]
	v_pk_mul_f32 v[52:53], v[32:33], v[52:53]
	v_sub_f32_e32 v7, v7, v8
	v_sub_f32_e32 v14, v52, v53
	v_pk_mul_f32 v[10:11], v[24:25], v[44:45]
	v_sub_f32_e32 v7, v7, v9
	v_mov_b32_e32 v6, v25
	v_sub_f32_e32 v8, v14, v10
	v_mul_f32_e32 v7, v7, v15
	v_sub_f32_e32 v14, v8, v11
	v_pk_mul_f32 v[8:9], v[6:7], v[18:19]
	v_pk_mul_f32 v[12:13], v[24:25], v[46:47]
	v_sub_f32_e32 v8, v16, v8
	v_sub_f32_e32 v10, v31, v12
	flat_store_dwordx4 v[2:3], v[4:7]
	v_sub_f32_e32 v20, v10, v13
	v_mov_b32_e32 v12, v7
	v_sub_f32_e32 v4, v8, v9
	v_mul_f32_e32 v13, v4, v36
	v_pk_mul_f32 v[4:5], v[12:13], v[40:41]
	v_pk_mul_f32 v[10:11], v[6:7], v[22:23]
	v_pk_mul_f32 v[8:9], v[12:13], v[38:39]
	v_sub_f32_e32 v4, v14, v4
	v_sub_f32_e32 v10, v17, v10
	v_sub_f32_e32 v7, v20, v8
	v_sub_f32_e32 v4, v4, v5
	v_sub_f32_e32 v10, v10, v11
	v_mov_b32_e32 v6, v13
	v_sub_f32_e32 v11, v7, v9
	v_mul_f32_e32 v7, v4, v37
	v_pk_mul_f32 v[4:5], v[6:7], v[28:29]
	flat_store_dwordx2 v[2:3], v[6:7] offset:16
	v_sub_f32_e32 v4, v10, v4
	ds_read2_b32 v[8:9], v27 offset0:61 offset1:62
	ds_read_b32 v10, v27 offset:252
	v_sub_f32_e32 v4, v4, v5
	v_mov_b32_e32 v6, v7
	v_mul_f32_e32 v7, v4, v30
	v_mov_b32_e32 v4, v7
	s_waitcnt lgkmcnt(0)
	v_pk_mul_f32 v[6:7], v[6:7], v[8:9]
	s_nop 0
	v_sub_f32_e32 v5, v11, v6
	v_sub_f32_e32 v5, v5, v7
	v_mul_f32_e32 v5, v5, v10
	flat_store_dwordx2 v[2:3], v[4:5] offset:24
	s_cmp_lt_i32 s0, s20
	s_cbranch_scc1 .LBB7_16
	s_branch .LBB7_36
.LBB7_15:
	s_mov_b32 s0, 0
	s_cmp_lt_i32 s0, s20
	s_cbranch_scc0 .LBB7_36
.LBB7_16:
	s_or_b32 s1, s0, 3
	s_cmp_ge_u32 s1, s20
	s_cbranch_scc1 .LBB7_30
; %bb.17:
	s_add_i32 s7, s0, -1
	s_lshl_b32 s12, s0, 5
	s_bitcmp1_b32 s0, 2
	s_cselect_b64 s[2:3], -1, 0
	s_add_u32 s4, s8, s10
	s_addc_u32 s5, s9, s11
	s_mov_b32 s17, s16
	v_lshl_add_u64 v[0:1], v[0:1], 2, s[4:5]
	s_mov_b32 s1, 0
	s_mov_b32 s8, 0
.LBB7_18:                               ; =>This Loop Header: Depth=1
                                        ;     Child Loop BB7_21 Depth 2
                                        ;     Child Loop BB7_24 Depth 2
	v_lshl_add_u64 v[4:5], s[0:1], 2, v[2:3]
	flat_load_dwordx4 v[8:11], v[4:5]
	s_cmp_lg_u32 s0, 0
	s_waitcnt vmcnt(0) lgkmcnt(0)
	v_pk_mul_f32 v[8:9], s[16:17], v[8:9]
	v_pk_mul_f32 v[6:7], s[16:17], v[10:11]
	s_cbranch_scc0 .LBB7_29
; %bb.19:                               ;   in Loop: Header=BB7_18 Depth=1
	s_lshl_b32 s4, s8, 2
	s_add_i32 s4, s7, s4
	s_cmp_lt_u32 s4, 7
	s_mov_b32 s4, 0
	s_cbranch_scc1 .LBB7_22
; %bb.20:                               ;   in Loop: Header=BB7_18 Depth=1
	s_and_b32 s4, s0, -8
	s_mov_b32 s5, 0
	v_mov_b64_e32 v[10:11], v[2:3]
	s_mov_b32 s9, s12
.LBB7_21:                               ;   Parent Loop BB7_18 Depth=1
                                        ; =>  This Inner Loop Header: Depth=2
	flat_load_dwordx4 v[12:15], v[10:11]
	flat_load_dwordx4 v[16:19], v[10:11] offset:16
	v_mov_b32_e32 v32, s9
	ds_read_b128 v[42:45], v32
	ds_read_b128 v[50:53], v32 offset:16
	ds_read_b128 v[20:23], v32 offset:32
	;; [unrolled: 1-line block ×7, first 2 shown]
	s_waitcnt lgkmcnt(0)
	v_mov_b32_e32 v36, v42
	v_mov_b32_e32 v37, v20
	;; [unrolled: 1-line block ×22, first 2 shown]
	s_add_i32 s9, s9, 32
	s_add_i32 s5, s5, 8
	v_mov_b32_e32 v26, v53
	v_mov_b32_e32 v34, v57
	v_lshl_add_u64 v[10:11], v[10:11], 0, 32
	s_cmp_lg_u32 s4, s5
	s_waitcnt vmcnt(0)
	v_pk_fma_f32 v[8:9], v[12:13], v[36:37], v[8:9] op_sel_hi:[0,1,1] neg_lo:[1,0,0] neg_hi:[1,0,0]
	v_pk_fma_f32 v[6:7], v[12:13], v[38:39], v[6:7] op_sel_hi:[0,1,1] neg_lo:[1,0,0] neg_hi:[1,0,0]
	v_pk_fma_f32 v[8:9], v[12:13], v[20:21], v[8:9] op_sel:[1,0,0] neg_lo:[1,0,0] neg_hi:[1,0,0]
	v_pk_fma_f32 v[6:7], v[12:13], v[28:29], v[6:7] op_sel:[1,0,0] neg_lo:[1,0,0] neg_hi:[1,0,0]
	v_mov_b32_e32 v36, v15
	v_pk_fma_f32 v[8:9], v[14:15], v[40:41], v[8:9] op_sel_hi:[0,1,1] neg_lo:[1,0,0] neg_hi:[1,0,0]
	v_pk_fma_f32 v[6:7], v[14:15], v[42:43], v[6:7] op_sel_hi:[0,1,1] neg_lo:[1,0,0] neg_hi:[1,0,0]
	;; [unrolled: 1-line block ×6, first 2 shown]
	v_pk_fma_f32 v[8:9], v[16:17], v[24:25], v[8:9] op_sel:[1,0,0] neg_lo:[1,0,0] neg_hi:[1,0,0]
	v_pk_fma_f32 v[6:7], v[16:17], v[32:33], v[6:7] op_sel:[1,0,0] neg_lo:[1,0,0] neg_hi:[1,0,0]
	v_mov_b32_e32 v38, v19
	v_pk_fma_f32 v[8:9], v[18:19], v[48:49], v[8:9] op_sel_hi:[0,1,1] neg_lo:[1,0,0] neg_hi:[1,0,0]
	v_pk_fma_f32 v[6:7], v[18:19], v[50:51], v[6:7] op_sel_hi:[0,1,1] neg_lo:[1,0,0] neg_hi:[1,0,0]
	;; [unrolled: 1-line block ×4, first 2 shown]
	s_cbranch_scc1 .LBB7_21
.LBB7_22:                               ;   in Loop: Header=BB7_18 Depth=1
	s_bitcmp0_b32 s0, 2
	s_cbranch_scc1 .LBB7_25
; %bb.23:                               ;   in Loop: Header=BB7_18 Depth=1
	v_cndmask_b32_e64 v10, 0, 1, s[2:3]
	s_lshl_b32 s10, s4, 2
	v_readfirstlane_b32 s5, v10
	s_lshl_b32 s9, s5, 2
	s_mov_b32 s5, s1
	v_lshl_add_u64 v[10:11], s[4:5], 2, v[0:1]
.LBB7_24:                               ;   Parent Loop BB7_18 Depth=1
                                        ; =>  This Inner Loop Header: Depth=2
	flat_load_dword v12, v[10:11]
	s_add_i32 s4, s12, s10
	v_mov_b32_e32 v13, s4
	ds_read2_b32 v[14:15], v13 offset1:8
	ds_read2_b32 v[16:17], v13 offset0:16 offset1:24
	s_add_i32 s10, s10, 4
	s_add_i32 s9, s9, -1
	v_lshl_add_u64 v[10:11], v[10:11], 0, 4
	s_cmp_lg_u32 s9, 0
	s_waitcnt vmcnt(0) lgkmcnt(0)
	v_pk_fma_f32 v[8:9], v[12:13], v[14:15], v[8:9] op_sel_hi:[0,1,1] neg_lo:[1,0,0] neg_hi:[1,0,0]
	v_pk_fma_f32 v[6:7], v[12:13], v[16:17], v[6:7] op_sel_hi:[0,1,1] neg_lo:[1,0,0] neg_hi:[1,0,0]
	s_cbranch_scc1 .LBB7_24
.LBB7_25:                               ;   in Loop: Header=BB7_18 Depth=1
	s_lshl_b32 s9, s0, 5
	s_branch .LBB7_27
.LBB7_26:                               ;   in Loop: Header=BB7_18 Depth=1
	s_mov_b32 s9, 0
.LBB7_27:                               ;   in Loop: Header=BB7_18 Depth=1
	s_lshl_b32 s4, s0, 2
	s_add_i32 s5, s4, s9
	v_mov_b32_e32 v14, s5
	ds_read2_b32 v[10:11], v14 offset1:9
	s_lshl_b32 s5, s0, 5
	s_add_i32 s4, s4, s5
	v_mov_b32_e32 v15, s4
	ds_read_b32 v16, v15 offset:32
	ds_read_b32 v17, v14 offset:72
	ds_read_b64 v[12:13], v15 offset:64
	ds_read_b32 v18, v15 offset:96
	s_waitcnt lgkmcnt(4)
	v_mul_f32_e32 v8, v8, v10
	s_waitcnt lgkmcnt(3)
	v_fma_f32 v9, -v8, v16, v9
	v_mul_f32_e32 v9, v9, v11
	s_waitcnt lgkmcnt(1)
	v_pk_mul_f32 v[10:11], v[8:9], v[12:13]
	flat_store_dwordx2 v[4:5], v[8:9]
	v_sub_f32_e32 v10, v6, v10
	s_waitcnt lgkmcnt(0)
	v_fma_f32 v12, -v8, v18, v7
	ds_read2_b32 v[6:7], v15 offset0:25 offset1:26
	ds_read_b32 v13, v14 offset:108
	v_sub_f32_e32 v8, v10, v11
	v_mul_f32_e32 v11, v8, v17
	v_mov_b32_e32 v10, v9
	s_waitcnt lgkmcnt(0)
	v_pk_mul_f32 v[6:7], v[10:11], v[6:7]
	s_add_i32 s4, s0, 4
	v_sub_f32_e32 v6, v12, v6
	v_sub_f32_e32 v6, v6, v7
	s_add_i32 s0, s0, 7
	s_add_i32 s8, s8, 1
	s_addk_i32 s12, 0x80
	s_xor_b64 s[2:3], s[2:3], -1
	v_mul_f32_e32 v7, v6, v13
	v_mov_b32_e32 v6, v11
	s_cmp_lt_i32 s0, s20
	flat_store_dwordx2 v[4:5], v[6:7] offset:8
	s_cbranch_scc0 .LBB7_31
; %bb.28:                               ;   in Loop: Header=BB7_18 Depth=1
	s_mov_b32 s0, s4
	s_branch .LBB7_18
.LBB7_29:                               ;   in Loop: Header=BB7_18 Depth=1
                                        ; implicit-def: $sgpr9
	s_cbranch_execnz .LBB7_26
	s_branch .LBB7_27
.LBB7_30:
	s_mov_b32 s4, s0
.LBB7_31:
	s_cmp_ge_i32 s4, s20
	s_cbranch_scc1 .LBB7_36
; %bb.32:
	s_lshl_b32 s0, s4, 5
	s_branch .LBB7_34
.LBB7_33:                               ;   in Loop: Header=BB7_34 Depth=1
	s_mul_i32 s1, s4, 36
	v_mov_b32_e32 v1, s1
	ds_read_b32 v1, v1
	s_add_i32 s4, s4, 1
	s_add_i32 s0, s0, 32
	s_cmp_ge_i32 s4, s20
	s_waitcnt lgkmcnt(0)
	v_mul_f32_e32 v0, v0, v1
	flat_store_dword v[4:5], v0
	s_cbranch_scc1 .LBB7_36
.LBB7_34:                               ; =>This Loop Header: Depth=1
                                        ;     Child Loop BB7_35 Depth 2
	s_ashr_i32 s5, s4, 31
	v_lshl_add_u64 v[4:5], s[4:5], 2, v[2:3]
	flat_load_dword v0, v[4:5]
	v_mov_b64_e32 v[6:7], v[2:3]
	s_mov_b32 s1, s4
	s_cmp_eq_u32 s4, 0
	s_mov_b32 s2, s0
	s_waitcnt vmcnt(0) lgkmcnt(0)
	v_mul_f32_e32 v0, s16, v0
	s_cbranch_scc1 .LBB7_33
.LBB7_35:                               ;   Parent Loop BB7_34 Depth=1
                                        ; =>  This Inner Loop Header: Depth=2
	flat_load_dword v1, v[6:7]
	v_mov_b32_e32 v8, s2
	ds_read_b32 v8, v8
	s_add_i32 s2, s2, 4
	s_add_i32 s1, s1, -1
	v_lshl_add_u64 v[6:7], v[6:7], 0, 4
	s_cmp_lg_u32 s1, 0
	s_waitcnt vmcnt(0) lgkmcnt(0)
	v_fma_f32 v0, -v1, v8, v0
	s_cbranch_scc1 .LBB7_35
	s_branch .LBB7_33
.LBB7_36:
	s_mov_b64 s[0:1], 0
.LBB7_37:
	s_and_b64 vcc, exec, s[0:1]
	s_cbranch_vccz .LBB7_63
; %bb.38:
	s_add_i32 s7, s20, -1
	s_cmp_gt_i32 s6, 7
	s_mov_b32 s0, -1
	s_cbranch_scc0 .LBB7_40
; %bb.39:
	flat_load_dwordx4 v[4:7], v[2:3] offset:16
	flat_load_dwordx4 v[8:11], v[2:3]
	v_mov_b32_e32 v50, 0
	v_mov_b32_e32 v0, s16
	ds_read2_b32 v[20:21], v50 offset0:45 offset1:50
	ds_read_b128 v[12:15], v50 offset:240
	ds_read_b128 v[16:19], v50 offset:224
	ds_read_b32 v51, v50 offset:216
	ds_read_b96 v[54:56], v50 offset:208
	ds_read2_b32 v[22:23], v50 offset0:51 offset1:52
	ds_read_b32 v52, v50 offset:144
	ds_read_b32 v25, v50 offset:164
	ds_read_b64 v[26:27], v50 offset:160
	ds_read2_b32 v[28:29], v50 offset0:35 offset1:36
	ds_read2_b32 v[30:31], v50 offset0:27 offset1:34
	ds_read_b64 v[32:33], v50 offset:176
	s_waitcnt lgkmcnt(0)
	v_mov_b32_e32 v47, v16
	v_mov_b32_e32 v49, v13
	;; [unrolled: 1-line block ×6, first 2 shown]
	ds_read_b96 v[56:58], v50 offset:192
	ds_read_b32 v29, v50 offset:172
	ds_read_b64 v[34:35], v50 offset:168
	ds_read2_b32 v[36:37], v50 offset0:9 offset1:18
	ds_read_b64 v[38:39], v50 offset:32
	s_waitcnt lgkmcnt(0)
	ds_read_b96 v[58:60], v50 offset:64
	ds_read_b64 v[40:41], v50 offset:104
	v_mov_b32_e32 v16, v57
	s_waitcnt lgkmcnt(0)
	ds_read_b96 v[60:62], v50 offset:128
	ds_read_b32 v43, v50 offset:100
	ds_read_b64 v[44:45], v50 offset:96
	v_mov_b32_e32 v33, v54
	v_mov_b32_e32 v27, v56
	;; [unrolled: 1-line block ×4, first 2 shown]
	s_waitcnt lgkmcnt(0)
	v_mov_b32_e32 v24, v61
	v_mov_b32_e32 v42, v59
	;; [unrolled: 1-line block ×4, first 2 shown]
	s_waitcnt vmcnt(0)
	v_mul_f32_e32 v1, s16, v7
	v_mov_b32_e32 v7, v14
	v_mul_f32_e32 v1, v1, v15
	v_pk_mul_f32 v[6:7], v[0:1], v[6:7]
	v_mov_b32_e32 v46, v8
	v_mov_b32_e32 v12, v4
	;; [unrolled: 1-line block ×3, first 2 shown]
	v_sub_f32_e32 v4, v6, v7
	v_mov_b32_e32 v15, v1
	v_pk_mul_f32 v[12:13], v[0:1], v[12:13]
	v_pk_mul_f32 v[18:19], v[0:1], v[18:19]
	;; [unrolled: 1-line block ×3, first 2 shown]
	v_mul_f32_e32 v14, v4, v51
	v_sub_f32_e32 v18, v18, v19
	v_sub_f32_e32 v19, v0, v1
	v_pk_mul_f32 v[0:1], v[14:15], v[48:49]
	v_sub_f32_e32 v10, v12, v13
	v_fma_f32 v1, s16, v5, -v1
	v_sub_f32_e32 v0, v1, v0
	v_pk_mul_f32 v[6:7], v[14:15], v[22:23]
	v_pk_mul_f32 v[12:13], v[14:15], v[16:17]
	flat_store_dwordx2 v[2:3], v[14:15] offset:24
	v_mov_b32_e32 v15, v14
	v_mul_f32_e32 v14, v0, v20
	v_pk_mul_f32 v[0:1], v[14:15], v[32:33]
	v_fma_f32 v4, s16, v11, -v7
	v_fma_f32 v5, s16, v9, -v13
	v_pk_mul_f32 v[8:9], v[14:15], v[26:27]
	v_sub_f32_e32 v1, v10, v1
	v_sub_f32_e32 v11, v4, v6
	;; [unrolled: 1-line block ×5, first 2 shown]
	v_pk_mul_f32 v[4:5], v[14:15], v[34:35]
	v_mov_b32_e32 v7, v14
	v_sub_f32_e32 v15, v6, v8
	v_mul_f32_e32 v6, v0, v52
	v_pk_mul_f32 v[0:1], v[6:7], v[28:29]
	v_sub_f32_e32 v5, v18, v5
	v_sub_f32_e32 v1, v11, v1
	;; [unrolled: 1-line block ×3, first 2 shown]
	v_mov_b32_e32 v9, v6
	v_mul_f32_e32 v8, v0, v30
	v_sub_f32_e32 v13, v5, v4
	v_pk_mul_f32 v[0:1], v[8:9], v[40:41]
	v_pk_mul_f32 v[4:5], v[6:7], v[24:25]
	v_sub_f32_e32 v1, v13, v1
	v_sub_f32_e32 v5, v12, v5
	;; [unrolled: 1-line block ×4, first 2 shown]
	v_mov_b32_e32 v5, v8
	v_mul_f32_e32 v4, v0, v37
	v_pk_mul_f32 v[0:1], v[4:5], v[42:43]
	flat_store_dwordx4 v[2:3], v[4:7] offset:8
	v_sub_f32_e32 v1, v12, v1
	v_pk_mul_f32 v[10:11], v[8:9], v[44:45]
	v_mov_b32_e32 v9, v4
	v_sub_f32_e32 v0, v1, v0
	ds_read_b32 v4, v50
	v_sub_f32_e32 v11, v15, v11
	v_mul_f32_e32 v8, v0, v36
	v_pk_mul_f32 v[0:1], v[8:9], v[38:39]
	v_sub_f32_e32 v5, v11, v10
	v_sub_f32_e32 v1, v5, v1
	v_sub_f32_e32 v0, v1, v0
	s_waitcnt lgkmcnt(0)
	v_mul_f32_e32 v0, v0, v4
	v_mov_b32_e32 v1, v8
	flat_store_dwordx2 v[2:3], v[0:1]
	s_cmp_gt_i32 s0, -1
	s_cbranch_scc1 .LBB7_41
	s_branch .LBB7_63
.LBB7_40:
	s_mov_b32 s0, s7
	s_cmp_gt_i32 s0, -1
	s_cbranch_scc0 .LBB7_63
.LBB7_41:
	s_cmp_lt_u32 s0, 3
	s_cbranch_scc1 .LBB7_46
; %bb.42:
	s_mov_b32 s3, 0
	s_mov_b32 s1, s3
	v_lshl_add_u64 v[0:1], s[0:1], 2, v[2:3]
	v_add_co_u32_e32 v4, vcc, -12, v0
	s_cmp_le_i32 s7, s0
	s_nop 0
	v_addc_co_u32_e32 v5, vcc, -1, v1, vcc
	flat_load_dwordx4 v[4:7], v[4:5]
	s_waitcnt vmcnt(0) lgkmcnt(0)
	v_pk_mul_f32 v[8:9], s[16:17], v[6:7] op_sel_hi:[0,1]
	v_pk_mul_f32 v[10:11], s[16:17], v[4:5] op_sel_hi:[0,1]
	v_mov_b32_e32 v6, v9
	v_mov_b32_e32 v7, v8
	;; [unrolled: 1-line block ×4, first 2 shown]
	s_cbranch_scc1 .LBB7_45
; %bb.43:
	s_lshl_b32 s1, s20, 5
	s_lshl_b32 s2, s0, 2
	s_add_i32 s1, s1, s2
	s_sub_i32 s1, s1, 44
	s_mov_b32 s2, s7
.LBB7_44:                               ; =>This Inner Loop Header: Depth=1
	v_lshl_add_u64 v[8:9], s[2:3], 2, v[2:3]
	flat_load_dword v8, v[8:9]
	v_mov_b32_e32 v9, s1
	ds_read2_b32 v[10:11], v9 offset0:2 offset1:3
	ds_read2_b32 v[12:13], v9 offset1:1
	s_add_i32 s2, s2, -1
	s_sub_i32 s1, s1, 32
	s_cmp_gt_i32 s2, s0
	s_waitcnt vmcnt(0) lgkmcnt(0)
	v_pk_mul_f32 v[10:11], v[8:9], v[10:11] op_sel_hi:[0,1]
	v_pk_mul_f32 v[8:9], v[8:9], v[12:13] op_sel_hi:[0,1]
	v_pk_add_f32 v[6:7], v[6:7], v[10:11] op_sel:[0,1] op_sel_hi:[1,0] neg_lo:[0,1] neg_hi:[0,1]
	v_pk_add_f32 v[4:5], v[4:5], v[8:9] op_sel:[0,1] op_sel_hi:[1,0] neg_lo:[0,1] neg_hi:[0,1]
	s_cbranch_scc1 .LBB7_44
.LBB7_45:
	s_add_i32 s2, s0, -1
	s_lshl_b32 s1, s2, 2
	s_lshl_b32 s5, s0, 5
	;; [unrolled: 1-line block ×3, first 2 shown]
	s_add_i32 s3, s1, s5
	s_add_i32 s1, s1, s6
	s_add_i32 s4, s0, -3
	v_mov_b32_e32 v12, s1
	s_lshl_b32 s1, s4, 2
	s_add_i32 s5, s1, s5
	v_mov_b32_e32 v13, s5
	s_add_i32 s5, s1, s6
	v_mov_b32_e32 v10, s3
	s_mov_b32 s3, 0
	v_mov_b32_e32 v14, s5
	v_lshl_add_u64 v[8:9], s[2:3], 2, v[2:3]
	s_add_i32 s2, s0, -2
	ds_read2_b32 v[10:11], v10 offset1:1
	ds_read_b32 v20, v12
	ds_read2_b32 v[12:13], v13 offset1:1
	ds_read2_b32 v[14:15], v14 offset1:1
	s_lshl_b32 s5, s2, 5
	s_add_i32 s5, s1, s5
	v_mov_b32_e32 v16, s5
	s_waitcnt lgkmcnt(3)
	v_mul_f32_e32 v6, v6, v11
	ds_read2_b32 v[16:17], v16 offset1:1
	flat_store_dword v[0:1], v6
	v_fma_f32 v0, -v6, v10, v7
	s_waitcnt lgkmcnt(0)
	v_mul_f32_e32 v7, v0, v20
	v_mov_b32_e32 v0, v13
	v_mov_b32_e32 v1, v15
	v_pk_mul_f32 v[0:1], v[6:7], v[0:1]
	v_lshl_add_u64 v[18:19], s[2:3], 2, v[2:3]
	v_sub_f32_e32 v0, v4, v0
	v_sub_f32_e32 v0, v0, v1
	s_lshl_b32 s2, s4, 5
	v_mul_f32_e32 v1, v0, v17
	s_add_i32 s1, s1, s2
	v_fma_f32 v4, -v6, v12, v5
	flat_store_dword v[8:9], v7
	flat_store_dword v[18:19], v1
	v_mov_b32_e32 v5, s1
	ds_read_b32 v5, v5
	v_mov_b32_e32 v0, v7
	v_mov_b32_e32 v15, v16
	v_pk_mul_f32 v[0:1], v[0:1], v[14:15]
	s_mov_b32 s5, s3
	v_sub_f32_e32 v0, v4, v0
	v_sub_f32_e32 v0, v0, v1
	s_waitcnt lgkmcnt(0)
	v_mul_f32_e32 v4, v0, v5
	v_lshl_add_u64 v[0:1], s[4:5], 2, v[2:3]
	s_add_i32 s0, s0, -4
	flat_store_dword v[0:1], v4
.LBB7_46:
	s_cmp_lt_i32 s0, 0
	s_cbranch_scc1 .LBB7_63
; %bb.47:
	s_and_b32 s1, s0, 3
	s_cmp_eq_u32 s1, 3
	s_mov_b32 s2, s0
	s_cbranch_scc1 .LBB7_52
; %bb.48:
	s_lshl_b32 s2, s20, 5
	s_lshl_b32 s3, s0, 2
	s_add_i32 s1, s0, 1
	s_add_i32 s2, s2, s3
	s_and_b32 s1, s1, 3
	s_sub_i32 s6, s2, 32
	s_mov_b32 s5, 0
	s_mov_b32 s2, s0
	;; [unrolled: 1-line block ×3, first 2 shown]
	s_branch .LBB7_50
.LBB7_49:                               ;   in Loop: Header=BB7_50 Depth=1
	s_mul_i32 s3, s2, 36
	v_mov_b32_e32 v1, s3
	ds_read_b32 v1, v1
	s_add_i32 s2, s2, -1
	s_add_i32 s8, s8, 1
	s_add_i32 s6, s6, -4
	s_cmp_lg_u32 s8, s1
	s_waitcnt lgkmcnt(0)
	v_mul_f32_e32 v0, v0, v1
	flat_store_dword v[4:5], v0
	s_cbranch_scc0 .LBB7_52
.LBB7_50:                               ; =>This Loop Header: Depth=1
                                        ;     Child Loop BB7_51 Depth 2
	s_mov_b32 s3, s5
	v_lshl_add_u64 v[4:5], s[2:3], 2, v[2:3]
	flat_load_dword v0, v[4:5]
	s_cmp_le_i32 s7, s2
	s_mov_b32 s3, s6
	s_mov_b32 s4, s7
	s_waitcnt vmcnt(0) lgkmcnt(0)
	v_mul_f32_e32 v0, s16, v0
	s_cbranch_scc1 .LBB7_49
.LBB7_51:                               ;   Parent Loop BB7_50 Depth=1
                                        ; =>  This Inner Loop Header: Depth=2
	v_lshl_add_u64 v[6:7], s[4:5], 2, v[2:3]
	flat_load_dword v1, v[6:7]
	v_mov_b32_e32 v6, s3
	ds_read_b32 v6, v6
	s_add_i32 s4, s4, -1
	s_sub_i32 s3, s3, 32
	s_cmp_gt_i32 s4, s2
	s_waitcnt vmcnt(0) lgkmcnt(0)
	v_fma_f32 v0, -v1, v6, v0
	s_cbranch_scc1 .LBB7_51
	s_branch .LBB7_49
.LBB7_52:
	s_cmp_lt_u32 s0, 3
	s_cbranch_scc1 .LBB7_63
; %bb.53:
	s_lshl_b32 s0, s20, 5
	s_lshl_b32 s1, s2, 2
	s_add_i32 s0, s0, s1
	s_sub_i32 s6, s0, 32
	s_sub_i32 s8, s0, 36
	;; [unrolled: 1-line block ×4, first 2 shown]
	s_mov_b32 s1, 0
	s_branch .LBB7_55
.LBB7_54:                               ;   in Loop: Header=BB7_55 Depth=1
	s_sub_i32 s0, s3, 36
	v_mov_b32_e32 v1, s0
	ds_read_b32 v1, v1
	s_add_i32 s0, s2, -4
	s_add_i32 s6, s6, -16
	;; [unrolled: 1-line block ×5, first 2 shown]
	s_waitcnt lgkmcnt(0)
	v_mul_f32_e32 v0, v0, v1
	s_cmp_lt_i32 s2, 4
	s_mov_b32 s2, s0
	flat_store_dword v[4:5], v0
	s_cbranch_scc1 .LBB7_63
.LBB7_55:                               ; =>This Loop Header: Depth=1
                                        ;     Child Loop BB7_56 Depth 2
                                        ;     Child Loop BB7_58 Depth 2
	;; [unrolled: 1-line block ×4, first 2 shown]
	s_mov_b32 s3, s1
	v_lshl_add_u64 v[6:7], s[2:3], 2, v[2:3]
	flat_load_dword v0, v[6:7]
	s_cmp_le_i32 s7, s2
	s_mov_b32 s3, s6
	s_mov_b32 s0, s7
	s_waitcnt vmcnt(0) lgkmcnt(0)
	v_mul_f32_e32 v0, s16, v0
	s_cbranch_scc1 .LBB7_57
.LBB7_56:                               ;   Parent Loop BB7_55 Depth=1
                                        ; =>  This Inner Loop Header: Depth=2
	v_lshl_add_u64 v[4:5], s[0:1], 2, v[2:3]
	flat_load_dword v1, v[4:5]
	v_mov_b32_e32 v4, s3
	ds_read_b32 v4, v4
	s_add_i32 s0, s0, -1
	s_sub_i32 s3, s3, 32
	s_cmp_gt_i32 s0, s2
	s_waitcnt vmcnt(0) lgkmcnt(0)
	v_fma_f32 v0, -v1, v4, v0
	s_cbranch_scc1 .LBB7_56
.LBB7_57:                               ;   in Loop: Header=BB7_55 Depth=1
	s_add_i32 s0, s2, -1
	v_lshl_add_u64 v[4:5], s[0:1], 2, v[2:3]
	flat_load_dword v1, v[4:5]
	s_mul_i32 s3, s2, 36
	v_mov_b32_e32 v8, s3
	ds_read_b32 v8, v8
	s_mov_b32 s4, s8
	s_cmp_le_i32 s20, s2
	s_mov_b32 s0, s20
	s_waitcnt lgkmcnt(0)
	v_mul_f32_e32 v0, v0, v8
	flat_store_dword v[6:7], v0
	s_waitcnt vmcnt(0)
	v_mul_f32_e32 v0, s16, v1
	s_cbranch_scc1 .LBB7_59
.LBB7_58:                               ;   Parent Loop BB7_55 Depth=1
                                        ; =>  This Inner Loop Header: Depth=2
	s_add_i32 s0, s0, -1
	v_lshl_add_u64 v[6:7], s[0:1], 2, v[2:3]
	flat_load_dword v1, v[6:7]
	v_mov_b32_e32 v6, s4
	ds_read_b32 v6, v6
	s_sub_i32 s4, s4, 32
	s_cmp_gt_i32 s0, s2
	s_waitcnt vmcnt(0) lgkmcnt(0)
	v_fma_f32 v0, -v1, v6, v0
	s_cbranch_scc1 .LBB7_58
.LBB7_59:                               ;   in Loop: Header=BB7_55 Depth=1
	s_add_i32 s4, s2, -2
	s_mov_b32 s5, s1
	v_lshl_add_u64 v[6:7], s[4:5], 2, v[2:3]
	flat_load_dword v1, v[6:7]
	s_sub_i32 s3, s3, 36
	v_mov_b32_e32 v8, s3
	ds_read_b32 v8, v8
	s_mov_b32 s5, s9
	s_cmp_le_i32 s7, s4
	s_mov_b32 s0, s7
	s_waitcnt lgkmcnt(0)
	v_mul_f32_e32 v0, v0, v8
	flat_store_dword v[4:5], v0
	s_waitcnt vmcnt(0)
	v_mul_f32_e32 v0, s16, v1
	s_cbranch_scc1 .LBB7_61
.LBB7_60:                               ;   Parent Loop BB7_55 Depth=1
                                        ; =>  This Inner Loop Header: Depth=2
	v_lshl_add_u64 v[4:5], s[0:1], 2, v[2:3]
	flat_load_dword v1, v[4:5]
	v_mov_b32_e32 v4, s5
	ds_read_b32 v4, v4
	s_add_i32 s0, s0, -1
	s_sub_i32 s5, s5, 32
	s_cmp_gt_i32 s0, s4
	s_waitcnt vmcnt(0) lgkmcnt(0)
	v_fma_f32 v0, -v1, v4, v0
	s_cbranch_scc1 .LBB7_60
.LBB7_61:                               ;   in Loop: Header=BB7_55 Depth=1
	s_add_i32 s4, s2, -3
	s_mov_b32 s5, s1
	v_lshl_add_u64 v[4:5], s[4:5], 2, v[2:3]
	flat_load_dword v1, v[4:5]
	s_sub_i32 s3, s3, 36
	v_mov_b32_e32 v8, s3
	ds_read_b32 v8, v8
	s_mov_b32 s5, s10
	s_cmp_le_i32 s7, s4
	s_mov_b32 s0, s7
	s_waitcnt lgkmcnt(0)
	v_mul_f32_e32 v0, v0, v8
	flat_store_dword v[6:7], v0
	s_waitcnt vmcnt(0)
	v_mul_f32_e32 v0, s16, v1
	s_cbranch_scc1 .LBB7_54
.LBB7_62:                               ;   Parent Loop BB7_55 Depth=1
                                        ; =>  This Inner Loop Header: Depth=2
	v_lshl_add_u64 v[6:7], s[0:1], 2, v[2:3]
	flat_load_dword v1, v[6:7]
	v_mov_b32_e32 v6, s5
	ds_read_b32 v6, v6
	s_add_i32 s0, s0, -1
	s_sub_i32 s5, s5, 32
	s_cmp_gt_i32 s0, s4
	s_waitcnt vmcnt(0) lgkmcnt(0)
	v_fma_f32 v0, -v1, v6, v0
	s_cbranch_scc1 .LBB7_62
	s_branch .LBB7_54
.LBB7_63:
	s_endpgm
	.section	.rodata,"a",@progbits
	.p2align	6, 0x0
	.amdhsa_kernel _ZL30rocblas_trsm_small_left_deviceILi8ELi8ELb0EffPKPKfPKPfEv13rocblas_fill_18rocblas_operation_17rocblas_diagonal_iiT3_T4_lilT5_lili
		.amdhsa_group_segment_fixed_size 256
		.amdhsa_private_segment_fixed_size 0
		.amdhsa_kernarg_size 352
		.amdhsa_user_sgpr_count 2
		.amdhsa_user_sgpr_dispatch_ptr 0
		.amdhsa_user_sgpr_queue_ptr 0
		.amdhsa_user_sgpr_kernarg_segment_ptr 1
		.amdhsa_user_sgpr_dispatch_id 0
		.amdhsa_user_sgpr_kernarg_preload_length 0
		.amdhsa_user_sgpr_kernarg_preload_offset 0
		.amdhsa_user_sgpr_private_segment_size 0
		.amdhsa_uses_dynamic_stack 0
		.amdhsa_enable_private_segment 0
		.amdhsa_system_sgpr_workgroup_id_x 1
		.amdhsa_system_sgpr_workgroup_id_y 0
		.amdhsa_system_sgpr_workgroup_id_z 1
		.amdhsa_system_sgpr_workgroup_info 0
		.amdhsa_system_vgpr_workitem_id 0
		.amdhsa_next_free_vgpr 63
		.amdhsa_next_free_sgpr 30
		.amdhsa_accum_offset 64
		.amdhsa_reserve_vcc 1
		.amdhsa_float_round_mode_32 0
		.amdhsa_float_round_mode_16_64 0
		.amdhsa_float_denorm_mode_32 3
		.amdhsa_float_denorm_mode_16_64 3
		.amdhsa_dx10_clamp 1
		.amdhsa_ieee_mode 1
		.amdhsa_fp16_overflow 0
		.amdhsa_tg_split 0
		.amdhsa_exception_fp_ieee_invalid_op 0
		.amdhsa_exception_fp_denorm_src 0
		.amdhsa_exception_fp_ieee_div_zero 0
		.amdhsa_exception_fp_ieee_overflow 0
		.amdhsa_exception_fp_ieee_underflow 0
		.amdhsa_exception_fp_ieee_inexact 0
		.amdhsa_exception_int_div_zero 0
	.end_amdhsa_kernel
	.section	.text._ZL30rocblas_trsm_small_left_deviceILi8ELi8ELb0EffPKPKfPKPfEv13rocblas_fill_18rocblas_operation_17rocblas_diagonal_iiT3_T4_lilT5_lili,"axG",@progbits,_ZL30rocblas_trsm_small_left_deviceILi8ELi8ELb0EffPKPKfPKPfEv13rocblas_fill_18rocblas_operation_17rocblas_diagonal_iiT3_T4_lilT5_lili,comdat
.Lfunc_end7:
	.size	_ZL30rocblas_trsm_small_left_deviceILi8ELi8ELb0EffPKPKfPKPfEv13rocblas_fill_18rocblas_operation_17rocblas_diagonal_iiT3_T4_lilT5_lili, .Lfunc_end7-_ZL30rocblas_trsm_small_left_deviceILi8ELi8ELb0EffPKPKfPKPfEv13rocblas_fill_18rocblas_operation_17rocblas_diagonal_iiT3_T4_lilT5_lili
                                        ; -- End function
	.set _ZL30rocblas_trsm_small_left_deviceILi8ELi8ELb0EffPKPKfPKPfEv13rocblas_fill_18rocblas_operation_17rocblas_diagonal_iiT3_T4_lilT5_lili.num_vgpr, 63
	.set _ZL30rocblas_trsm_small_left_deviceILi8ELi8ELb0EffPKPKfPKPfEv13rocblas_fill_18rocblas_operation_17rocblas_diagonal_iiT3_T4_lilT5_lili.num_agpr, 0
	.set _ZL30rocblas_trsm_small_left_deviceILi8ELi8ELb0EffPKPKfPKPfEv13rocblas_fill_18rocblas_operation_17rocblas_diagonal_iiT3_T4_lilT5_lili.numbered_sgpr, 30
	.set _ZL30rocblas_trsm_small_left_deviceILi8ELi8ELb0EffPKPKfPKPfEv13rocblas_fill_18rocblas_operation_17rocblas_diagonal_iiT3_T4_lilT5_lili.num_named_barrier, 0
	.set _ZL30rocblas_trsm_small_left_deviceILi8ELi8ELb0EffPKPKfPKPfEv13rocblas_fill_18rocblas_operation_17rocblas_diagonal_iiT3_T4_lilT5_lili.private_seg_size, 0
	.set _ZL30rocblas_trsm_small_left_deviceILi8ELi8ELb0EffPKPKfPKPfEv13rocblas_fill_18rocblas_operation_17rocblas_diagonal_iiT3_T4_lilT5_lili.uses_vcc, 1
	.set _ZL30rocblas_trsm_small_left_deviceILi8ELi8ELb0EffPKPKfPKPfEv13rocblas_fill_18rocblas_operation_17rocblas_diagonal_iiT3_T4_lilT5_lili.uses_flat_scratch, 0
	.set _ZL30rocblas_trsm_small_left_deviceILi8ELi8ELb0EffPKPKfPKPfEv13rocblas_fill_18rocblas_operation_17rocblas_diagonal_iiT3_T4_lilT5_lili.has_dyn_sized_stack, 0
	.set _ZL30rocblas_trsm_small_left_deviceILi8ELi8ELb0EffPKPKfPKPfEv13rocblas_fill_18rocblas_operation_17rocblas_diagonal_iiT3_T4_lilT5_lili.has_recursion, 0
	.set _ZL30rocblas_trsm_small_left_deviceILi8ELi8ELb0EffPKPKfPKPfEv13rocblas_fill_18rocblas_operation_17rocblas_diagonal_iiT3_T4_lilT5_lili.has_indirect_call, 0
	.section	.AMDGPU.csdata,"",@progbits
; Kernel info:
; codeLenInByte = 4244
; TotalNumSgprs: 36
; NumVgprs: 63
; NumAgprs: 0
; TotalNumVgprs: 63
; ScratchSize: 0
; MemoryBound: 0
; FloatMode: 240
; IeeeMode: 1
; LDSByteSize: 256 bytes/workgroup (compile time only)
; SGPRBlocks: 4
; VGPRBlocks: 7
; NumSGPRsForWavesPerEU: 36
; NumVGPRsForWavesPerEU: 63
; AccumOffset: 64
; Occupancy: 8
; WaveLimiterHint : 1
; COMPUTE_PGM_RSRC2:SCRATCH_EN: 0
; COMPUTE_PGM_RSRC2:USER_SGPR: 2
; COMPUTE_PGM_RSRC2:TRAP_HANDLER: 0
; COMPUTE_PGM_RSRC2:TGID_X_EN: 1
; COMPUTE_PGM_RSRC2:TGID_Y_EN: 0
; COMPUTE_PGM_RSRC2:TGID_Z_EN: 1
; COMPUTE_PGM_RSRC2:TIDIG_COMP_CNT: 0
; COMPUTE_PGM_RSRC3_GFX90A:ACCUM_OFFSET: 15
; COMPUTE_PGM_RSRC3_GFX90A:TG_SPLIT: 0
	.section	.text._ZL38rocblas_trsm_small_left_device_sharedBILi8ELi8ELb1EffPKPKfPKPfEv13rocblas_fill_18rocblas_operation_17rocblas_diagonal_iiT3_T4_lilT5_lili,"axG",@progbits,_ZL38rocblas_trsm_small_left_device_sharedBILi8ELi8ELb1EffPKPKfPKPfEv13rocblas_fill_18rocblas_operation_17rocblas_diagonal_iiT3_T4_lilT5_lili,comdat
	.globl	_ZL38rocblas_trsm_small_left_device_sharedBILi8ELi8ELb1EffPKPKfPKPfEv13rocblas_fill_18rocblas_operation_17rocblas_diagonal_iiT3_T4_lilT5_lili ; -- Begin function _ZL38rocblas_trsm_small_left_device_sharedBILi8ELi8ELb1EffPKPKfPKPfEv13rocblas_fill_18rocblas_operation_17rocblas_diagonal_iiT3_T4_lilT5_lili
	.p2align	8
	.type	_ZL38rocblas_trsm_small_left_device_sharedBILi8ELi8ELb1EffPKPKfPKPfEv13rocblas_fill_18rocblas_operation_17rocblas_diagonal_iiT3_T4_lilT5_lili,@function
_ZL38rocblas_trsm_small_left_device_sharedBILi8ELi8ELb1EffPKPKfPKPfEv13rocblas_fill_18rocblas_operation_17rocblas_diagonal_iiT3_T4_lilT5_lili: ; @_ZL38rocblas_trsm_small_left_device_sharedBILi8ELi8ELb1EffPKPKfPKPfEv13rocblas_fill_18rocblas_operation_17rocblas_diagonal_iiT3_T4_lilT5_lili
; %bb.0:
	s_load_dwordx4 s[8:11], s[0:1], 0x38
	s_load_dwordx4 s[4:7], s[0:1], 0x4
	s_load_dword s24, s[0:1], 0x14
	s_mov_b32 s18, s3
	s_mov_b32 s19, 0
	s_lshl_b64 s[22:23], s[18:19], 3
	s_waitcnt lgkmcnt(0)
	s_add_u32 s8, s8, s22
	s_addc_u32 s9, s9, s23
	s_load_dwordx2 s[8:9], s[8:9], 0x0
	s_min_i32 s18, s6, 8
	v_cmp_gt_i32_e32 vcc, s18, v0
	s_and_saveexec_b64 s[16:17], vcc
	s_cbranch_execz .LBB8_11
; %bb.1:
	s_load_dwordx4 s[12:15], s[0:1], 0x18
	s_load_dword s20, s[0:1], 0x28
	v_lshlrev_b32_e32 v2, 2, v0
	v_mov_b32_e32 v3, 0
	s_mov_b32 s3, 1
	s_waitcnt lgkmcnt(0)
	s_add_u32 s12, s12, s22
	s_addc_u32 s13, s13, s23
	s_load_dwordx2 s[12:13], s[12:13], 0x0
	s_cmp_lt_u32 s18, 2
	s_cselect_b64 s[26:27], -1, 0
	s_cmp_lg_u32 s20, 1
	s_cselect_b64 s[28:29], -1, 0
	s_or_b64 s[26:27], s[26:27], s[28:29]
	s_mov_b64 s[22:23], -1
	s_and_b64 vcc, exec, s[26:27]
	s_cbranch_vccnz .LBB8_5
; %bb.2:
	s_lshl_b64 s[22:23], s[14:15], 2
	s_waitcnt lgkmcnt(0)
	s_add_u32 s22, s12, s22
	s_addc_u32 s23, s13, s23
	s_and_b32 s19, s18, -2
	v_lshl_add_u64 v[4:5], s[22:23], 0, v[2:3]
	s_mov_b32 s21, 0
	s_mov_b32 s22, s19
.LBB8_3:                                ; =>This Inner Loop Header: Depth=1
	flat_load_dwordx2 v[6:7], v[4:5]
	v_lshl_or_b32 v1, s21, 5, v2
	v_lshl_or_b32 v3, s3, 5, v2
	s_add_i32 s21, s21, 2
	s_add_i32 s3, s3, 2
	s_add_i32 s22, s22, -2
	v_lshl_add_u64 v[4:5], v[4:5], 0, 8
	s_cmp_lg_u32 s22, 0
	s_waitcnt vmcnt(0) lgkmcnt(0)
	ds_write_b32 v1, v6
	ds_write_b32 v3, v7
	s_cbranch_scc1 .LBB8_3
; %bb.4:
	s_cmp_lg_u32 s18, s19
	s_cselect_b64 s[22:23], -1, 0
.LBB8_5:
	s_and_b64 vcc, exec, s[22:23]
	s_cbranch_vccz .LBB8_8
; %bb.6:
	s_ashr_i32 s21, s20, 31
	s_mul_hi_u32 s3, s20, s19
	s_mul_i32 s22, s21, s19
	s_add_i32 s23, s3, s22
	s_mul_i32 s22, s20, s19
	s_lshl_b64 s[22:23], s[22:23], 2
	s_lshl_b64 s[14:15], s[14:15], 2
	s_add_u32 s3, s22, s14
	s_addc_u32 s14, s23, s15
	s_waitcnt lgkmcnt(0)
	s_add_u32 s12, s12, s3
	v_mov_b32_e32 v3, 0
	s_addc_u32 s13, s13, s14
	v_lshl_add_u64 v[4:5], s[12:13], 0, v[2:3]
	s_lshl_b64 s[12:13], s[20:21], 2
	s_sub_i32 s3, s18, s19
	v_lshl_or_b32 v1, s19, 5, v2
.LBB8_7:                                ; =>This Inner Loop Header: Depth=1
	flat_load_dword v3, v[4:5]
	s_add_i32 s3, s3, -1
	v_lshl_add_u64 v[4:5], v[4:5], 0, s[12:13]
	s_cmp_eq_u32 s3, 0
	s_waitcnt vmcnt(0) lgkmcnt(0)
	ds_write_b32 v1, v3
	v_add_u32_e32 v1, 32, v1
	s_cbranch_scc0 .LBB8_7
.LBB8_8:
	v_lshlrev_b32_e32 v1, 5, v0
	s_cmpk_lg_i32 s5, 0x84
	v_mov_b32_e32 v3, 1.0
	v_add_u32_e32 v1, v2, v1
	s_cbranch_scc0 .LBB8_10
; %bb.9:
	ds_read_b32 v2, v1
	s_waitcnt lgkmcnt(0)
	v_div_scale_f32 v3, s[12:13], v2, v2, 1.0
	v_rcp_f32_e32 v4, v3
	v_div_scale_f32 v5, vcc, 1.0, v2, 1.0
	v_fma_f32 v6, -v3, v4, 1.0
	v_fmac_f32_e32 v4, v6, v4
	v_mul_f32_e32 v6, v5, v4
	v_fma_f32 v7, -v3, v6, v5
	v_fmac_f32_e32 v6, v7, v4
	v_fma_f32 v3, -v3, v6, v5
	v_div_fmas_f32 v3, v3, v4, v6
	v_div_fixup_f32 v3, v3, v2, 1.0
.LBB8_10:
	ds_write_b32 v1, v3
.LBB8_11:
	s_or_b64 exec, exec, s[16:17]
	s_load_dword s3, s[0:1], 0x60
	s_waitcnt lgkmcnt(0)
	s_load_dword s12, s[0:1], 0x48
	s_lshl_b64 s[0:1], s[10:11], 2
	s_add_u32 s5, s8, s0
	s_addc_u32 s8, s9, s1
	s_lshl_b32 s0, s2, 3
	s_add_i32 s3, s3, -1
	s_sub_i32 s1, s7, s0
	s_cmp_ge_u32 s2, s3
	s_cselect_b32 s7, s1, 8
	s_waitcnt lgkmcnt(0)
	s_mul_hi_i32 s1, s12, s0
	s_mul_i32 s0, s12, s0
	s_lshl_b64 s[0:1], s[0:1], 2
	s_add_u32 s2, s5, s0
	s_addc_u32 s3, s8, s1
	s_cmp_gt_i32 s6, 0
	v_cmp_gt_i32_e64 s[0:1], s7, v0
	s_cselect_b64 s[8:9], -1, 0
	s_and_b64 s[14:15], s[0:1], s[8:9]
	s_and_saveexec_b64 s[10:11], s[14:15]
	s_cbranch_execz .LBB8_14
; %bb.12:
	v_mad_i64_i32 v[2:3], s[14:15], s12, v0, 0
	v_mov_b32_e32 v1, 0x100
	v_lshl_add_u64 v[2:3], v[2:3], 2, s[2:3]
	v_lshl_or_b32 v1, v0, 2, v1
	s_mov_b32 s5, s18
.LBB8_13:                               ; =>This Inner Loop Header: Depth=1
	flat_load_dword v4, v[2:3]
	s_add_i32 s5, s5, -1
	v_lshl_add_u64 v[2:3], v[2:3], 0, 4
	s_cmp_lg_u32 s5, 0
	s_waitcnt vmcnt(0) lgkmcnt(0)
	v_mul_f32_e32 v4, s24, v4
	ds_write_b32 v1, v4
	v_add_u32_e32 v1, 32, v1
	s_cbranch_scc1 .LBB8_13
.LBB8_14:
	s_or_b64 exec, exec, s[10:11]
	v_mov_b32_e32 v1, 0x100
	s_cmpk_eq_i32 s4, 0x6f
	v_lshl_or_b32 v1, v0, 2, v1
	s_mov_b64 s[4:5], -1
	s_waitcnt lgkmcnt(0)
	; wave barrier
	s_cbranch_scc1 .LBB8_41
; %bb.15:
	s_add_i32 s4, s18, -1
	s_cmp_gt_i32 s6, 7
	s_mov_b32 s5, -1
	s_cbranch_scc0 .LBB8_17
; %bb.16:
	v_mov_b32_e32 v44, 0
	ds_read2_b32 v[18:19], v1 offset0:48 offset1:56
	ds_read2_b32 v[20:21], v1 offset0:32 offset1:40
	;; [unrolled: 1-line block ×3, first 2 shown]
	ds_read2_b32 v[24:25], v1 offset1:8
	ds_read_b128 v[2:5], v44 offset:144
	ds_read_b32 v45, v44 offset:252
	ds_read2_b64 v[6:9], v44 offset0:23 offset1:27
	ds_read2_b32 v[26:27], v44 offset0:27 offset1:45
	ds_read_b128 v[10:13], v44 offset:112
	s_waitcnt lgkmcnt(4)
	v_mov_b32_e32 v28, v3
	s_waitcnt lgkmcnt(3)
	v_mul_f32_e32 v19, v19, v45
	s_waitcnt lgkmcnt(2)
	v_fma_f32 v3, -v19, v9, v18
	v_mul_f32_e32 v18, v3, v8
	v_pk_mul_f32 v[6:7], v[18:19], v[6:7]
	ds_read2_b32 v[30:31], v44 offset0:18 offset1:23
	ds_read2_b32 v[32:33], v44 offset0:7 offset1:9
	;; [unrolled: 1-line block ×4, first 2 shown]
	ds_read2_b64 v[14:17], v44 offset0:5 offset1:6
	ds_read_b64 v[38:39], v44 offset:56
	ds_read2_b32 v[40:41], v44 offset0:19 offset1:20
	ds_read2_b32 v[42:43], v44 offset0:21 offset1:22
	v_sub_f32_e32 v3, v21, v7
	v_sub_f32_e32 v3, v3, v6
	v_mov_b32_e32 v29, v4
	s_waitcnt lgkmcnt(9)
	v_mul_f32_e32 v6, v3, v27
	v_mov_b32_e32 v7, v18
	v_fma_f32 v20, -v19, v5, v20
	s_waitcnt lgkmcnt(8)
	v_pk_mul_f32 v[4:5], v[18:19], v[12:13]
	v_pk_mul_f32 v[12:13], v[6:7], v[28:29]
	v_sub_f32_e32 v5, v23, v5
	v_sub_f32_e32 v3, v20, v13
	s_waitcnt lgkmcnt(2)
	v_pk_mul_f32 v[8:9], v[18:19], v[38:39]
	v_sub_f32_e32 v3, v3, v12
	v_fma_f32 v21, -v19, v31, v22
	v_sub_f32_e32 v9, v25, v9
	v_sub_f32_e32 v13, v5, v4
	s_waitcnt lgkmcnt(0)
	v_pk_mul_f32 v[4:5], v[6:7], v[42:43]
	v_mul_f32_e32 v2, v3, v2
	v_mov_b32_e32 v3, v6
	v_fma_f32 v22, -v19, v32, v24
	ds_write2_b32 v1, v18, v19 offset0:48 offset1:56
	v_sub_f32_e32 v5, v21, v5
	v_sub_f32_e32 v18, v9, v8
	v_pk_mul_f32 v[8:9], v[2:3], v[10:11]
	v_pk_mul_f32 v[10:11], v[6:7], v[36:37]
	v_sub_f32_e32 v9, v13, v9
	v_sub_f32_e32 v12, v5, v4
	v_pk_mul_f32 v[4:5], v[2:3], v[16:17]
	v_sub_f32_e32 v3, v22, v11
	v_sub_f32_e32 v16, v3, v10
	;; [unrolled: 1-line block ×3, first 2 shown]
	ds_write2_b32 v1, v2, v6 offset0:32 offset1:40
	v_mul_f32_e32 v6, v3, v26
	v_mov_b32_e32 v7, v2
	v_pk_mul_f32 v[2:3], v[6:7], v[40:41]
	v_sub_f32_e32 v5, v18, v5
	v_sub_f32_e32 v3, v12, v3
	;; [unrolled: 1-line block ×3, first 2 shown]
	v_mul_f32_e32 v8, v2, v30
	v_mov_b32_e32 v9, v6
	v_sub_f32_e32 v4, v5, v4
	v_pk_mul_f32 v[10:11], v[8:9], v[14:15]
	v_pk_mul_f32 v[12:13], v[6:7], v[34:35]
	v_sub_f32_e32 v5, v4, v11
	ds_read_b96 v[2:4], v44
	v_sub_f32_e32 v7, v16, v13
	v_sub_f32_e32 v5, v5, v10
	;; [unrolled: 1-line block ×3, first 2 shown]
	ds_write2_b32 v1, v8, v6 offset0:16 offset1:24
	v_mul_f32_e32 v6, v5, v33
	s_waitcnt lgkmcnt(1)
	v_mov_b32_e32 v10, v3
	v_mov_b32_e32 v11, v4
	;; [unrolled: 1-line block ×3, first 2 shown]
	v_pk_mul_f32 v[4:5], v[6:7], v[10:11]
	s_nop 0
	v_sub_f32_e32 v3, v9, v5
	v_sub_f32_e32 v3, v3, v4
	v_mul_f32_e32 v2, v3, v2
	ds_write2_b32 v1, v2, v6 offset1:8
	s_cmp_gt_i32 s5, -1
	s_cbranch_scc1 .LBB8_18
	s_branch .LBB8_40
.LBB8_17:
	s_mov_b32 s5, s4
	s_cmp_gt_i32 s5, -1
	s_cbranch_scc0 .LBB8_40
.LBB8_18:
	s_cmp_lt_u32 s5, 3
	s_cbranch_scc1 .LBB8_23
; %bb.19:
	s_lshl_b32 s7, s5, 5
	v_add_u32_e32 v6, s7, v1
	v_subrev_u32_e32 v2, 32, v6
	v_subrev_u32_e32 v3, 64, v6
	v_add_u32_e32 v7, 0xffffffa0, v6
	ds_read_b32 v4, v6
	ds_read_b32 v5, v2
	;; [unrolled: 1-line block ×4, first 2 shown]
	s_cmp_le_i32 s4, s5
	s_cbranch_scc1 .LBB8_22
; %bb.20:
	v_lshlrev_b32_e32 v7, 2, v0
	s_lshl_b32 s10, s18, 2
	v_lshl_or_b32 v7, s18, 5, v7
	s_add_i32 s7, s7, s10
	v_add_u32_e32 v7, 0xe0, v7
	s_addk_i32 s7, 0xff9c
	s_mov_b32 s10, s4
.LBB8_21:                               ; =>This Inner Loop Header: Depth=1
	v_mov_b32_e32 v9, s7
	ds_read_b32 v8, v7
	ds_read2_b32 v[12:13], v9 offset0:16 offset1:24
	ds_read2_b32 v[14:15], v9 offset1:8
	s_add_i32 s10, s10, -1
	s_add_i32 s7, s7, -4
	v_subrev_u32_e32 v7, 32, v7
	s_waitcnt lgkmcnt(1)
	v_mov_b32_e32 v10, v13
	v_mov_b32_e32 v11, v12
	s_waitcnt lgkmcnt(0)
	v_mov_b32_e32 v12, v15
	v_mov_b32_e32 v13, v14
	s_cmp_gt_i32 s10, s5
	v_pk_fma_f32 v[4:5], v[8:9], v[10:11], v[4:5] op_sel_hi:[0,1,1] neg_lo:[1,0,0] neg_hi:[1,0,0]
	v_pk_fma_f32 v[2:3], v[8:9], v[12:13], v[2:3] op_sel_hi:[0,1,1] neg_lo:[1,0,0] neg_hi:[1,0,0]
	s_cbranch_scc1 .LBB8_21
.LBB8_22:
	s_mul_i32 s7, s5, 36
	v_mov_b32_e32 v7, s7
	s_add_i32 s7, s5, -1
	s_lshl_b32 s10, s7, 5
	s_lshl_b32 s7, s7, 2
	s_add_i32 s11, s10, s7
	v_add_u32_e32 v10, s10, v1
	s_add_i32 s10, s5, -2
	v_mov_b32_e32 v8, s11
	s_lshl_b32 s11, s10, 5
	s_lshl_b32 s10, s10, 2
	s_add_i32 s10, s11, s10
	v_mov_b32_e32 v11, s10
	s_add_i32 s10, s5, -3
	s_add_i32 s7, s11, s7
	v_add_u32_e32 v12, s11, v1
	s_lshl_b32 s11, s10, 5
	s_lshl_b32 s13, s5, 2
	s_add_i32 s13, s11, s13
	v_mov_b32_e32 v13, s13
	ds_read_b32 v7, v7
	ds_read2_b32 v[8:9], v8 offset1:1
	ds_read_b32 v11, v11
	ds_read_b32 v13, v13
	s_add_i32 s13, s13, -8
	s_waitcnt lgkmcnt(3)
	v_mul_f32_e32 v7, v4, v7
	v_mov_b32_e32 v4, s7
	ds_write_b32 v6, v7
	s_waitcnt lgkmcnt(3)
	v_fma_f32 v6, -v7, v9, v5
	ds_read2_b32 v[4:5], v4 offset1:1
	s_lshl_b32 s7, s10, 2
	s_add_i32 s7, s11, s7
	v_mul_f32_e32 v6, v6, v8
	v_mov_b32_e32 v8, s13
	v_mov_b32_e32 v14, s7
	ds_read2_b32 v[8:9], v8 offset1:1
	ds_read_b32 v14, v14
	s_waitcnt lgkmcnt(2)
	v_pk_mul_f32 v[4:5], v[6:7], v[4:5]
	s_add_i32 s5, s5, -4
	v_sub_f32_e32 v2, v2, v5
	v_sub_f32_e32 v2, v2, v4
	v_fma_f32 v5, -v7, v13, v3
	v_mul_f32_e32 v2, v2, v11
	v_mov_b32_e32 v3, v6
	ds_write_b32 v12, v2
	s_waitcnt lgkmcnt(2)
	v_pk_mul_f32 v[2:3], v[2:3], v[8:9]
	ds_write_b32 v10, v6
	v_sub_f32_e32 v3, v5, v3
	v_sub_f32_e32 v2, v3, v2
	s_waitcnt lgkmcnt(2)
	v_mul_f32_e32 v2, v2, v14
	v_add_u32_e32 v3, s11, v1
	ds_write_b32 v3, v2
.LBB8_23:
	s_cmp_lt_i32 s5, 0
	s_cbranch_scc1 .LBB8_40
; %bb.24:
	s_and_b32 s7, s5, 3
	s_cmp_eq_u32 s7, 3
	v_lshlrev_b32_e32 v3, 2, v0
	s_mov_b32 s7, s5
	s_cbranch_scc1 .LBB8_29
; %bb.25:
	s_add_i32 s7, s5, 1
	s_and_b32 s10, s7, 3
	s_lshl_b32 s7, s5, 5
	s_lshl_b32 s11, s18, 2
	s_add_i32 s7, s7, s11
	v_lshl_or_b32 v2, s18, 5, v3
	s_add_i32 s11, s7, -4
	v_add_u32_e32 v4, 0xe0, v2
	s_mov_b32 s13, 0
	s_mov_b32 s7, s5
	s_branch .LBB8_27
.LBB8_26:                               ;   in Loop: Header=BB8_27 Depth=1
	s_mul_i32 s14, s7, 36
	v_mov_b32_e32 v6, s14
	ds_read_b32 v6, v6
	s_add_i32 s7, s7, -1
	s_add_i32 s13, s13, 1
	s_sub_i32 s11, s11, 32
	s_cmp_lg_u32 s13, s10
	s_waitcnt lgkmcnt(0)
	v_mul_f32_e32 v2, v2, v6
	ds_write_b32 v5, v2
	s_cbranch_scc0 .LBB8_29
.LBB8_27:                               ; =>This Loop Header: Depth=1
                                        ;     Child Loop BB8_28 Depth 2
	s_lshl_b32 s14, s7, 5
	v_add_u32_e32 v5, s14, v1
	ds_read_b32 v2, v5
	s_cmp_le_i32 s4, s7
	v_mov_b32_e32 v6, v4
	s_mov_b32 s14, s11
	s_mov_b32 s15, s4
	s_cbranch_scc1 .LBB8_26
.LBB8_28:                               ;   Parent Loop BB8_27 Depth=1
                                        ; =>  This Inner Loop Header: Depth=2
	v_mov_b32_e32 v8, s14
	ds_read_b32 v7, v6
	ds_read_b32 v8, v8
	s_add_i32 s15, s15, -1
	s_add_i32 s14, s14, -4
	v_subrev_u32_e32 v6, 32, v6
	s_cmp_gt_i32 s15, s7
	s_waitcnt lgkmcnt(0)
	v_fma_f32 v2, -v7, v8, v2
	s_cbranch_scc1 .LBB8_28
	s_branch .LBB8_26
.LBB8_29:
	s_cmp_lt_u32 s5, 3
	s_cbranch_scc1 .LBB8_40
; %bb.30:
	s_lshl_b32 s5, s7, 5
	s_lshl_b32 s10, s18, 2
	s_add_i32 s13, s5, s10
	v_lshl_or_b32 v2, s18, 5, v3
	s_add_i32 s5, s13, -4
	v_add_u32_e32 v3, 0xe0, v2
	s_sub_i32 s10, s13, 36
	s_add_i32 s11, s13, 0xffffffbc
	s_addk_i32 s13, 0xff9c
	s_branch .LBB8_32
.LBB8_31:                               ;   in Loop: Header=BB8_32 Depth=1
	s_sub_i32 s14, s14, 36
	v_mov_b32_e32 v2, s14
	ds_read_b32 v2, v2
	s_add_i32 s14, s7, -4
	s_addk_i32 s5, 0xff80
	s_addk_i32 s10, 0xff80
	;; [unrolled: 1-line block ×4, first 2 shown]
	s_waitcnt lgkmcnt(0)
	v_mul_f32_e32 v2, v4, v2
	s_cmp_lt_i32 s7, 4
	s_mov_b32 s7, s14
	ds_write_b32 v5, v2
	s_cbranch_scc1 .LBB8_40
.LBB8_32:                               ; =>This Loop Header: Depth=1
                                        ;     Child Loop BB8_33 Depth 2
                                        ;     Child Loop BB8_35 Depth 2
	;; [unrolled: 1-line block ×4, first 2 shown]
	s_lshl_b32 s15, s7, 5
	v_add_u32_e32 v6, s15, v1
	ds_read_b32 v2, v6
	s_cmp_le_i32 s4, s7
	v_mov_b32_e32 v4, v3
	s_mov_b32 s14, s5
	s_mov_b32 s16, s4
	s_cbranch_scc1 .LBB8_34
.LBB8_33:                               ;   Parent Loop BB8_32 Depth=1
                                        ; =>  This Inner Loop Header: Depth=2
	v_mov_b32_e32 v7, s14
	ds_read_b32 v5, v4
	ds_read_b32 v7, v7
	s_add_i32 s16, s16, -1
	s_add_i32 s14, s14, -4
	v_subrev_u32_e32 v4, 32, v4
	s_cmp_gt_i32 s16, s7
	s_waitcnt lgkmcnt(0)
	v_fma_f32 v2, -v5, v7, v2
	s_cbranch_scc1 .LBB8_33
.LBB8_34:                               ;   in Loop: Header=BB8_32 Depth=1
	s_mul_i32 s14, s7, 36
	v_mov_b32_e32 v4, s14
	ds_read_b32 v7, v4
	s_sub_i32 s15, s15, 32
	v_add_u32_e32 v5, s15, v1
	ds_read_b32 v4, v5
	s_cmp_le_i32 s18, s7
	s_waitcnt lgkmcnt(1)
	v_mul_f32_e32 v2, v2, v7
	ds_write_b32 v6, v2
	v_mov_b32_e32 v2, v3
	s_mov_b32 s15, s10
	s_mov_b32 s16, s18
	s_cbranch_scc1 .LBB8_36
.LBB8_35:                               ;   Parent Loop BB8_32 Depth=1
                                        ; =>  This Inner Loop Header: Depth=2
	v_mov_b32_e32 v7, s15
	ds_read_b32 v6, v2
	ds_read_b32 v7, v7
	s_add_i32 s16, s16, -1
	s_add_i32 s15, s15, -4
	v_subrev_u32_e32 v2, 32, v2
	s_cmp_gt_i32 s16, s7
	s_waitcnt lgkmcnt(0)
	v_fma_f32 v4, -v6, v7, v4
	s_cbranch_scc1 .LBB8_35
.LBB8_36:                               ;   in Loop: Header=BB8_32 Depth=1
	s_sub_i32 s14, s14, 36
	v_mov_b32_e32 v2, s14
	s_add_i32 s15, s7, -2
	ds_read_b32 v7, v2
	s_lshl_b32 s16, s15, 5
	v_add_u32_e32 v6, s16, v1
	ds_read_b32 v2, v6
	s_cmp_le_i32 s4, s15
	s_waitcnt lgkmcnt(1)
	v_mul_f32_e32 v4, v4, v7
	ds_write_b32 v5, v4
	v_mov_b32_e32 v4, v3
	s_mov_b32 s16, s11
	s_mov_b32 s17, s4
	s_cbranch_scc1 .LBB8_38
.LBB8_37:                               ;   Parent Loop BB8_32 Depth=1
                                        ; =>  This Inner Loop Header: Depth=2
	v_mov_b32_e32 v7, s16
	ds_read_b32 v5, v4
	ds_read_b32 v7, v7
	s_add_i32 s17, s17, -1
	s_add_i32 s16, s16, -4
	v_subrev_u32_e32 v4, 32, v4
	s_cmp_gt_i32 s17, s15
	s_waitcnt lgkmcnt(0)
	v_fma_f32 v2, -v5, v7, v2
	s_cbranch_scc1 .LBB8_37
.LBB8_38:                               ;   in Loop: Header=BB8_32 Depth=1
	s_sub_i32 s14, s14, 36
	v_mov_b32_e32 v4, s14
	s_add_i32 s15, s7, -3
	ds_read_b32 v7, v4
	s_lshl_b32 s16, s15, 5
	v_add_u32_e32 v5, s16, v1
	ds_read_b32 v4, v5
	s_cmp_le_i32 s4, s15
	s_waitcnt lgkmcnt(1)
	v_mul_f32_e32 v2, v2, v7
	ds_write_b32 v6, v2
	v_mov_b32_e32 v2, v3
	s_mov_b32 s16, s13
	s_mov_b32 s17, s4
	s_cbranch_scc1 .LBB8_31
.LBB8_39:                               ;   Parent Loop BB8_32 Depth=1
                                        ; =>  This Inner Loop Header: Depth=2
	v_mov_b32_e32 v7, s16
	ds_read_b32 v6, v2
	ds_read_b32 v7, v7
	s_add_i32 s17, s17, -1
	s_add_i32 s16, s16, -4
	v_subrev_u32_e32 v2, 32, v2
	s_cmp_gt_i32 s17, s15
	s_waitcnt lgkmcnt(0)
	v_fma_f32 v4, -v6, v7, v4
	s_cbranch_scc1 .LBB8_39
	s_branch .LBB8_31
.LBB8_40:
	s_mov_b64 s[4:5], 0
.LBB8_41:
	s_and_b64 vcc, exec, s[4:5]
	s_cbranch_vccz .LBB8_57
; %bb.42:
	s_cmp_gt_i32 s6, 7
	s_cbranch_scc0 .LBB8_44
; %bb.43:
	ds_read2_b32 v[22:23], v1 offset1:8
	ds_read2_b32 v[24:25], v1 offset0:16 offset1:24
	ds_read2_b32 v[26:27], v1 offset0:32 offset1:40
	ds_read2_b32 v[28:29], v1 offset0:48 offset1:56
	v_mov_b32_e32 v56, 0
	ds_read_b128 v[2:5], v56
	ds_read_b128 v[6:9], v56 offset:16
	ds_read2_b64 v[10:13], v56 offset0:9 offset1:10
	ds_read2_b32 v[30:31], v56 offset0:27 offset1:28
	ds_read_b128 v[14:17], v56 offset:144
	ds_read2_b32 v[32:33], v56 offset0:45 offset1:46
	ds_read2_b64 v[18:21], v56 offset0:11 offset1:27
	ds_read2_b32 v[34:35], v56 offset0:9 offset1:10
	ds_read2_b32 v[36:37], v56 offset0:11 offset1:12
	;; [unrolled: 1-line block ×4, first 2 shown]
	s_waitcnt lgkmcnt(10)
	v_mul_f32_e32 v2, v22, v2
	v_fma_f32 v3, -v2, v3, v23
	v_mov_b32_e32 v54, v4
	s_waitcnt lgkmcnt(3)
	v_mov_b32_e32 v55, v35
	v_mul_f32_e32 v3, v3, v34
	v_pk_mul_f32 v[22:23], v[2:3], v[54:55]
	ds_read2_b32 v[42:43], v56 offset0:29 offset1:30
	ds_read2_b32 v[44:45], v56 offset0:31 offset1:32
	v_mov_b32_e32 v48, v12
	s_waitcnt lgkmcnt(4)
	v_mov_b32_e32 v52, v36
	v_mov_b32_e32 v53, v11
	v_mov_b32_e32 v36, v6
	s_waitcnt lgkmcnt(3)
	v_mov_b32_e32 v12, v38
	v_sub_f32_e32 v11, v24, v22
	v_mov_b32_e32 v38, v8
	s_waitcnt lgkmcnt(0)
	v_mov_b32_e32 v45, v17
	v_mov_b32_e32 v51, v15
	v_fma_f32 v15, -v2, v5, v25
	v_pk_mul_f32 v[4:5], v[2:3], v[36:37]
	v_fma_f32 v17, -v2, v7, v27
	v_pk_mul_f32 v[6:7], v[2:3], v[38:39]
	v_fma_f32 v22, -v2, v9, v29
	ds_write2_b32 v1, v2, v3 offset1:8
	v_sub_f32_e32 v2, v11, v23
	v_mul_f32_e32 v9, v2, v10
	v_mov_b32_e32 v8, v3
	v_pk_mul_f32 v[2:3], v[8:9], v[52:53]
	v_sub_f32_e32 v4, v26, v4
	v_sub_f32_e32 v2, v15, v2
	;; [unrolled: 1-line block ×3, first 2 shown]
	v_pk_mul_f32 v[4:5], v[8:9], v[12:13]
	v_sub_f32_e32 v2, v2, v3
	v_mov_b32_e32 v41, v19
	v_mov_b32_e32 v49, v31
	v_sub_f32_e32 v6, v28, v6
	v_sub_f32_e32 v4, v17, v4
	v_mul_f32_e32 v3, v2, v30
	v_mov_b32_e32 v2, v9
	v_mov_b32_e32 v19, v43
	v_sub_f32_e32 v11, v6, v7
	v_pk_mul_f32 v[6:7], v[2:3], v[48:49]
	v_sub_f32_e32 v12, v4, v5
	v_pk_mul_f32 v[4:5], v[2:3], v[18:19]
	v_sub_f32_e32 v6, v10, v6
	v_sub_f32_e32 v4, v11, v4
	v_pk_mul_f32 v[10:11], v[8:9], v[40:41]
	v_mov_b32_e32 v50, v42
	v_sub_f32_e32 v2, v22, v10
	v_sub_f32_e32 v10, v2, v11
	;; [unrolled: 1-line block ×3, first 2 shown]
	v_mul_f32_e32 v7, v2, v14
	v_mov_b32_e32 v6, v3
	ds_write2_b32 v1, v9, v3 offset0:16 offset1:24
	v_pk_mul_f32 v[2:3], v[6:7], v[50:51]
	ds_read2_b32 v[46:47], v56 offset0:47 offset1:48
	v_sub_f32_e32 v2, v12, v2
	v_sub_f32_e32 v2, v2, v3
	v_mul_f32_e32 v3, v2, v32
	v_mov_b32_e32 v2, v7
	v_mov_b32_e32 v17, v33
	v_sub_f32_e32 v8, v4, v5
	v_pk_mul_f32 v[4:5], v[2:3], v[16:17]
	ds_write2_b32 v1, v7, v3 offset0:32 offset1:40
	v_sub_f32_e32 v2, v8, v4
	v_pk_mul_f32 v[8:9], v[6:7], v[44:45]
	v_sub_f32_e32 v2, v2, v5
	v_sub_f32_e32 v4, v10, v8
	ds_read_b32 v7, v56 offset:252
	v_sub_f32_e32 v6, v4, v9
	v_mul_f32_e32 v5, v2, v20
	v_mov_b32_e32 v4, v3
	s_waitcnt lgkmcnt(2)
	v_mov_b32_e32 v47, v21
	v_pk_mul_f32 v[2:3], v[4:5], v[46:47]
	s_mov_b32 s4, 8
	v_sub_f32_e32 v2, v6, v2
	v_sub_f32_e32 v2, v2, v3
	s_waitcnt lgkmcnt(0)
	v_mul_f32_e32 v2, v2, v7
	ds_write2_b32 v1, v5, v2 offset0:48 offset1:56
	s_cmp_lt_i32 s4, s18
	s_cbranch_scc1 .LBB8_45
	s_branch .LBB8_57
.LBB8_44:
	s_mov_b32 s4, 0
	s_cmp_lt_i32 s4, s18
	s_cbranch_scc0 .LBB8_57
.LBB8_45:
	s_or_b32 s5, s4, 3
	s_cmp_ge_u32 s5, s18
	s_cbranch_scc1 .LBB8_51
; %bb.46:
	v_mov_b32_e32 v2, 0x100
	s_lshl_b32 s5, s4, 2
	v_lshl_or_b32 v6, v0, 2, v2
.LBB8_47:                               ; =>This Loop Header: Depth=1
                                        ;     Child Loop BB8_48 Depth 2
	s_lshl_b32 s6, s4, 5
	v_add_u32_e32 v7, s6, v1
	ds_read2_b32 v[4:5], v7 offset1:8
	ds_read2_b32 v[2:3], v7 offset0:16 offset1:24
	s_cmp_eq_u32 s4, 0
	v_mov_b32_e32 v8, v6
	s_mov_b32 s7, s5
	s_mov_b32 s10, s4
	s_cbranch_scc1 .LBB8_49
.LBB8_48:                               ;   Parent Loop BB8_47 Depth=1
                                        ; =>  This Inner Loop Header: Depth=2
	v_mov_b32_e32 v9, s7
	ds_read_b32 v14, v8
	ds_read_b128 v[10:13], v9
	s_add_i32 s10, s10, -1
	s_add_i32 s7, s7, 32
	v_add_u32_e32 v8, 32, v8
	s_cmp_lg_u32 s10, 0
	s_waitcnt lgkmcnt(0)
	v_pk_fma_f32 v[4:5], v[14:15], v[10:11], v[4:5] op_sel_hi:[0,1,1] neg_lo:[1,0,0] neg_hi:[1,0,0]
	v_pk_fma_f32 v[2:3], v[14:15], v[12:13], v[2:3] op_sel_hi:[0,1,1] neg_lo:[1,0,0] neg_hi:[1,0,0]
	s_cbranch_scc1 .LBB8_48
.LBB8_49:                               ;   in Loop: Header=BB8_47 Depth=1
	s_lshl_b32 s7, s4, 2
	s_add_i32 s10, s7, s6
	v_mov_b32_e32 v16, s10
	ds_read_b128 v[8:11], v16
	ds_read2_b32 v[12:13], v16 offset0:9 offset1:10
	s_or_b32 s6, s6, 32
	v_add_u32_e32 v17, s6, v1
	s_add_i32 s6, s7, s6
	s_waitcnt lgkmcnt(1)
	v_mul_f32_e32 v4, v4, v8
	v_fma_f32 v5, -v4, v9, v5
	s_waitcnt lgkmcnt(0)
	v_mul_f32_e32 v5, v5, v12
	v_mov_b32_e32 v12, v10
	ds_read_b64 v[14:15], v16 offset:72
	v_pk_mul_f32 v[8:9], v[4:5], v[12:13]
	v_mov_b32_e32 v18, s6
	v_sub_f32_e32 v2, v2, v8
	ds_write_b32 v17, v5
	v_fma_f32 v10, -v4, v11, v3
	v_sub_f32_e32 v3, v2, v9
	ds_read_b32 v2, v18 offset:12
	ds_read_b32 v11, v16 offset:108
	s_waitcnt lgkmcnt(3)
	v_mul_f32_e32 v9, v3, v14
	v_mov_b32_e32 v8, v5
	v_mov_b32_e32 v3, v15
	s_waitcnt lgkmcnt(1)
	v_pk_mul_f32 v[2:3], v[8:9], v[2:3]
	s_add_i32 s6, s4, 4
	v_sub_f32_e32 v2, v10, v2
	v_sub_f32_e32 v2, v2, v3
	s_add_i32 s4, s4, 7
	s_add_i32 s5, s5, 16
	s_waitcnt lgkmcnt(0)
	v_mul_f32_e32 v2, v2, v11
	s_cmp_lt_i32 s4, s18
	ds_write2_b32 v7, v4, v9 offset1:16
	ds_write_b32 v7, v2 offset:96
	s_cbranch_scc0 .LBB8_52
; %bb.50:                               ;   in Loop: Header=BB8_47 Depth=1
	s_mov_b32 s4, s6
	s_branch .LBB8_47
.LBB8_51:
	s_mov_b32 s6, s4
.LBB8_52:
	s_cmp_ge_i32 s6, s18
	s_cbranch_scc1 .LBB8_57
; %bb.53:
	v_mov_b32_e32 v2, 0x100
	s_lshl_b32 s4, s6, 2
	v_lshl_or_b32 v3, v0, 2, v2
	s_branch .LBB8_55
.LBB8_54:                               ;   in Loop: Header=BB8_55 Depth=1
	s_lshl_b32 s7, s6, 2
	s_add_i32 s5, s7, s5
	v_mov_b32_e32 v5, s5
	ds_read_b32 v5, v5
	s_add_i32 s6, s6, 1
	s_add_i32 s4, s4, 4
	s_cmp_ge_i32 s6, s18
	s_waitcnt lgkmcnt(0)
	v_mul_f32_e32 v2, v2, v5
	ds_write_b32 v4, v2
	s_cbranch_scc1 .LBB8_57
.LBB8_55:                               ; =>This Loop Header: Depth=1
                                        ;     Child Loop BB8_56 Depth 2
	s_lshl_b32 s5, s6, 5
	v_add_u32_e32 v4, s5, v1
	ds_read_b32 v2, v4
	s_cmp_eq_u32 s6, 0
	v_mov_b32_e32 v5, v3
	s_mov_b32 s7, s4
	s_mov_b32 s10, s6
	s_cbranch_scc1 .LBB8_54
.LBB8_56:                               ;   Parent Loop BB8_55 Depth=1
                                        ; =>  This Inner Loop Header: Depth=2
	v_mov_b32_e32 v7, s7
	ds_read_b32 v6, v5
	ds_read_b32 v7, v7
	s_add_i32 s10, s10, -1
	s_add_i32 s7, s7, 32
	v_add_u32_e32 v5, 32, v5
	s_cmp_lg_u32 s10, 0
	s_waitcnt lgkmcnt(0)
	v_fma_f32 v2, -v6, v7, v2
	s_cbranch_scc1 .LBB8_56
	s_branch .LBB8_54
.LBB8_57:
	s_waitcnt lgkmcnt(0)
	; wave barrier
	s_and_saveexec_b64 s[4:5], s[0:1]
	s_cbranch_execz .LBB8_61
; %bb.58:
	s_andn2_b64 vcc, exec, s[8:9]
	s_cbranch_vccnz .LBB8_61
; %bb.59:
	v_mad_i64_i32 v[2:3], s[0:1], s12, v0, 0
	v_mov_b32_e32 v1, 0x100
	v_lshl_add_u64 v[2:3], v[2:3], 2, s[2:3]
	v_lshl_or_b32 v0, v0, 2, v1
.LBB8_60:                               ; =>This Inner Loop Header: Depth=1
	ds_read_b32 v1, v0
	s_add_i32 s18, s18, -1
	v_add_u32_e32 v0, 32, v0
	s_cmp_lg_u32 s18, 0
	s_waitcnt lgkmcnt(0)
	flat_store_dword v[2:3], v1
	v_lshl_add_u64 v[2:3], v[2:3], 0, 4
	s_cbranch_scc1 .LBB8_60
.LBB8_61:
	s_endpgm
	.section	.rodata,"a",@progbits
	.p2align	6, 0x0
	.amdhsa_kernel _ZL38rocblas_trsm_small_left_device_sharedBILi8ELi8ELb1EffPKPKfPKPfEv13rocblas_fill_18rocblas_operation_17rocblas_diagonal_iiT3_T4_lilT5_lili
		.amdhsa_group_segment_fixed_size 512
		.amdhsa_private_segment_fixed_size 0
		.amdhsa_kernarg_size 352
		.amdhsa_user_sgpr_count 2
		.amdhsa_user_sgpr_dispatch_ptr 0
		.amdhsa_user_sgpr_queue_ptr 0
		.amdhsa_user_sgpr_kernarg_segment_ptr 1
		.amdhsa_user_sgpr_dispatch_id 0
		.amdhsa_user_sgpr_kernarg_preload_length 0
		.amdhsa_user_sgpr_kernarg_preload_offset 0
		.amdhsa_user_sgpr_private_segment_size 0
		.amdhsa_uses_dynamic_stack 0
		.amdhsa_enable_private_segment 0
		.amdhsa_system_sgpr_workgroup_id_x 1
		.amdhsa_system_sgpr_workgroup_id_y 0
		.amdhsa_system_sgpr_workgroup_id_z 1
		.amdhsa_system_sgpr_workgroup_info 0
		.amdhsa_system_vgpr_workitem_id 0
		.amdhsa_next_free_vgpr 57
		.amdhsa_next_free_sgpr 30
		.amdhsa_accum_offset 60
		.amdhsa_reserve_vcc 1
		.amdhsa_float_round_mode_32 0
		.amdhsa_float_round_mode_16_64 0
		.amdhsa_float_denorm_mode_32 3
		.amdhsa_float_denorm_mode_16_64 3
		.amdhsa_dx10_clamp 1
		.amdhsa_ieee_mode 1
		.amdhsa_fp16_overflow 0
		.amdhsa_tg_split 0
		.amdhsa_exception_fp_ieee_invalid_op 0
		.amdhsa_exception_fp_denorm_src 0
		.amdhsa_exception_fp_ieee_div_zero 0
		.amdhsa_exception_fp_ieee_overflow 0
		.amdhsa_exception_fp_ieee_underflow 0
		.amdhsa_exception_fp_ieee_inexact 0
		.amdhsa_exception_int_div_zero 0
	.end_amdhsa_kernel
	.section	.text._ZL38rocblas_trsm_small_left_device_sharedBILi8ELi8ELb1EffPKPKfPKPfEv13rocblas_fill_18rocblas_operation_17rocblas_diagonal_iiT3_T4_lilT5_lili,"axG",@progbits,_ZL38rocblas_trsm_small_left_device_sharedBILi8ELi8ELb1EffPKPKfPKPfEv13rocblas_fill_18rocblas_operation_17rocblas_diagonal_iiT3_T4_lilT5_lili,comdat
.Lfunc_end8:
	.size	_ZL38rocblas_trsm_small_left_device_sharedBILi8ELi8ELb1EffPKPKfPKPfEv13rocblas_fill_18rocblas_operation_17rocblas_diagonal_iiT3_T4_lilT5_lili, .Lfunc_end8-_ZL38rocblas_trsm_small_left_device_sharedBILi8ELi8ELb1EffPKPKfPKPfEv13rocblas_fill_18rocblas_operation_17rocblas_diagonal_iiT3_T4_lilT5_lili
                                        ; -- End function
	.set _ZL38rocblas_trsm_small_left_device_sharedBILi8ELi8ELb1EffPKPKfPKPfEv13rocblas_fill_18rocblas_operation_17rocblas_diagonal_iiT3_T4_lilT5_lili.num_vgpr, 57
	.set _ZL38rocblas_trsm_small_left_device_sharedBILi8ELi8ELb1EffPKPKfPKPfEv13rocblas_fill_18rocblas_operation_17rocblas_diagonal_iiT3_T4_lilT5_lili.num_agpr, 0
	.set _ZL38rocblas_trsm_small_left_device_sharedBILi8ELi8ELb1EffPKPKfPKPfEv13rocblas_fill_18rocblas_operation_17rocblas_diagonal_iiT3_T4_lilT5_lili.numbered_sgpr, 30
	.set _ZL38rocblas_trsm_small_left_device_sharedBILi8ELi8ELb1EffPKPKfPKPfEv13rocblas_fill_18rocblas_operation_17rocblas_diagonal_iiT3_T4_lilT5_lili.num_named_barrier, 0
	.set _ZL38rocblas_trsm_small_left_device_sharedBILi8ELi8ELb1EffPKPKfPKPfEv13rocblas_fill_18rocblas_operation_17rocblas_diagonal_iiT3_T4_lilT5_lili.private_seg_size, 0
	.set _ZL38rocblas_trsm_small_left_device_sharedBILi8ELi8ELb1EffPKPKfPKPfEv13rocblas_fill_18rocblas_operation_17rocblas_diagonal_iiT3_T4_lilT5_lili.uses_vcc, 1
	.set _ZL38rocblas_trsm_small_left_device_sharedBILi8ELi8ELb1EffPKPKfPKPfEv13rocblas_fill_18rocblas_operation_17rocblas_diagonal_iiT3_T4_lilT5_lili.uses_flat_scratch, 0
	.set _ZL38rocblas_trsm_small_left_device_sharedBILi8ELi8ELb1EffPKPKfPKPfEv13rocblas_fill_18rocblas_operation_17rocblas_diagonal_iiT3_T4_lilT5_lili.has_dyn_sized_stack, 0
	.set _ZL38rocblas_trsm_small_left_device_sharedBILi8ELi8ELb1EffPKPKfPKPfEv13rocblas_fill_18rocblas_operation_17rocblas_diagonal_iiT3_T4_lilT5_lili.has_recursion, 0
	.set _ZL38rocblas_trsm_small_left_device_sharedBILi8ELi8ELb1EffPKPKfPKPfEv13rocblas_fill_18rocblas_operation_17rocblas_diagonal_iiT3_T4_lilT5_lili.has_indirect_call, 0
	.section	.AMDGPU.csdata,"",@progbits
; Kernel info:
; codeLenInByte = 3812
; TotalNumSgprs: 36
; NumVgprs: 57
; NumAgprs: 0
; TotalNumVgprs: 57
; ScratchSize: 0
; MemoryBound: 0
; FloatMode: 240
; IeeeMode: 1
; LDSByteSize: 512 bytes/workgroup (compile time only)
; SGPRBlocks: 4
; VGPRBlocks: 7
; NumSGPRsForWavesPerEU: 36
; NumVGPRsForWavesPerEU: 57
; AccumOffset: 60
; Occupancy: 8
; WaveLimiterHint : 0
; COMPUTE_PGM_RSRC2:SCRATCH_EN: 0
; COMPUTE_PGM_RSRC2:USER_SGPR: 2
; COMPUTE_PGM_RSRC2:TRAP_HANDLER: 0
; COMPUTE_PGM_RSRC2:TGID_X_EN: 1
; COMPUTE_PGM_RSRC2:TGID_Y_EN: 0
; COMPUTE_PGM_RSRC2:TGID_Z_EN: 1
; COMPUTE_PGM_RSRC2:TIDIG_COMP_CNT: 0
; COMPUTE_PGM_RSRC3_GFX90A:ACCUM_OFFSET: 14
; COMPUTE_PGM_RSRC3_GFX90A:TG_SPLIT: 0
	.section	.text._ZL30rocblas_trsm_small_left_deviceILi8ELi8ELb1EffPKPKfPKPfEv13rocblas_fill_18rocblas_operation_17rocblas_diagonal_iiT3_T4_lilT5_lili,"axG",@progbits,_ZL30rocblas_trsm_small_left_deviceILi8ELi8ELb1EffPKPKfPKPfEv13rocblas_fill_18rocblas_operation_17rocblas_diagonal_iiT3_T4_lilT5_lili,comdat
	.globl	_ZL30rocblas_trsm_small_left_deviceILi8ELi8ELb1EffPKPKfPKPfEv13rocblas_fill_18rocblas_operation_17rocblas_diagonal_iiT3_T4_lilT5_lili ; -- Begin function _ZL30rocblas_trsm_small_left_deviceILi8ELi8ELb1EffPKPKfPKPfEv13rocblas_fill_18rocblas_operation_17rocblas_diagonal_iiT3_T4_lilT5_lili
	.p2align	8
	.type	_ZL30rocblas_trsm_small_left_deviceILi8ELi8ELb1EffPKPKfPKPfEv13rocblas_fill_18rocblas_operation_17rocblas_diagonal_iiT3_T4_lilT5_lili,@function
_ZL30rocblas_trsm_small_left_deviceILi8ELi8ELb1EffPKPKfPKPfEv13rocblas_fill_18rocblas_operation_17rocblas_diagonal_iiT3_T4_lilT5_lili: ; @_ZL30rocblas_trsm_small_left_deviceILi8ELi8ELb1EffPKPKfPKPfEv13rocblas_fill_18rocblas_operation_17rocblas_diagonal_iiT3_T4_lilT5_lili
; %bb.0:
	s_load_dwordx4 s[8:11], s[0:1], 0x38
	s_load_dwordx4 s[4:7], s[0:1], 0x4
	s_load_dword s16, s[0:1], 0x14
	s_mov_b32 s20, s3
	s_mov_b32 s21, 0
	s_lshl_b64 s[24:25], s[20:21], 3
	s_waitcnt lgkmcnt(0)
	s_add_u32 s8, s8, s24
	s_addc_u32 s9, s9, s25
	s_load_dwordx2 s[8:9], s[8:9], 0x0
	s_min_i32 s20, s6, 8
	v_cmp_gt_i32_e32 vcc, s20, v0
	s_and_saveexec_b64 s[18:19], vcc
	s_cbranch_execz .LBB9_11
; %bb.1:
	s_load_dwordx4 s[12:15], s[0:1], 0x18
	s_load_dword s22, s[0:1], 0x28
	v_lshlrev_b32_e32 v2, 2, v0
	v_mov_b32_e32 v3, 0
	s_mov_b32 s3, 1
	s_waitcnt lgkmcnt(0)
	s_add_u32 s12, s12, s24
	s_addc_u32 s13, s13, s25
	s_load_dwordx2 s[12:13], s[12:13], 0x0
	s_cmp_lt_u32 s20, 2
	s_cselect_b64 s[26:27], -1, 0
	s_cmp_lg_u32 s22, 1
	s_cselect_b64 s[28:29], -1, 0
	s_or_b64 s[26:27], s[26:27], s[28:29]
	s_mov_b64 s[24:25], -1
	s_and_b64 vcc, exec, s[26:27]
	s_cbranch_vccnz .LBB9_5
; %bb.2:
	s_lshl_b64 s[24:25], s[14:15], 2
	s_waitcnt lgkmcnt(0)
	s_add_u32 s24, s12, s24
	s_addc_u32 s25, s13, s25
	s_and_b32 s21, s20, -2
	v_lshl_add_u64 v[4:5], s[24:25], 0, v[2:3]
	s_mov_b32 s17, 0
	s_mov_b32 s23, s21
.LBB9_3:                                ; =>This Inner Loop Header: Depth=1
	flat_load_dwordx2 v[6:7], v[4:5]
	v_lshl_or_b32 v1, s17, 5, v2
	v_lshl_or_b32 v3, s3, 5, v2
	s_add_i32 s17, s17, 2
	s_add_i32 s3, s3, 2
	s_add_i32 s23, s23, -2
	v_lshl_add_u64 v[4:5], v[4:5], 0, 8
	s_cmp_lg_u32 s23, 0
	s_waitcnt vmcnt(0) lgkmcnt(0)
	ds_write_b32 v1, v6
	ds_write_b32 v3, v7
	s_cbranch_scc1 .LBB9_3
; %bb.4:
	s_cmp_lg_u32 s20, s21
	s_cselect_b64 s[24:25], -1, 0
.LBB9_5:
	s_and_b64 vcc, exec, s[24:25]
	s_cbranch_vccz .LBB9_8
; %bb.6:
	s_ashr_i32 s23, s22, 31
	s_mul_hi_u32 s3, s22, s21
	s_mul_i32 s17, s23, s21
	s_add_i32 s25, s3, s17
	s_mul_i32 s24, s22, s21
	s_lshl_b64 s[24:25], s[24:25], 2
	s_lshl_b64 s[14:15], s[14:15], 2
	s_add_u32 s3, s24, s14
	s_addc_u32 s14, s25, s15
	s_waitcnt lgkmcnt(0)
	s_add_u32 s12, s12, s3
	v_mov_b32_e32 v3, 0
	s_addc_u32 s13, s13, s14
	v_lshl_add_u64 v[4:5], s[12:13], 0, v[2:3]
	s_lshl_b64 s[12:13], s[22:23], 2
	s_sub_i32 s3, s20, s21
	v_lshl_or_b32 v1, s21, 5, v2
.LBB9_7:                                ; =>This Inner Loop Header: Depth=1
	flat_load_dword v3, v[4:5]
	s_add_i32 s3, s3, -1
	v_lshl_add_u64 v[4:5], v[4:5], 0, s[12:13]
	s_cmp_eq_u32 s3, 0
	s_waitcnt vmcnt(0) lgkmcnt(0)
	ds_write_b32 v1, v3
	v_add_u32_e32 v1, 32, v1
	s_cbranch_scc0 .LBB9_7
.LBB9_8:
	v_lshlrev_b32_e32 v1, 5, v0
	s_cmpk_lg_i32 s5, 0x84
	v_mov_b32_e32 v3, 1.0
	v_add_u32_e32 v1, v2, v1
	s_cbranch_scc0 .LBB9_10
; %bb.9:
	ds_read_b32 v2, v1
	s_waitcnt lgkmcnt(0)
	v_div_scale_f32 v3, s[12:13], v2, v2, 1.0
	v_rcp_f32_e32 v4, v3
	v_div_scale_f32 v5, vcc, 1.0, v2, 1.0
	v_fma_f32 v6, -v3, v4, 1.0
	v_fmac_f32_e32 v4, v6, v4
	v_mul_f32_e32 v6, v5, v4
	v_fma_f32 v7, -v3, v6, v5
	v_fmac_f32_e32 v6, v7, v4
	v_fma_f32 v3, -v3, v6, v5
	v_div_fmas_f32 v3, v3, v4, v6
	v_div_fixup_f32 v3, v3, v2, 1.0
.LBB9_10:
	ds_write_b32 v1, v3
.LBB9_11:
	s_or_b64 exec, exec, s[18:19]
	s_load_dword s3, s[0:1], 0x60
	s_waitcnt lgkmcnt(0)
	; wave barrier
	s_add_i32 s5, s3, -1
	s_lshl_b32 s3, s2, 3
	s_sub_i32 s7, s7, s3
	s_cmp_ge_u32 s2, s5
	s_cselect_b32 s2, s7, 8
	v_cmp_gt_i32_e32 vcc, s2, v0
	s_and_saveexec_b64 s[12:13], vcc
	s_cbranch_execz .LBB9_56
; %bb.12:
	s_load_dword s2, s[0:1], 0x48
	s_lshl_b64 s[0:1], s[10:11], 2
	s_add_u32 s0, s8, s0
	v_add_u32_e32 v0, s3, v0
	s_addc_u32 s1, s9, s1
	s_waitcnt lgkmcnt(0)
	v_mad_i64_i32 v[0:1], s[2:3], s2, v0, 0
	v_lshl_add_u64 v[2:3], v[0:1], 2, s[0:1]
	s_cmpk_eq_i32 s4, 0x6f
	s_mov_b64 s[0:1], -1
	s_cbranch_scc1 .LBB9_39
; %bb.13:
	s_add_i32 s7, s20, -1
	s_cmp_gt_i32 s6, 7
	s_mov_b32 s0, -1
	s_cbranch_scc0 .LBB9_15
; %bb.14:
	flat_load_dwordx4 v[4:7], v[2:3] offset:16
	flat_load_dwordx4 v[8:11], v[2:3]
	v_mov_b32_e32 v50, 0
	ds_read_b32 v1, v50 offset:252
	ds_read2_b64 v[12:15], v50 offset0:23 offset1:27
	ds_read2_b32 v[28:29], v50 offset0:27 offset1:45
	ds_read_b128 v[16:19], v50 offset:144
	ds_read2_b32 v[30:31], v50 offset0:18 offset1:23
	ds_read2_b32 v[32:33], v50 offset0:7 offset1:9
	;; [unrolled: 1-line block ×4, first 2 shown]
	ds_read_b64 v[38:39], v50 offset:56
	ds_read2_b64 v[20:23], v50 offset0:5 offset1:6
	ds_read_b128 v[24:27], v50 offset:112
	ds_read2_b32 v[40:41], v50 offset0:19 offset1:20
	ds_read2_b32 v[42:43], v50 offset0:21 offset1:22
	s_waitcnt lgkmcnt(0)
	v_mov_b32_e32 v44, v17
	v_mov_b32_e32 v0, s16
	;; [unrolled: 1-line block ×5, first 2 shown]
	s_waitcnt vmcnt(0)
	v_mul_f32_e32 v17, s16, v7
	v_mov_b32_e32 v7, v15
	v_mul_f32_e32 v1, v17, v1
	v_pk_mul_f32 v[6:7], v[0:1], v[6:7]
	v_mov_b32_e32 v46, v8
	v_mov_b32_e32 v18, v4
	;; [unrolled: 1-line block ×3, first 2 shown]
	v_sub_f32_e32 v4, v6, v7
	v_mov_b32_e32 v15, v1
	v_pk_mul_f32 v[18:19], v[0:1], v[18:19]
	v_pk_mul_f32 v[48:49], v[0:1], v[48:49]
	;; [unrolled: 1-line block ×3, first 2 shown]
	v_mul_f32_e32 v14, v4, v14
	v_sub_f32_e32 v10, v18, v19
	v_sub_f32_e32 v18, v0, v1
	v_pk_mul_f32 v[0:1], v[14:15], v[12:13]
	v_pk_mul_f32 v[6:7], v[14:15], v[26:27]
	v_fma_f32 v1, s16, v5, -v1
	v_sub_f32_e32 v0, v1, v0
	v_pk_mul_f32 v[12:13], v[14:15], v[38:39]
	flat_store_dwordx2 v[2:3], v[14:15] offset:24
	v_mov_b32_e32 v15, v14
	v_mul_f32_e32 v14, v0, v29
	v_pk_mul_f32 v[0:1], v[14:15], v[44:45]
	v_fma_f32 v4, s16, v11, -v7
	v_fma_f32 v5, s16, v9, -v13
	v_pk_mul_f32 v[8:9], v[14:15], v[34:35]
	v_sub_f32_e32 v1, v10, v1
	v_sub_f32_e32 v11, v4, v6
	;; [unrolled: 1-line block ×5, first 2 shown]
	v_pk_mul_f32 v[4:5], v[14:15], v[42:43]
	v_mov_b32_e32 v7, v14
	v_sub_f32_e32 v15, v6, v8
	v_mul_f32_e32 v6, v0, v16
	v_pk_mul_f32 v[0:1], v[6:7], v[24:25]
	v_sub_f32_e32 v17, v48, v49
	v_sub_f32_e32 v1, v11, v1
	;; [unrolled: 1-line block ×4, first 2 shown]
	v_mov_b32_e32 v9, v6
	v_mul_f32_e32 v8, v0, v28
	v_sub_f32_e32 v13, v5, v4
	v_pk_mul_f32 v[4:5], v[6:7], v[22:23]
	v_pk_mul_f32 v[0:1], v[8:9], v[40:41]
	v_sub_f32_e32 v5, v12, v5
	v_pk_mul_f32 v[10:11], v[8:9], v[36:37]
	v_sub_f32_e32 v1, v13, v1
	v_sub_f32_e32 v12, v5, v4
	;; [unrolled: 1-line block ×4, first 2 shown]
	v_mov_b32_e32 v5, v8
	v_sub_f32_e32 v9, v4, v10
	v_mul_f32_e32 v4, v0, v30
	flat_store_dwordx4 v[2:3], v[4:7] offset:8
	ds_read_b96 v[6:8], v50
	v_pk_mul_f32 v[0:1], v[4:5], v[20:21]
	v_mov_b32_e32 v5, v4
	v_sub_f32_e32 v1, v12, v1
	v_sub_f32_e32 v0, v1, v0
	v_mul_f32_e32 v4, v0, v33
	s_waitcnt lgkmcnt(0)
	v_mov_b32_e32 v0, v7
	v_mov_b32_e32 v1, v8
	v_pk_mul_f32 v[0:1], v[4:5], v[0:1]
	s_nop 0
	v_sub_f32_e32 v1, v9, v1
	v_sub_f32_e32 v0, v1, v0
	v_mul_f32_e32 v0, v0, v6
	v_mov_b32_e32 v1, v4
	flat_store_dwordx2 v[2:3], v[0:1]
	s_cmp_gt_i32 s0, -1
	s_cbranch_scc1 .LBB9_16
	s_branch .LBB9_38
.LBB9_15:
	s_mov_b32 s0, s7
	s_cmp_gt_i32 s0, -1
	s_cbranch_scc0 .LBB9_38
.LBB9_16:
	s_cmp_lt_u32 s0, 3
	s_cbranch_scc1 .LBB9_21
; %bb.17:
	s_mov_b32 s3, 0
	s_mov_b32 s1, s3
	v_lshl_add_u64 v[0:1], s[0:1], 2, v[2:3]
	v_add_co_u32_e32 v4, vcc, -12, v0
	s_cmp_le_i32 s7, s0
	s_nop 0
	v_addc_co_u32_e32 v5, vcc, -1, v1, vcc
	flat_load_dwordx4 v[4:7], v[4:5]
	s_waitcnt vmcnt(0) lgkmcnt(0)
	v_pk_mul_f32 v[8:9], s[16:17], v[6:7] op_sel_hi:[0,1]
	v_pk_mul_f32 v[10:11], s[16:17], v[4:5] op_sel_hi:[0,1]
	v_mov_b32_e32 v6, v9
	v_mov_b32_e32 v7, v8
	;; [unrolled: 1-line block ×4, first 2 shown]
	s_cbranch_scc1 .LBB9_20
; %bb.18:
	s_lshl_b32 s1, s0, 5
	s_lshl_b32 s2, s20, 2
	s_add_i32 s1, s1, s2
	s_addk_i32 s1, 0xff9c
	s_mov_b32 s2, s7
.LBB9_19:                               ; =>This Inner Loop Header: Depth=1
	v_lshl_add_u64 v[8:9], s[2:3], 2, v[2:3]
	flat_load_dword v8, v[8:9]
	v_mov_b32_e32 v9, s1
	ds_read2_b32 v[12:13], v9 offset0:16 offset1:24
	ds_read2_b32 v[14:15], v9 offset1:8
	s_add_i32 s2, s2, -1
	s_add_i32 s1, s1, -4
	s_cmp_gt_i32 s2, s0
	s_waitcnt lgkmcnt(0)
	v_mov_b32_e32 v10, v13
	v_mov_b32_e32 v11, v12
	;; [unrolled: 1-line block ×4, first 2 shown]
	s_waitcnt vmcnt(0)
	v_pk_fma_f32 v[6:7], v[8:9], v[10:11], v[6:7] op_sel_hi:[0,1,1] neg_lo:[1,0,0] neg_hi:[1,0,0]
	v_pk_fma_f32 v[4:5], v[8:9], v[12:13], v[4:5] op_sel_hi:[0,1,1] neg_lo:[1,0,0] neg_hi:[1,0,0]
	s_cbranch_scc1 .LBB9_19
.LBB9_20:
	s_mul_i32 s1, s0, 36
	s_add_i32 s2, s0, -1
	v_mov_b32_e32 v8, s1
	s_lshl_b32 s1, s2, 5
	s_lshl_b32 s4, s2, 2
	s_mov_b32 s3, 0
	ds_read_b32 v14, v8
	s_add_i32 s1, s1, s4
	v_lshl_add_u64 v[8:9], s[2:3], 2, v[2:3]
	s_add_i32 s2, s0, -2
	v_mov_b32_e32 v12, s1
	s_lshl_b32 s1, s2, 5
	s_lshl_b32 s5, s2, 2
	s_add_i32 s4, s1, s4
	s_add_i32 s1, s1, s5
	v_lshl_add_u64 v[10:11], s[2:3], 2, v[2:3]
	s_add_i32 s2, s0, -3
	v_mov_b32_e32 v15, s1
	s_lshl_b32 s1, s2, 5
	s_lshl_b32 s5, s0, 2
	s_add_i32 s5, s1, s5
	v_mov_b32_e32 v16, s5
	ds_read2_b32 v[12:13], v12 offset1:1
	ds_read_b32 v17, v15
	ds_read_b32 v16, v16
	s_waitcnt lgkmcnt(3)
	v_mul_f32_e32 v15, v6, v14
	flat_store_dword v[0:1], v15
	v_mov_b32_e32 v0, s4
	ds_read2_b32 v[0:1], v0 offset1:1
	s_waitcnt lgkmcnt(0)
	v_fma_f32 v6, -v15, v13, v7
	v_mul_f32_e32 v14, v6, v12
	s_add_i32 s4, s5, -8
	flat_store_dword v[8:9], v14
	v_pk_mul_f32 v[0:1], v[14:15], v[0:1]
	v_fma_f32 v6, -v15, v16, v5
	v_sub_f32_e32 v1, v4, v1
	v_sub_f32_e32 v0, v1, v0
	v_mul_f32_e32 v0, v0, v17
	flat_store_dword v[10:11], v0
	v_mov_b32_e32 v1, s4
	ds_read2_b32 v[4:5], v1 offset1:1
	s_lshl_b32 s4, s2, 2
	s_add_i32 s1, s1, s4
	v_mov_b32_e32 v1, s1
	ds_read_b32 v7, v1
	v_mov_b32_e32 v1, v14
	s_waitcnt lgkmcnt(0)
	v_pk_mul_f32 v[0:1], v[0:1], v[4:5]
	s_add_i32 s0, s0, -4
	v_sub_f32_e32 v1, v6, v1
	v_sub_f32_e32 v0, v1, v0
	v_mul_f32_e32 v4, v0, v7
	v_lshl_add_u64 v[0:1], s[2:3], 2, v[2:3]
	flat_store_dword v[0:1], v4
.LBB9_21:
	s_cmp_lt_i32 s0, 0
	s_cbranch_scc1 .LBB9_38
; %bb.22:
	s_and_b32 s1, s0, 3
	s_cmp_eq_u32 s1, 3
	s_mov_b32 s2, s0
	s_cbranch_scc1 .LBB9_27
; %bb.23:
	s_lshl_b32 s2, s0, 5
	s_lshl_b32 s3, s20, 2
	s_add_i32 s1, s0, 1
	s_add_i32 s2, s2, s3
	s_and_b32 s1, s1, 3
	s_add_i32 s8, s2, -4
	s_mov_b32 s5, 0
	s_mov_b32 s2, s0
	;; [unrolled: 1-line block ×3, first 2 shown]
	s_branch .LBB9_25
.LBB9_24:                               ;   in Loop: Header=BB9_25 Depth=1
	s_mul_i32 s3, s2, 36
	v_mov_b32_e32 v1, s3
	ds_read_b32 v1, v1
	s_add_i32 s2, s2, -1
	s_add_i32 s9, s9, 1
	s_sub_i32 s8, s8, 32
	s_cmp_lg_u32 s9, s1
	s_waitcnt lgkmcnt(0)
	v_mul_f32_e32 v0, v0, v1
	flat_store_dword v[4:5], v0
	s_cbranch_scc0 .LBB9_27
.LBB9_25:                               ; =>This Loop Header: Depth=1
                                        ;     Child Loop BB9_26 Depth 2
	s_mov_b32 s3, s5
	v_lshl_add_u64 v[4:5], s[2:3], 2, v[2:3]
	flat_load_dword v0, v[4:5]
	s_cmp_le_i32 s7, s2
	s_mov_b32 s3, s8
	s_mov_b32 s4, s7
	s_waitcnt vmcnt(0) lgkmcnt(0)
	v_mul_f32_e32 v0, s16, v0
	s_cbranch_scc1 .LBB9_24
.LBB9_26:                               ;   Parent Loop BB9_25 Depth=1
                                        ; =>  This Inner Loop Header: Depth=2
	v_lshl_add_u64 v[6:7], s[4:5], 2, v[2:3]
	flat_load_dword v1, v[6:7]
	v_mov_b32_e32 v6, s3
	ds_read_b32 v6, v6
	s_add_i32 s4, s4, -1
	s_add_i32 s3, s3, -4
	s_cmp_gt_i32 s4, s2
	s_waitcnt vmcnt(0) lgkmcnt(0)
	v_fma_f32 v0, -v1, v6, v0
	s_cbranch_scc1 .LBB9_26
	s_branch .LBB9_24
.LBB9_27:
	s_cmp_lt_u32 s0, 3
	s_cbranch_scc1 .LBB9_38
; %bb.28:
	s_lshl_b32 s0, s2, 5
	s_lshl_b32 s1, s20, 2
	s_add_i32 s0, s0, s1
	s_add_i32 s8, s0, -4
	s_sub_i32 s9, s0, 36
	s_add_i32 s10, s0, 0xffffffbc
	s_add_i32 s11, s0, 0xffffff9c
	s_mov_b32 s1, 0
	s_branch .LBB9_30
.LBB9_29:                               ;   in Loop: Header=BB9_30 Depth=1
	s_sub_i32 s0, s3, 36
	v_mov_b32_e32 v1, s0
	ds_read_b32 v1, v1
	s_add_i32 s0, s2, -4
	s_addk_i32 s8, 0xff80
	s_addk_i32 s9, 0xff80
	;; [unrolled: 1-line block ×4, first 2 shown]
	s_waitcnt lgkmcnt(0)
	v_mul_f32_e32 v0, v0, v1
	s_cmp_lt_i32 s2, 4
	s_mov_b32 s2, s0
	flat_store_dword v[4:5], v0
	s_cbranch_scc1 .LBB9_38
.LBB9_30:                               ; =>This Loop Header: Depth=1
                                        ;     Child Loop BB9_31 Depth 2
                                        ;     Child Loop BB9_33 Depth 2
	;; [unrolled: 1-line block ×4, first 2 shown]
	s_mov_b32 s3, s1
	v_lshl_add_u64 v[6:7], s[2:3], 2, v[2:3]
	flat_load_dword v0, v[6:7]
	s_cmp_le_i32 s7, s2
	s_mov_b32 s3, s8
	s_mov_b32 s0, s7
	s_waitcnt vmcnt(0) lgkmcnt(0)
	v_mul_f32_e32 v0, s16, v0
	s_cbranch_scc1 .LBB9_32
.LBB9_31:                               ;   Parent Loop BB9_30 Depth=1
                                        ; =>  This Inner Loop Header: Depth=2
	v_lshl_add_u64 v[4:5], s[0:1], 2, v[2:3]
	flat_load_dword v1, v[4:5]
	v_mov_b32_e32 v4, s3
	ds_read_b32 v4, v4
	s_add_i32 s0, s0, -1
	s_add_i32 s3, s3, -4
	s_cmp_gt_i32 s0, s2
	s_waitcnt vmcnt(0) lgkmcnt(0)
	v_fma_f32 v0, -v1, v4, v0
	s_cbranch_scc1 .LBB9_31
.LBB9_32:                               ;   in Loop: Header=BB9_30 Depth=1
	s_add_i32 s0, s2, -1
	v_lshl_add_u64 v[4:5], s[0:1], 2, v[2:3]
	flat_load_dword v1, v[4:5]
	s_mul_i32 s3, s2, 36
	v_mov_b32_e32 v8, s3
	ds_read_b32 v8, v8
	s_mov_b32 s4, s9
	s_cmp_le_i32 s20, s2
	s_mov_b32 s0, s20
	s_waitcnt lgkmcnt(0)
	v_mul_f32_e32 v0, v0, v8
	flat_store_dword v[6:7], v0
	s_waitcnt vmcnt(0)
	v_mul_f32_e32 v0, s16, v1
	s_cbranch_scc1 .LBB9_34
.LBB9_33:                               ;   Parent Loop BB9_30 Depth=1
                                        ; =>  This Inner Loop Header: Depth=2
	s_add_i32 s0, s0, -1
	v_lshl_add_u64 v[6:7], s[0:1], 2, v[2:3]
	flat_load_dword v1, v[6:7]
	v_mov_b32_e32 v6, s4
	ds_read_b32 v6, v6
	s_add_i32 s4, s4, -4
	s_cmp_gt_i32 s0, s2
	s_waitcnt vmcnt(0) lgkmcnt(0)
	v_fma_f32 v0, -v1, v6, v0
	s_cbranch_scc1 .LBB9_33
.LBB9_34:                               ;   in Loop: Header=BB9_30 Depth=1
	s_add_i32 s4, s2, -2
	s_mov_b32 s5, s1
	v_lshl_add_u64 v[6:7], s[4:5], 2, v[2:3]
	flat_load_dword v1, v[6:7]
	s_sub_i32 s3, s3, 36
	v_mov_b32_e32 v8, s3
	ds_read_b32 v8, v8
	s_mov_b32 s5, s10
	s_cmp_le_i32 s7, s4
	s_mov_b32 s0, s7
	s_waitcnt lgkmcnt(0)
	v_mul_f32_e32 v0, v0, v8
	flat_store_dword v[4:5], v0
	s_waitcnt vmcnt(0)
	v_mul_f32_e32 v0, s16, v1
	s_cbranch_scc1 .LBB9_36
.LBB9_35:                               ;   Parent Loop BB9_30 Depth=1
                                        ; =>  This Inner Loop Header: Depth=2
	v_lshl_add_u64 v[4:5], s[0:1], 2, v[2:3]
	flat_load_dword v1, v[4:5]
	v_mov_b32_e32 v4, s5
	ds_read_b32 v4, v4
	s_add_i32 s0, s0, -1
	s_add_i32 s5, s5, -4
	s_cmp_gt_i32 s0, s4
	s_waitcnt vmcnt(0) lgkmcnt(0)
	v_fma_f32 v0, -v1, v4, v0
	s_cbranch_scc1 .LBB9_35
.LBB9_36:                               ;   in Loop: Header=BB9_30 Depth=1
	s_add_i32 s4, s2, -3
	s_mov_b32 s5, s1
	v_lshl_add_u64 v[4:5], s[4:5], 2, v[2:3]
	flat_load_dword v1, v[4:5]
	s_sub_i32 s3, s3, 36
	v_mov_b32_e32 v8, s3
	ds_read_b32 v8, v8
	s_mov_b32 s5, s11
	s_cmp_le_i32 s7, s4
	s_mov_b32 s0, s7
	s_waitcnt lgkmcnt(0)
	v_mul_f32_e32 v0, v0, v8
	flat_store_dword v[6:7], v0
	s_waitcnt vmcnt(0)
	v_mul_f32_e32 v0, s16, v1
	s_cbranch_scc1 .LBB9_29
.LBB9_37:                               ;   Parent Loop BB9_30 Depth=1
                                        ; =>  This Inner Loop Header: Depth=2
	v_lshl_add_u64 v[6:7], s[0:1], 2, v[2:3]
	flat_load_dword v1, v[6:7]
	v_mov_b32_e32 v6, s5
	ds_read_b32 v6, v6
	s_add_i32 s0, s0, -1
	s_add_i32 s5, s5, -4
	s_cmp_gt_i32 s0, s4
	s_waitcnt vmcnt(0) lgkmcnt(0)
	v_fma_f32 v0, -v1, v6, v0
	s_cbranch_scc1 .LBB9_37
	s_branch .LBB9_29
.LBB9_38:
	s_mov_b64 s[0:1], 0
.LBB9_39:
	s_and_b64 vcc, exec, s[0:1]
	s_cbranch_vccz .LBB9_56
; %bb.40:
	s_cmp_gt_i32 s6, 7
	s_cbranch_scc0 .LBB9_42
; %bb.41:
	flat_load_dwordx4 v[4:7], v[2:3]
	flat_load_dwordx4 v[8:11], v[2:3] offset:16
	v_mov_b32_e32 v58, 0
	ds_read_b128 v[12:15], v58
	ds_read_b128 v[16:19], v58 offset:16
	ds_read2_b64 v[20:23], v58 offset0:9 offset1:10
	ds_read2_b32 v[32:33], v58 offset0:27 offset1:28
	ds_read_b128 v[24:27], v58 offset:144
	ds_read2_b32 v[34:35], v58 offset0:45 offset1:46
	ds_read2_b64 v[28:31], v58 offset0:11 offset1:27
	ds_read2_b32 v[36:37], v58 offset0:9 offset1:10
	ds_read2_b32 v[38:39], v58 offset0:11 offset1:12
	;; [unrolled: 1-line block ×7, first 2 shown]
	v_mov_b32_e32 v0, s16
	s_waitcnt lgkmcnt(0)
	v_mov_b32_e32 v43, v29
	v_mov_b32_e32 v54, v44
	;; [unrolled: 1-line block ×18, first 2 shown]
	s_mov_b32 s0, 8
	s_waitcnt vmcnt(0)
	v_mul_f32_e32 v1, s16, v4
	v_mov_b32_e32 v44, v5
	v_mul_f32_e32 v1, v1, v12
	v_mov_b32_e32 v14, v7
	v_pk_mul_f32 v[4:5], v[0:1], v[44:45]
	v_mov_b32_e32 v50, v11
	v_pk_mul_f32 v[12:13], v[0:1], v[14:15]
	v_sub_f32_e32 v5, v4, v5
	v_sub_f32_e32 v7, v12, v13
	v_mov_b32_e32 v4, v1
	v_pk_mul_f32 v[12:13], v[0:1], v[50:51]
	v_mul_f32_e32 v5, v5, v36
	v_mov_b32_e32 v16, v9
	v_sub_f32_e32 v25, v12, v13
	v_pk_mul_f32 v[12:13], v[4:5], v[40:41]
	v_pk_mul_f32 v[14:15], v[0:1], v[16:17]
	v_fma_f32 v1, s16, v6, -v12
	v_sub_f32_e32 v21, v14, v15
	v_pk_mul_f32 v[14:15], v[4:5], v[38:39]
	v_pk_mul_f32 v[16:17], v[4:5], v[18:19]
	v_sub_f32_e32 v1, v1, v13
	v_mov_b32_e32 v0, v5
	v_fma_f32 v6, s16, v8, -v14
	v_fma_f32 v8, s16, v10, -v16
	v_mul_f32_e32 v1, v1, v20
	v_sub_f32_e32 v14, v6, v15
	v_sub_f32_e32 v15, v8, v17
	v_pk_mul_f32 v[8:9], v[0:1], v[56:57]
	v_pk_mul_f32 v[10:11], v[0:1], v[22:23]
	;; [unrolled: 1-line block ×3, first 2 shown]
	v_sub_f32_e32 v0, v7, v8
	v_sub_f32_e32 v7, v21, v10
	;; [unrolled: 1-line block ×3, first 2 shown]
	v_mov_b32_e32 v6, v1
	v_sub_f32_e32 v8, v25, v12
	v_sub_f32_e32 v12, v7, v11
	v_mul_f32_e32 v7, v0, v32
	v_sub_f32_e32 v13, v8, v13
	v_pk_mul_f32 v[8:9], v[6:7], v[52:53]
	v_mov_b32_e32 v0, v7
	v_sub_f32_e32 v1, v14, v8
	v_sub_f32_e32 v1, v1, v9
	v_mul_f32_e32 v1, v1, v24
	flat_store_dwordx4 v[2:3], v[4:7]
	v_pk_mul_f32 v[10:11], v[6:7], v[28:29]
	s_nop 0
	v_pk_mul_f32 v[4:5], v[0:1], v[54:55]
	v_mov_b32_e32 v6, v1
	v_sub_f32_e32 v4, v12, v4
	v_pk_mul_f32 v[0:1], v[0:1], v[46:47]
	v_sub_f32_e32 v4, v4, v5
	v_sub_f32_e32 v8, v15, v10
	;; [unrolled: 1-line block ×3, first 2 shown]
	v_mul_f32_e32 v7, v4, v34
	v_sub_f32_e32 v8, v8, v11
	v_sub_f32_e32 v9, v0, v1
	v_pk_mul_f32 v[0:1], v[6:7], v[26:27]
	flat_store_dwordx2 v[2:3], v[6:7] offset:16
	v_sub_f32_e32 v0, v8, v0
	ds_read_b32 v6, v58 offset:252
	v_sub_f32_e32 v0, v0, v1
	v_mov_b32_e32 v4, v7
	v_mul_f32_e32 v5, v0, v30
	v_pk_mul_f32 v[0:1], v[4:5], v[48:49]
	v_mov_b32_e32 v4, v5
	v_sub_f32_e32 v0, v9, v0
	v_sub_f32_e32 v0, v0, v1
	s_waitcnt lgkmcnt(0)
	v_mul_f32_e32 v5, v0, v6
	flat_store_dwordx2 v[2:3], v[4:5] offset:24
	s_cmp_lt_i32 s0, s20
	s_cbranch_scc1 .LBB9_43
	s_branch .LBB9_56
.LBB9_42:
	s_mov_b32 s0, 0
	s_cmp_lt_i32 s0, s20
	s_cbranch_scc0 .LBB9_56
.LBB9_43:
	s_or_b32 s1, s0, 3
	s_cmp_ge_u32 s1, s20
	s_cbranch_scc1 .LBB9_50
; %bb.44:
	s_mov_b32 s17, s16
	s_lshl_b32 s3, s0, 2
	s_mov_b32 s1, 0
.LBB9_45:                               ; =>This Loop Header: Depth=1
                                        ;     Child Loop BB9_47 Depth 2
	v_lshl_add_u64 v[0:1], s[0:1], 2, v[2:3]
	flat_load_dwordx4 v[6:9], v[0:1]
	s_cmp_eq_u32 s0, 0
	s_waitcnt vmcnt(0) lgkmcnt(0)
	v_pk_mul_f32 v[6:7], s[16:17], v[6:7]
	v_pk_mul_f32 v[4:5], s[16:17], v[8:9]
	s_cbranch_scc1 .LBB9_48
; %bb.46:                               ;   in Loop: Header=BB9_45 Depth=1
	v_mov_b64_e32 v[8:9], v[2:3]
	s_mov_b32 s2, s3
	s_mov_b32 s4, s0
.LBB9_47:                               ;   Parent Loop BB9_45 Depth=1
                                        ; =>  This Inner Loop Header: Depth=2
	flat_load_dword v14, v[8:9]
	v_mov_b32_e32 v10, s2
	ds_read_b128 v[10:13], v10
	s_add_i32 s4, s4, -1
	s_add_i32 s2, s2, 32
	v_lshl_add_u64 v[8:9], v[8:9], 0, 4
	s_cmp_lg_u32 s4, 0
	s_waitcnt vmcnt(0) lgkmcnt(0)
	v_pk_fma_f32 v[6:7], v[14:15], v[10:11], v[6:7] op_sel_hi:[0,1,1] neg_lo:[1,0,0] neg_hi:[1,0,0]
	v_pk_fma_f32 v[4:5], v[14:15], v[12:13], v[4:5] op_sel_hi:[0,1,1] neg_lo:[1,0,0] neg_hi:[1,0,0]
	s_cbranch_scc1 .LBB9_47
.LBB9_48:                               ;   in Loop: Header=BB9_45 Depth=1
	s_lshl_b32 s2, s0, 2
	s_lshl_b32 s4, s0, 5
	s_add_i32 s2, s2, s4
	v_mov_b32_e32 v15, s2
	ds_read_b128 v[8:11], v15
	ds_read2_b32 v[12:13], v15 offset0:9 offset1:10
	ds_read_b32 v14, v15 offset:44
	ds_read_b64 v[16:17], v15 offset:72
	s_mul_i32 s2, s0, 36
	s_add_i32 s3, s3, 16
	s_waitcnt lgkmcnt(3)
	v_mul_f32_e32 v6, v6, v8
	v_fma_f32 v7, -v6, v9, v7
	v_mov_b32_e32 v18, v10
	s_waitcnt lgkmcnt(2)
	v_mov_b32_e32 v19, v13
	v_mul_f32_e32 v7, v7, v12
	v_pk_mul_f32 v[8:9], v[6:7], v[18:19]
	flat_store_dwordx2 v[0:1], v[6:7]
	v_sub_f32_e32 v4, v4, v8
	v_fma_f32 v8, -v6, v11, v5
	v_mov_b32_e32 v5, s2
	v_sub_f32_e32 v4, v4, v9
	ds_read_b32 v9, v5 offset:108
	s_waitcnt lgkmcnt(0)
	v_mov_b32_e32 v15, v17
	v_mul_f32_e32 v5, v4, v16
	v_mov_b32_e32 v4, v7
	v_pk_mul_f32 v[6:7], v[4:5], v[14:15]
	s_add_i32 s2, s0, 4
	v_sub_f32_e32 v4, v8, v6
	v_sub_f32_e32 v4, v4, v7
	s_add_i32 s0, s0, 7
	v_mul_f32_e32 v7, v4, v9
	v_mov_b32_e32 v6, v5
	s_cmp_lt_i32 s0, s20
	flat_store_dwordx2 v[0:1], v[6:7] offset:8
	s_cbranch_scc0 .LBB9_51
; %bb.49:                               ;   in Loop: Header=BB9_45 Depth=1
	s_mov_b32 s0, s2
	s_branch .LBB9_45
.LBB9_50:
	s_mov_b32 s2, s0
.LBB9_51:
	s_cmp_ge_i32 s2, s20
	s_cbranch_scc1 .LBB9_56
; %bb.52:
	s_lshl_b32 s0, s2, 2
	s_branch .LBB9_54
.LBB9_53:                               ;   in Loop: Header=BB9_54 Depth=1
	s_mul_i32 s1, s2, 36
	v_mov_b32_e32 v1, s1
	ds_read_b32 v1, v1
	s_add_i32 s2, s2, 1
	s_add_i32 s0, s0, 4
	s_cmp_ge_i32 s2, s20
	s_waitcnt lgkmcnt(0)
	v_mul_f32_e32 v0, v0, v1
	flat_store_dword v[4:5], v0
	s_cbranch_scc1 .LBB9_56
.LBB9_54:                               ; =>This Loop Header: Depth=1
                                        ;     Child Loop BB9_55 Depth 2
	s_ashr_i32 s3, s2, 31
	v_lshl_add_u64 v[4:5], s[2:3], 2, v[2:3]
	flat_load_dword v0, v[4:5]
	v_mov_b64_e32 v[6:7], v[2:3]
	s_mov_b32 s1, s0
	s_cmp_eq_u32 s2, 0
	s_mov_b32 s3, s2
	s_waitcnt vmcnt(0) lgkmcnt(0)
	v_mul_f32_e32 v0, s16, v0
	s_cbranch_scc1 .LBB9_53
.LBB9_55:                               ;   Parent Loop BB9_54 Depth=1
                                        ; =>  This Inner Loop Header: Depth=2
	flat_load_dword v1, v[6:7]
	v_mov_b32_e32 v8, s1
	ds_read_b32 v8, v8
	s_add_i32 s3, s3, -1
	s_add_i32 s1, s1, 32
	v_lshl_add_u64 v[6:7], v[6:7], 0, 4
	s_cmp_lg_u32 s3, 0
	s_waitcnt vmcnt(0) lgkmcnt(0)
	v_fma_f32 v0, -v1, v8, v0
	s_cbranch_scc1 .LBB9_55
	s_branch .LBB9_53
.LBB9_56:
	s_endpgm
	.section	.rodata,"a",@progbits
	.p2align	6, 0x0
	.amdhsa_kernel _ZL30rocblas_trsm_small_left_deviceILi8ELi8ELb1EffPKPKfPKPfEv13rocblas_fill_18rocblas_operation_17rocblas_diagonal_iiT3_T4_lilT5_lili
		.amdhsa_group_segment_fixed_size 256
		.amdhsa_private_segment_fixed_size 0
		.amdhsa_kernarg_size 352
		.amdhsa_user_sgpr_count 2
		.amdhsa_user_sgpr_dispatch_ptr 0
		.amdhsa_user_sgpr_queue_ptr 0
		.amdhsa_user_sgpr_kernarg_segment_ptr 1
		.amdhsa_user_sgpr_dispatch_id 0
		.amdhsa_user_sgpr_kernarg_preload_length 0
		.amdhsa_user_sgpr_kernarg_preload_offset 0
		.amdhsa_user_sgpr_private_segment_size 0
		.amdhsa_uses_dynamic_stack 0
		.amdhsa_enable_private_segment 0
		.amdhsa_system_sgpr_workgroup_id_x 1
		.amdhsa_system_sgpr_workgroup_id_y 0
		.amdhsa_system_sgpr_workgroup_id_z 1
		.amdhsa_system_sgpr_workgroup_info 0
		.amdhsa_system_vgpr_workitem_id 0
		.amdhsa_next_free_vgpr 59
		.amdhsa_next_free_sgpr 30
		.amdhsa_accum_offset 60
		.amdhsa_reserve_vcc 1
		.amdhsa_float_round_mode_32 0
		.amdhsa_float_round_mode_16_64 0
		.amdhsa_float_denorm_mode_32 3
		.amdhsa_float_denorm_mode_16_64 3
		.amdhsa_dx10_clamp 1
		.amdhsa_ieee_mode 1
		.amdhsa_fp16_overflow 0
		.amdhsa_tg_split 0
		.amdhsa_exception_fp_ieee_invalid_op 0
		.amdhsa_exception_fp_denorm_src 0
		.amdhsa_exception_fp_ieee_div_zero 0
		.amdhsa_exception_fp_ieee_overflow 0
		.amdhsa_exception_fp_ieee_underflow 0
		.amdhsa_exception_fp_ieee_inexact 0
		.amdhsa_exception_int_div_zero 0
	.end_amdhsa_kernel
	.section	.text._ZL30rocblas_trsm_small_left_deviceILi8ELi8ELb1EffPKPKfPKPfEv13rocblas_fill_18rocblas_operation_17rocblas_diagonal_iiT3_T4_lilT5_lili,"axG",@progbits,_ZL30rocblas_trsm_small_left_deviceILi8ELi8ELb1EffPKPKfPKPfEv13rocblas_fill_18rocblas_operation_17rocblas_diagonal_iiT3_T4_lilT5_lili,comdat
.Lfunc_end9:
	.size	_ZL30rocblas_trsm_small_left_deviceILi8ELi8ELb1EffPKPKfPKPfEv13rocblas_fill_18rocblas_operation_17rocblas_diagonal_iiT3_T4_lilT5_lili, .Lfunc_end9-_ZL30rocblas_trsm_small_left_deviceILi8ELi8ELb1EffPKPKfPKPfEv13rocblas_fill_18rocblas_operation_17rocblas_diagonal_iiT3_T4_lilT5_lili
                                        ; -- End function
	.set _ZL30rocblas_trsm_small_left_deviceILi8ELi8ELb1EffPKPKfPKPfEv13rocblas_fill_18rocblas_operation_17rocblas_diagonal_iiT3_T4_lilT5_lili.num_vgpr, 59
	.set _ZL30rocblas_trsm_small_left_deviceILi8ELi8ELb1EffPKPKfPKPfEv13rocblas_fill_18rocblas_operation_17rocblas_diagonal_iiT3_T4_lilT5_lili.num_agpr, 0
	.set _ZL30rocblas_trsm_small_left_deviceILi8ELi8ELb1EffPKPKfPKPfEv13rocblas_fill_18rocblas_operation_17rocblas_diagonal_iiT3_T4_lilT5_lili.numbered_sgpr, 30
	.set _ZL30rocblas_trsm_small_left_deviceILi8ELi8ELb1EffPKPKfPKPfEv13rocblas_fill_18rocblas_operation_17rocblas_diagonal_iiT3_T4_lilT5_lili.num_named_barrier, 0
	.set _ZL30rocblas_trsm_small_left_deviceILi8ELi8ELb1EffPKPKfPKPfEv13rocblas_fill_18rocblas_operation_17rocblas_diagonal_iiT3_T4_lilT5_lili.private_seg_size, 0
	.set _ZL30rocblas_trsm_small_left_deviceILi8ELi8ELb1EffPKPKfPKPfEv13rocblas_fill_18rocblas_operation_17rocblas_diagonal_iiT3_T4_lilT5_lili.uses_vcc, 1
	.set _ZL30rocblas_trsm_small_left_deviceILi8ELi8ELb1EffPKPKfPKPfEv13rocblas_fill_18rocblas_operation_17rocblas_diagonal_iiT3_T4_lilT5_lili.uses_flat_scratch, 0
	.set _ZL30rocblas_trsm_small_left_deviceILi8ELi8ELb1EffPKPKfPKPfEv13rocblas_fill_18rocblas_operation_17rocblas_diagonal_iiT3_T4_lilT5_lili.has_dyn_sized_stack, 0
	.set _ZL30rocblas_trsm_small_left_deviceILi8ELi8ELb1EffPKPKfPKPfEv13rocblas_fill_18rocblas_operation_17rocblas_diagonal_iiT3_T4_lilT5_lili.has_recursion, 0
	.set _ZL30rocblas_trsm_small_left_deviceILi8ELi8ELb1EffPKPKfPKPfEv13rocblas_fill_18rocblas_operation_17rocblas_diagonal_iiT3_T4_lilT5_lili.has_indirect_call, 0
	.section	.AMDGPU.csdata,"",@progbits
; Kernel info:
; codeLenInByte = 3688
; TotalNumSgprs: 36
; NumVgprs: 59
; NumAgprs: 0
; TotalNumVgprs: 59
; ScratchSize: 0
; MemoryBound: 0
; FloatMode: 240
; IeeeMode: 1
; LDSByteSize: 256 bytes/workgroup (compile time only)
; SGPRBlocks: 4
; VGPRBlocks: 7
; NumSGPRsForWavesPerEU: 36
; NumVGPRsForWavesPerEU: 59
; AccumOffset: 60
; Occupancy: 8
; WaveLimiterHint : 1
; COMPUTE_PGM_RSRC2:SCRATCH_EN: 0
; COMPUTE_PGM_RSRC2:USER_SGPR: 2
; COMPUTE_PGM_RSRC2:TRAP_HANDLER: 0
; COMPUTE_PGM_RSRC2:TGID_X_EN: 1
; COMPUTE_PGM_RSRC2:TGID_Y_EN: 0
; COMPUTE_PGM_RSRC2:TGID_Z_EN: 1
; COMPUTE_PGM_RSRC2:TIDIG_COMP_CNT: 0
; COMPUTE_PGM_RSRC3_GFX90A:ACCUM_OFFSET: 14
; COMPUTE_PGM_RSRC3_GFX90A:TG_SPLIT: 0
	.section	.text._ZL31rocblas_trsm_small_right_deviceIffPKPKfPKPfLi8EEv13rocblas_fill_18rocblas_operation_17rocblas_diagonal_iiT0_T1_lilT2_lili,"axG",@progbits,_ZL31rocblas_trsm_small_right_deviceIffPKPKfPKPfLi8EEv13rocblas_fill_18rocblas_operation_17rocblas_diagonal_iiT0_T1_lilT2_lili,comdat
	.globl	_ZL31rocblas_trsm_small_right_deviceIffPKPKfPKPfLi8EEv13rocblas_fill_18rocblas_operation_17rocblas_diagonal_iiT0_T1_lilT2_lili ; -- Begin function _ZL31rocblas_trsm_small_right_deviceIffPKPKfPKPfLi8EEv13rocblas_fill_18rocblas_operation_17rocblas_diagonal_iiT0_T1_lilT2_lili
	.p2align	8
	.type	_ZL31rocblas_trsm_small_right_deviceIffPKPKfPKPfLi8EEv13rocblas_fill_18rocblas_operation_17rocblas_diagonal_iiT0_T1_lilT2_lili,@function
_ZL31rocblas_trsm_small_right_deviceIffPKPKfPKPfLi8EEv13rocblas_fill_18rocblas_operation_17rocblas_diagonal_iiT0_T1_lilT2_lili: ; @_ZL31rocblas_trsm_small_right_deviceIffPKPKfPKPfLi8EEv13rocblas_fill_18rocblas_operation_17rocblas_diagonal_iiT0_T1_lilT2_lili
; %bb.0:
	s_load_dwordx4 s[8:11], s[0:1], 0x38
	s_load_dwordx4 s[4:7], s[0:1], 0x0
	s_load_dwordx2 s[16:17], s[0:1], 0x10
	s_mov_b32 s20, s3
	s_mov_b32 s21, 0
	s_lshl_b64 s[24:25], s[20:21], 3
	s_waitcnt lgkmcnt(0)
	s_add_u32 s8, s8, s24
	s_addc_u32 s9, s9, s25
	s_load_dwordx2 s[8:9], s[8:9], 0x0
	s_min_i32 s26, s16, 8
	v_cmp_gt_i32_e32 vcc, s26, v0
	s_and_saveexec_b64 s[18:19], vcc
	s_cbranch_execz .LBB10_10
; %bb.1:
	s_load_dwordx4 s[12:15], s[0:1], 0x18
	s_load_dword s22, s[0:1], 0x28
	v_lshlrev_b32_e32 v2, 2, v0
	v_mov_b32_e32 v3, 0
	s_mov_b32 s3, 1
	s_waitcnt lgkmcnt(0)
	s_add_u32 s12, s12, s24
	s_addc_u32 s13, s13, s25
	s_load_dwordx2 s[12:13], s[12:13], 0x0
	s_cmp_lt_u32 s26, 2
	s_cselect_b64 s[28:29], -1, 0
	s_cmp_lg_u32 s22, 1
	s_cselect_b64 s[30:31], -1, 0
	s_or_b64 s[28:29], s[28:29], s[30:31]
	s_mov_b64 s[24:25], -1
	s_and_b64 vcc, exec, s[28:29]
	s_cbranch_vccnz .LBB10_5
; %bb.2:
	s_lshl_b64 s[20:21], s[14:15], 2
	s_waitcnt lgkmcnt(0)
	s_add_u32 s20, s12, s20
	s_addc_u32 s21, s13, s21
	v_lshl_add_u64 v[4:5], s[20:21], 0, v[2:3]
	s_and_b32 s21, s26, -2
	s_mov_b32 s20, 0
	s_mov_b32 s23, s21
.LBB10_3:                               ; =>This Inner Loop Header: Depth=1
	flat_load_dwordx2 v[6:7], v[4:5]
	v_lshl_or_b32 v1, s20, 5, v2
	v_lshl_or_b32 v3, s3, 5, v2
	s_add_i32 s20, s20, 2
	s_add_i32 s3, s3, 2
	s_add_i32 s23, s23, -2
	v_lshl_add_u64 v[4:5], v[4:5], 0, 8
	s_cmp_lg_u32 s23, 0
	s_waitcnt vmcnt(0) lgkmcnt(0)
	ds_write_b32 v1, v6
	ds_write_b32 v3, v7
	s_cbranch_scc1 .LBB10_3
; %bb.4:
	s_cmp_lg_u32 s26, s21
	s_cselect_b64 s[24:25], -1, 0
.LBB10_5:
	s_and_b64 vcc, exec, s[24:25]
	s_cbranch_vccz .LBB10_8
; %bb.6:
	s_ashr_i32 s23, s22, 31
	s_mul_hi_u32 s3, s22, s21
	s_mul_i32 s20, s23, s21
	s_add_i32 s25, s3, s20
	s_mul_i32 s24, s22, s21
	s_lshl_b64 s[24:25], s[24:25], 2
	s_lshl_b64 s[14:15], s[14:15], 2
	s_add_u32 s3, s24, s14
	s_addc_u32 s14, s25, s15
	s_waitcnt lgkmcnt(0)
	s_add_u32 s12, s12, s3
	v_mov_b32_e32 v3, 0
	s_addc_u32 s13, s13, s14
	v_lshl_add_u64 v[4:5], s[12:13], 0, v[2:3]
	s_lshl_b64 s[12:13], s[22:23], 2
	s_sub_i32 s3, s26, s21
	v_lshl_or_b32 v1, s21, 5, v2
.LBB10_7:                               ; =>This Inner Loop Header: Depth=1
	flat_load_dword v3, v[4:5]
	s_add_i32 s3, s3, -1
	v_lshl_add_u64 v[4:5], v[4:5], 0, s[12:13]
	s_cmp_eq_u32 s3, 0
	s_waitcnt vmcnt(0) lgkmcnt(0)
	ds_write_b32 v1, v3
	v_add_u32_e32 v1, 32, v1
	s_cbranch_scc0 .LBB10_7
.LBB10_8:
	s_cmpk_eq_i32 s6, 0x84
	s_cbranch_scc0 .LBB10_10
; %bb.9:
	v_lshl_or_b32 v1, v0, 5, v2
	v_mov_b32_e32 v2, 1.0
	ds_write_b32 v1, v2
.LBB10_10:
	s_or_b64 exec, exec, s[18:19]
	s_load_dword s3, s[0:1], 0x60
	s_load_dword s6, s[0:1], 0x48
	s_lshl_b64 s[10:11], s[10:11], 2
	s_waitcnt lgkmcnt(0)
	s_add_u32 s0, s8, s10
	s_addc_u32 s1, s9, s11
	s_lshl_b32 s12, s2, 3
	s_add_i32 s3, s3, -1
	s_sub_i32 s7, s7, s12
	s_cmp_ge_u32 s2, s3
	s_cselect_b32 s7, s7, 8
	s_ashr_i32 s3, s2, 31
	s_lshl_b64 s[2:3], s[2:3], 5
	s_add_u32 s12, s0, s2
	s_addc_u32 s13, s1, s3
	v_cmp_gt_i32_e64 s[0:1], s7, v0
	s_and_saveexec_b64 s[14:15], s[0:1]
	s_cbranch_execz .LBB10_19
; %bb.11:
	s_cmp_lt_i32 s16, 1
	s_cbranch_scc1 .LBB10_19
; %bb.12:
	s_cmp_eq_u32 s16, 1
	s_cselect_b64 s[18:19], -1, 0
	s_cmp_lg_u32 s6, 1
	s_cselect_b64 s[20:21], -1, 0
	s_or_b64 s[18:19], s[18:19], s[20:21]
	v_mov_b32_e32 v3, 0
	s_and_b64 vcc, exec, s[18:19]
	s_cbranch_vccnz .LBB10_16
; %bb.13:
	v_lshlrev_b32_e32 v2, 2, v0
	v_mov_b32_e32 v1, 0x100
	s_and_b32 s20, s16, 0x7ffffffe
	v_lshl_add_u64 v[2:3], s[12:13], 0, v[2:3]
	v_lshl_or_b32 v1, v0, 2, v1
	s_mov_b32 s18, s17
	s_mov_b32 s19, s17
	;; [unrolled: 1-line block ×5, first 2 shown]
.LBB10_14:                              ; =>This Inner Loop Header: Depth=1
	flat_load_dwordx2 v[4:5], v[2:3]
	v_lshl_add_u32 v6, s21, 5, v1
	v_lshl_add_u32 v7, s7, 5, v1
	s_add_i32 s21, s21, 2
	s_add_i32 s7, s7, 2
	s_add_i32 s22, s22, -2
	v_lshl_add_u64 v[2:3], v[2:3], 0, 8
	s_cmp_lg_u32 s22, 0
	s_waitcnt vmcnt(0) lgkmcnt(0)
	v_pk_mul_f32 v[4:5], s[18:19], v[4:5]
	ds_write_b32 v6, v4
	ds_write_b32 v7, v5
	s_cbranch_scc1 .LBB10_14
; %bb.15:
	s_cmp_lg_u32 s16, s20
	s_cselect_b64 s[18:19], -1, 0
	s_and_b64 vcc, exec, s[18:19]
	s_cbranch_vccnz .LBB10_17
	s_branch .LBB10_19
.LBB10_16:
	s_mov_b32 s20, 0
	s_cbranch_execz .LBB10_19
.LBB10_17:
	s_mul_hi_i32 s19, s6, s20
	s_mul_i32 s18, s6, s20
	s_ashr_i32 s7, s6, 31
	s_sub_i32 s21, s16, s20
	s_lshl_b64 s[18:19], s[18:19], 2
	s_add_u32 s18, s18, s2
	s_addc_u32 s19, s19, s3
	s_add_u32 s18, s18, s10
	s_addc_u32 s19, s19, s11
	v_lshlrev_b32_e32 v4, 2, v0
	s_add_u32 s18, s8, s18
	v_mov_b32_e32 v5, 0
	s_addc_u32 s19, s9, s19
	v_lshl_or_b32 v1, s20, 5, v4
	v_lshl_add_u64 v[2:3], s[18:19], 0, v[4:5]
	s_lshl_b64 s[18:19], s[6:7], 2
	v_add_u32_e32 v1, 0x100, v1
.LBB10_18:                              ; =>This Inner Loop Header: Depth=1
	flat_load_dword v4, v[2:3]
	s_add_i32 s21, s21, -1
	v_lshl_add_u64 v[2:3], v[2:3], 0, s[18:19]
	s_cmp_lg_u32 s21, 0
	s_waitcnt vmcnt(0) lgkmcnt(0)
	v_mul_f32_e32 v4, s17, v4
	ds_write_b32 v1, v4
	v_add_u32_e32 v1, 32, v1
	s_cbranch_scc1 .LBB10_18
.LBB10_19:
	s_or_b64 exec, exec, s[14:15]
	s_cmpk_eq_i32 s5, 0x6f
	s_cselect_b64 s[18:19], -1, 0
	s_cmpk_lg_i32 s4, 0x79
	s_cselect_b64 s[14:15], -1, 0
	s_cmpk_eq_i32 s4, 0x79
	s_cselect_b64 s[20:21], -1, 0
	s_and_b64 s[20:21], s[20:21], s[18:19]
	s_andn2_b64 vcc, exec, s[20:21]
	s_mov_b64 s[20:21], -1
	s_waitcnt lgkmcnt(0)
	; wave barrier
	s_cbranch_vccz .LBB10_77
; %bb.20:
	s_cmpk_lg_i32 s4, 0x7a
	s_cselect_b64 s[4:5], -1, 0
	s_xor_b64 s[18:19], s[18:19], -1
	s_add_i32 s7, s26, -1
	s_or_b64 s[18:19], s[4:5], s[18:19]
	v_mov_b32_e32 v1, 0x100
	s_cmp_gt_i32 s16, 3
	v_lshl_or_b32 v1, v0, 2, v1
	s_cselect_b64 s[4:5], -1, 0
	s_and_b64 vcc, exec, s[18:19]
	s_cbranch_vccz .LBB10_56
; %bb.21:
	s_andn2_b64 vcc, exec, s[14:15]
	s_mov_b64 s[14:15], -1
	s_cbranch_vccnz .LBB10_35
; %bb.22:
	s_andn2_b64 vcc, exec, s[4:5]
	s_mov_b32 s17, 0
	s_cbranch_vccnz .LBB10_29
; %bb.23:
	v_mov_b32_e32 v2, 0x100
	v_lshl_or_b32 v8, v0, 2, v2
	s_mov_b32 s14, 0
	s_mov_b32 s15, 0
.LBB10_24:                              ; =>This Loop Header: Depth=1
                                        ;     Child Loop BB10_25 Depth 2
	s_lshl_b32 s18, s15, 5
	v_add_u32_e32 v10, s18, v1
	s_or_b32 s17, s15, 1
	ds_read2_b32 v[6:7], v10 offset1:16
	v_lshl_add_u32 v11, s17, 5, v1
	s_or_b32 s19, s18, 0x60
	v_add_u32_e32 v9, s19, v1
	ds_read_b32 v5, v11
	ds_read_b32 v3, v9
	s_cmp_eq_u32 s15, 0
	v_mov_b32_e32 v12, v8
	s_mov_b32 s19, s14
	s_mov_b32 s20, s15
	s_waitcnt lgkmcnt(2)
	v_mov_b32_e32 v4, v6
	v_mov_b32_e32 v2, v7
	s_cbranch_scc1 .LBB10_27
.LBB10_25:                              ;   Parent Loop BB10_24 Depth=1
                                        ; =>  This Inner Loop Header: Depth=2
	v_mov_b32_e32 v7, s19
	ds_read_b32 v6, v12
	ds_read_b128 v[14:17], v7
	s_add_i32 s20, s20, -1
	s_add_i32 s19, s19, 32
	v_add_u32_e32 v12, 32, v12
	s_cmp_eq_u32 s20, 0
	s_waitcnt lgkmcnt(0)
	v_pk_fma_f32 v[4:5], v[6:7], v[14:15], v[4:5] op_sel_hi:[0,1,1] neg_lo:[1,0,0] neg_hi:[1,0,0]
	v_pk_fma_f32 v[2:3], v[6:7], v[16:17], v[2:3] op_sel_hi:[0,1,1] neg_lo:[1,0,0] neg_hi:[1,0,0]
	s_cbranch_scc0 .LBB10_25
; %bb.26:                               ;   in Loop: Header=BB10_24 Depth=1
	v_mov_b32_e32 v7, v2
	v_mov_b32_e32 v6, v4
.LBB10_27:                              ;   in Loop: Header=BB10_24 Depth=1
	s_lshl_b32 s20, s15, 2
	s_add_i32 s21, s20, s18
	v_mov_b32_e32 v18, s21
	ds_read_b128 v[12:15], v18
	ds_read2_b32 v[16:17], v18 offset0:9 offset1:10
	s_add_i32 s21, s21, 36
	s_lshl_b32 s17, s17, 2
	s_sub_i32 s17, s21, s17
	s_waitcnt lgkmcnt(1)
	v_div_scale_f32 v4, s[18:19], v12, v12, v6
	v_rcp_f32_e32 v19, v4
	v_div_scale_f32 v20, vcc, v6, v12, v6
	s_add_i32 s17, s17, s20
	v_fma_f32 v21, -v4, v19, 1.0
	v_fmac_f32_e32 v19, v21, v19
	v_mul_f32_e32 v21, v20, v19
	v_fma_f32 v22, -v4, v21, v20
	v_fmac_f32_e32 v21, v22, v19
	v_fma_f32 v4, -v4, v21, v20
	v_div_fmas_f32 v4, v4, v19, v21
	v_div_fixup_f32 v6, v4, v12, v6
	v_fma_f32 v4, -v6, v13, v5
	s_waitcnt lgkmcnt(0)
	v_div_scale_f32 v5, s[18:19], v16, v16, v4
	v_rcp_f32_e32 v12, v5
	v_div_scale_f32 v13, vcc, v4, v16, v4
	v_fma_f32 v7, -v6, v14, v7
	v_fma_f32 v19, -v5, v12, 1.0
	v_fmac_f32_e32 v12, v19, v12
	v_mul_f32_e32 v19, v13, v12
	v_fma_f32 v20, -v5, v19, v13
	v_fmac_f32_e32 v19, v20, v12
	v_fma_f32 v5, -v5, v19, v13
	v_div_fmas_f32 v5, v5, v12, v19
	v_div_fixup_f32 v12, v5, v16, v4
	ds_read_b64 v[4:5], v18 offset:72
	ds_read_b32 v13, v18 offset:108
	v_fma_f32 v7, -v12, v17, v7
	v_mov_b32_e32 v17, s17
	ds_read_b32 v17, v17 offset:12
	s_waitcnt lgkmcnt(2)
	v_div_scale_f32 v14, s[18:19], v4, v4, v7
	v_rcp_f32_e32 v16, v14
	v_fma_f32 v3, -v6, v15, v3
	s_waitcnt lgkmcnt(0)
	v_fma_f32 v3, -v12, v17, v3
	v_add_u32_e32 v2, 64, v10
	v_fma_f32 v18, -v14, v16, 1.0
	v_fmac_f32_e32 v16, v18, v16
	v_div_scale_f32 v18, vcc, v7, v4, v7
	v_mul_f32_e32 v19, v18, v16
	v_fma_f32 v20, -v14, v19, v18
	v_fmac_f32_e32 v19, v20, v16
	v_fma_f32 v14, -v14, v19, v18
	v_div_fmas_f32 v14, v14, v16, v19
	v_div_fixup_f32 v4, v14, v4, v7
	v_fma_f32 v3, -v4, v5, v3
	v_div_scale_f32 v5, s[18:19], v13, v13, v3
	v_rcp_f32_e32 v7, v5
	ds_write_b32 v10, v6
	ds_write_b32 v11, v12
	;; [unrolled: 1-line block ×3, first 2 shown]
	s_add_i32 s17, s15, 4
	s_add_i32 s15, s15, 7
	v_fma_f32 v2, -v5, v7, 1.0
	v_fmac_f32_e32 v7, v2, v7
	v_div_scale_f32 v2, vcc, v3, v13, v3
	v_mul_f32_e32 v4, v2, v7
	v_fma_f32 v6, -v5, v4, v2
	v_fmac_f32_e32 v4, v6, v7
	v_fma_f32 v2, -v5, v4, v2
	v_div_fmas_f32 v2, v2, v7, v4
	s_add_i32 s14, s14, 16
	v_div_fixup_f32 v2, v2, v13, v3
	s_cmp_ge_i32 s15, s26
	ds_write_b32 v9, v2
	s_cbranch_scc1 .LBB10_29
; %bb.28:                               ;   in Loop: Header=BB10_24 Depth=1
	s_mov_b32 s15, s17
	s_branch .LBB10_24
.LBB10_29:
	s_cmp_ge_i32 s17, s26
	s_cbranch_scc1 .LBB10_34
; %bb.30:
	v_mov_b32_e32 v2, 0x100
	s_lshl_b32 s14, s17, 2
	v_lshl_or_b32 v2, v0, 2, v2
	s_branch .LBB10_32
.LBB10_31:                              ;   in Loop: Header=BB10_32 Depth=1
	s_lshl_b32 s18, s17, 2
	s_add_i32 s15, s18, s15
	v_mov_b32_e32 v5, s15
	ds_read_b32 v5, v5
	s_add_i32 s17, s17, 1
	s_add_i32 s14, s14, 4
	s_cmp_ge_i32 s17, s26
	s_waitcnt lgkmcnt(0)
	v_div_scale_f32 v6, s[18:19], v5, v5, v4
	v_rcp_f32_e32 v7, v6
	v_div_scale_f32 v8, vcc, v4, v5, v4
	v_fma_f32 v9, -v6, v7, 1.0
	v_fmac_f32_e32 v7, v9, v7
	v_mul_f32_e32 v9, v8, v7
	v_fma_f32 v10, -v6, v9, v8
	v_fmac_f32_e32 v9, v10, v7
	v_fma_f32 v6, -v6, v9, v8
	v_div_fmas_f32 v6, v6, v7, v9
	v_div_fixup_f32 v4, v6, v5, v4
	ds_write_b32 v3, v4
	s_cbranch_scc1 .LBB10_34
.LBB10_32:                              ; =>This Loop Header: Depth=1
                                        ;     Child Loop BB10_33 Depth 2
	s_lshl_b32 s15, s17, 5
	v_add_u32_e32 v3, s15, v1
	ds_read_b32 v4, v3
	s_cmp_eq_u32 s17, 0
	v_mov_b32_e32 v5, v2
	s_mov_b32 s18, s14
	s_mov_b32 s19, s17
	s_cbranch_scc1 .LBB10_31
.LBB10_33:                              ;   Parent Loop BB10_32 Depth=1
                                        ; =>  This Inner Loop Header: Depth=2
	v_mov_b32_e32 v7, s18
	ds_read_b32 v6, v5
	ds_read_b32 v7, v7
	s_add_i32 s19, s19, -1
	s_add_i32 s18, s18, 32
	v_add_u32_e32 v5, 32, v5
	s_cmp_eq_u32 s19, 0
	s_waitcnt lgkmcnt(0)
	v_fma_f32 v4, -v6, v7, v4
	s_cbranch_scc0 .LBB10_33
	s_branch .LBB10_31
.LBB10_34:
	s_mov_b64 s[14:15], 0
.LBB10_35:
	s_and_b64 vcc, exec, s[14:15]
	s_cbranch_vccz .LBB10_55
; %bb.36:
	s_andn2_b64 vcc, exec, s[4:5]
	s_mov_b32 s17, s7
	s_cbranch_vccnz .LBB10_42
; %bb.37:
	v_lshlrev_b32_e32 v2, 2, v0
	s_mul_i32 s14, s26, 36
	v_lshl_or_b32 v2, s26, 5, v2
	s_sub_i32 s14, s14, 48
	v_add_u32_e32 v6, 0xe0, v2
	s_mov_b32 s15, s7
.LBB10_38:                              ; =>This Loop Header: Depth=1
                                        ;     Child Loop BB10_39 Depth 2
	s_add_i32 s20, s15, -3
	v_lshl_add_u32 v8, s15, 5, v1
	s_add_i32 s19, s15, -1
	s_add_i32 s18, s15, -2
	s_lshl_b32 s17, s20, 5
	v_lshl_add_u32 v9, s19, 5, v1
	v_lshl_add_u32 v10, s18, 5, v1
	v_add_u32_e32 v7, s17, v1
	ds_read_b32 v5, v8
	ds_read_b32 v4, v9
	;; [unrolled: 1-line block ×4, first 2 shown]
	s_cmp_le_i32 s7, s15
	v_mov_b32_e32 v11, v6
	s_mov_b32 s21, s14
	s_mov_b32 s22, s7
	s_cbranch_scc1 .LBB10_40
.LBB10_39:                              ;   Parent Loop BB10_38 Depth=1
                                        ; =>  This Inner Loop Header: Depth=2
	v_mov_b32_e32 v13, s21
	ds_read_b32 v12, v11
	ds_read2_b32 v[14:15], v13 offset0:2 offset1:3
	ds_read2_b32 v[16:17], v13 offset1:1
	s_add_i32 s22, s22, -1
	s_sub_i32 s21, s21, 32
	v_subrev_u32_e32 v11, 32, v11
	s_cmp_le_i32 s22, s15
	s_waitcnt lgkmcnt(1)
	v_pk_fma_f32 v[4:5], v[12:13], v[14:15], v[4:5] op_sel_hi:[0,1,1] neg_lo:[1,0,0] neg_hi:[1,0,0]
	s_waitcnt lgkmcnt(0)
	v_pk_fma_f32 v[2:3], v[12:13], v[16:17], v[2:3] op_sel_hi:[0,1,1] neg_lo:[1,0,0] neg_hi:[1,0,0]
	s_cbranch_scc0 .LBB10_39
.LBB10_40:                              ;   in Loop: Header=BB10_38 Depth=1
	s_lshl_b32 s22, s20, 2
	s_mul_i32 s20, s15, 36
	s_lshl_b32 s21, s19, 2
	s_add_i32 s23, s20, -4
	s_lshl_b32 s19, s19, 5
	v_mov_b32_e32 v11, s23
	s_add_i32 s23, s21, s19
	s_add_i32 s20, s20, -12
	s_add_i32 s19, s22, s19
	v_mov_b32_e32 v14, s23
	v_mov_b32_e32 v15, s20
	;; [unrolled: 1-line block ×3, first 2 shown]
	ds_read2_b32 v[12:13], v11 offset1:1
	ds_read_b32 v11, v14
	ds_read2_b32 v[14:15], v15 offset1:1
	ds_read2_b32 v[16:17], v16 offset1:1
	s_lshl_b32 s18, s18, 2
	s_waitcnt lgkmcnt(3)
	v_div_scale_f32 v18, s[20:21], v13, v13, v5
	v_rcp_f32_e32 v19, v18
	s_sub_i32 s18, s23, s18
	s_add_i32 s18, s18, s22
	s_sub_i32 s18, s18, 36
	v_fma_f32 v20, -v18, v19, 1.0
	v_fmac_f32_e32 v19, v20, v19
	v_div_scale_f32 v20, vcc, v5, v13, v5
	v_mul_f32_e32 v21, v20, v19
	v_fma_f32 v22, -v18, v21, v20
	v_fmac_f32_e32 v21, v22, v19
	v_fma_f32 v18, -v18, v21, v20
	v_div_fmas_f32 v18, v18, v19, v21
	v_div_fixup_f32 v13, v18, v13, v5
	v_fma_f32 v4, -v13, v12, v4
	s_waitcnt lgkmcnt(2)
	v_div_scale_f32 v5, s[20:21], v11, v11, v4
	v_rcp_f32_e32 v12, v5
	s_waitcnt lgkmcnt(1)
	v_fma_f32 v3, -v13, v15, v3
	s_add_i32 s17, s22, s17
	v_fma_f32 v2, -v13, v14, v2
	v_fma_f32 v18, -v5, v12, 1.0
	v_fmac_f32_e32 v12, v18, v12
	v_div_scale_f32 v18, vcc, v4, v11, v4
	v_mul_f32_e32 v19, v18, v12
	v_fma_f32 v20, -v5, v19, v18
	v_fmac_f32_e32 v19, v20, v12
	v_fma_f32 v5, -v5, v19, v18
	v_div_fmas_f32 v5, v5, v12, v19
	v_div_fixup_f32 v11, v5, v11, v4
	v_mov_b32_e32 v4, s18
	ds_read2_b32 v[4:5], v4 offset1:1
	s_waitcnt lgkmcnt(1)
	v_fma_f32 v3, -v11, v17, v3
	v_mov_b32_e32 v12, s17
	ds_read_b32 v12, v12
	v_fma_f32 v2, -v11, v16, v2
	s_waitcnt lgkmcnt(1)
	v_div_scale_f32 v15, s[18:19], v5, v5, v3
	v_rcp_f32_e32 v17, v15
	s_add_i32 s17, s15, -4
	s_add_i32 s14, s14, -16
	s_cmp_lt_i32 s15, 7
	v_fma_f32 v18, -v15, v17, 1.0
	v_fmac_f32_e32 v17, v18, v17
	v_div_scale_f32 v18, vcc, v3, v5, v3
	v_mul_f32_e32 v19, v18, v17
	v_fma_f32 v20, -v15, v19, v18
	v_fmac_f32_e32 v19, v20, v17
	v_fma_f32 v15, -v15, v19, v18
	v_div_fmas_f32 v15, v15, v17, v19
	v_div_fixup_f32 v3, v15, v5, v3
	v_fma_f32 v2, -v3, v4, v2
	s_waitcnt lgkmcnt(0)
	v_div_scale_f32 v4, s[18:19], v12, v12, v2
	v_rcp_f32_e32 v5, v4
	ds_write_b32 v8, v13
	ds_write_b32 v9, v11
	ds_write_b32 v10, v3
	v_fma_f32 v3, -v4, v5, 1.0
	v_fmac_f32_e32 v5, v3, v5
	v_div_scale_f32 v3, vcc, v2, v12, v2
	v_mul_f32_e32 v8, v3, v5
	v_fma_f32 v9, -v4, v8, v3
	v_fmac_f32_e32 v8, v9, v5
	v_fma_f32 v3, -v4, v8, v3
	v_div_fmas_f32 v3, v3, v5, v8
	v_div_fixup_f32 v2, v3, v12, v2
	ds_write_b32 v7, v2
	s_cbranch_scc1 .LBB10_42
; %bb.41:                               ;   in Loop: Header=BB10_38 Depth=1
	s_mov_b32 s15, s17
	s_branch .LBB10_38
.LBB10_42:
	s_cmp_lt_i32 s17, 0
	s_cbranch_scc1 .LBB10_55
; %bb.43:
	s_bitcmp1_b32 s17, 0
	s_cselect_b64 s[14:15], -1, 0
	s_and_b64 vcc, exec, s[14:15]
	s_mov_b32 s14, s17
	s_cbranch_vccnz .LBB10_48
; %bb.44:
	s_lshl_b32 s14, s17, 5
	v_add_u32_e32 v2, s14, v1
	ds_read_b32 v3, v2
	s_cmp_le_i32 s7, s17
	s_cbranch_scc1 .LBB10_47
; %bb.45:
	s_lshl_b32 s18, s26, 5
	s_lshl_b32 s15, s17, 2
	s_add_i32 s15, s18, s15
	v_lshl_or_b32 v4, v0, 2, s18
	s_sub_i32 s15, s15, 32
	v_add_u32_e32 v4, 0xe0, v4
	s_mov_b32 s18, s7
.LBB10_46:                              ; =>This Inner Loop Header: Depth=1
	v_mov_b32_e32 v6, s15
	ds_read_b32 v5, v4
	ds_read_b32 v6, v6
	s_add_i32 s18, s18, -1
	s_sub_i32 s15, s15, 32
	v_subrev_u32_e32 v4, 32, v4
	s_cmp_gt_u32 s18, s17
	s_waitcnt lgkmcnt(0)
	v_fma_f32 v3, -v5, v6, v3
	s_cbranch_scc1 .LBB10_46
.LBB10_47:
	s_lshl_b32 s15, s17, 2
	s_add_i32 s14, s15, s14
	v_mov_b32_e32 v4, s14
	ds_read_b32 v4, v4
	s_waitcnt lgkmcnt(0)
	v_div_scale_f32 v5, s[14:15], v4, v4, v3
	v_rcp_f32_e32 v6, v5
	v_div_scale_f32 v7, vcc, v3, v4, v3
	s_add_i32 s14, s17, -1
	v_fma_f32 v8, -v5, v6, 1.0
	v_fmac_f32_e32 v6, v8, v6
	v_mul_f32_e32 v8, v7, v6
	v_fma_f32 v9, -v5, v8, v7
	v_fmac_f32_e32 v8, v9, v6
	v_fma_f32 v5, -v5, v8, v7
	v_div_fmas_f32 v5, v5, v6, v8
	v_div_fixup_f32 v3, v5, v4, v3
	ds_write_b32 v2, v3
.LBB10_48:
	s_cmp_eq_u32 s17, 0
	s_cbranch_scc1 .LBB10_55
; %bb.49:
	s_lshl_b32 s17, s26, 5
	s_lshl_b32 s15, s14, 2
	s_add_i32 s18, s17, s15
	v_lshl_or_b32 v2, v0, 2, s17
	s_sub_i32 s15, s18, 32
	v_add_u32_e32 v2, 0xe0, v2
	s_sub_i32 s17, s18, 36
	s_branch .LBB10_51
.LBB10_50:                              ;   in Loop: Header=BB10_51 Depth=1
	s_add_i32 s19, s19, s20
	s_add_i32 s19, s19, -4
	v_mov_b32_e32 v5, s19
	ds_read_b32 v5, v5
	s_add_i32 s14, s14, -2
	s_add_i32 s15, s15, -8
	;; [unrolled: 1-line block ×3, first 2 shown]
	s_cmp_eq_u32 s18, 0
	s_waitcnt lgkmcnt(0)
	v_div_scale_f32 v6, s[20:21], v5, v5, v4
	v_rcp_f32_e32 v7, v6
	v_div_scale_f32 v8, vcc, v4, v5, v4
	v_fma_f32 v9, -v6, v7, 1.0
	v_fmac_f32_e32 v7, v9, v7
	v_mul_f32_e32 v9, v8, v7
	v_fma_f32 v10, -v6, v9, v8
	v_fmac_f32_e32 v9, v10, v7
	v_fma_f32 v6, -v6, v9, v8
	v_div_fmas_f32 v6, v6, v7, v9
	v_div_fixup_f32 v4, v6, v5, v4
	ds_write_b32 v3, v4
	s_cbranch_scc1 .LBB10_55
.LBB10_51:                              ; =>This Loop Header: Depth=1
                                        ;     Child Loop BB10_52 Depth 2
                                        ;     Child Loop BB10_54 Depth 2
	s_lshl_b32 s18, s14, 5
	v_add_u32_e32 v5, s18, v1
	ds_read_b32 v6, v5
	s_cmp_le_i32 s7, s14
	v_mov_b32_e32 v3, v2
	s_mov_b32 s19, s15
	s_mov_b32 s20, s7
	s_cbranch_scc1 .LBB10_53
.LBB10_52:                              ;   Parent Loop BB10_51 Depth=1
                                        ; =>  This Inner Loop Header: Depth=2
	v_mov_b32_e32 v7, s19
	ds_read_b32 v4, v3
	ds_read_b32 v7, v7
	s_add_i32 s20, s20, -1
	s_sub_i32 s19, s19, 32
	v_subrev_u32_e32 v3, 32, v3
	s_cmp_le_u32 s20, s14
	s_waitcnt lgkmcnt(0)
	v_fma_f32 v6, -v4, v7, v6
	s_cbranch_scc0 .LBB10_52
.LBB10_53:                              ;   in Loop: Header=BB10_51 Depth=1
	s_lshl_b32 s19, s14, 2
	s_add_i32 s18, s19, s18
	v_mov_b32_e32 v3, s18
	ds_read_b32 v7, v3
	s_add_i32 s18, s14, -1
	s_lshl_b32 s20, s18, 5
	v_add_u32_e32 v3, s20, v1
	ds_read_b32 v4, v3
	s_waitcnt lgkmcnt(1)
	v_div_scale_f32 v8, s[22:23], v7, v7, v6
	v_rcp_f32_e32 v9, v8
	v_div_scale_f32 v10, vcc, v6, v7, v6
	s_cmp_le_i32 s26, s14
	v_fma_f32 v11, -v8, v9, 1.0
	v_fmac_f32_e32 v9, v11, v9
	v_mul_f32_e32 v11, v10, v9
	v_fma_f32 v12, -v8, v11, v10
	v_fmac_f32_e32 v11, v12, v9
	v_fma_f32 v8, -v8, v11, v10
	v_div_fmas_f32 v8, v8, v9, v11
	v_div_fixup_f32 v6, v8, v7, v6
	ds_write_b32 v5, v6
	v_mov_b32_e32 v5, v2
	s_mov_b32 s21, s17
	s_mov_b32 s22, s7
	s_cbranch_scc1 .LBB10_50
.LBB10_54:                              ;   Parent Loop BB10_51 Depth=1
                                        ; =>  This Inner Loop Header: Depth=2
	v_mov_b32_e32 v7, s21
	ds_read_b32 v6, v5
	ds_read_b32 v7, v7
	s_add_i32 s22, s22, -1
	s_sub_i32 s21, s21, 32
	v_subrev_u32_e32 v5, 32, v5
	s_cmp_gt_u32 s22, s18
	s_waitcnt lgkmcnt(0)
	v_fma_f32 v4, -v6, v7, v4
	s_cbranch_scc1 .LBB10_54
	s_branch .LBB10_50
.LBB10_55:
	s_mov_b64 s[20:21], 0
.LBB10_56:
	s_andn2_b64 vcc, exec, s[20:21]
	s_cbranch_vccnz .LBB10_76
; %bb.57:
	s_andn2_b64 vcc, exec, s[4:5]
	s_mov_b32 s14, s7
	s_cbranch_vccnz .LBB10_63
; %bb.58:
	v_lshlrev_b32_e32 v2, 2, v0
	v_lshl_or_b32 v2, s26, 5, v2
	s_mul_i32 s4, s26, 36
	v_add_u32_e32 v6, 0xe0, v2
	s_addk_i32 s4, 0xff7c
	s_mov_b32 s5, s7
.LBB10_59:                              ; =>This Loop Header: Depth=1
                                        ;     Child Loop BB10_60 Depth 2
	v_lshl_add_u32 v8, s5, 5, v1
	s_add_i32 s17, s5, -1
	s_add_i32 s15, s5, -2
	;; [unrolled: 1-line block ×3, first 2 shown]
	v_lshl_add_u32 v9, s17, 5, v1
	v_lshl_add_u32 v10, s15, 5, v1
	;; [unrolled: 1-line block ×3, first 2 shown]
	ds_read_b32 v4, v8
	ds_read_b32 v5, v9
	;; [unrolled: 1-line block ×4, first 2 shown]
	s_cmp_le_i32 s7, s5
	s_mov_b32 s18, s4
	v_mov_b32_e32 v11, v6
	s_mov_b32 s19, s7
	s_cbranch_scc1 .LBB10_61
.LBB10_60:                              ;   Parent Loop BB10_59 Depth=1
                                        ; =>  This Inner Loop Header: Depth=2
	v_mov_b32_e32 v13, s18
	ds_read_b32 v12, v11
	ds_read2_b32 v[16:17], v13 offset0:16 offset1:24
	ds_read2_b32 v[18:19], v13 offset1:8
	s_add_i32 s19, s19, -1
	s_add_i32 s18, s18, -4
	v_subrev_u32_e32 v11, 32, v11
	s_waitcnt lgkmcnt(1)
	v_mov_b32_e32 v14, v17
	v_mov_b32_e32 v15, v16
	s_waitcnt lgkmcnt(0)
	v_mov_b32_e32 v16, v19
	v_mov_b32_e32 v17, v18
	s_cmp_le_i32 s19, s5
	v_pk_fma_f32 v[4:5], v[12:13], v[14:15], v[4:5] op_sel_hi:[0,1,1] neg_lo:[1,0,0] neg_hi:[1,0,0]
	v_pk_fma_f32 v[2:3], v[12:13], v[16:17], v[2:3] op_sel_hi:[0,1,1] neg_lo:[1,0,0] neg_hi:[1,0,0]
	s_cbranch_scc0 .LBB10_60
.LBB10_61:                              ;   in Loop: Header=BB10_59 Depth=1
	s_lshl_b32 s20, s17, 3
	s_lshl_b32 s20, s20, 2
	;; [unrolled: 1-line block ×4, first 2 shown]
	s_add_i32 s17, s20, s17
	v_mov_b32_e32 v12, s17
	s_lshl_b32 s17, s19, 2
	s_lshl_b32 s19, s5, 2
	;; [unrolled: 1-line block ×3, first 2 shown]
	s_mul_i32 s21, s5, 36
	s_add_i32 s20, s17, s19
	s_add_i32 s15, s17, s15
	v_mov_b32_e32 v11, s21
	v_mov_b32_e32 v14, s20
	;; [unrolled: 1-line block ×3, first 2 shown]
	ds_read_b32 v11, v11
	ds_read2_b32 v[12:13], v12 offset1:1
	ds_read_b32 v16, v14
	ds_read2_b32 v[14:15], v15 offset1:1
	s_lshl_b32 s18, s14, 3
	s_waitcnt lgkmcnt(3)
	v_div_scale_f32 v17, s[20:21], v11, v11, v4
	v_rcp_f32_e32 v18, v17
	s_lshl_b32 s15, s18, 2
	s_add_i32 s17, s15, s19
	s_lshl_b32 s14, s14, 2
	v_fma_f32 v19, -v17, v18, 1.0
	v_fmac_f32_e32 v18, v19, v18
	v_div_scale_f32 v19, vcc, v4, v11, v4
	v_mul_f32_e32 v20, v19, v18
	v_fma_f32 v21, -v17, v20, v19
	v_fmac_f32_e32 v20, v21, v18
	v_fma_f32 v17, -v17, v20, v19
	v_div_fmas_f32 v17, v17, v18, v20
	v_div_fixup_f32 v11, v17, v11, v4
	s_waitcnt lgkmcnt(2)
	v_fma_f32 v4, -v11, v13, v5
	v_div_scale_f32 v5, s[20:21], v12, v12, v4
	v_rcp_f32_e32 v13, v5
	s_waitcnt lgkmcnt(1)
	v_fma_f32 v2, -v11, v16, v2
	s_add_i32 s17, s17, -4
	s_add_i32 s14, s15, s14
	v_fma_f32 v17, -v5, v13, 1.0
	v_fmac_f32_e32 v13, v17, v13
	v_div_scale_f32 v17, vcc, v4, v12, v4
	v_mul_f32_e32 v18, v17, v13
	v_fma_f32 v19, -v5, v18, v17
	v_fmac_f32_e32 v18, v19, v13
	v_fma_f32 v5, -v5, v18, v17
	v_div_fmas_f32 v5, v5, v13, v18
	v_div_fixup_f32 v17, v5, v12, v4
	s_waitcnt lgkmcnt(0)
	v_fma_f32 v2, -v17, v15, v2
	v_div_scale_f32 v4, s[20:21], v14, v14, v2
	v_rcp_f32_e32 v15, v4
	s_addk_i32 s4, 0xff80
	v_fma_f32 v5, -v4, v15, 1.0
	v_fmac_f32_e32 v15, v5, v15
	v_div_scale_f32 v5, vcc, v2, v14, v2
	v_mul_f32_e32 v16, v5, v15
	v_fma_f32 v12, -v4, v16, v5
	v_fmac_f32_e32 v16, v12, v15
	v_fma_f32 v18, -v4, v16, v5
	v_mov_b32_e32 v4, s17
	v_mov_b32_e32 v12, s14
	ds_read2_b32 v[4:5], v4 offset1:1
	ds_read2_b32 v[12:13], v12 offset1:1
	v_div_fmas_f32 v15, v18, v15, v16
	v_div_fixup_f32 v2, v15, v14, v2
	ds_write_b32 v8, v11
	ds_write_b32 v9, v17
	;; [unrolled: 1-line block ×3, first 2 shown]
	s_waitcnt lgkmcnt(4)
	v_fma_f32 v3, -v11, v5, v3
	v_fma_f32 v3, -v17, v4, v3
	s_waitcnt lgkmcnt(3)
	v_fma_f32 v3, -v2, v13, v3
	v_div_scale_f32 v4, s[14:15], v12, v12, v3
	v_rcp_f32_e32 v5, v4
	s_add_i32 s14, s5, -4
	s_cmp_lt_i32 s5, 7
	v_fma_f32 v2, -v4, v5, 1.0
	v_fmac_f32_e32 v5, v2, v5
	v_div_scale_f32 v2, vcc, v3, v12, v3
	v_mul_f32_e32 v8, v2, v5
	v_fma_f32 v9, -v4, v8, v2
	v_fmac_f32_e32 v8, v9, v5
	v_fma_f32 v2, -v4, v8, v2
	v_div_fmas_f32 v2, v2, v5, v8
	v_div_fixup_f32 v2, v2, v12, v3
	ds_write_b32 v7, v2
	s_cbranch_scc1 .LBB10_63
; %bb.62:                               ;   in Loop: Header=BB10_59 Depth=1
	s_mov_b32 s5, s14
	s_branch .LBB10_59
.LBB10_63:
	s_cmp_lt_i32 s14, 0
	s_cbranch_scc1 .LBB10_76
; %bb.64:
	s_bitcmp1_b32 s14, 0
	s_cselect_b64 s[4:5], -1, 0
	s_and_b64 vcc, exec, s[4:5]
	s_mov_b32 s4, s14
	s_cbranch_vccnz .LBB10_69
; %bb.65:
	v_lshl_add_u32 v2, s14, 5, v1
	ds_read_b32 v3, v2
	s_cmp_le_i32 s7, s14
	s_cbranch_scc1 .LBB10_68
; %bb.66:
	s_lshl_b32 s4, s14, 5
	s_lshl_b32 s5, s26, 2
	v_lshlrev_b32_e32 v4, 2, v0
	s_add_i32 s4, s4, s5
	v_lshl_or_b32 v4, s26, 5, v4
	s_add_i32 s4, s4, -4
	v_add_u32_e32 v4, 0xe0, v4
	s_mov_b32 s5, s7
.LBB10_67:                              ; =>This Inner Loop Header: Depth=1
	v_mov_b32_e32 v6, s4
	ds_read_b32 v5, v4
	ds_read_b32 v6, v6
	s_add_i32 s5, s5, -1
	s_add_i32 s4, s4, -4
	v_subrev_u32_e32 v4, 32, v4
	s_cmp_gt_u32 s5, s14
	s_waitcnt lgkmcnt(0)
	v_fma_f32 v3, -v5, v6, v3
	s_cbranch_scc1 .LBB10_67
.LBB10_68:
	s_mul_i32 s4, s14, 36
	v_mov_b32_e32 v4, s4
	ds_read_b32 v4, v4
	s_waitcnt lgkmcnt(0)
	v_div_scale_f32 v5, s[4:5], v4, v4, v3
	v_rcp_f32_e32 v6, v5
	v_div_scale_f32 v7, vcc, v3, v4, v3
	s_add_i32 s4, s14, -1
	v_fma_f32 v8, -v5, v6, 1.0
	v_fmac_f32_e32 v6, v8, v6
	v_mul_f32_e32 v8, v7, v6
	v_fma_f32 v9, -v5, v8, v7
	v_fmac_f32_e32 v8, v9, v6
	v_fma_f32 v5, -v5, v8, v7
	v_div_fmas_f32 v5, v5, v6, v8
	v_div_fixup_f32 v3, v5, v4, v3
	ds_write_b32 v2, v3
.LBB10_69:
	s_cmp_eq_u32 s14, 0
	s_cbranch_scc1 .LBB10_76
; %bb.70:
	v_lshlrev_b32_e32 v2, 2, v0
	s_lshl_b32 s5, s4, 5
	s_lshl_b32 s14, s26, 2
	v_lshl_or_b32 v2, s26, 5, v2
	s_add_i32 s14, s5, s14
	v_add_u32_e32 v2, 0xe0, v2
	s_add_i32 s5, s14, -4
	s_sub_i32 s14, s14, 36
	s_branch .LBB10_72
.LBB10_71:                              ;   in Loop: Header=BB10_72 Depth=1
	s_sub_i32 s17, s17, 36
	v_mov_b32_e32 v5, s17
	ds_read_b32 v5, v5
	s_add_i32 s4, s4, -2
	s_sub_i32 s5, s5, 64
	s_sub_i32 s14, s14, 64
	s_cmp_eq_u32 s15, 0
	s_waitcnt lgkmcnt(0)
	v_div_scale_f32 v6, s[18:19], v5, v5, v4
	v_rcp_f32_e32 v7, v6
	v_div_scale_f32 v8, vcc, v4, v5, v4
	v_fma_f32 v9, -v6, v7, 1.0
	v_fmac_f32_e32 v7, v9, v7
	v_mul_f32_e32 v9, v8, v7
	v_fma_f32 v10, -v6, v9, v8
	v_fmac_f32_e32 v9, v10, v7
	v_fma_f32 v6, -v6, v9, v8
	v_div_fmas_f32 v6, v6, v7, v9
	v_div_fixup_f32 v4, v6, v5, v4
	ds_write_b32 v3, v4
	s_cbranch_scc1 .LBB10_76
.LBB10_72:                              ; =>This Loop Header: Depth=1
                                        ;     Child Loop BB10_73 Depth 2
                                        ;     Child Loop BB10_75 Depth 2
	v_lshl_add_u32 v5, s4, 5, v1
	ds_read_b32 v6, v5
	s_cmp_le_i32 s7, s4
	s_mov_b32 s15, s5
	v_mov_b32_e32 v3, v2
	s_mov_b32 s17, s7
	s_cbranch_scc1 .LBB10_74
.LBB10_73:                              ;   Parent Loop BB10_72 Depth=1
                                        ; =>  This Inner Loop Header: Depth=2
	v_mov_b32_e32 v7, s15
	ds_read_b32 v4, v3
	ds_read_b32 v7, v7
	s_add_i32 s17, s17, -1
	s_add_i32 s15, s15, -4
	v_subrev_u32_e32 v3, 32, v3
	s_cmp_le_u32 s17, s4
	s_waitcnt lgkmcnt(0)
	v_fma_f32 v6, -v4, v7, v6
	s_cbranch_scc0 .LBB10_73
.LBB10_74:                              ;   in Loop: Header=BB10_72 Depth=1
	s_mul_i32 s17, s4, 36
	v_mov_b32_e32 v3, s17
	ds_read_b32 v7, v3
	s_add_i32 s15, s4, -1
	v_lshl_add_u32 v3, s15, 5, v1
	ds_read_b32 v4, v3
	s_cmp_le_i32 s26, s4
	s_waitcnt lgkmcnt(1)
	v_div_scale_f32 v8, s[18:19], v7, v7, v6
	v_rcp_f32_e32 v9, v8
	v_div_scale_f32 v10, vcc, v6, v7, v6
	s_mov_b32 s18, s14
	v_fma_f32 v11, -v8, v9, 1.0
	v_fmac_f32_e32 v9, v11, v9
	v_mul_f32_e32 v11, v10, v9
	v_fma_f32 v12, -v8, v11, v10
	v_fmac_f32_e32 v11, v12, v9
	v_fma_f32 v8, -v8, v11, v10
	v_div_fmas_f32 v8, v8, v9, v11
	v_div_fixup_f32 v6, v8, v7, v6
	ds_write_b32 v5, v6
	v_mov_b32_e32 v5, v2
	s_mov_b32 s19, s7
	s_cbranch_scc1 .LBB10_71
.LBB10_75:                              ;   Parent Loop BB10_72 Depth=1
                                        ; =>  This Inner Loop Header: Depth=2
	v_mov_b32_e32 v7, s18
	ds_read_b32 v6, v5
	ds_read_b32 v7, v7
	s_add_i32 s19, s19, -1
	s_add_i32 s18, s18, -4
	v_subrev_u32_e32 v5, 32, v5
	s_cmp_gt_u32 s19, s15
	s_waitcnt lgkmcnt(0)
	v_fma_f32 v4, -v6, v7, v4
	s_cbranch_scc1 .LBB10_75
	s_branch .LBB10_71
.LBB10_76:
	s_mov_b64 s[20:21], 0
.LBB10_77:
	s_andn2_b64 vcc, exec, s[20:21]
	s_cbranch_vccnz .LBB10_89
; %bb.78:
	v_mov_b32_e32 v1, 0x100
	v_lshl_or_b32 v1, v0, 2, v1
	s_cmp_lt_i32 s16, 4
	s_mov_b32 s7, 0
	s_cbranch_scc1 .LBB10_84
; %bb.79:
	s_mov_b32 s4, 0
	s_mov_b32 s5, 0
.LBB10_80:                              ; =>This Loop Header: Depth=1
                                        ;     Child Loop BB10_81 Depth 2
	s_or_b32 s7, s5, 3
	v_lshl_add_u32 v7, s5, 5, v1
	s_or_b32 s14, s5, 1
	s_or_b32 s15, s5, 2
	v_lshl_add_u32 v8, s14, 5, v1
	v_lshl_add_u32 v9, s15, 5, v1
	;; [unrolled: 1-line block ×3, first 2 shown]
	ds_read_b32 v4, v7
	ds_read_b32 v5, v8
	;; [unrolled: 1-line block ×4, first 2 shown]
	s_cmp_eq_u32 s5, 0
	s_mov_b32 s17, s4
	v_mov_b32_e32 v10, v1
	s_mov_b32 s18, s5
	s_cbranch_scc1 .LBB10_82
.LBB10_81:                              ;   Parent Loop BB10_80 Depth=1
                                        ; =>  This Inner Loop Header: Depth=2
	v_mov_b32_e32 v11, s17
	ds_read_b32 v12, v10
	ds_read2_b32 v[14:15], v11 offset1:8
	ds_read2_b32 v[16:17], v11 offset0:16 offset1:24
	s_add_i32 s18, s18, -1
	s_add_i32 s17, s17, 4
	v_add_u32_e32 v10, 32, v10
	s_cmp_eq_u32 s18, 0
	s_waitcnt lgkmcnt(1)
	v_pk_fma_f32 v[4:5], v[12:13], v[14:15], v[4:5] op_sel_hi:[0,1,1] neg_lo:[1,0,0] neg_hi:[1,0,0]
	s_waitcnt lgkmcnt(0)
	v_pk_fma_f32 v[2:3], v[12:13], v[16:17], v[2:3] op_sel_hi:[0,1,1] neg_lo:[1,0,0] neg_hi:[1,0,0]
	s_cbranch_scc0 .LBB10_81
.LBB10_82:                              ;   in Loop: Header=BB10_80 Depth=1
	s_lshl_b32 s17, s14, 3
	s_lshl_b32 s14, s15, 3
	s_mul_i32 s15, s5, 36
	v_mov_b32_e32 v10, s15
	ds_read_b32 v15, v10
	s_lshl_b32 s15, s17, 2
	s_lshl_b32 s17, s5, 2
	;; [unrolled: 1-line block ×3, first 2 shown]
	s_add_i32 s15, s15, s17
	s_add_i32 s14, s14, s17
	v_mov_b32_e32 v10, s15
	v_mov_b32_e32 v12, s14
	s_waitcnt lgkmcnt(0)
	v_div_scale_f32 v16, s[14:15], v15, v15, v4
	v_rcp_f32_e32 v17, v16
	ds_read_b64 v[10:11], v10
	ds_read_b96 v[12:14], v12
	s_lshl_b32 s7, s7, 3
	s_lshl_b32 s7, s7, 2
	v_fma_f32 v18, -v16, v17, 1.0
	v_fmac_f32_e32 v17, v18, v17
	v_div_scale_f32 v18, vcc, v4, v15, v4
	v_mul_f32_e32 v19, v18, v17
	v_fma_f32 v20, -v16, v19, v18
	v_fmac_f32_e32 v19, v20, v17
	v_fma_f32 v16, -v16, v19, v18
	v_div_fmas_f32 v16, v16, v17, v19
	v_div_fixup_f32 v4, v16, v15, v4
	s_waitcnt lgkmcnt(1)
	v_fma_f32 v5, -v4, v10, v5
	v_div_scale_f32 v10, s[14:15], v11, v11, v5
	v_rcp_f32_e32 v15, v10
	s_waitcnt lgkmcnt(0)
	v_fma_f32 v2, -v4, v12, v2
	s_add_i32 s7, s7, s17
	s_addk_i32 s4, 0x80
	v_fma_f32 v16, -v10, v15, 1.0
	v_fmac_f32_e32 v15, v16, v15
	v_div_scale_f32 v16, vcc, v5, v11, v5
	v_mul_f32_e32 v17, v16, v15
	v_fma_f32 v18, -v10, v17, v16
	v_fmac_f32_e32 v17, v18, v15
	v_fma_f32 v10, -v10, v17, v16
	v_div_fmas_f32 v10, v10, v15, v17
	v_div_fixup_f32 v5, v10, v11, v5
	v_fma_f32 v2, -v5, v13, v2
	v_div_scale_f32 v15, s[14:15], v14, v14, v2
	v_rcp_f32_e32 v16, v15
	v_div_scale_f32 v17, vcc, v2, v14, v2
	v_fma_f32 v10, -v15, v16, 1.0
	v_fmac_f32_e32 v16, v10, v16
	v_mul_f32_e32 v18, v17, v16
	v_fma_f32 v10, -v15, v18, v17
	v_fmac_f32_e32 v18, v10, v16
	v_mov_b32_e32 v10, s7
	ds_read_b128 v[10:13], v10
	v_fma_f32 v15, -v15, v18, v17
	v_div_fmas_f32 v15, v15, v16, v18
	v_div_fixup_f32 v2, v15, v14, v2
	ds_write_b32 v7, v4
	ds_write_b32 v8, v5
	;; [unrolled: 1-line block ×3, first 2 shown]
	s_waitcnt lgkmcnt(3)
	v_fma_f32 v3, -v4, v10, v3
	v_fma_f32 v3, -v5, v11, v3
	;; [unrolled: 1-line block ×3, first 2 shown]
	v_div_scale_f32 v10, s[14:15], v13, v13, v3
	v_rcp_f32_e32 v11, v10
	s_add_i32 s7, s5, 4
	s_add_i32 s5, s5, 7
	s_cmp_ge_i32 s5, s26
	v_fma_f32 v2, -v10, v11, 1.0
	v_fmac_f32_e32 v11, v2, v11
	v_div_scale_f32 v2, vcc, v3, v13, v3
	v_mul_f32_e32 v4, v2, v11
	v_fma_f32 v5, -v10, v4, v2
	v_fmac_f32_e32 v4, v5, v11
	v_fma_f32 v2, -v10, v4, v2
	v_div_fmas_f32 v2, v2, v11, v4
	v_div_fixup_f32 v2, v2, v13, v3
	ds_write_b32 v6, v2
	s_cbranch_scc1 .LBB10_84
; %bb.83:                               ;   in Loop: Header=BB10_80 Depth=1
	s_mov_b32 s5, s7
	s_branch .LBB10_80
.LBB10_84:
	s_cmp_ge_i32 s7, s26
	s_cbranch_scc1 .LBB10_89
; %bb.85:
	v_mov_b32_e32 v2, 0x100
	v_lshl_or_b32 v2, v0, 2, v2
	s_lshl_b32 s4, s7, 5
	s_branch .LBB10_87
.LBB10_86:                              ;   in Loop: Header=BB10_87 Depth=1
	s_mul_i32 s5, s7, 36
	v_mov_b32_e32 v5, s5
	ds_read_b32 v5, v5
	s_add_i32 s7, s7, 1
	s_add_i32 s4, s4, 32
	s_cmp_ge_i32 s7, s26
	s_waitcnt lgkmcnt(0)
	v_div_scale_f32 v6, s[14:15], v5, v5, v4
	v_rcp_f32_e32 v7, v6
	v_div_scale_f32 v8, vcc, v4, v5, v4
	v_fma_f32 v9, -v6, v7, 1.0
	v_fmac_f32_e32 v7, v9, v7
	v_mul_f32_e32 v9, v8, v7
	v_fma_f32 v10, -v6, v9, v8
	v_fmac_f32_e32 v9, v10, v7
	v_fma_f32 v6, -v6, v9, v8
	v_div_fmas_f32 v6, v6, v7, v9
	v_div_fixup_f32 v4, v6, v5, v4
	ds_write_b32 v3, v4
	s_cbranch_scc1 .LBB10_89
.LBB10_87:                              ; =>This Loop Header: Depth=1
                                        ;     Child Loop BB10_88 Depth 2
	v_lshl_add_u32 v3, s7, 5, v1
	ds_read_b32 v4, v3
	s_cmp_eq_u32 s7, 0
	s_mov_b32 s5, s4
	v_mov_b32_e32 v5, v2
	s_mov_b32 s14, s7
	s_cbranch_scc1 .LBB10_86
.LBB10_88:                              ;   Parent Loop BB10_87 Depth=1
                                        ; =>  This Inner Loop Header: Depth=2
	v_mov_b32_e32 v7, s5
	ds_read_b32 v6, v5
	ds_read_b32 v7, v7
	s_add_i32 s14, s14, -1
	s_add_i32 s5, s5, 4
	v_add_u32_e32 v5, 32, v5
	s_cmp_eq_u32 s14, 0
	s_waitcnt lgkmcnt(0)
	v_fma_f32 v4, -v6, v7, v4
	s_cbranch_scc0 .LBB10_88
	s_branch .LBB10_86
.LBB10_89:
	s_and_saveexec_b64 s[4:5], s[0:1]
	s_cbranch_execz .LBB10_98
; %bb.90:
	s_cmp_lt_i32 s16, 1
	s_cbranch_scc1 .LBB10_98
; %bb.91:
	s_cmp_eq_u32 s16, 1
	s_cselect_b64 s[0:1], -1, 0
	s_cmp_lg_u32 s6, 1
	s_cselect_b64 s[4:5], -1, 0
	s_or_b64 s[0:1], s[0:1], s[4:5]
	v_mov_b32_e32 v3, 0
	s_and_b64 vcc, exec, s[0:1]
	v_lshlrev_b32_e32 v2, 2, v0
	s_cbranch_vccnz .LBB10_95
; %bb.92:
	v_mov_b32_e32 v1, 0x100
	s_and_b32 s4, s16, 0x7ffffffe
	v_lshl_add_u64 v[4:5], s[12:13], 0, v[2:3]
	v_lshl_or_b32 v0, v0, 2, v1
	s_mov_b32 s0, 1
	s_mov_b32 s1, 0
	;; [unrolled: 1-line block ×3, first 2 shown]
.LBB10_93:                              ; =>This Inner Loop Header: Depth=1
	v_lshl_add_u32 v1, s1, 5, v0
	v_lshl_add_u32 v3, s0, 5, v0
	ds_read_b32 v6, v1
	ds_read_b32 v7, v3
	s_add_i32 s1, s1, 2
	s_add_i32 s0, s0, 2
	s_add_i32 s5, s5, -2
	s_cmp_lg_u32 s5, 0
	s_waitcnt lgkmcnt(0)
	flat_store_dwordx2 v[4:5], v[6:7]
	v_lshl_add_u64 v[4:5], v[4:5], 0, 8
	s_cbranch_scc1 .LBB10_93
; %bb.94:
	s_cmp_lg_u32 s16, s4
	s_cselect_b64 s[0:1], -1, 0
	s_and_b64 vcc, exec, s[0:1]
	s_cbranch_vccnz .LBB10_96
	s_branch .LBB10_98
.LBB10_95:
	s_mov_b32 s4, 0
	s_cbranch_execz .LBB10_98
.LBB10_96:
	s_mul_hi_i32 s1, s6, s4
	s_mul_i32 s0, s6, s4
	s_ashr_i32 s7, s6, 31
	s_sub_i32 s5, s16, s4
	s_lshl_b64 s[0:1], s[0:1], 2
	s_add_u32 s0, s0, s2
	s_addc_u32 s1, s1, s3
	s_add_u32 s0, s0, s10
	s_addc_u32 s1, s1, s11
	s_add_u32 s0, s8, s0
	v_mov_b32_e32 v3, 0
	s_addc_u32 s1, s9, s1
	v_lshl_add_u64 v[0:1], s[0:1], 0, v[2:3]
	v_lshl_or_b32 v2, s4, 5, v2
	s_lshl_b64 s[0:1], s[6:7], 2
	v_add_u32_e32 v2, 0x100, v2
.LBB10_97:                              ; =>This Inner Loop Header: Depth=1
	ds_read_b32 v3, v2
	s_add_i32 s5, s5, -1
	v_add_u32_e32 v2, 32, v2
	s_cmp_lg_u32 s5, 0
	s_waitcnt lgkmcnt(0)
	flat_store_dword v[0:1], v3
	v_lshl_add_u64 v[0:1], v[0:1], 0, s[0:1]
	s_cbranch_scc1 .LBB10_97
.LBB10_98:
	s_endpgm
	.section	.rodata,"a",@progbits
	.p2align	6, 0x0
	.amdhsa_kernel _ZL31rocblas_trsm_small_right_deviceIffPKPKfPKPfLi8EEv13rocblas_fill_18rocblas_operation_17rocblas_diagonal_iiT0_T1_lilT2_lili
		.amdhsa_group_segment_fixed_size 512
		.amdhsa_private_segment_fixed_size 0
		.amdhsa_kernarg_size 352
		.amdhsa_user_sgpr_count 2
		.amdhsa_user_sgpr_dispatch_ptr 0
		.amdhsa_user_sgpr_queue_ptr 0
		.amdhsa_user_sgpr_kernarg_segment_ptr 1
		.amdhsa_user_sgpr_dispatch_id 0
		.amdhsa_user_sgpr_kernarg_preload_length 0
		.amdhsa_user_sgpr_kernarg_preload_offset 0
		.amdhsa_user_sgpr_private_segment_size 0
		.amdhsa_uses_dynamic_stack 0
		.amdhsa_enable_private_segment 0
		.amdhsa_system_sgpr_workgroup_id_x 1
		.amdhsa_system_sgpr_workgroup_id_y 0
		.amdhsa_system_sgpr_workgroup_id_z 1
		.amdhsa_system_sgpr_workgroup_info 0
		.amdhsa_system_vgpr_workitem_id 0
		.amdhsa_next_free_vgpr 23
		.amdhsa_next_free_sgpr 32
		.amdhsa_accum_offset 24
		.amdhsa_reserve_vcc 1
		.amdhsa_float_round_mode_32 0
		.amdhsa_float_round_mode_16_64 0
		.amdhsa_float_denorm_mode_32 3
		.amdhsa_float_denorm_mode_16_64 3
		.amdhsa_dx10_clamp 1
		.amdhsa_ieee_mode 1
		.amdhsa_fp16_overflow 0
		.amdhsa_tg_split 0
		.amdhsa_exception_fp_ieee_invalid_op 0
		.amdhsa_exception_fp_denorm_src 0
		.amdhsa_exception_fp_ieee_div_zero 0
		.amdhsa_exception_fp_ieee_overflow 0
		.amdhsa_exception_fp_ieee_underflow 0
		.amdhsa_exception_fp_ieee_inexact 0
		.amdhsa_exception_int_div_zero 0
	.end_amdhsa_kernel
	.section	.text._ZL31rocblas_trsm_small_right_deviceIffPKPKfPKPfLi8EEv13rocblas_fill_18rocblas_operation_17rocblas_diagonal_iiT0_T1_lilT2_lili,"axG",@progbits,_ZL31rocblas_trsm_small_right_deviceIffPKPKfPKPfLi8EEv13rocblas_fill_18rocblas_operation_17rocblas_diagonal_iiT0_T1_lilT2_lili,comdat
.Lfunc_end10:
	.size	_ZL31rocblas_trsm_small_right_deviceIffPKPKfPKPfLi8EEv13rocblas_fill_18rocblas_operation_17rocblas_diagonal_iiT0_T1_lilT2_lili, .Lfunc_end10-_ZL31rocblas_trsm_small_right_deviceIffPKPKfPKPfLi8EEv13rocblas_fill_18rocblas_operation_17rocblas_diagonal_iiT0_T1_lilT2_lili
                                        ; -- End function
	.set _ZL31rocblas_trsm_small_right_deviceIffPKPKfPKPfLi8EEv13rocblas_fill_18rocblas_operation_17rocblas_diagonal_iiT0_T1_lilT2_lili.num_vgpr, 23
	.set _ZL31rocblas_trsm_small_right_deviceIffPKPKfPKPfLi8EEv13rocblas_fill_18rocblas_operation_17rocblas_diagonal_iiT0_T1_lilT2_lili.num_agpr, 0
	.set _ZL31rocblas_trsm_small_right_deviceIffPKPKfPKPfLi8EEv13rocblas_fill_18rocblas_operation_17rocblas_diagonal_iiT0_T1_lilT2_lili.numbered_sgpr, 32
	.set _ZL31rocblas_trsm_small_right_deviceIffPKPKfPKPfLi8EEv13rocblas_fill_18rocblas_operation_17rocblas_diagonal_iiT0_T1_lilT2_lili.num_named_barrier, 0
	.set _ZL31rocblas_trsm_small_right_deviceIffPKPKfPKPfLi8EEv13rocblas_fill_18rocblas_operation_17rocblas_diagonal_iiT0_T1_lilT2_lili.private_seg_size, 0
	.set _ZL31rocblas_trsm_small_right_deviceIffPKPKfPKPfLi8EEv13rocblas_fill_18rocblas_operation_17rocblas_diagonal_iiT0_T1_lilT2_lili.uses_vcc, 1
	.set _ZL31rocblas_trsm_small_right_deviceIffPKPKfPKPfLi8EEv13rocblas_fill_18rocblas_operation_17rocblas_diagonal_iiT0_T1_lilT2_lili.uses_flat_scratch, 0
	.set _ZL31rocblas_trsm_small_right_deviceIffPKPKfPKPfLi8EEv13rocblas_fill_18rocblas_operation_17rocblas_diagonal_iiT0_T1_lilT2_lili.has_dyn_sized_stack, 0
	.set _ZL31rocblas_trsm_small_right_deviceIffPKPKfPKPfLi8EEv13rocblas_fill_18rocblas_operation_17rocblas_diagonal_iiT0_T1_lilT2_lili.has_recursion, 0
	.set _ZL31rocblas_trsm_small_right_deviceIffPKPKfPKPfLi8EEv13rocblas_fill_18rocblas_operation_17rocblas_diagonal_iiT0_T1_lilT2_lili.has_indirect_call, 0
	.section	.AMDGPU.csdata,"",@progbits
; Kernel info:
; codeLenInByte = 6132
; TotalNumSgprs: 38
; NumVgprs: 23
; NumAgprs: 0
; TotalNumVgprs: 23
; ScratchSize: 0
; MemoryBound: 0
; FloatMode: 240
; IeeeMode: 1
; LDSByteSize: 512 bytes/workgroup (compile time only)
; SGPRBlocks: 4
; VGPRBlocks: 2
; NumSGPRsForWavesPerEU: 38
; NumVGPRsForWavesPerEU: 23
; AccumOffset: 24
; Occupancy: 8
; WaveLimiterHint : 0
; COMPUTE_PGM_RSRC2:SCRATCH_EN: 0
; COMPUTE_PGM_RSRC2:USER_SGPR: 2
; COMPUTE_PGM_RSRC2:TRAP_HANDLER: 0
; COMPUTE_PGM_RSRC2:TGID_X_EN: 1
; COMPUTE_PGM_RSRC2:TGID_Y_EN: 0
; COMPUTE_PGM_RSRC2:TGID_Z_EN: 1
; COMPUTE_PGM_RSRC2:TIDIG_COMP_CNT: 0
; COMPUTE_PGM_RSRC3_GFX90A:ACCUM_OFFSET: 5
; COMPUTE_PGM_RSRC3_GFX90A:TG_SPLIT: 0
	.section	.text._ZL38rocblas_trsm_small_left_device_sharedBILi12ELi12ELb0EffPKPKfPKPfEv13rocblas_fill_18rocblas_operation_17rocblas_diagonal_iiT3_T4_lilT5_lili,"axG",@progbits,_ZL38rocblas_trsm_small_left_device_sharedBILi12ELi12ELb0EffPKPKfPKPfEv13rocblas_fill_18rocblas_operation_17rocblas_diagonal_iiT3_T4_lilT5_lili,comdat
	.globl	_ZL38rocblas_trsm_small_left_device_sharedBILi12ELi12ELb0EffPKPKfPKPfEv13rocblas_fill_18rocblas_operation_17rocblas_diagonal_iiT3_T4_lilT5_lili ; -- Begin function _ZL38rocblas_trsm_small_left_device_sharedBILi12ELi12ELb0EffPKPKfPKPfEv13rocblas_fill_18rocblas_operation_17rocblas_diagonal_iiT3_T4_lilT5_lili
	.p2align	8
	.type	_ZL38rocblas_trsm_small_left_device_sharedBILi12ELi12ELb0EffPKPKfPKPfEv13rocblas_fill_18rocblas_operation_17rocblas_diagonal_iiT3_T4_lilT5_lili,@function
_ZL38rocblas_trsm_small_left_device_sharedBILi12ELi12ELb0EffPKPKfPKPfEv13rocblas_fill_18rocblas_operation_17rocblas_diagonal_iiT3_T4_lilT5_lili: ; @_ZL38rocblas_trsm_small_left_device_sharedBILi12ELi12ELb0EffPKPKfPKPfEv13rocblas_fill_18rocblas_operation_17rocblas_diagonal_iiT3_T4_lilT5_lili
; %bb.0:
	s_load_dwordx4 s[8:11], s[0:1], 0x38
	s_load_dwordx4 s[4:7], s[0:1], 0x4
	s_load_dword s24, s[0:1], 0x14
	s_mov_b32 s18, s3
	s_mov_b32 s19, 0
	s_lshl_b64 s[22:23], s[18:19], 3
	s_waitcnt lgkmcnt(0)
	s_add_u32 s8, s8, s22
	s_addc_u32 s9, s9, s23
	s_load_dwordx2 s[8:9], s[8:9], 0x0
	s_min_i32 s18, s6, 12
	v_cmp_gt_i32_e32 vcc, s18, v0
	s_and_saveexec_b64 s[16:17], vcc
	s_cbranch_execz .LBB11_11
; %bb.1:
	s_load_dwordx4 s[12:15], s[0:1], 0x18
	s_load_dword s20, s[0:1], 0x28
	v_lshlrev_b32_e32 v2, 2, v0
	v_mov_b32_e32 v3, 0
	s_mov_b32 s3, 1
	s_waitcnt lgkmcnt(0)
	s_add_u32 s12, s12, s22
	s_addc_u32 s13, s13, s23
	s_load_dwordx2 s[12:13], s[12:13], 0x0
	s_cmp_lt_u32 s18, 2
	s_cselect_b64 s[26:27], -1, 0
	s_cmp_lg_u32 s20, 1
	s_cselect_b64 s[28:29], -1, 0
	s_or_b64 s[26:27], s[26:27], s[28:29]
	s_mov_b64 s[22:23], -1
	s_and_b64 vcc, exec, s[26:27]
	s_cbranch_vccnz .LBB11_5
; %bb.2:
	s_lshl_b64 s[22:23], s[14:15], 2
	s_waitcnt lgkmcnt(0)
	s_add_u32 s22, s12, s22
	s_addc_u32 s23, s13, s23
	s_and_b32 s19, s18, -2
	v_lshl_add_u64 v[4:5], s[22:23], 0, v[2:3]
	s_mov_b32 s21, 0
	s_mov_b32 s22, s19
.LBB11_3:                               ; =>This Inner Loop Header: Depth=1
	flat_load_dwordx2 v[6:7], v[4:5]
	v_mad_u64_u32 v[8:9], s[26:27], s21, 48, v[2:3]
	v_mad_u64_u32 v[10:11], s[26:27], s3, 48, v[2:3]
	s_add_i32 s21, s21, 2
	s_add_i32 s3, s3, 2
	s_add_i32 s22, s22, -2
	v_lshl_add_u64 v[4:5], v[4:5], 0, 8
	s_cmp_lg_u32 s22, 0
	s_waitcnt vmcnt(0) lgkmcnt(0)
	ds_write_b32 v8, v6
	ds_write_b32 v10, v7
	s_cbranch_scc1 .LBB11_3
; %bb.4:
	s_cmp_lg_u32 s18, s19
	s_cselect_b64 s[22:23], -1, 0
.LBB11_5:
	s_and_b64 vcc, exec, s[22:23]
	s_cbranch_vccz .LBB11_8
; %bb.6:
	s_ashr_i32 s21, s20, 31
	s_mul_hi_u32 s3, s20, s19
	s_mul_i32 s22, s21, s19
	s_add_i32 s23, s3, s22
	s_mul_i32 s22, s20, s19
	s_lshl_b64 s[22:23], s[22:23], 2
	s_lshl_b64 s[14:15], s[14:15], 2
	s_add_u32 s3, s22, s14
	s_addc_u32 s14, s23, s15
	s_waitcnt lgkmcnt(0)
	s_add_u32 s12, s12, s3
	v_mov_b32_e32 v3, 0
	s_addc_u32 s13, s13, s14
	s_mul_i32 s14, s19, 48
	v_lshl_add_u64 v[4:5], s[12:13], 0, v[2:3]
	s_lshl_b64 s[12:13], s[20:21], 2
	s_sub_i32 s3, s18, s19
	v_lshl_add_u32 v1, v0, 2, s14
.LBB11_7:                               ; =>This Inner Loop Header: Depth=1
	flat_load_dword v3, v[4:5]
	s_add_i32 s3, s3, -1
	v_lshl_add_u64 v[4:5], v[4:5], 0, s[12:13]
	s_cmp_eq_u32 s3, 0
	s_waitcnt vmcnt(0) lgkmcnt(0)
	ds_write_b32 v1, v3
	v_add_u32_e32 v1, 48, v1
	s_cbranch_scc0 .LBB11_7
.LBB11_8:
	v_mul_u32_u24_e32 v1, 48, v0
	s_cmpk_lg_i32 s5, 0x84
	v_mov_b32_e32 v3, 1.0
	v_add_u32_e32 v1, v2, v1
	s_cbranch_scc0 .LBB11_10
; %bb.9:
	ds_read_b32 v2, v1
	s_waitcnt lgkmcnt(0)
	v_div_scale_f32 v3, s[12:13], v2, v2, 1.0
	v_rcp_f32_e32 v4, v3
	v_div_scale_f32 v5, vcc, 1.0, v2, 1.0
	v_fma_f32 v6, -v3, v4, 1.0
	v_fmac_f32_e32 v4, v6, v4
	v_mul_f32_e32 v6, v5, v4
	v_fma_f32 v7, -v3, v6, v5
	v_fmac_f32_e32 v6, v7, v4
	v_fma_f32 v3, -v3, v6, v5
	v_div_fmas_f32 v3, v3, v4, v6
	v_div_fixup_f32 v3, v3, v2, 1.0
.LBB11_10:
	ds_write_b32 v1, v3
.LBB11_11:
	s_or_b64 exec, exec, s[16:17]
	s_load_dword s3, s[0:1], 0x60
	s_waitcnt lgkmcnt(0)
	s_load_dword s12, s[0:1], 0x48
	s_lshl_b64 s[0:1], s[10:11], 2
	s_add_u32 s5, s8, s0
	s_mul_i32 s0, s2, -12
	s_addc_u32 s8, s9, s1
	s_add_i32 s3, s3, -1
	s_add_i32 s0, s7, s0
	s_cmp_ge_u32 s2, s3
	s_mul_i32 s2, s2, 12
	s_cselect_b32 s7, s0, 12
	s_waitcnt lgkmcnt(0)
	s_mul_hi_i32 s1, s12, s2
	s_mul_i32 s0, s12, s2
	s_lshl_b64 s[0:1], s[0:1], 2
	s_add_u32 s2, s5, s0
	s_addc_u32 s3, s8, s1
	s_cmp_gt_i32 s6, 0
	v_cmp_gt_i32_e64 s[0:1], s7, v0
	s_cselect_b64 s[8:9], -1, 0
	s_and_b64 s[14:15], s[0:1], s[8:9]
	s_and_saveexec_b64 s[10:11], s[14:15]
	s_cbranch_execz .LBB11_14
; %bb.12:
	v_mad_i64_i32 v[2:3], s[14:15], s12, v0, 0
	v_mov_b32_e32 v1, 0x240
	v_lshl_add_u64 v[2:3], v[2:3], 2, s[2:3]
	v_lshl_or_b32 v1, v0, 2, v1
	s_mov_b32 s5, s18
.LBB11_13:                              ; =>This Inner Loop Header: Depth=1
	flat_load_dword v4, v[2:3]
	s_add_i32 s5, s5, -1
	v_lshl_add_u64 v[2:3], v[2:3], 0, 4
	s_cmp_lg_u32 s5, 0
	s_waitcnt vmcnt(0) lgkmcnt(0)
	v_mul_f32_e32 v4, s24, v4
	ds_write_b32 v1, v4
	v_add_u32_e32 v1, 48, v1
	s_cbranch_scc1 .LBB11_13
.LBB11_14:
	s_or_b64 exec, exec, s[10:11]
	v_mov_b32_e32 v1, 0x240
	s_cmpk_eq_i32 s4, 0x6f
	v_lshl_or_b32 v1, v0, 2, v1
	s_mov_b64 s[4:5], -1
	s_waitcnt lgkmcnt(0)
	; wave barrier
	s_cbranch_scc1 .LBB11_34
; %bb.15:
	s_cmp_gt_i32 s6, 11
	s_cselect_b64 s[4:5], -1, 0
	s_mov_b32 s7, 0
	s_and_b64 vcc, exec, s[4:5]
	s_cbranch_vccz .LBB11_17
; %bb.16:
	v_mov_b32_e32 v56, 0
	ds_read2_b32 v[14:15], v1 offset1:12
	ds_read2_b32 v[32:33], v1 offset0:24 offset1:36
	ds_read2_b32 v[34:35], v1 offset0:48 offset1:60
	;; [unrolled: 1-line block ×5, first 2 shown]
	ds_read_b96 v[10:12], v56 offset:240
	ds_read_b32 v13, v56
	ds_read_b64 v[42:43], v56 offset:48
	ds_read_b96 v[16:18], v56 offset:96
	ds_read_b96 v[20:22], v56 offset:336
	ds_read2_b32 v[44:45], v56 offset0:63 offset1:64
	ds_read_b96 v[24:26], v56 offset:432
	ds_read2_b32 v[48:49], v56 offset0:87 offset1:88
	ds_read_b96 v[28:30], v56 offset:528
	ds_read_b128 v[2:5], v56 offset:144
	ds_read_b128 v[6:9], v56 offset:384
	s_waitcnt lgkmcnt(10)
	v_mov_b32_e32 v46, v11
	s_waitcnt lgkmcnt(6)
	v_mov_b32_e32 v51, v22
	v_mul_f32_e32 v22, v14, v13
	v_fma_f32 v14, -v22, v42, v15
	v_mul_f32_e32 v23, v14, v43
	v_mov_b32_e32 v50, v21
	s_waitcnt lgkmcnt(2)
	v_mov_b32_e32 v54, v29
	v_fma_f32 v29, -v22, v20, v37
	v_pk_mul_f32 v[20:21], v[22:23], v[16:17]
	s_waitcnt lgkmcnt(1)
	v_fma_f32 v19, -v22, v2, v33
	v_sub_f32_e32 v2, v32, v20
	v_sub_f32_e32 v20, v2, v21
	v_mov_b32_e32 v55, v30
	v_mov_b32_e32 v2, v3
	;; [unrolled: 1-line block ×3, first 2 shown]
	v_mul_f32_e32 v31, v20, v18
	v_mov_b32_e32 v30, v23
	v_pk_mul_f32 v[2:3], v[30:31], v[2:3]
	ds_read_b128 v[14:17], v56 offset:192
	v_sub_f32_e32 v2, v19, v2
	ds_read_b128 v[18:21], v56 offset:288
	v_mov_b32_e32 v47, v12
	v_mov_b32_e32 v52, v25
	v_fma_f32 v25, -v22, v10, v35
	ds_read_b128 v[10:13], v56 offset:480
	s_waitcnt lgkmcnt(3)
	v_pk_mul_f32 v[6:7], v[22:23], v[6:7]
	v_sub_f32_e32 v2, v2, v3
	v_sub_f32_e32 v6, v38, v6
	v_sub_f32_e32 v58, v6, v7
	v_pk_mul_f32 v[6:7], v[30:31], v[46:47]
	v_mul_f32_e32 v33, v2, v5
	v_sub_f32_e32 v6, v25, v6
	v_mov_b32_e32 v32, v31
	v_sub_f32_e32 v25, v6, v7
	s_waitcnt lgkmcnt(1)
	v_pk_mul_f32 v[6:7], v[32:33], v[20:21]
	v_pk_mul_f32 v[20:21], v[30:31], v[50:51]
	v_mov_b32_e32 v53, v26
	v_fma_f32 v42, -v22, v28, v41
	v_pk_mul_f32 v[2:3], v[22:23], v[14:15]
	ds_read_b96 v[26:28], v56 offset:512
	s_waitcnt lgkmcnt(1)
	v_pk_mul_f32 v[10:11], v[22:23], v[10:11]
	v_sub_f32_e32 v20, v29, v20
	v_sub_f32_e32 v10, v40, v10
	;; [unrolled: 1-line block ×4, first 2 shown]
	ds_read2_b32 v[20:21], v56 offset0:52 offset1:65
	v_sub_f32_e32 v43, v2, v3
	v_sub_f32_e32 v59, v10, v11
	v_pk_mul_f32 v[10:11], v[32:33], v[16:17]
	ds_read_b128 v[2:5], v56 offset:400
	v_sub_f32_e32 v10, v43, v10
	v_pk_mul_f32 v[14:15], v[22:23], v[18:19]
	v_pk_mul_f32 v[8:9], v[32:33], v[8:9]
	;; [unrolled: 1-line block ×3, first 2 shown]
	v_sub_f32_e32 v32, v10, v11
	ds_read2_b32 v[10:11], v56 offset0:111 offset1:112
	v_fma_f32 v39, -v22, v24, v39
	v_sub_f32_e32 v14, v36, v14
	v_pk_mul_f32 v[36:37], v[30:31], v[52:53]
	v_pk_mul_f32 v[40:41], v[30:31], v[54:55]
	ds_write2_b32 v1, v22, v23 offset1:12
	v_sub_f32_e32 v57, v14, v15
	ds_read_b96 v[22:24], v56 offset:304
	ds_read2_b32 v[18:19], v56 offset0:89 offset1:90
	ds_read_b128 v[14:17], v56 offset:496
	v_sub_f32_e32 v36, v39, v36
	ds_read2_b32 v[38:39], v56 offset0:135 offset1:136
	v_sub_f32_e32 v30, v42, v40
	s_waitcnt lgkmcnt(7)
	v_mul_f32_e32 v43, v32, v20
	v_mov_b32_e32 v42, v33
	ds_write2_b32 v1, v31, v33 offset0:24 offset1:36
	v_sub_f32_e32 v6, v57, v6
	v_pk_mul_f32 v[32:33], v[42:43], v[44:45]
	v_sub_f32_e32 v8, v58, v8
	v_sub_f32_e32 v20, v25, v32
	;; [unrolled: 1-line block ×3, first 2 shown]
	v_pk_mul_f32 v[6:7], v[42:43], v[48:49]
	v_sub_f32_e32 v12, v59, v12
	v_sub_f32_e32 v6, v29, v6
	;; [unrolled: 1-line block ×3, first 2 shown]
	s_waitcnt lgkmcnt(6)
	v_pk_mul_f32 v[8:9], v[42:43], v[10:11]
	v_sub_f32_e32 v10, v20, v33
	v_mul_f32_e32 v11, v10, v21
	v_mov_b32_e32 v10, v43
	v_sub_f32_e32 v47, v30, v41
	v_sub_f32_e32 v32, v12, v13
	s_waitcnt lgkmcnt(4)
	v_pk_mul_f32 v[12:13], v[10:11], v[22:23]
	s_waitcnt lgkmcnt(1)
	v_pk_mul_f32 v[22:23], v[42:43], v[38:39]
	v_sub_f32_e32 v12, v25, v12
	v_sub_f32_e32 v25, v6, v7
	v_pk_mul_f32 v[2:3], v[10:11], v[2:3]
	v_pk_mul_f32 v[6:7], v[10:11], v[14:15]
	v_sub_f32_e32 v10, v47, v22
	ds_read2_b32 v[34:35], v56 offset0:91 offset1:104
	v_sub_f32_e32 v46, v36, v37
	v_sub_f32_e32 v22, v10, v23
	;; [unrolled: 1-line block ×4, first 2 shown]
	v_mul_f32_e32 v13, v10, v24
	v_mov_b32_e32 v12, v11
	ds_read2_b32 v[36:37], v56 offset0:117 offset1:143
	ds_read2_b32 v[40:41], v56 offset0:115 offset1:116
	;; [unrolled: 1-line block ×3, first 2 shown]
	v_sub_f32_e32 v2, v29, v2
	v_sub_f32_e32 v29, v8, v9
	ds_read2_b32 v[8:9], v56 offset0:137 offset1:138
	ds_read2_b32 v[14:15], v56 offset0:139 offset1:140
	;; [unrolled: 1-line block ×3, first 2 shown]
	ds_write2_b32 v1, v43, v11 offset0:48 offset1:60
	v_pk_mul_f32 v[10:11], v[12:13], v[18:19]
	v_sub_f32_e32 v6, v32, v6
	v_sub_f32_e32 v10, v25, v10
	v_sub_f32_e32 v19, v6, v7
	v_sub_f32_e32 v6, v10, v11
	s_waitcnt lgkmcnt(7)
	v_mul_f32_e32 v7, v6, v34
	v_mov_b32_e32 v6, v13
	v_sub_f32_e32 v18, v2, v3
	v_pk_mul_f32 v[4:5], v[6:7], v[4:5]
	s_waitcnt lgkmcnt(4)
	v_pk_mul_f32 v[2:3], v[12:13], v[30:31]
	v_sub_f32_e32 v4, v18, v4
	v_sub_f32_e32 v2, v29, v2
	s_waitcnt lgkmcnt(3)
	v_pk_mul_f32 v[8:9], v[12:13], v[8:9]
	v_sub_f32_e32 v4, v4, v5
	v_sub_f32_e32 v10, v2, v3
	v_pk_mul_f32 v[2:3], v[6:7], v[16:17]
	v_sub_f32_e32 v6, v22, v8
	v_mul_f32_e32 v5, v4, v35
	v_mov_b32_e32 v4, v7
	v_sub_f32_e32 v11, v6, v9
	ds_write2_b32 v1, v13, v7 offset0:72 offset1:84
	v_pk_mul_f32 v[6:7], v[4:5], v[40:41]
	v_sub_f32_e32 v2, v19, v2
	v_sub_f32_e32 v6, v10, v6
	;; [unrolled: 1-line block ×4, first 2 shown]
	v_mul_f32_e32 v3, v2, v36
	v_mov_b32_e32 v2, v5
	v_pk_mul_f32 v[6:7], v[2:3], v[26:27]
	ds_write2_b32 v1, v5, v3 offset0:96 offset1:108
	v_sub_f32_e32 v2, v8, v6
	s_waitcnt lgkmcnt(4)
	v_pk_mul_f32 v[8:9], v[4:5], v[14:15]
	v_sub_f32_e32 v2, v2, v7
	v_sub_f32_e32 v4, v11, v8
	;; [unrolled: 1-line block ×3, first 2 shown]
	v_mul_f32_e32 v5, v2, v28
	v_mov_b32_e32 v4, v3
	s_waitcnt lgkmcnt(3)
	v_pk_mul_f32 v[2:3], v[4:5], v[20:21]
	s_mov_b32 s7, 12
	v_sub_f32_e32 v2, v6, v2
	v_sub_f32_e32 v2, v2, v3
	v_mul_f32_e32 v2, v2, v37
	ds_write2_b32 v1, v5, v2 offset0:120 offset1:132
.LBB11_17:
	s_cmp_lt_i32 s7, s18
	s_cbranch_scc0 .LBB11_33
; %bb.18:
	s_add_i32 s10, s7, 7
	s_cmp_ge_u32 s10, s18
	s_cbranch_scc1 .LBB11_28
; %bb.19:
	s_mul_i32 s10, s7, 48
	v_add_u32_e32 v10, s10, v1
	ds_read2_b32 v[8:9], v10 offset1:12
	ds_read2_b32 v[6:7], v10 offset0:24 offset1:36
	ds_read2_b32 v[4:5], v10 offset0:48 offset1:60
	;; [unrolled: 1-line block ×3, first 2 shown]
	s_andn2_b64 vcc, exec, s[4:5]
	s_cbranch_vccnz .LBB11_27
; %bb.20:
	s_add_i32 s4, s7, -1
	s_cmp_lt_u32 s4, 7
	s_cbranch_scc1 .LBB11_23
; %bb.21:
	v_mov_b32_e32 v11, 0x240
	s_and_b32 s4, s7, 8
	v_lshl_or_b32 v11, v0, 2, v11
	s_mov_b32 s5, 0
	s_mov_b32 s11, s10
.LBB11_22:                              ; =>This Inner Loop Header: Depth=1
	v_mov_b32_e32 v32, s11
	ds_read_b128 v[34:37], v32
	ds_read_b128 v[38:41], v32 offset:16
	ds_read_b128 v[12:15], v32 offset:48
	ds_read2_b32 v[24:25], v11 offset1:12
	s_add_i32 s5, s5, 8
	s_waitcnt lgkmcnt(3)
	v_mov_b32_e32 v16, v34
	s_add_i32 s11, s11, 32
	s_waitcnt lgkmcnt(1)
	v_mov_b32_e32 v17, v12
	s_waitcnt lgkmcnt(0)
	v_pk_fma_f32 v[26:27], v[24:25], v[16:17], v[8:9] op_sel_hi:[0,1,1] neg_lo:[1,0,0] neg_hi:[1,0,0]
	ds_read_b128 v[42:45], v32 offset:96
	ds_read_b128 v[16:19], v32 offset:144
	v_mov_b32_e32 v12, v35
	s_cmp_lg_u32 s4, s5
	s_waitcnt lgkmcnt(1)
	v_mov_b32_e32 v8, v42
	s_waitcnt lgkmcnt(0)
	v_mov_b32_e32 v9, v16
	v_pk_fma_f32 v[28:29], v[24:25], v[8:9], v[6:7] op_sel_hi:[0,1,1] neg_lo:[1,0,0] neg_hi:[1,0,0]
	ds_read_b128 v[46:49], v32 offset:192
	ds_read_b128 v[6:9], v32 offset:240
	v_mov_b32_e32 v16, v43
	s_waitcnt lgkmcnt(1)
	v_mov_b32_e32 v20, v46
	s_waitcnt lgkmcnt(0)
	v_mov_b32_e32 v21, v6
	v_pk_fma_f32 v[4:5], v[24:25], v[20:21], v[4:5] op_sel_hi:[0,1,1] neg_lo:[1,0,0] neg_hi:[1,0,0]
	ds_read_b128 v[50:53], v32 offset:288
	ds_read_b128 v[20:23], v32 offset:336
	v_mov_b32_e32 v6, v47
	s_waitcnt lgkmcnt(1)
	v_mov_b32_e32 v30, v50
	s_waitcnt lgkmcnt(0)
	v_mov_b32_e32 v31, v20
	v_pk_fma_f32 v[2:3], v[24:25], v[30:31], v[2:3] op_sel_hi:[0,1,1] neg_lo:[1,0,0] neg_hi:[1,0,0]
	v_mov_b32_e32 v24, v25
	v_pk_fma_f32 v[4:5], v[24:25], v[6:7], v[4:5] op_sel_hi:[0,1,1] neg_lo:[1,0,0] neg_hi:[1,0,0]
	ds_read2_b32 v[6:7], v11 offset0:24 offset1:36
	v_mov_b32_e32 v20, v51
	v_pk_fma_f32 v[12:13], v[24:25], v[12:13], v[26:27] op_sel_hi:[0,1,1] neg_lo:[1,0,0] neg_hi:[1,0,0]
	v_pk_fma_f32 v[2:3], v[24:25], v[20:21], v[2:3] op_sel_hi:[0,1,1] neg_lo:[1,0,0] neg_hi:[1,0,0]
	v_mov_b32_e32 v20, v36
	v_mov_b32_e32 v21, v14
	v_pk_fma_f32 v[16:17], v[24:25], v[16:17], v[28:29] op_sel_hi:[0,1,1] neg_lo:[1,0,0] neg_hi:[1,0,0]
	s_waitcnt lgkmcnt(0)
	v_pk_fma_f32 v[12:13], v[6:7], v[20:21], v[12:13] op_sel_hi:[0,1,1] neg_lo:[1,0,0] neg_hi:[1,0,0]
	v_mov_b32_e32 v20, v44
	v_mov_b32_e32 v21, v18
	v_pk_fma_f32 v[16:17], v[6:7], v[20:21], v[16:17] op_sel_hi:[0,1,1] neg_lo:[1,0,0] neg_hi:[1,0,0]
	v_mov_b32_e32 v20, v48
	v_mov_b32_e32 v21, v8
	v_pk_fma_f32 v[4:5], v[6:7], v[20:21], v[4:5] op_sel_hi:[0,1,1] neg_lo:[1,0,0] neg_hi:[1,0,0]
	v_mov_b32_e32 v20, v52
	v_mov_b32_e32 v21, v22
	v_pk_fma_f32 v[2:3], v[6:7], v[20:21], v[2:3] op_sel_hi:[0,1,1] neg_lo:[1,0,0] neg_hi:[1,0,0]
	v_mov_b32_e32 v14, v37
	v_mov_b32_e32 v6, v7
	v_mov_b32_e32 v18, v45
	v_mov_b32_e32 v8, v49
	;; [unrolled: 1-line block ×3, first 2 shown]
	v_pk_fma_f32 v[12:13], v[6:7], v[14:15], v[12:13] op_sel_hi:[0,1,1] neg_lo:[1,0,0] neg_hi:[1,0,0]
	v_pk_fma_f32 v[16:17], v[6:7], v[18:19], v[16:17] op_sel_hi:[0,1,1] neg_lo:[1,0,0] neg_hi:[1,0,0]
	;; [unrolled: 1-line block ×4, first 2 shown]
	ds_read2_b32 v[24:25], v11 offset0:48 offset1:60
	ds_read_b128 v[2:5], v32 offset:64
	v_mov_b32_e32 v14, v38
	s_waitcnt lgkmcnt(0)
	v_mov_b32_e32 v15, v2
	v_pk_fma_f32 v[26:27], v[24:25], v[14:15], v[12:13] op_sel_hi:[0,1,1] neg_lo:[1,0,0] neg_hi:[1,0,0]
	ds_read_b128 v[34:37], v32 offset:112
	ds_read_b128 v[12:15], v32 offset:160
	v_mov_b32_e32 v2, v39
	s_waitcnt lgkmcnt(1)
	v_mov_b32_e32 v18, v34
	s_waitcnt lgkmcnt(0)
	v_mov_b32_e32 v19, v12
	v_pk_fma_f32 v[28:29], v[24:25], v[18:19], v[16:17] op_sel_hi:[0,1,1] neg_lo:[1,0,0] neg_hi:[1,0,0]
	ds_read_b128 v[42:45], v32 offset:208
	ds_read_b128 v[16:19], v32 offset:256
	v_mov_b32_e32 v12, v35
	s_waitcnt lgkmcnt(1)
	;; [unrolled: 8-line block ×3, first 2 shown]
	v_mov_b32_e32 v30, v46
	s_waitcnt lgkmcnt(0)
	v_mov_b32_e32 v31, v20
	v_pk_fma_f32 v[6:7], v[24:25], v[30:31], v[6:7] op_sel_hi:[0,1,1] neg_lo:[1,0,0] neg_hi:[1,0,0]
	v_mov_b32_e32 v24, v25
	v_pk_fma_f32 v[8:9], v[24:25], v[16:17], v[8:9] op_sel_hi:[0,1,1] neg_lo:[1,0,0] neg_hi:[1,0,0]
	ds_read2_b32 v[16:17], v11 offset0:72 offset1:84
	v_mov_b32_e32 v20, v47
	v_pk_fma_f32 v[2:3], v[24:25], v[2:3], v[26:27] op_sel_hi:[0,1,1] neg_lo:[1,0,0] neg_hi:[1,0,0]
	v_pk_fma_f32 v[6:7], v[24:25], v[20:21], v[6:7] op_sel_hi:[0,1,1] neg_lo:[1,0,0] neg_hi:[1,0,0]
	v_mov_b32_e32 v20, v40
	v_mov_b32_e32 v21, v4
	v_pk_fma_f32 v[12:13], v[24:25], v[12:13], v[28:29] op_sel_hi:[0,1,1] neg_lo:[1,0,0] neg_hi:[1,0,0]
	s_waitcnt lgkmcnt(0)
	v_pk_fma_f32 v[2:3], v[16:17], v[20:21], v[2:3] op_sel_hi:[0,1,1] neg_lo:[1,0,0] neg_hi:[1,0,0]
	v_mov_b32_e32 v20, v36
	v_mov_b32_e32 v21, v14
	v_pk_fma_f32 v[12:13], v[16:17], v[20:21], v[12:13] op_sel_hi:[0,1,1] neg_lo:[1,0,0] neg_hi:[1,0,0]
	v_mov_b32_e32 v20, v44
	v_mov_b32_e32 v21, v18
	v_pk_fma_f32 v[20:21], v[16:17], v[20:21], v[8:9] op_sel_hi:[0,1,1] neg_lo:[1,0,0] neg_hi:[1,0,0]
	v_mov_b32_e32 v8, v48
	v_mov_b32_e32 v9, v22
	v_pk_fma_f32 v[24:25], v[16:17], v[8:9], v[6:7] op_sel_hi:[0,1,1] neg_lo:[1,0,0] neg_hi:[1,0,0]
	v_mov_b32_e32 v4, v41
	v_mov_b32_e32 v16, v17
	v_mov_b32_e32 v14, v37
	v_mov_b32_e32 v18, v45
	;; [unrolled: 1-line block ×3, first 2 shown]
	v_pk_fma_f32 v[8:9], v[16:17], v[4:5], v[2:3] op_sel_hi:[0,1,1] neg_lo:[1,0,0] neg_hi:[1,0,0]
	v_pk_fma_f32 v[6:7], v[16:17], v[14:15], v[12:13] op_sel_hi:[0,1,1] neg_lo:[1,0,0] neg_hi:[1,0,0]
	;; [unrolled: 1-line block ×4, first 2 shown]
	v_add_u32_e32 v11, 0x180, v11
	s_cbranch_scc1 .LBB11_22
	s_branch .LBB11_24
.LBB11_23:
	s_mov_b32 s4, 0
.LBB11_24:
	s_and_b32 s5, s7, 4
	s_cmp_eq_u32 s5, 0
	s_cbranch_scc1 .LBB11_27
; %bb.25:
	s_mul_i32 s11, s4, 48
	v_lshl_add_u32 v11, v0, 2, s11
	s_lshl_b32 s4, s4, 2
	v_add_u32_e32 v11, 0x240, v11
	s_add_i32 s4, s10, s4
.LBB11_26:                              ; =>This Inner Loop Header: Depth=1
	v_mov_b32_e32 v13, s4
	ds_read_b32 v12, v11
	ds_read2_b32 v[14:15], v13 offset1:12
	ds_read2_b32 v[16:17], v13 offset0:24 offset1:36
	ds_read2_b32 v[18:19], v13 offset0:48 offset1:60
	;; [unrolled: 1-line block ×3, first 2 shown]
	s_add_i32 s4, s4, 4
	s_add_i32 s5, s5, -1
	v_add_u32_e32 v11, 48, v11
	s_cmp_lg_u32 s5, 0
	s_waitcnt lgkmcnt(3)
	v_pk_fma_f32 v[8:9], v[12:13], v[14:15], v[8:9] op_sel_hi:[0,1,1] neg_lo:[1,0,0] neg_hi:[1,0,0]
	s_waitcnt lgkmcnt(2)
	v_pk_fma_f32 v[6:7], v[12:13], v[16:17], v[6:7] op_sel_hi:[0,1,1] neg_lo:[1,0,0] neg_hi:[1,0,0]
	;; [unrolled: 2-line block ×4, first 2 shown]
	s_cbranch_scc1 .LBB11_26
.LBB11_27:
	s_lshl_b32 s4, s7, 2
	s_add_i32 s5, s4, s10
	v_mov_b32_e32 v11, s5
	s_add_i32 s5, s10, 48
	s_add_i32 s11, s4, s5
	v_add_u32_e32 v27, s5, v1
	s_add_i32 s5, s10, 0x60
	v_mov_b32_e32 v12, s11
	s_add_i32 s11, s4, s5
	v_add_u32_e32 v35, s5, v1
	s_add_i32 s5, s10, 0x90
	v_mov_b32_e32 v13, s11
	s_add_i32 s11, s4, s5
	ds_read2_b32 v[40:41], v11 offset1:52
	ds_read_b64 v[42:43], v12
	ds_read_b96 v[24:26], v13
	v_mov_b32_e32 v12, s11
	ds_read_b128 v[12:15], v12
	s_add_i32 s11, s10, 0xf0
	s_add_i32 s13, s4, s11
	v_mov_b32_e32 v20, s13
	ds_read_b96 v[28:30], v20
	s_waitcnt lgkmcnt(1)
	v_mov_b32_e32 v44, v13
	v_add_u32_e32 v13, s5, v1
	s_add_i32 s5, s10, 0xc0
	v_mov_b32_e32 v45, v14
	s_add_i32 s13, s4, s5
	v_add_u32_e32 v14, s5, v1
	s_add_i32 s5, s10, 0x120
	s_add_i32 s14, s4, s5
	s_addk_i32 s10, 0x150
	v_mov_b32_e32 v16, s14
	s_add_i32 s4, s4, s10
	s_waitcnt lgkmcnt(0)
	v_mov_b32_e32 v46, v29
	v_mov_b32_e32 v29, s4
	ds_read_b96 v[32:34], v16 offset:16
	ds_read_b96 v[36:38], v29
	v_mov_b32_e32 v47, v30
	ds_read2_b32 v[30:31], v11 offset0:65 offset1:91
	v_mov_b32_e32 v11, s13
	v_mul_f32_e32 v8, v8, v40
	s_waitcnt lgkmcnt(1)
	v_mov_b32_e32 v49, v38
	ds_read2_b32 v[38:39], v29 offset0:3 offset1:4
	ds_read_b128 v[16:19], v16
	ds_read2_b32 v[50:51], v20 offset0:3 offset1:4
	ds_read_b128 v[20:23], v11
	v_fma_f32 v9, -v8, v42, v9
	v_mul_f32_e32 v9, v9, v43
	ds_write_b32 v10, v8
	v_pk_mul_f32 v[10:11], v[8:9], v[24:25]
	v_fma_f32 v12, -v8, v12, v7
	v_sub_f32_e32 v10, v6, v10
	s_waitcnt lgkmcnt(1)
	v_pk_mul_f32 v[6:7], v[8:9], v[20:21]
	v_fma_f32 v20, -v8, v28, v5
	v_sub_f32_e32 v6, v4, v6
	v_pk_mul_f32 v[4:5], v[8:9], v[16:17]
	v_fma_f32 v16, -v8, v36, v3
	v_sub_f32_e32 v4, v2, v4
	v_sub_f32_e32 v2, v10, v11
	v_mul_f32_e32 v3, v2, v26
	v_mov_b32_e32 v2, v9
	ds_write_b32 v27, v9
	v_pk_mul_f32 v[8:9], v[2:3], v[44:45]
	v_sub_f32_e32 v11, v4, v5
	v_sub_f32_e32 v8, v12, v8
	;; [unrolled: 1-line block ×3, first 2 shown]
	v_mov_b32_e32 v48, v37
	v_sub_f32_e32 v10, v6, v7
	v_pk_mul_f32 v[6:7], v[2:3], v[46:47]
	v_mul_f32_e32 v5, v4, v15
	v_mov_b32_e32 v4, v3
	v_sub_f32_e32 v6, v20, v6
	ds_write_b32 v35, v3
	v_pk_mul_f32 v[8:9], v[4:5], v[22:23]
	v_pk_mul_f32 v[2:3], v[2:3], v[48:49]
	v_sub_f32_e32 v8, v10, v8
	v_sub_f32_e32 v10, v6, v7
	v_pk_mul_f32 v[6:7], v[4:5], v[18:19]
	v_sub_f32_e32 v2, v16, v2
	v_sub_f32_e32 v6, v11, v6
	;; [unrolled: 1-line block ×4, first 2 shown]
	v_mul_f32_e32 v3, v2, v41
	v_mov_b32_e32 v2, v5
	ds_write_b32 v13, v5
	v_pk_mul_f32 v[4:5], v[2:3], v[50:51]
	v_sub_f32_e32 v8, v6, v7
	v_sub_f32_e32 v4, v10, v4
	;; [unrolled: 1-line block ×3, first 2 shown]
	v_mul_f32_e32 v5, v4, v30
	v_mov_b32_e32 v4, v3
	v_pk_mul_f32 v[6:7], v[4:5], v[32:33]
	ds_write_b32 v14, v3
	v_sub_f32_e32 v4, v8, v6
	ds_read2_b32 v[8:9], v29 offset0:5 offset1:6
	v_pk_mul_f32 v[2:3], v[2:3], v[38:39]
	v_add_u32_e32 v52, s11, v1
	v_sub_f32_e32 v2, v11, v2
	v_sub_f32_e32 v6, v2, v3
	;; [unrolled: 1-line block ×3, first 2 shown]
	v_add_u32_e32 v53, s5, v1
	v_mul_f32_e32 v3, v2, v34
	v_mov_b32_e32 v2, v5
	ds_write_b32 v52, v5
	ds_write_b32 v53, v3
	s_waitcnt lgkmcnt(2)
	v_pk_mul_f32 v[2:3], v[2:3], v[8:9]
	s_add_i32 s7, s7, 8
	v_sub_f32_e32 v2, v6, v2
	v_sub_f32_e32 v2, v2, v3
	v_mul_f32_e32 v2, v2, v31
	v_add_u32_e32 v3, s10, v1
	ds_write_b32 v3, v2
.LBB11_28:
	s_cmp_ge_i32 s7, s18
	s_cbranch_scc1 .LBB11_33
; %bb.29:
	v_mov_b32_e32 v2, 0x240
	s_mul_i32 s4, s7, 48
	v_lshl_or_b32 v2, v0, 2, v2
	s_branch .LBB11_31
.LBB11_30:                              ;   in Loop: Header=BB11_31 Depth=1
	s_mul_i32 s5, s7, 52
	v_mov_b32_e32 v5, s5
	ds_read_b32 v5, v5
	s_add_i32 s7, s7, 1
	s_add_i32 s4, s4, 48
	s_cmp_ge_i32 s7, s18
	s_waitcnt lgkmcnt(0)
	v_mul_f32_e32 v4, v4, v5
	ds_write_b32 v3, v4
	s_cbranch_scc1 .LBB11_33
.LBB11_31:                              ; =>This Loop Header: Depth=1
                                        ;     Child Loop BB11_32 Depth 2
	s_mul_i32 s5, s7, 48
	v_add_u32_e32 v3, s5, v1
	ds_read_b32 v4, v3
	s_cmp_eq_u32 s7, 0
	v_mov_b32_e32 v5, v2
	s_mov_b32 s5, s7
	s_mov_b32 s10, s4
	s_cbranch_scc1 .LBB11_30
.LBB11_32:                              ;   Parent Loop BB11_31 Depth=1
                                        ; =>  This Inner Loop Header: Depth=2
	v_mov_b32_e32 v7, s10
	ds_read_b32 v6, v5
	ds_read_b32 v7, v7
	s_add_i32 s10, s10, 4
	s_add_i32 s5, s5, -1
	v_add_u32_e32 v5, 48, v5
	s_cmp_lg_u32 s5, 0
	s_waitcnt lgkmcnt(0)
	v_fma_f32 v4, -v6, v7, v4
	s_cbranch_scc1 .LBB11_32
	s_branch .LBB11_30
.LBB11_33:
	s_mov_b64 s[4:5], 0
.LBB11_34:
	s_and_b64 vcc, exec, s[4:5]
	s_cbranch_vccz .LBB11_60
; %bb.35:
	s_add_i32 s4, s18, -1
	s_cmp_gt_i32 s6, 11
	s_mov_b32 s5, -1
	s_cbranch_scc0 .LBB11_37
; %bb.36:
	v_mov_b32_e32 v50, 0
	ds_read2_b32 v[22:23], v1 offset0:120 offset1:132
	ds_read2_b32 v[24:25], v1 offset0:96 offset1:108
	;; [unrolled: 1-line block ×5, first 2 shown]
	ds_read2_b32 v[32:33], v1 offset1:12
	ds_read_b64 v[34:35], v50 offset:568
	ds_read2_b64 v[10:13], v50 offset0:58 offset1:60
	ds_read_b96 v[14:16], v50 offset:560
	ds_read2_b32 v[36:37], v50 offset0:139 offset1:140
	ds_read2_b32 v[38:39], v50 offset0:129 offset1:130
	s_waitcnt lgkmcnt(2)
	ds_read_b96 v[16:18], v50 offset:528
	ds_read_b64 v[40:41], v50 offset:512
	s_waitcnt lgkmcnt(3)
	ds_read_b32 v37, v50 offset:508
	ds_read2_b64 v[6:9], v50 offset0:45 offset1:48
	ds_read2_b32 v[42:43], v50 offset0:134 offset1:138
	ds_read2_b32 v[60:61], v50 offset0:110 offset1:114
	s_waitcnt lgkmcnt(5)
	ds_read_b96 v[18:20], v50 offset:544
	s_waitcnt lgkmcnt(0)
	ds_read2_b32 v[20:21], v50 offset0:115 offset1:116
	ds_read_b64 v[44:45], v50 offset:488
	ds_read_b32 v47, v50 offset:484
	ds_read_b96 v[52:54], v50 offset:448
	ds_read2_b64 v[2:5], v50 offset0:32 offset1:36
	v_mul_f32_e32 v48, v23, v35
	s_waitcnt lgkmcnt(0)
	v_fma_f32 v5, -v48, v34, v22
	ds_read2_b32 v[22:23], v50 offset0:135 offset1:136
	v_fma_f32 v9, -v48, v14, v24
	v_mov_b32_e32 v14, v15
	v_fma_f32 v13, -v48, v18, v28
	v_mov_b32_e32 v18, v19
	v_mul_f32_e32 v49, v5, v39
	ds_read2_b32 v[34:35], v50 offset0:103 offset1:104
	s_waitcnt lgkmcnt(1)
	ds_read_b32 v23, v50 offset:492
	v_mov_b32_e32 v15, v38
	ds_read_b64 v[38:39], v50 offset:408
	v_fma_f32 v21, -v48, v43, v26
	ds_read_b32 v43, v50 offset:404
	ds_read_b32 v19, v50 offset:500
	v_pk_mul_f32 v[14:15], v[48:49], v[14:15]
	v_mov_b32_e32 v46, v17
	v_fma_f32 v5, -v48, v16, v32
	s_waitcnt lgkmcnt(3)
	v_pk_mul_f32 v[22:23], v[48:49], v[22:23]
	s_waitcnt lgkmcnt(0)
	v_pk_mul_f32 v[16:17], v[48:49], v[18:19]
	v_sub_f32_e32 v14, v25, v14
	ds_read_b64 v[18:19], v50 offset:504
	ds_read_b64 v[24:25], v50 offset:496
	v_fma_f32 v39, -v48, v42, v30
	v_sub_f32_e32 v22, v31, v22
	ds_read_b64 v[30:31], v50 offset:400
	s_waitcnt lgkmcnt(2)
	v_sub_f32_e32 v19, v14, v15
	v_pk_mul_f32 v[14:15], v[48:49], v[36:37]
	v_pk_mul_f32 v[46:47], v[48:49], v[46:47]
	v_sub_f32_e32 v16, v29, v16
	v_sub_f32_e32 v14, v27, v14
	ds_write2_b32 v1, v49, v48 offset0:120 offset1:132
	v_sub_f32_e32 v32, v33, v46
	s_waitcnt lgkmcnt(1)
	v_sub_f32_e32 v31, v14, v15
	v_sub_f32_e32 v46, v16, v17
	ds_read2_b64 v[14:17], v50 offset0:19 offset1:24
	ds_read2_b32 v[28:29], v50 offset0:111 offset1:112
	ds_read_b96 v[54:56], v50 offset:432
	v_mov_b32_e32 v26, v49
	v_mul_f32_e32 v27, v19, v11
	v_mov_b32_e32 v19, v61
	v_mov_b32_e32 v41, v10
	v_pk_mul_f32 v[18:19], v[26:27], v[18:19]
	v_mov_b32_e32 v25, v52
	v_sub_f32_e32 v47, v32, v47
	v_pk_mul_f32 v[32:33], v[26:27], v[40:41]
	v_sub_f32_e32 v10, v21, v18
	v_pk_mul_f32 v[24:25], v[26:27], v[24:25]
	v_sub_f32_e32 v9, v9, v32
	v_sub_f32_e32 v48, v10, v19
	;; [unrolled: 1-line block ×3, first 2 shown]
	s_waitcnt lgkmcnt(0)
	v_mov_b32_e32 v13, v54
	v_sub_f32_e32 v9, v9, v33
	v_pk_mul_f32 v[12:13], v[26:27], v[12:13]
	ds_read_b96 v[56:58], v50 offset:352
	ds_read_b32 v29, v50 offset:396
	v_mov_b32_e32 v21, v34
	v_mul_f32_e32 v35, v9, v35
	v_sub_f32_e32 v5, v5, v12
	v_mov_b32_e32 v34, v27
	v_sub_f32_e32 v17, v22, v23
	ds_read_b64 v[22:23], v50 offset:392
	ds_read_b32 v11, v50 offset:388
	v_sub_f32_e32 v52, v5, v13
	v_pk_mul_f32 v[12:13], v[34:35], v[20:21]
	v_mov_b32_e32 v45, v60
	v_sub_f32_e32 v5, v31, v12
	v_mov_b32_e32 v42, v53
	v_pk_mul_f32 v[36:37], v[26:27], v[44:45]
	v_sub_f32_e32 v5, v5, v13
	v_pk_mul_f32 v[12:13], v[34:35], v[42:43]
	ds_read2_b32 v[32:33], v50 offset0:87 offset1:88
	s_waitcnt lgkmcnt(2)
	ds_read_b32 v23, v50 offset:344
	ds_read2_b32 v[18:19], v50 offset0:77 offset1:78
	v_sub_f32_e32 v49, v10, v25
	v_sub_f32_e32 v10, v39, v36
	;; [unrolled: 1-line block ×5, first 2 shown]
	v_pk_mul_f32 v[12:13], v[34:35], v[28:29]
	v_mov_b32_e32 v10, v55
	v_mov_b32_e32 v28, v35
	v_mul_f32_e32 v29, v5, v7
	v_mov_b32_e32 v39, v6
	ds_read_b64 v[24:25], v50 offset:304
	s_waitcnt lgkmcnt(3)
	ds_read_b32 v33, v50 offset:300
	ds_read_b64 v[36:37], v50 offset:296
	ds_read2_b32 v[40:41], v50 offset0:51 offset1:52
	ds_read_b64 v[44:45], v50 offset:200
	ds_read_b96 v[58:60], v50 offset:336
	ds_write2_b32 v1, v35, v27 offset0:96 offset1:108
	v_pk_mul_f32 v[10:11], v[34:35], v[10:11]
	v_pk_mul_f32 v[34:35], v[28:29], v[38:39]
	s_waitcnt lgkmcnt(6)
	v_mov_b32_e32 v25, v2
	v_sub_f32_e32 v2, v48, v34
	v_sub_f32_e32 v2, v2, v35
	v_mov_b32_e32 v34, v57
	v_mov_b32_e32 v35, v18
	v_mul_f32_e32 v19, v2, v19
	v_mov_b32_e32 v18, v29
	v_sub_f32_e32 v9, v47, v10
	v_pk_mul_f32 v[34:35], v[18:19], v[34:35]
	v_sub_f32_e32 v47, v9, v11
	s_waitcnt lgkmcnt(1)
	v_mov_b32_e32 v9, v58
	v_mov_b32_e32 v31, v56
	v_sub_f32_e32 v2, v20, v34
	ds_read2_b32 v[26:27], v50 offset0:63 offset1:64
	ds_read_b32 v21, v50 offset:292
	ds_read_b32 v37, v50 offset:248
	ds_read_b96 v[60:62], v50 offset:240
	v_sub_f32_e32 v5, v17, v12
	v_pk_mul_f32 v[30:31], v[28:29], v[30:31]
	v_pk_mul_f32 v[8:9], v[28:29], v[8:9]
	v_sub_f32_e32 v2, v2, v35
	ds_read2_b32 v[42:43], v50 offset0:25 offset1:26
	ds_read_b32 v7, v50 offset:196
	s_waitcnt lgkmcnt(2)
	ds_read_b96 v[62:64], v50 offset:144
	v_sub_f32_e32 v46, v5, v13
	ds_read2_b64 v[10:13], v50 offset0:6 offset1:12
	v_sub_f32_e32 v6, v49, v30
	v_pk_mul_f32 v[22:23], v[28:29], v[22:23]
	v_sub_f32_e32 v8, v52, v8
	v_mul_f32_e32 v3, v2, v3
	v_mov_b32_e32 v2, v19
	s_waitcnt lgkmcnt(0)
	v_sub_f32_e32 v13, v51, v22
	v_sub_f32_e32 v6, v6, v31
	;; [unrolled: 1-line block ×3, first 2 shown]
	v_pk_mul_f32 v[8:9], v[2:3], v[24:25]
	v_mov_b32_e32 v20, v59
	v_sub_f32_e32 v6, v6, v8
	v_pk_mul_f32 v[30:31], v[18:19], v[32:33]
	v_pk_mul_f32 v[20:21], v[18:19], v[20:21]
	v_sub_f32_e32 v6, v6, v9
	v_mov_b32_e32 v5, v60
	v_mov_b32_e32 v27, v40
	;; [unrolled: 1-line block ×3, first 2 shown]
	v_sub_f32_e32 v14, v46, v30
	v_sub_f32_e32 v13, v13, v23
	;; [unrolled: 1-line block ×3, first 2 shown]
	ds_write2_b32 v1, v19, v29 offset0:72 offset1:84
	v_pk_mul_f32 v[18:19], v[2:3], v[36:37]
	v_mul_f32_e32 v9, v6, v41
	v_mov_b32_e32 v8, v3
	v_sub_f32_e32 v14, v14, v31
	v_sub_f32_e32 v13, v13, v18
	;; [unrolled: 1-line block ×3, first 2 shown]
	v_pk_mul_f32 v[20:21], v[8:9], v[26:27]
	v_mov_b32_e32 v6, v61
	v_pk_mul_f32 v[4:5], v[2:3], v[4:5]
	v_sub_f32_e32 v14, v14, v20
	v_pk_mul_f32 v[6:7], v[8:9], v[6:7]
	v_sub_f32_e32 v2, v22, v4
	v_sub_f32_e32 v6, v18, v6
	;; [unrolled: 1-line block ×4, first 2 shown]
	ds_write2_b32 v1, v9, v3 offset0:48 offset1:60
	v_mul_f32_e32 v3, v2, v15
	v_mov_b32_e32 v2, v9
	v_sub_f32_e32 v13, v13, v19
	v_pk_mul_f32 v[4:5], v[2:3], v[44:45]
	v_sub_f32_e32 v8, v6, v7
	v_sub_f32_e32 v4, v13, v4
	;; [unrolled: 1-line block ×3, first 2 shown]
	v_mul_f32_e32 v5, v4, v43
	v_mov_b32_e32 v4, v3
	v_mov_b32_e32 v6, v63
	;; [unrolled: 1-line block ×4, first 2 shown]
	v_pk_mul_f32 v[6:7], v[4:5], v[6:7]
	ds_read_b32 v14, v50
	v_sub_f32_e32 v4, v8, v6
	v_pk_mul_f32 v[8:9], v[2:3], v[16:17]
	ds_write2_b32 v1, v5, v3 offset0:24 offset1:36
	v_sub_f32_e32 v2, v18, v8
	v_sub_f32_e32 v6, v2, v9
	;; [unrolled: 1-line block ×3, first 2 shown]
	v_mul_f32_e32 v3, v2, v11
	v_mov_b32_e32 v2, v5
	v_mov_b32_e32 v13, v10
	v_pk_mul_f32 v[4:5], v[2:3], v[12:13]
	s_nop 0
	v_sub_f32_e32 v2, v6, v4
	v_sub_f32_e32 v2, v2, v5
	s_waitcnt lgkmcnt(1)
	v_mul_f32_e32 v2, v2, v14
	ds_write2_b32 v1, v2, v3 offset1:12
	s_cmp_gt_i32 s5, -1
	s_cbranch_scc1 .LBB11_38
	s_branch .LBB11_60
.LBB11_37:
	s_mov_b32 s5, s4
	s_cmp_gt_i32 s5, -1
	s_cbranch_scc0 .LBB11_60
.LBB11_38:
	s_cmp_lt_u32 s5, 7
	s_cbranch_scc1 .LBB11_43
; %bb.39:
	s_mul_i32 s6, s5, 48
	v_add_u32_e32 v10, s6, v1
	v_subrev_u32_e32 v2, 48, v10
	v_add_u32_e32 v3, 0xffffffa0, v10
	v_add_u32_e32 v4, 0xffffff70, v10
	;; [unrolled: 1-line block ×6, first 2 shown]
	ds_read_b32 v8, v10
	ds_read_b32 v9, v2
	;; [unrolled: 1-line block ×8, first 2 shown]
	s_cmp_le_i32 s4, s5
	s_cbranch_scc1 .LBB11_42
; %bb.40:
	s_mul_i32 s7, s18, 48
	s_lshl_b32 s10, s5, 2
	v_lshl_add_u32 v11, v0, 2, s7
	s_add_i32 s7, s7, s10
	v_add_u32_e32 v11, 0x210, v11
	s_addk_i32 s7, 0xffb4
	s_mov_b32 s10, s4
.LBB11_41:                              ; =>This Inner Loop Header: Depth=1
	v_mov_b32_e32 v13, s7
	ds_read_b32 v12, v11
	ds_read2_b32 v[14:15], v13 offset0:6 offset1:7
	ds_read2_b32 v[16:17], v13 offset0:4 offset1:5
	;; [unrolled: 1-line block ×3, first 2 shown]
	ds_read2_b32 v[20:21], v13 offset1:1
	s_add_i32 s10, s10, -1
	s_sub_i32 s7, s7, 48
	v_subrev_u32_e32 v11, 48, v11
	s_waitcnt lgkmcnt(3)
	v_pk_mul_f32 v[14:15], v[12:13], v[14:15] op_sel_hi:[0,1]
	s_waitcnt lgkmcnt(2)
	v_pk_mul_f32 v[16:17], v[12:13], v[16:17] op_sel_hi:[0,1]
	;; [unrolled: 2-line block ×4, first 2 shown]
	s_cmp_gt_i32 s10, s5
	v_pk_add_f32 v[8:9], v[8:9], v[14:15] op_sel:[0,1] op_sel_hi:[1,0] neg_lo:[0,1] neg_hi:[0,1]
	v_pk_add_f32 v[6:7], v[6:7], v[16:17] op_sel:[0,1] op_sel_hi:[1,0] neg_lo:[0,1] neg_hi:[0,1]
	;; [unrolled: 1-line block ×4, first 2 shown]
	s_cbranch_scc1 .LBB11_41
.LBB11_42:
	s_lshl_b32 s7, s5, 2
	s_add_i32 s10, s7, -4
	s_add_i32 s10, s10, s6
	v_mov_b32_e32 v11, s10
	s_sub_i32 s10, s10, 48
	v_mov_b32_e32 v14, s10
	s_sub_i32 s10, s6, 48
	s_add_i32 s11, s7, -12
	s_add_i32 s14, s11, s10
	v_mov_b32_e32 v16, s14
	s_add_i32 s14, s6, 0xffffffa0
	s_add_i32 s13, s11, s6
	;; [unrolled: 1-line block ×3, first 2 shown]
	v_mov_b32_e32 v15, s13
	v_mov_b32_e32 v18, s11
	s_add_i32 s11, s13, 0xffffff70
	s_sub_i32 s13, s7, 20
	s_add_i32 s16, s13, s10
	v_mov_b32_e32 v20, s11
	s_add_i32 s11, s6, 0xffffff70
	v_mov_b32_e32 v22, s16
	s_add_i32 s16, s13, s14
	v_mov_b32_e32 v24, s16
	s_add_i32 s16, s13, s11
	v_mov_b32_e32 v25, s16
	s_add_i32 s16, s6, 0xffffff40
	s_sub_i32 s7, s7, 28
	v_add_u32_e32 v48, s10, v1
	s_add_i32 s15, s13, s6
	s_add_i32 s13, s13, s16
	;; [unrolled: 1-line block ×3, first 2 shown]
	v_mov_b32_e32 v26, s13
	s_add_i32 s13, s15, 0xffffff10
	v_mov_b32_e32 v30, s10
	s_add_i32 s10, s7, s14
	ds_read2_b32 v[12:13], v11 offset1:1
	ds_read_b32 v11, v14
	ds_read2_b32 v[14:15], v15 offset1:1
	ds_read2_b32 v[16:17], v16 offset1:1
	v_mov_b32_e32 v21, s15
	v_mov_b32_e32 v28, s13
	s_add_i32 s15, s7, s6
	v_mov_b32_e32 v32, s10
	s_add_i32 s10, s7, s11
	ds_read2_b32 v[18:19], v18 offset1:1
	ds_read_b32 v51, v20
	ds_read2_b32 v[20:21], v21 offset1:1
	ds_read2_b32 v[22:23], v22 offset1:1
	;; [unrolled: 1-line block ×5, first 2 shown]
	ds_read_b32 v53, v28
	v_mov_b32_e32 v28, s15
	v_mov_b32_e32 v33, s10
	ds_read2_b32 v[28:29], v28 offset1:1
	ds_read2_b32 v[30:31], v30 offset1:1
	ds_read2_b32 v[56:57], v32 offset1:1
	ds_read2_b32 v[32:33], v33 offset1:1
	s_add_i32 s13, s6, 0xffffff10
	s_add_i32 s10, s7, s16
	s_addk_i32 s6, 0xfee0
	s_waitcnt lgkmcnt(14)
	v_mul_f32_e32 v8, v8, v13
	v_mov_b32_e32 v34, s10
	s_add_i32 s10, s7, s13
	s_add_i32 s7, s7, s6
	v_fma_f32 v9, -v8, v12, v9
	v_mov_b32_e32 v37, s10
	v_mov_b32_e32 v40, s7
	v_add_u32_e32 v55, s6, v1
	s_add_i32 s6, s15, 0xfffffeb0
	s_waitcnt lgkmcnt(12)
	v_mov_b32_e32 v44, v16
	v_mov_b32_e32 v16, v15
	v_mul_f32_e32 v9, v9, v11
	ds_read2_b32 v[60:61], v34 offset1:1
	s_waitcnt lgkmcnt(3)
	v_mov_b32_e32 v34, v30
	s_waitcnt lgkmcnt(2)
	v_mov_b32_e32 v35, v56
	v_mov_b32_e32 v30, s6
	ds_read2_b32 v[38:39], v37 offset1:1
	ds_read2_b32 v[40:41], v40 offset1:1
	ds_read_b32 v56, v30
	v_mov_b32_e32 v46, v21
	v_mov_b32_e32 v47, v23
	ds_write_b32 v10, v8
	v_pk_mul_f32 v[10:11], v[8:9], v[16:17]
	v_fma_f32 v12, -v8, v14, v7
	v_sub_f32_e32 v10, v6, v10
	v_pk_mul_f32 v[6:7], v[8:9], v[46:47]
	v_mov_b32_e32 v30, v29
	v_sub_f32_e32 v6, v4, v6
	v_fma_f32 v13, -v8, v20, v5
	v_pk_mul_f32 v[4:5], v[8:9], v[30:31]
	v_mov_b32_e32 v45, v18
	v_sub_f32_e32 v4, v2, v4
	v_sub_f32_e32 v2, v10, v11
	v_fma_f32 v14, -v8, v28, v3
	v_mul_f32_e32 v3, v2, v19
	v_mov_b32_e32 v2, v9
	ds_write_b32 v48, v9
	v_pk_mul_f32 v[8:9], v[2:3], v[44:45]
	v_mov_b32_e32 v23, v58
	v_sub_f32_e32 v8, v12, v8
	v_sub_f32_e32 v11, v4, v5
	;; [unrolled: 1-line block ×3, first 2 shown]
	v_add_u32_e32 v49, s14, v1
	v_mov_b32_e32 v42, v59
	v_mov_b32_e32 v43, v25
	v_sub_f32_e32 v10, v6, v7
	v_pk_mul_f32 v[6:7], v[2:3], v[22:23]
	v_mul_f32_e32 v5, v4, v51
	v_mov_b32_e32 v4, v3
	s_waitcnt lgkmcnt(6)
	v_mov_b32_e32 v36, v32
	v_sub_f32_e32 v6, v13, v6
	ds_write_b32 v49, v3
	v_pk_mul_f32 v[8:9], v[4:5], v[42:43]
	v_mov_b32_e32 v32, v57
	v_pk_mul_f32 v[2:3], v[2:3], v[34:35]
	v_sub_f32_e32 v8, v10, v8
	v_sub_f32_e32 v10, v6, v7
	v_pk_mul_f32 v[6:7], v[4:5], v[32:33]
	v_sub_f32_e32 v2, v14, v2
	v_sub_f32_e32 v6, v11, v6
	;; [unrolled: 1-line block ×4, first 2 shown]
	v_add_u32_e32 v50, s11, v1
	v_mov_b32_e32 v25, v26
	v_mul_f32_e32 v3, v2, v27
	v_mov_b32_e32 v2, v5
	ds_write_b32 v50, v5
	v_pk_mul_f32 v[4:5], v[2:3], v[24:25]
	v_add_u32_e32 v52, s16, v1
	v_sub_f32_e32 v4, v10, v4
	v_sub_f32_e32 v4, v4, v5
	s_waitcnt lgkmcnt(7)
	v_mov_b32_e32 v37, v60
	v_sub_f32_e32 v8, v6, v7
	v_mul_f32_e32 v5, v4, v53
	v_mov_b32_e32 v4, v3
	v_mov_b32_e32 v6, v61
	s_waitcnt lgkmcnt(6)
	v_mov_b32_e32 v7, v39
	ds_write_b32 v52, v3
	v_pk_mul_f32 v[6:7], v[4:5], v[6:7]
	v_pk_mul_f32 v[2:3], v[2:3], v[36:37]
	v_sub_f32_e32 v4, v8, v6
	v_sub_f32_e32 v2, v11, v2
	;; [unrolled: 1-line block ×4, first 2 shown]
	v_add_u32_e32 v54, s13, v1
	s_waitcnt lgkmcnt(6)
	v_mul_f32_e32 v3, v2, v41
	v_mov_b32_e32 v2, v5
	v_mov_b32_e32 v39, v40
	ds_write_b32 v54, v5
	ds_write_b32 v55, v3
	v_pk_mul_f32 v[2:3], v[2:3], v[38:39]
	s_add_i32 s5, s5, -8
	v_sub_f32_e32 v2, v6, v2
	v_sub_f32_e32 v2, v2, v3
	s_waitcnt lgkmcnt(7)
	v_mul_f32_e32 v2, v2, v56
	v_subrev_u32_e32 v3, 48, v55
	ds_write_b32 v3, v2
.LBB11_43:
	s_cmp_lt_i32 s5, 0
	s_cbranch_scc1 .LBB11_60
; %bb.44:
	s_and_b32 s6, s5, 3
	s_cmp_eq_u32 s6, 3
	s_mul_i32 s7, s18, 48
	s_mov_b32 s6, s5
	s_cbranch_scc1 .LBB11_49
; %bb.45:
	s_add_i32 s6, s5, 1
	s_and_b32 s10, s6, 3
	s_lshl_b32 s6, s5, 2
	s_add_i32 s6, s7, s6
	v_lshl_add_u32 v2, v0, 2, s7
	s_sub_i32 s11, s6, 48
	v_add_u32_e32 v3, 0x210, v2
	s_mov_b32 s13, 0
	s_mov_b32 s6, s5
	s_branch .LBB11_47
.LBB11_46:                              ;   in Loop: Header=BB11_47 Depth=1
	s_mul_i32 s14, s6, 52
	v_mov_b32_e32 v5, s14
	ds_read_b32 v5, v5
	s_add_i32 s6, s6, -1
	s_add_i32 s13, s13, 1
	s_add_i32 s11, s11, -4
	s_cmp_lg_u32 s13, s10
	s_waitcnt lgkmcnt(0)
	v_mul_f32_e32 v2, v2, v5
	ds_write_b32 v4, v2
	s_cbranch_scc0 .LBB11_49
.LBB11_47:                              ; =>This Loop Header: Depth=1
                                        ;     Child Loop BB11_48 Depth 2
	s_mul_i32 s14, s6, 48
	v_add_u32_e32 v4, s14, v1
	ds_read_b32 v2, v4
	s_cmp_le_i32 s4, s6
	v_mov_b32_e32 v5, v3
	s_mov_b32 s14, s11
	s_mov_b32 s15, s4
	s_cbranch_scc1 .LBB11_46
.LBB11_48:                              ;   Parent Loop BB11_47 Depth=1
                                        ; =>  This Inner Loop Header: Depth=2
	v_mov_b32_e32 v7, s14
	ds_read_b32 v6, v5
	ds_read_b32 v7, v7
	s_add_i32 s15, s15, -1
	s_sub_i32 s14, s14, 48
	v_subrev_u32_e32 v5, 48, v5
	s_cmp_gt_i32 s15, s6
	s_waitcnt lgkmcnt(0)
	v_fma_f32 v2, -v6, v7, v2
	s_cbranch_scc1 .LBB11_48
	s_branch .LBB11_46
.LBB11_49:
	s_cmp_lt_u32 s5, 3
	s_cbranch_scc1 .LBB11_60
; %bb.50:
	s_lshl_b32 s5, s6, 2
	s_add_i32 s11, s7, s5
	v_lshl_add_u32 v2, v0, 2, s7
	s_sub_i32 s5, s11, 48
	v_add_u32_e32 v3, 0x210, v2
	s_sub_i32 s7, s11, 52
	s_sub_i32 s10, s11, 56
	;; [unrolled: 1-line block ×3, first 2 shown]
	s_branch .LBB11_52
.LBB11_51:                              ;   in Loop: Header=BB11_52 Depth=1
	s_sub_i32 s13, s14, 52
	v_mov_b32_e32 v2, s13
	ds_read_b32 v2, v2
	s_add_i32 s13, s6, -4
	s_add_i32 s5, s5, -16
	;; [unrolled: 1-line block ×5, first 2 shown]
	s_waitcnt lgkmcnt(0)
	v_mul_f32_e32 v2, v4, v2
	s_cmp_lt_i32 s6, 4
	s_mov_b32 s6, s13
	ds_write_b32 v5, v2
	s_cbranch_scc1 .LBB11_60
.LBB11_52:                              ; =>This Loop Header: Depth=1
                                        ;     Child Loop BB11_53 Depth 2
                                        ;     Child Loop BB11_55 Depth 2
	;; [unrolled: 1-line block ×4, first 2 shown]
	s_mul_i32 s13, s6, 48
	v_add_u32_e32 v6, s13, v1
	ds_read_b32 v2, v6
	s_cmp_le_i32 s4, s6
	v_mov_b32_e32 v4, v3
	s_mov_b32 s14, s5
	s_mov_b32 s15, s4
	s_cbranch_scc1 .LBB11_54
.LBB11_53:                              ;   Parent Loop BB11_52 Depth=1
                                        ; =>  This Inner Loop Header: Depth=2
	v_mov_b32_e32 v7, s14
	ds_read_b32 v5, v4
	ds_read_b32 v7, v7
	s_add_i32 s15, s15, -1
	s_sub_i32 s14, s14, 48
	v_subrev_u32_e32 v4, 48, v4
	s_cmp_gt_i32 s15, s6
	s_waitcnt lgkmcnt(0)
	v_fma_f32 v2, -v5, v7, v2
	s_cbranch_scc1 .LBB11_53
.LBB11_54:                              ;   in Loop: Header=BB11_52 Depth=1
	s_mul_i32 s14, s6, 52
	v_mov_b32_e32 v4, s14
	ds_read_b32 v7, v4
	s_sub_i32 s13, s13, 48
	v_add_u32_e32 v5, s13, v1
	ds_read_b32 v4, v5
	s_cmp_le_i32 s18, s6
	s_waitcnt lgkmcnt(1)
	v_mul_f32_e32 v2, v2, v7
	ds_write_b32 v6, v2
	v_mov_b32_e32 v2, v3
	s_mov_b32 s15, s7
	s_mov_b32 s16, s18
	s_cbranch_scc1 .LBB11_56
.LBB11_55:                              ;   Parent Loop BB11_52 Depth=1
                                        ; =>  This Inner Loop Header: Depth=2
	v_mov_b32_e32 v7, s15
	ds_read_b32 v6, v2
	ds_read_b32 v7, v7
	s_add_i32 s16, s16, -1
	s_sub_i32 s15, s15, 48
	v_subrev_u32_e32 v2, 48, v2
	s_cmp_gt_i32 s16, s6
	s_waitcnt lgkmcnt(0)
	v_fma_f32 v4, -v6, v7, v4
	s_cbranch_scc1 .LBB11_55
.LBB11_56:                              ;   in Loop: Header=BB11_52 Depth=1
	s_sub_i32 s14, s14, 52
	v_mov_b32_e32 v2, s14
	ds_read_b32 v7, v2
	s_sub_i32 s13, s13, 48
	v_add_u32_e32 v6, s13, v1
	ds_read_b32 v2, v6
	s_add_i32 s15, s6, -2
	s_waitcnt lgkmcnt(1)
	v_mul_f32_e32 v4, v4, v7
	ds_write_b32 v5, v4
	s_cmp_le_i32 s4, s15
	v_mov_b32_e32 v4, v3
	s_mov_b32 s16, s10
	s_mov_b32 s17, s4
	s_cbranch_scc1 .LBB11_58
.LBB11_57:                              ;   Parent Loop BB11_52 Depth=1
                                        ; =>  This Inner Loop Header: Depth=2
	v_mov_b32_e32 v7, s16
	ds_read_b32 v5, v4
	ds_read_b32 v7, v7
	s_add_i32 s17, s17, -1
	s_sub_i32 s16, s16, 48
	v_subrev_u32_e32 v4, 48, v4
	s_cmp_gt_i32 s17, s15
	s_waitcnt lgkmcnt(0)
	v_fma_f32 v2, -v5, v7, v2
	s_cbranch_scc1 .LBB11_57
.LBB11_58:                              ;   in Loop: Header=BB11_52 Depth=1
	s_sub_i32 s14, s14, 52
	v_mov_b32_e32 v4, s14
	ds_read_b32 v7, v4
	s_sub_i32 s13, s13, 48
	v_add_u32_e32 v5, s13, v1
	ds_read_b32 v4, v5
	s_add_i32 s15, s6, -3
	s_waitcnt lgkmcnt(1)
	v_mul_f32_e32 v2, v2, v7
	ds_write_b32 v6, v2
	s_cmp_le_i32 s4, s15
	v_mov_b32_e32 v2, v3
	s_mov_b32 s13, s11
	s_mov_b32 s16, s4
	s_cbranch_scc1 .LBB11_51
.LBB11_59:                              ;   Parent Loop BB11_52 Depth=1
                                        ; =>  This Inner Loop Header: Depth=2
	v_mov_b32_e32 v7, s13
	ds_read_b32 v6, v2
	ds_read_b32 v7, v7
	s_add_i32 s16, s16, -1
	s_sub_i32 s13, s13, 48
	v_subrev_u32_e32 v2, 48, v2
	s_cmp_gt_i32 s16, s15
	s_waitcnt lgkmcnt(0)
	v_fma_f32 v4, -v6, v7, v4
	s_cbranch_scc1 .LBB11_59
	s_branch .LBB11_51
.LBB11_60:
	s_waitcnt lgkmcnt(0)
	; wave barrier
	s_and_saveexec_b64 s[4:5], s[0:1]
	s_cbranch_execz .LBB11_64
; %bb.61:
	s_andn2_b64 vcc, exec, s[8:9]
	s_cbranch_vccnz .LBB11_64
; %bb.62:
	v_mad_i64_i32 v[2:3], s[0:1], s12, v0, 0
	v_mov_b32_e32 v1, 0x240
	v_lshl_add_u64 v[2:3], v[2:3], 2, s[2:3]
	v_lshl_or_b32 v0, v0, 2, v1
.LBB11_63:                              ; =>This Inner Loop Header: Depth=1
	ds_read_b32 v1, v0
	s_add_i32 s18, s18, -1
	v_add_u32_e32 v0, 48, v0
	s_cmp_lg_u32 s18, 0
	s_waitcnt lgkmcnt(0)
	flat_store_dword v[2:3], v1
	v_lshl_add_u64 v[2:3], v[2:3], 0, 4
	s_cbranch_scc1 .LBB11_63
.LBB11_64:
	s_endpgm
	.section	.rodata,"a",@progbits
	.p2align	6, 0x0
	.amdhsa_kernel _ZL38rocblas_trsm_small_left_device_sharedBILi12ELi12ELb0EffPKPKfPKPfEv13rocblas_fill_18rocblas_operation_17rocblas_diagonal_iiT3_T4_lilT5_lili
		.amdhsa_group_segment_fixed_size 1152
		.amdhsa_private_segment_fixed_size 0
		.amdhsa_kernarg_size 352
		.amdhsa_user_sgpr_count 2
		.amdhsa_user_sgpr_dispatch_ptr 0
		.amdhsa_user_sgpr_queue_ptr 0
		.amdhsa_user_sgpr_kernarg_segment_ptr 1
		.amdhsa_user_sgpr_dispatch_id 0
		.amdhsa_user_sgpr_kernarg_preload_length 0
		.amdhsa_user_sgpr_kernarg_preload_offset 0
		.amdhsa_user_sgpr_private_segment_size 0
		.amdhsa_uses_dynamic_stack 0
		.amdhsa_enable_private_segment 0
		.amdhsa_system_sgpr_workgroup_id_x 1
		.amdhsa_system_sgpr_workgroup_id_y 0
		.amdhsa_system_sgpr_workgroup_id_z 1
		.amdhsa_system_sgpr_workgroup_info 0
		.amdhsa_system_vgpr_workitem_id 0
		.amdhsa_next_free_vgpr 65
		.amdhsa_next_free_sgpr 30
		.amdhsa_accum_offset 68
		.amdhsa_reserve_vcc 1
		.amdhsa_float_round_mode_32 0
		.amdhsa_float_round_mode_16_64 0
		.amdhsa_float_denorm_mode_32 3
		.amdhsa_float_denorm_mode_16_64 3
		.amdhsa_dx10_clamp 1
		.amdhsa_ieee_mode 1
		.amdhsa_fp16_overflow 0
		.amdhsa_tg_split 0
		.amdhsa_exception_fp_ieee_invalid_op 0
		.amdhsa_exception_fp_denorm_src 0
		.amdhsa_exception_fp_ieee_div_zero 0
		.amdhsa_exception_fp_ieee_overflow 0
		.amdhsa_exception_fp_ieee_underflow 0
		.amdhsa_exception_fp_ieee_inexact 0
		.amdhsa_exception_int_div_zero 0
	.end_amdhsa_kernel
	.section	.text._ZL38rocblas_trsm_small_left_device_sharedBILi12ELi12ELb0EffPKPKfPKPfEv13rocblas_fill_18rocblas_operation_17rocblas_diagonal_iiT3_T4_lilT5_lili,"axG",@progbits,_ZL38rocblas_trsm_small_left_device_sharedBILi12ELi12ELb0EffPKPKfPKPfEv13rocblas_fill_18rocblas_operation_17rocblas_diagonal_iiT3_T4_lilT5_lili,comdat
.Lfunc_end11:
	.size	_ZL38rocblas_trsm_small_left_device_sharedBILi12ELi12ELb0EffPKPKfPKPfEv13rocblas_fill_18rocblas_operation_17rocblas_diagonal_iiT3_T4_lilT5_lili, .Lfunc_end11-_ZL38rocblas_trsm_small_left_device_sharedBILi12ELi12ELb0EffPKPKfPKPfEv13rocblas_fill_18rocblas_operation_17rocblas_diagonal_iiT3_T4_lilT5_lili
                                        ; -- End function
	.set _ZL38rocblas_trsm_small_left_device_sharedBILi12ELi12ELb0EffPKPKfPKPfEv13rocblas_fill_18rocblas_operation_17rocblas_diagonal_iiT3_T4_lilT5_lili.num_vgpr, 65
	.set _ZL38rocblas_trsm_small_left_device_sharedBILi12ELi12ELb0EffPKPKfPKPfEv13rocblas_fill_18rocblas_operation_17rocblas_diagonal_iiT3_T4_lilT5_lili.num_agpr, 0
	.set _ZL38rocblas_trsm_small_left_device_sharedBILi12ELi12ELb0EffPKPKfPKPfEv13rocblas_fill_18rocblas_operation_17rocblas_diagonal_iiT3_T4_lilT5_lili.numbered_sgpr, 30
	.set _ZL38rocblas_trsm_small_left_device_sharedBILi12ELi12ELb0EffPKPKfPKPfEv13rocblas_fill_18rocblas_operation_17rocblas_diagonal_iiT3_T4_lilT5_lili.num_named_barrier, 0
	.set _ZL38rocblas_trsm_small_left_device_sharedBILi12ELi12ELb0EffPKPKfPKPfEv13rocblas_fill_18rocblas_operation_17rocblas_diagonal_iiT3_T4_lilT5_lili.private_seg_size, 0
	.set _ZL38rocblas_trsm_small_left_device_sharedBILi12ELi12ELb0EffPKPKfPKPfEv13rocblas_fill_18rocblas_operation_17rocblas_diagonal_iiT3_T4_lilT5_lili.uses_vcc, 1
	.set _ZL38rocblas_trsm_small_left_device_sharedBILi12ELi12ELb0EffPKPKfPKPfEv13rocblas_fill_18rocblas_operation_17rocblas_diagonal_iiT3_T4_lilT5_lili.uses_flat_scratch, 0
	.set _ZL38rocblas_trsm_small_left_device_sharedBILi12ELi12ELb0EffPKPKfPKPfEv13rocblas_fill_18rocblas_operation_17rocblas_diagonal_iiT3_T4_lilT5_lili.has_dyn_sized_stack, 0
	.set _ZL38rocblas_trsm_small_left_device_sharedBILi12ELi12ELb0EffPKPKfPKPfEv13rocblas_fill_18rocblas_operation_17rocblas_diagonal_iiT3_T4_lilT5_lili.has_recursion, 0
	.set _ZL38rocblas_trsm_small_left_device_sharedBILi12ELi12ELb0EffPKPKfPKPfEv13rocblas_fill_18rocblas_operation_17rocblas_diagonal_iiT3_T4_lilT5_lili.has_indirect_call, 0
	.section	.AMDGPU.csdata,"",@progbits
; Kernel info:
; codeLenInByte = 7060
; TotalNumSgprs: 36
; NumVgprs: 65
; NumAgprs: 0
; TotalNumVgprs: 65
; ScratchSize: 0
; MemoryBound: 0
; FloatMode: 240
; IeeeMode: 1
; LDSByteSize: 1152 bytes/workgroup (compile time only)
; SGPRBlocks: 4
; VGPRBlocks: 8
; NumSGPRsForWavesPerEU: 36
; NumVGPRsForWavesPerEU: 65
; AccumOffset: 68
; Occupancy: 7
; WaveLimiterHint : 0
; COMPUTE_PGM_RSRC2:SCRATCH_EN: 0
; COMPUTE_PGM_RSRC2:USER_SGPR: 2
; COMPUTE_PGM_RSRC2:TRAP_HANDLER: 0
; COMPUTE_PGM_RSRC2:TGID_X_EN: 1
; COMPUTE_PGM_RSRC2:TGID_Y_EN: 0
; COMPUTE_PGM_RSRC2:TGID_Z_EN: 1
; COMPUTE_PGM_RSRC2:TIDIG_COMP_CNT: 0
; COMPUTE_PGM_RSRC3_GFX90A:ACCUM_OFFSET: 16
; COMPUTE_PGM_RSRC3_GFX90A:TG_SPLIT: 0
	.section	.text._ZL30rocblas_trsm_small_left_deviceILi12ELi12ELb0EffPKPKfPKPfEv13rocblas_fill_18rocblas_operation_17rocblas_diagonal_iiT3_T4_lilT5_lili,"axG",@progbits,_ZL30rocblas_trsm_small_left_deviceILi12ELi12ELb0EffPKPKfPKPfEv13rocblas_fill_18rocblas_operation_17rocblas_diagonal_iiT3_T4_lilT5_lili,comdat
	.globl	_ZL30rocblas_trsm_small_left_deviceILi12ELi12ELb0EffPKPKfPKPfEv13rocblas_fill_18rocblas_operation_17rocblas_diagonal_iiT3_T4_lilT5_lili ; -- Begin function _ZL30rocblas_trsm_small_left_deviceILi12ELi12ELb0EffPKPKfPKPfEv13rocblas_fill_18rocblas_operation_17rocblas_diagonal_iiT3_T4_lilT5_lili
	.p2align	8
	.type	_ZL30rocblas_trsm_small_left_deviceILi12ELi12ELb0EffPKPKfPKPfEv13rocblas_fill_18rocblas_operation_17rocblas_diagonal_iiT3_T4_lilT5_lili,@function
_ZL30rocblas_trsm_small_left_deviceILi12ELi12ELb0EffPKPKfPKPfEv13rocblas_fill_18rocblas_operation_17rocblas_diagonal_iiT3_T4_lilT5_lili: ; @_ZL30rocblas_trsm_small_left_deviceILi12ELi12ELb0EffPKPKfPKPfEv13rocblas_fill_18rocblas_operation_17rocblas_diagonal_iiT3_T4_lilT5_lili
; %bb.0:
	s_load_dwordx4 s[8:11], s[0:1], 0x38
	s_load_dwordx4 s[4:7], s[0:1], 0x4
	s_load_dword s16, s[0:1], 0x14
	s_mov_b32 s20, s3
	s_mov_b32 s21, 0
	s_lshl_b64 s[24:25], s[20:21], 3
	s_waitcnt lgkmcnt(0)
	s_add_u32 s8, s8, s24
	s_addc_u32 s9, s9, s25
	s_load_dwordx2 s[8:9], s[8:9], 0x0
	s_min_i32 s17, s6, 12
	v_cmp_gt_i32_e32 vcc, s17, v0
	s_and_saveexec_b64 s[18:19], vcc
	s_cbranch_execz .LBB12_11
; %bb.1:
	s_load_dwordx4 s[12:15], s[0:1], 0x18
	s_load_dword s22, s[0:1], 0x28
	v_lshlrev_b32_e32 v2, 2, v0
	v_mov_b32_e32 v3, 0
	s_mov_b32 s3, 1
	s_waitcnt lgkmcnt(0)
	s_add_u32 s12, s12, s24
	s_addc_u32 s13, s13, s25
	s_load_dwordx2 s[12:13], s[12:13], 0x0
	s_cmp_lt_u32 s17, 2
	s_cselect_b64 s[26:27], -1, 0
	s_cmp_lg_u32 s22, 1
	s_cselect_b64 s[28:29], -1, 0
	s_or_b64 s[26:27], s[26:27], s[28:29]
	s_mov_b64 s[24:25], -1
	s_and_b64 vcc, exec, s[26:27]
	s_cbranch_vccnz .LBB12_5
; %bb.2:
	s_lshl_b64 s[20:21], s[14:15], 2
	s_waitcnt lgkmcnt(0)
	s_add_u32 s20, s12, s20
	s_addc_u32 s21, s13, s21
	v_lshl_add_u64 v[4:5], s[20:21], 0, v[2:3]
	s_and_b32 s21, s17, -2
	s_mov_b32 s20, 0
	s_mov_b32 s23, s21
.LBB12_3:                               ; =>This Inner Loop Header: Depth=1
	flat_load_dwordx2 v[6:7], v[4:5]
	v_mad_u64_u32 v[8:9], s[24:25], s20, 48, v[2:3]
	v_mad_u64_u32 v[10:11], s[24:25], s3, 48, v[2:3]
	s_add_i32 s20, s20, 2
	s_add_i32 s3, s3, 2
	s_add_i32 s23, s23, -2
	v_lshl_add_u64 v[4:5], v[4:5], 0, 8
	s_cmp_lg_u32 s23, 0
	s_waitcnt vmcnt(0) lgkmcnt(0)
	ds_write_b32 v8, v6
	ds_write_b32 v10, v7
	s_cbranch_scc1 .LBB12_3
; %bb.4:
	s_cmp_lg_u32 s17, s21
	s_cselect_b64 s[24:25], -1, 0
.LBB12_5:
	s_and_b64 vcc, exec, s[24:25]
	s_cbranch_vccz .LBB12_8
; %bb.6:
	s_ashr_i32 s23, s22, 31
	s_mul_hi_u32 s3, s22, s21
	s_mul_i32 s20, s23, s21
	s_add_i32 s25, s3, s20
	s_mul_i32 s24, s22, s21
	s_lshl_b64 s[24:25], s[24:25], 2
	s_lshl_b64 s[14:15], s[14:15], 2
	s_add_u32 s3, s24, s14
	s_addc_u32 s14, s25, s15
	s_waitcnt lgkmcnt(0)
	s_add_u32 s12, s12, s3
	v_mov_b32_e32 v3, 0
	s_addc_u32 s13, s13, s14
	s_mul_i32 s14, s21, 48
	v_lshl_add_u64 v[4:5], s[12:13], 0, v[2:3]
	s_lshl_b64 s[12:13], s[22:23], 2
	s_sub_i32 s3, s17, s21
	v_lshl_add_u32 v1, v0, 2, s14
.LBB12_7:                               ; =>This Inner Loop Header: Depth=1
	flat_load_dword v3, v[4:5]
	s_add_i32 s3, s3, -1
	v_lshl_add_u64 v[4:5], v[4:5], 0, s[12:13]
	s_cmp_eq_u32 s3, 0
	s_waitcnt vmcnt(0) lgkmcnt(0)
	ds_write_b32 v1, v3
	v_add_u32_e32 v1, 48, v1
	s_cbranch_scc0 .LBB12_7
.LBB12_8:
	v_mul_u32_u24_e32 v1, 48, v0
	s_cmpk_lg_i32 s5, 0x84
	v_mov_b32_e32 v3, 1.0
	v_add_u32_e32 v1, v2, v1
	s_cbranch_scc0 .LBB12_10
; %bb.9:
	ds_read_b32 v2, v1
	s_waitcnt lgkmcnt(0)
	v_div_scale_f32 v3, s[12:13], v2, v2, 1.0
	v_rcp_f32_e32 v4, v3
	v_div_scale_f32 v5, vcc, 1.0, v2, 1.0
	v_fma_f32 v6, -v3, v4, 1.0
	v_fmac_f32_e32 v4, v6, v4
	v_mul_f32_e32 v6, v5, v4
	v_fma_f32 v7, -v3, v6, v5
	v_fmac_f32_e32 v6, v7, v4
	v_fma_f32 v3, -v3, v6, v5
	v_div_fmas_f32 v3, v3, v4, v6
	v_div_fixup_f32 v3, v3, v2, 1.0
.LBB12_10:
	ds_write_b32 v1, v3
.LBB12_11:
	s_or_b64 exec, exec, s[18:19]
	s_load_dword s3, s[0:1], 0x60
	s_mul_i32 s5, s2, -12
	s_add_i32 s5, s7, s5
	s_waitcnt lgkmcnt(0)
	; wave barrier
	s_add_i32 s3, s3, -1
	s_cmp_ge_u32 s2, s3
	s_cselect_b32 s3, s5, 12
	v_cmp_gt_i32_e32 vcc, s3, v0
	s_and_saveexec_b64 s[12:13], vcc
	s_cbranch_execz .LBB12_60
; %bb.12:
	s_load_dword s5, s[0:1], 0x48
	s_lshl_b64 s[0:1], s[10:11], 2
	s_add_u32 s10, s8, s0
	v_mad_u64_u32 v[0:1], s[2:3], s2, 12, v[0:1]
	s_addc_u32 s11, s9, s1
	s_waitcnt lgkmcnt(0)
	v_mad_i64_i32 v[0:1], s[2:3], s5, v0, 0
	v_lshl_add_u64 v[12:13], v[0:1], 2, s[10:11]
	s_cmpk_eq_i32 s4, 0x6f
	s_mov_b64 s[2:3], -1
	s_cbranch_scc1 .LBB12_34
; %bb.13:
	s_cmp_lt_i32 s6, 12
	s_cselect_b64 s[10:11], -1, 0
	s_cmp_gt_i32 s6, 11
	s_cbranch_scc0 .LBB12_15
; %bb.14:
	flat_load_dwordx4 v[2:5], v[12:13]
	flat_load_dwordx4 v[6:9], v[12:13] offset:16
	flat_load_dwordx4 v[14:17], v[12:13] offset:32
	v_mov_b32_e32 v49, 0
	ds_read_b32 v11, v49
	ds_read_b64 v[62:63], v49 offset:48
	ds_read_b96 v[46:48], v49 offset:96
	ds_read2_b32 v[64:65], v49 offset0:52 offset1:65
	ds_read2_b32 v[66:67], v49 offset0:91 offset1:104
	ds_read_b96 v[50:52], v49 offset:512
	ds_read_b96 v[54:56], v49 offset:528
	ds_read2_b32 v[68:69], v49 offset0:135 offset1:136
	ds_read2_b32 v[70:71], v49 offset0:137 offset1:138
	;; [unrolled: 1-line block ×3, first 2 shown]
	ds_read_b96 v[96:98], v49 offset:432
	ds_read_b128 v[18:21], v49 offset:400
	ds_read_b96 v[100:102], v49 offset:240
	ds_read2_b32 v[74:75], v49 offset0:63 offset1:64
	ds_read_b96 v[104:106], v49 offset:336
	ds_read2_b32 v[76:77], v49 offset0:87 offset1:88
	ds_read_b32 v53, v49 offset:468
	ds_read2_b32 v[78:79], v49 offset0:115 offset1:116
	ds_read2_b32 v[80:81], v49 offset0:113 offset1:114
	;; [unrolled: 1-line block ×3, first 2 shown]
	ds_read_b128 v[22:25], v49 offset:144
	ds_read_b128 v[26:29], v49 offset:192
	ds_read_b96 v[58:60], v49 offset:304
	ds_read_b128 v[30:33], v49 offset:288
	ds_read2_b32 v[84:85], v49 offset0:89 offset1:90
	ds_read_b128 v[34:37], v49 offset:384
	ds_read_b128 v[38:41], v49 offset:496
	;; [unrolled: 1-line block ×3, first 2 shown]
	v_mov_b32_e32 v10, s16
	s_waitcnt lgkmcnt(0)
	v_mov_b32_e32 v86, v23
	v_mov_b32_e32 v23, v62
	;; [unrolled: 1-line block ×15, first 2 shown]
	s_mov_b32 s2, 12
	s_waitcnt vmcnt(0)
	v_mul_f32_e32 v2, s16, v2
	v_mov_b32_e32 v22, v3
	v_mul_f32_e32 v11, v2, v11
	v_pk_mul_f32 v[22:23], v[10:11], v[22:23]
	v_mov_b32_e32 v56, v5
	v_mov_b32_e32 v96, v7
	;; [unrolled: 1-line block ×4, first 2 shown]
	v_mul_f32_e32 v3, v11, v54
	v_sub_f32_e32 v5, v22, v23
	v_pk_mul_f32 v[56:57], v[10:11], v[56:57]
	v_pk_mul_f32 v[96:97], v[10:11], v[96:97]
	;; [unrolled: 1-line block ×3, first 2 shown]
	v_mov_b32_e32 v2, v11
	v_pk_mul_f32 v[100:101], v[10:11], v[100:101]
	v_fma_f32 v10, s16, v17, -v3
	v_mul_f32_e32 v3, v5, v63
	v_pk_mul_f32 v[22:23], v[2:3], v[34:35]
	v_pk_mul_f32 v[34:35], v[2:3], v[42:43]
	;; [unrolled: 1-line block ×4, first 2 shown]
	v_fma_f32 v4, s16, v4, -v42
	v_pk_mul_f32 v[26:27], v[2:3], v[26:27]
	v_sub_f32_e32 v4, v4, v43
	v_mov_b32_e32 v46, v3
	v_fma_f32 v7, s16, v8, -v30
	v_fma_f32 v6, s16, v6, -v26
	v_mul_f32_e32 v47, v4, v48
	v_sub_f32_e32 v24, v56, v57
	v_fma_f32 v5, s16, v16, -v34
	v_sub_f32_e32 v26, v6, v27
	v_sub_f32_e32 v27, v7, v31
	v_pk_mul_f32 v[6:7], v[46:47], v[86:87]
	v_sub_f32_e32 v30, v5, v35
	v_sub_f32_e32 v5, v24, v6
	;; [unrolled: 1-line block ×3, first 2 shown]
	v_fma_f32 v2, s16, v14, -v22
	v_mov_b32_e32 v4, v47
	v_mul_f32_e32 v5, v5, v25
	v_sub_f32_e32 v2, v2, v23
	v_pk_mul_f32 v[6:7], v[4:5], v[28:29]
	v_pk_mul_f32 v[24:25], v[4:5], v[36:37]
	;; [unrolled: 1-line block ×4, first 2 shown]
	v_sub_f32_e32 v24, v2, v24
	v_sub_f32_e32 v2, v10, v28
	;; [unrolled: 1-line block ×5, first 2 shown]
	v_mov_b32_e32 v2, v11
	v_pk_mul_f32 v[8:9], v[46:47], v[88:89]
	flat_store_dwordx4 v[12:13], v[2:5]
	v_sub_f32_e32 v22, v22, v23
	v_sub_f32_e32 v23, v24, v25
	;; [unrolled: 1-line block ×4, first 2 shown]
	v_mul_f32_e32 v7, v2, v64
	v_mov_b32_e32 v6, v5
	v_sub_f32_e32 v8, v25, v8
	v_pk_mul_f32 v[2:3], v[6:7], v[74:75]
	v_sub_f32_e32 v8, v8, v9
	v_sub_f32_e32 v2, v8, v2
	;; [unrolled: 1-line block ×3, first 2 shown]
	v_pk_mul_f32 v[26:27], v[4:5], v[44:45]
	v_mul_f32_e32 v3, v2, v65
	v_mov_b32_e32 v2, v7
	v_sub_f32_e32 v26, v30, v26
	v_pk_mul_f32 v[8:9], v[2:3], v[58:59]
	v_pk_mul_f32 v[18:19], v[2:3], v[18:19]
	v_sub_f32_e32 v24, v26, v27
	v_sub_f32_e32 v8, v22, v8
	;; [unrolled: 1-line block ×3, first 2 shown]
	v_pk_mul_f32 v[22:23], v[2:3], v[38:39]
	v_pk_mul_f32 v[4:5], v[6:7], v[76:77]
	v_sub_f32_e32 v2, v24, v22
	v_pk_mul_f32 v[24:25], v[6:7], v[68:69]
	v_pk_mul_f32 v[10:11], v[6:7], v[82:83]
	v_sub_f32_e32 v6, v28, v24
	v_pk_mul_f32 v[14:15], v[46:47], v[90:91]
	v_sub_f32_e32 v6, v6, v25
	v_sub_f32_e32 v25, v98, v99
	;; [unrolled: 1-line block ×5, first 2 shown]
	v_mul_f32_e32 v9, v8, v60
	v_mov_b32_e32 v8, v3
	v_sub_f32_e32 v4, v14, v4
	v_sub_f32_e32 v24, v18, v19
	v_pk_mul_f32 v[18:19], v[8:9], v[84:85]
	v_sub_f32_e32 v4, v4, v5
	v_sub_f32_e32 v4, v4, v18
	;; [unrolled: 1-line block ×3, first 2 shown]
	v_mul_f32_e32 v5, v4, v66
	v_mov_b32_e32 v4, v9
	v_sub_f32_e32 v2, v2, v23
	v_pk_mul_f32 v[14:15], v[4:5], v[20:21]
	v_pk_mul_f32 v[18:19], v[4:5], v[40:41]
	;; [unrolled: 1-line block ×4, first 2 shown]
	v_sub_f32_e32 v18, v2, v18
	v_sub_f32_e32 v2, v6, v20
	;; [unrolled: 1-line block ×5, first 2 shown]
	v_pk_mul_f32 v[22:23], v[8:9], v[80:81]
	v_sub_f32_e32 v14, v24, v14
	v_sub_f32_e32 v8, v2, v21
	v_mov_b32_e32 v2, v7
	v_sub_f32_e32 v6, v6, v10
	flat_store_dwordx4 v[12:13], v[2:5] offset:16
	v_sub_f32_e32 v6, v6, v11
	v_sub_f32_e32 v6, v6, v22
	v_sub_f32_e32 v2, v14, v15
	v_mul_f32_e32 v3, v2, v67
	v_mov_b32_e32 v2, v5
	v_pk_mul_f32 v[4:5], v[2:3], v[78:79]
	v_sub_f32_e32 v6, v6, v23
	v_sub_f32_e32 v4, v6, v4
	;; [unrolled: 1-line block ×3, first 2 shown]
	v_mul_f32_e32 v5, v4, v53
	v_mov_b32_e32 v4, v3
	v_pk_mul_f32 v[2:3], v[2:3], v[72:73]
	flat_store_dwordx2 v[12:13], v[4:5] offset:32
	v_sub_f32_e32 v2, v8, v2
	v_sub_f32_e32 v8, v2, v3
	ds_read2_b32 v[2:3], v49 offset0:141 offset1:142
	v_sub_f32_e32 v9, v18, v19
	v_pk_mul_f32 v[6:7], v[4:5], v[50:51]
	s_nop 0
	v_sub_f32_e32 v6, v9, v6
	v_sub_f32_e32 v4, v6, v7
	ds_read_b32 v9, v49 offset:572
	v_mul_f32_e32 v7, v4, v52
	v_mov_b32_e32 v6, v5
	s_waitcnt lgkmcnt(0)
	v_pk_mul_f32 v[2:3], v[6:7], v[2:3]
	s_nop 0
	v_sub_f32_e32 v2, v8, v2
	v_sub_f32_e32 v2, v2, v3
	v_mul_f32_e32 v3, v2, v9
	v_mov_b32_e32 v2, v7
	flat_store_dwordx2 v[12:13], v[2:3] offset:40
	s_cmp_lt_i32 s2, s17
	s_cbranch_scc1 .LBB12_16
	s_branch .LBB12_33
.LBB12_15:
	s_mov_b32 s2, 0
	s_cmp_lt_i32 s2, s17
	s_cbranch_scc0 .LBB12_33
.LBB12_16:
	s_add_i32 s3, s2, 7
	s_cmp_ge_u32 s3, s17
	s_cbranch_scc1 .LBB12_28
; %bb.17:
	s_lshl_b32 s4, s2, 2
	s_mov_b32 s5, 0
	v_lshl_add_u64 v[2:3], v[12:13], 0, s[4:5]
	flat_load_dwordx4 v[4:7], v[2:3]
	flat_load_dwordx4 v[14:17], v[2:3] offset:16
	s_andn2_b64 vcc, exec, s[10:11]
	s_waitcnt vmcnt(0) lgkmcnt(0)
	v_pk_mul_f32 v[10:11], s[16:17], v[4:5] op_sel_hi:[0,1]
	v_pk_mul_f32 v[8:9], s[16:17], v[6:7] op_sel_hi:[0,1]
	v_pk_mul_f32 v[6:7], s[16:17], v[14:15] op_sel_hi:[0,1]
	v_pk_mul_f32 v[4:5], s[16:17], v[16:17] op_sel_hi:[0,1]
	s_cbranch_vccnz .LBB12_19
; %bb.18:
	s_mul_i32 s3, s2, 48
	s_mov_b64 s[10:11], 0
	s_branch .LBB12_20
.LBB12_19:
	s_mov_b64 s[10:11], -1
                                        ; implicit-def: $sgpr3
.LBB12_20:
	s_andn2_b64 vcc, exec, s[10:11]
	s_cbranch_vccnz .LBB12_27
; %bb.21:
	s_add_i32 s3, s2, -1
	s_cmp_lt_u32 s3, 7
	s_mul_i32 s3, s2, 48
	s_cbranch_scc1 .LBB12_24
; %bb.22:
	s_and_b32 s5, s2, 8
	s_mov_b32 s7, 0
	v_mov_b64_e32 v[14:15], v[12:13]
	s_mov_b32 s10, s3
.LBB12_23:                              ; =>This Inner Loop Header: Depth=1
	flat_load_dwordx4 v[16:19], v[14:15]
	flat_load_dwordx4 v[20:23], v[14:15] offset:16
	v_mov_b32_e32 v52, s10
	ds_read_b128 v[70:73], v52
	ds_read_b128 v[86:89], v52 offset:16
	ds_read_b128 v[24:27], v52 offset:48
	;; [unrolled: 1-line block ×15, first 2 shown]
	s_waitcnt lgkmcnt(0)
	v_mov_b32_e32 v56, v70
	v_mov_b32_e32 v57, v24
	;; [unrolled: 1-line block ×44, first 2 shown]
	s_add_i32 s7, s7, 8
	s_add_i32 s10, s10, 32
	v_mov_b32_e32 v30, v89
	v_mov_b32_e32 v38, v93
	;; [unrolled: 1-line block ×4, first 2 shown]
	v_lshl_add_u64 v[14:15], v[14:15], 0, 32
	s_cmp_lg_u32 s5, s7
	s_waitcnt vmcnt(0)
	v_pk_fma_f32 v[10:11], v[16:17], v[56:57], v[10:11] op_sel_hi:[0,1,1] neg_lo:[1,0,0] neg_hi:[1,0,0]
	v_pk_fma_f32 v[8:9], v[16:17], v[58:59], v[8:9] op_sel_hi:[0,1,1] neg_lo:[1,0,0] neg_hi:[1,0,0]
	v_pk_fma_f32 v[6:7], v[16:17], v[60:61], v[6:7] op_sel_hi:[0,1,1] neg_lo:[1,0,0] neg_hi:[1,0,0]
	v_pk_fma_f32 v[4:5], v[16:17], v[62:63], v[4:5] op_sel_hi:[0,1,1] neg_lo:[1,0,0] neg_hi:[1,0,0]
	v_pk_fma_f32 v[10:11], v[16:17], v[24:25], v[10:11] op_sel:[1,0,0] neg_lo:[1,0,0] neg_hi:[1,0,0]
	v_pk_fma_f32 v[8:9], v[16:17], v[32:33], v[8:9] op_sel:[1,0,0] neg_lo:[1,0,0] neg_hi:[1,0,0]
	;; [unrolled: 1-line block ×4, first 2 shown]
	v_mov_b32_e32 v56, v19
	v_pk_fma_f32 v[10:11], v[18:19], v[64:65], v[10:11] op_sel_hi:[0,1,1] neg_lo:[1,0,0] neg_hi:[1,0,0]
	v_pk_fma_f32 v[8:9], v[18:19], v[66:67], v[8:9] op_sel_hi:[0,1,1] neg_lo:[1,0,0] neg_hi:[1,0,0]
	;; [unrolled: 1-line block ×12, first 2 shown]
	v_pk_fma_f32 v[10:11], v[20:21], v[28:29], v[10:11] op_sel:[1,0,0] neg_lo:[1,0,0] neg_hi:[1,0,0]
	v_pk_fma_f32 v[8:9], v[20:21], v[36:37], v[8:9] op_sel:[1,0,0] neg_lo:[1,0,0] neg_hi:[1,0,0]
	;; [unrolled: 1-line block ×4, first 2 shown]
	v_mov_b32_e32 v58, v23
	v_pk_fma_f32 v[10:11], v[22:23], v[80:81], v[10:11] op_sel_hi:[0,1,1] neg_lo:[1,0,0] neg_hi:[1,0,0]
	v_pk_fma_f32 v[8:9], v[22:23], v[82:83], v[8:9] op_sel_hi:[0,1,1] neg_lo:[1,0,0] neg_hi:[1,0,0]
	;; [unrolled: 1-line block ×8, first 2 shown]
	s_cbranch_scc1 .LBB12_23
.LBB12_24:
	s_and_b32 s7, s2, 4
	s_cmp_eq_u32 s7, 0
	s_cbranch_scc1 .LBB12_27
; %bb.25:
	s_lshl_b32 s5, s5, 2
	s_add_u32 s8, s8, s5
	s_addc_u32 s9, s9, 0
	s_add_u32 s0, s8, s0
	s_addc_u32 s1, s9, s1
	v_lshl_add_u64 v[0:1], v[0:1], 2, s[0:1]
	s_add_i32 s0, s3, s5
.LBB12_26:                              ; =>This Inner Loop Header: Depth=1
	flat_load_dword v14, v[0:1]
	v_mov_b32_e32 v15, s0
	ds_read2_b32 v[16:17], v15 offset1:12
	ds_read2_b32 v[18:19], v15 offset0:24 offset1:36
	ds_read2_b32 v[20:21], v15 offset0:48 offset1:60
	;; [unrolled: 1-line block ×3, first 2 shown]
	s_add_i32 s0, s0, 4
	s_add_i32 s7, s7, -1
	v_lshl_add_u64 v[0:1], v[0:1], 0, 4
	s_cmp_lg_u32 s7, 0
	s_waitcnt vmcnt(0) lgkmcnt(0)
	v_pk_fma_f32 v[10:11], v[14:15], v[16:17], v[10:11] op_sel_hi:[0,1,1] neg_lo:[1,0,0] neg_hi:[1,0,0]
	v_pk_fma_f32 v[8:9], v[14:15], v[18:19], v[8:9] op_sel_hi:[0,1,1] neg_lo:[1,0,0] neg_hi:[1,0,0]
	;; [unrolled: 1-line block ×4, first 2 shown]
	s_cbranch_scc1 .LBB12_26
.LBB12_27:
	s_or_b32 s1, s2, 1
	s_mul_i32 s1, s1, 48
	s_add_i32 s1, s4, s1
	s_add_i32 s0, s4, s3
	v_mov_b32_e32 v33, s1
	ds_read_b128 v[14:17], v33 offset:96
	v_mov_b32_e32 v37, s0
	ds_read2_b32 v[0:1], v37 offset1:52
	ds_read_b96 v[28:30], v33 offset:192
	ds_read_b128 v[18:21], v33 offset:144
	ds_read2_b32 v[44:45], v33 offset0:51 offset1:52
	s_add_i32 s2, s2, 8
	s_waitcnt lgkmcnt(4)
	v_mov_b32_e32 v42, v15
	s_waitcnt lgkmcnt(2)
	v_mov_b32_e32 v47, v30
	ds_read_b96 v[30:32], v33 offset:288
	ds_read_b64 v[48:49], v33
	ds_read_b96 v[34:36], v33 offset:48
	ds_read_b32 v15, v37 offset:260
	ds_read2_b32 v[50:51], v33 offset0:75 offset1:76
	ds_read_b96 v[38:40], v33 offset:256
	ds_read_b128 v[22:25], v33 offset:240
	v_mul_f32_e32 v26, v10, v0
	s_waitcnt lgkmcnt(5)
	v_fma_f32 v0, -v26, v48, v11
	v_mul_f32_e32 v27, v0, v49
	s_waitcnt lgkmcnt(4)
	v_pk_mul_f32 v[10:11], v[26:27], v[34:35]
	v_mov_b32_e32 v43, v16
	v_sub_f32_e32 v0, v8, v10
	v_fma_f32 v10, -v26, v14, v9
	v_pk_mul_f32 v[8:9], v[26:27], v[18:19]
	v_fma_f32 v14, -v26, v28, v7
	v_sub_f32_e32 v8, v6, v8
	s_waitcnt lgkmcnt(0)
	v_pk_mul_f32 v[6:7], v[26:27], v[22:23]
	v_sub_f32_e32 v0, v0, v11
	v_sub_f32_e32 v4, v4, v6
	v_fma_f32 v16, -v26, v30, v5
	v_sub_f32_e32 v18, v4, v7
	v_mul_f32_e32 v5, v0, v36
	v_mov_b32_e32 v4, v27
	v_pk_mul_f32 v[6:7], v[4:5], v[42:43]
	v_mov_b32_e32 v46, v29
	v_sub_f32_e32 v0, v10, v6
	v_sub_f32_e32 v0, v0, v7
	v_mul_f32_e32 v29, v0, v17
	v_mov_b32_e32 v28, v5
	v_sub_f32_e32 v11, v8, v9
	v_pk_mul_f32 v[6:7], v[28:29], v[20:21]
	v_mov_b32_e32 v52, v31
	v_mov_b32_e32 v53, v32
	v_sub_f32_e32 v0, v11, v6
	v_pk_mul_f32 v[8:9], v[4:5], v[46:47]
	v_pk_mul_f32 v[10:11], v[4:5], v[52:53]
	v_sub_f32_e32 v0, v0, v7
	v_sub_f32_e32 v8, v14, v8
	;; [unrolled: 1-line block ×3, first 2 shown]
	v_mul_f32_e32 v1, v0, v1
	v_mov_b32_e32 v0, v29
	v_sub_f32_e32 v6, v8, v9
	v_sub_f32_e32 v10, v4, v11
	v_pk_mul_f32 v[4:5], v[0:1], v[44:45]
	v_pk_mul_f32 v[8:9], v[28:29], v[24:25]
	v_sub_f32_e32 v4, v6, v4
	v_sub_f32_e32 v4, v4, v5
	;; [unrolled: 1-line block ×3, first 2 shown]
	v_mul_f32_e32 v5, v4, v15
	v_mov_b32_e32 v4, v1
	v_pk_mul_f32 v[0:1], v[0:1], v[50:51]
	flat_store_dwordx4 v[2:3], v[26:29]
	v_sub_f32_e32 v8, v8, v9
	v_pk_mul_f32 v[6:7], v[4:5], v[38:39]
	v_sub_f32_e32 v0, v10, v0
	flat_store_dwordx2 v[2:3], v[4:5] offset:16
	v_sub_f32_e32 v6, v8, v6
	v_sub_f32_e32 v8, v0, v1
	ds_read2_b32 v[0:1], v33 offset0:77 offset1:78
	ds_read_b32 v9, v37 offset:364
	v_sub_f32_e32 v4, v6, v7
	v_mul_f32_e32 v7, v4, v40
	v_mov_b32_e32 v6, v5
	s_waitcnt lgkmcnt(0)
	v_pk_mul_f32 v[0:1], v[6:7], v[0:1]
	s_nop 0
	v_sub_f32_e32 v0, v8, v0
	v_sub_f32_e32 v0, v0, v1
	v_mul_f32_e32 v1, v0, v9
	v_mov_b32_e32 v0, v7
	flat_store_dwordx2 v[2:3], v[0:1] offset:24
.LBB12_28:
	s_cmp_ge_i32 s2, s17
	s_cbranch_scc1 .LBB12_33
; %bb.29:
	s_mul_i32 s0, s2, 48
	s_mov_b32 s3, 0
	s_branch .LBB12_31
.LBB12_30:                              ;   in Loop: Header=BB12_31 Depth=1
	s_mul_i32 s1, s2, 52
	v_mov_b32_e32 v2, s1
	ds_read_b32 v2, v2
	s_add_i32 s2, s2, 1
	s_add_i32 s0, s0, 48
	s_cmp_ge_i32 s2, s17
	s_waitcnt lgkmcnt(0)
	v_mul_f32_e32 v2, v4, v2
	flat_store_dword v[0:1], v2
	s_cbranch_scc1 .LBB12_33
.LBB12_31:                              ; =>This Loop Header: Depth=1
                                        ;     Child Loop BB12_32 Depth 2
	v_lshl_add_u64 v[0:1], s[2:3], 2, v[12:13]
	flat_load_dword v4, v[0:1]
	s_cmp_eq_u32 s2, 0
	v_mov_b64_e32 v[2:3], v[12:13]
	s_mov_b32 s1, s2
	s_mov_b32 s4, s0
	s_waitcnt vmcnt(0) lgkmcnt(0)
	v_mul_f32_e32 v4, s16, v4
	s_cbranch_scc1 .LBB12_30
.LBB12_32:                              ;   Parent Loop BB12_31 Depth=1
                                        ; =>  This Inner Loop Header: Depth=2
	flat_load_dword v5, v[2:3]
	v_mov_b32_e32 v6, s4
	ds_read_b32 v6, v6
	s_add_i32 s4, s4, 4
	s_add_i32 s1, s1, -1
	v_lshl_add_u64 v[2:3], v[2:3], 0, 4
	s_cmp_lg_u32 s1, 0
	s_waitcnt vmcnt(0) lgkmcnt(0)
	v_fma_f32 v4, -v5, v6, v4
	s_cbranch_scc1 .LBB12_32
	s_branch .LBB12_30
.LBB12_33:
	s_mov_b64 s[2:3], 0
.LBB12_34:
	s_and_b64 vcc, exec, s[2:3]
	s_cbranch_vccz .LBB12_60
; %bb.35:
	s_add_i32 s7, s17, -1
	s_cmp_gt_i32 s6, 11
	s_mov_b32 s0, -1
	s_cbranch_scc0 .LBB12_37
; %bb.36:
	flat_load_dwordx4 v[0:3], v[12:13] offset:32
	flat_load_dwordx4 v[8:11], v[12:13] offset:16
	flat_load_dwordx4 v[4:7], v[12:13]
	v_mov_b32_e32 v74, 0
	ds_read_b64 v[24:25], v74 offset:568
	ds_read_b96 v[64:66], v74 offset:560
	ds_read2_b32 v[26:27], v74 offset0:117 offset1:123
	ds_read2_b32 v[28:29], v74 offset0:129 offset1:130
	ds_read_b64 v[30:31], v74 offset:512
	ds_read2_b32 v[32:33], v74 offset0:102 offset1:104
	ds_read2_b32 v[34:35], v74 offset0:91 offset1:98
	;; [unrolled: 1-line block ×4, first 2 shown]
	s_waitcnt lgkmcnt(0)
	ds_read_b96 v[66:68], v74 offset:544
	ds_read2_b32 v[38:39], v74 offset0:103 offset1:104
	ds_read_b96 v[76:78], v74 offset:400
	ds_read_b64 v[40:41], v74 offset:360
	ds_read2_b32 v[42:43], v74 offset0:99 offset1:100
	s_waitcnt lgkmcnt(0)
	ds_read_b96 v[78:80], v74 offset:384
	ds_read_b32 v21, v74 offset:356
	ds_read2_b32 v[90:91], v74 offset0:115 offset1:116
	ds_read_b128 v[14:17], v74 offset:480
	ds_read2_b32 v[44:45], v74 offset0:135 offset1:136
	ds_read_b96 v[18:20], v74 offset:528
	ds_read2_b32 v[92:93], v74 offset0:113 offset1:114
	ds_read2_b32 v[94:95], v74 offset0:111 offset1:112
	;; [unrolled: 1-line block ×3, first 2 shown]
	ds_read_b64 v[46:47], v74 offset:432
	ds_read2_b32 v[48:49], v74 offset0:65 offset1:74
	ds_read_b32 v75, v74 offset:312
	ds_read_b64 v[50:51], v74 offset:336
	s_waitcnt lgkmcnt(0)
	v_mov_b32_e32 v47, v14
	v_mov_b32_e32 v14, v19
	;; [unrolled: 1-line block ×3, first 2 shown]
	ds_read_b96 v[80:82], v74 offset:304
	ds_read2_b32 v[52:53], v74 offset0:75 offset1:76
	ds_read_b64 v[54:55], v74 offset:48
	s_waitcnt lgkmcnt(0)
	ds_read_b96 v[82:84], v74 offset:96
	ds_read_b32 v37, v74 offset:508
	ds_read_b64 v[56:57], v74 offset:504
	ds_read_b32 v59, v74 offset:500
	ds_read_b64 v[60:61], v74 offset:496
	v_mov_b32_e32 v62, v65
	v_mov_b32_e32 v63, v28
	;; [unrolled: 1-line block ×8, first 2 shown]
	s_waitcnt lgkmcnt(0)
	v_mov_b32_e32 v57, v93
	v_mov_b32_e32 v61, v95
	;; [unrolled: 1-line block ×9, first 2 shown]
	s_waitcnt vmcnt(0)
	v_mul_f32_e32 v19, s16, v3
	v_mov_b32_e32 v3, v24
	v_mul_f32_e32 v23, v19, v25
	v_pk_mul_f32 v[2:3], v[22:23], v[2:3]
	v_mov_b32_e32 v24, v23
	v_sub_f32_e32 v2, v2, v3
	v_mul_f32_e32 v25, v2, v29
	v_mov_b32_e32 v64, v0
	v_mul_f32_e32 v0, v23, v18
	v_pk_mul_f32 v[28:29], v[24:25], v[36:37]
	v_pk_mul_f32 v[36:37], v[24:25], v[44:45]
	;; [unrolled: 1-line block ×3, first 2 shown]
	v_mov_b32_e32 v66, v10
	v_fma_f32 v10, s16, v4, -v0
	v_fma_f32 v0, s16, v1, -v44
	v_sub_f32_e32 v0, v0, v45
	v_pk_mul_f32 v[18:19], v[22:23], v[64:65]
	v_mov_b32_e32 v2, v25
	v_mul_f32_e32 v3, v0, v26
	v_sub_f32_e32 v20, v18, v19
	v_pk_mul_f32 v[0:1], v[2:3], v[30:31]
	v_pk_mul_f32 v[14:15], v[24:25], v[14:15]
	v_sub_f32_e32 v0, v20, v0
	v_mov_b32_e32 v68, v8
	v_mov_b32_e32 v70, v6
	v_pk_mul_f32 v[18:19], v[24:25], v[58:59]
	v_fma_f32 v24, s16, v11, -v28
	v_fma_f32 v14, s16, v5, -v14
	;; [unrolled: 1-line block ×3, first 2 shown]
	v_pk_mul_f32 v[4:5], v[2:3], v[16:17]
	v_sub_f32_e32 v0, v0, v1
	ds_read_b32 v36, v74 offset:208
	ds_read_b32 v11, v74 offset:244
	ds_read_b64 v[16:17], v74 offset:240
	ds_read2_b32 v[26:27], v74 offset0:51 offset1:52
	ds_read2_b32 v[30:31], v74 offset0:39 offset1:50
	ds_read_b96 v[84:86], v74 offset:288
	v_pk_mul_f32 v[64:65], v[22:23], v[66:67]
	v_pk_mul_f32 v[66:67], v[22:23], v[68:69]
	;; [unrolled: 1-line block ×3, first 2 shown]
	v_fma_f32 v18, s16, v9, -v18
	v_pk_mul_f32 v[6:7], v[2:3], v[56:57]
	v_pk_mul_f32 v[8:9], v[2:3], v[60:61]
	v_mul_f32_e32 v2, v0, v33
	s_waitcnt lgkmcnt(2)
	ds_read_b32 v27, v74 offset:252
	ds_read_b64 v[32:33], v74 offset:256
	ds_read_b64 v[44:45], v74 offset:248
	ds_read2_b32 v[56:57], v74 offset0:13 offset1:26
	ds_read_b32 v53, v74 offset:348
	ds_read_b64 v[0:1], v74 offset:352
	ds_read_b64 v[58:59], v74 offset:344
	ds_read_b32 v61, v74 offset:340
	s_waitcnt lgkmcnt(8)
	ds_read_b96 v[86:88], v74 offset:192
	ds_read_b64 v[62:63], v74 offset:152
	ds_read_b32 v71, v74 offset:148
	ds_read_b64 v[72:73], v74 offset:144
	v_mov_b32_e32 v22, v25
	s_waitcnt lgkmcnt(6)
	v_sub_f32_e32 v1, v24, v29
	v_mov_b32_e32 v24, v3
	flat_store_dwordx2 v[12:13], v[22:23] offset:40
	v_sub_f32_e32 v22, v14, v15
	v_pk_mul_f32 v[14:15], v[24:25], v[46:47]
	v_sub_f32_e32 v18, v18, v19
	v_sub_f32_e32 v10, v10, v15
	;; [unrolled: 1-line block ×3, first 2 shown]
	v_pk_mul_f32 v[14:15], v[2:3], v[38:39]
	v_sub_f32_e32 v19, v28, v37
	v_sub_f32_e32 v1, v1, v15
	;; [unrolled: 1-line block ×3, first 2 shown]
	v_mov_b32_e32 v14, v77
	v_mov_b32_e32 v15, v92
	v_pk_mul_f32 v[14:15], v[2:3], v[14:15]
	v_mov_b32_e32 v20, v81
	v_sub_f32_e32 v15, v18, v15
	v_sub_f32_e32 v23, v15, v14
	v_pk_mul_f32 v[14:15], v[2:3], v[42:43]
	v_mov_b32_e32 v60, v85
	v_sub_f32_e32 v15, v19, v15
	v_sub_f32_e32 v24, v15, v14
	v_mov_b32_e32 v14, v79
	v_mov_b32_e32 v15, v96
	v_pk_mul_f32 v[14:15], v[2:3], v[14:15]
	s_waitcnt lgkmcnt(0)
	v_mov_b32_e32 v59, v35
	v_sub_f32_e32 v15, v22, v15
	v_sub_f32_e32 v28, v15, v14
	;; [unrolled: 1-line block ×5, first 2 shown]
	v_mul_f32_e32 v6, v1, v34
	v_mov_b32_e32 v7, v2
	v_pk_mul_f32 v[14:15], v[6:7], v[40:41]
	v_mov_b32_e32 v33, v80
	v_sub_f32_e32 v1, v18, v15
	v_sub_f32_e32 v22, v1, v14
	v_mov_b32_e32 v1, v76
	v_pk_mul_f32 v[14:15], v[6:7], v[0:1]
	v_mul_f32_e32 v0, v22, v75
	v_mov_b32_e32 v1, v6
	v_pk_mul_f32 v[20:21], v[0:1], v[20:21]
	v_pk_mul_f32 v[18:19], v[6:7], v[58:59]
	v_sub_f32_e32 v21, v23, v21
	v_pk_mul_f32 v[22:23], v[0:1], v[52:53]
	v_mov_b32_e32 v17, v84
	v_sub_f32_e32 v23, v24, v23
	v_pk_mul_f32 v[24:25], v[0:1], v[60:61]
	v_mov_b32_e32 v45, v49
	v_sub_f32_e32 v25, v28, v25
	v_pk_mul_f32 v[28:29], v[6:7], v[50:51]
	v_mov_b32_e32 v7, v0
	v_sub_f32_e32 v1, v10, v29
	v_sub_f32_e32 v28, v1, v28
	v_mov_b32_e32 v1, v6
	flat_store_dwordx4 v[12:13], v[0:3] offset:24
	v_mov_b32_e32 v10, v87
	v_sub_f32_e32 v22, v23, v22
	v_sub_f32_e32 v2, v66, v67
	;; [unrolled: 1-line block ×5, first 2 shown]
	v_mul_f32_e32 v6, v1, v48
	v_sub_f32_e32 v2, v2, v15
	v_pk_mul_f32 v[0:1], v[6:7], v[32:33]
	v_sub_f32_e32 v2, v2, v14
	v_sub_f32_e32 v1, v2, v1
	;; [unrolled: 1-line block ×3, first 2 shown]
	v_mul_f32_e32 v2, v0, v36
	v_mov_b32_e32 v3, v6
	v_pk_mul_f32 v[8:9], v[2:3], v[10:11]
	v_pk_mul_f32 v[10:11], v[6:7], v[16:17]
	;; [unrolled: 1-line block ×3, first 2 shown]
	v_sub_f32_e32 v7, v28, v11
	v_sub_f32_e32 v7, v7, v10
	;; [unrolled: 1-line block ×4, first 2 shown]
	v_pk_mul_f32 v[0:1], v[2:3], v[26:27]
	v_sub_f32_e32 v4, v4, v5
	v_sub_f32_e32 v23, v25, v24
	;; [unrolled: 1-line block ×7, first 2 shown]
	v_mov_b32_e32 v63, v31
	v_sub_f32_e32 v3, v3, v8
	v_mul_f32_e32 v8, v0, v30
	v_mov_b32_e32 v9, v2
	v_sub_f32_e32 v4, v4, v21
	v_pk_mul_f32 v[0:1], v[8:9], v[62:63]
	v_sub_f32_e32 v4, v4, v20
	v_sub_f32_e32 v1, v4, v1
	v_mov_b32_e32 v73, v86
	v_sub_f32_e32 v0, v1, v0
	v_mov_b32_e32 v70, v83
	v_mul_f32_e32 v0, v0, v57
	v_mov_b32_e32 v1, v8
	v_pk_mul_f32 v[10:11], v[8:9], v[72:73]
	v_pk_mul_f32 v[4:5], v[0:1], v[70:71]
	v_sub_f32_e32 v1, v7, v11
	v_sub_f32_e32 v5, v3, v5
	;; [unrolled: 1-line block ×3, first 2 shown]
	v_mov_b32_e32 v1, v8
	v_mov_b32_e32 v3, v6
	flat_store_dwordx4 v[12:13], v[0:3] offset:8
	s_nop 1
	v_sub_f32_e32 v1, v5, v4
	ds_read_b32 v4, v74
	v_mul_f32_e32 v2, v1, v56
	v_mov_b32_e32 v3, v0
	v_pk_mul_f32 v[0:1], v[2:3], v[54:55]
	s_nop 0
	v_sub_f32_e32 v1, v7, v1
	v_sub_f32_e32 v0, v1, v0
	s_waitcnt lgkmcnt(0)
	v_mul_f32_e32 v0, v0, v4
	v_mov_b32_e32 v1, v2
	flat_store_dwordx2 v[12:13], v[0:1]
	s_cmp_gt_i32 s0, -1
	s_cbranch_scc1 .LBB12_38
	s_branch .LBB12_60
.LBB12_37:
	s_mov_b32 s0, s7
	s_cmp_gt_i32 s0, -1
	s_cbranch_scc0 .LBB12_60
.LBB12_38:
	s_cmp_lt_u32 s0, 7
	s_cbranch_scc1 .LBB12_43
; %bb.39:
	s_mov_b32 s3, 0
	s_mov_b32 s1, s3
	v_lshl_add_u64 v[0:1], s[0:1], 2, v[12:13]
	v_add_co_u32_e32 v2, vcc, -12, v0
	s_cmp_le_i32 s7, s0
	s_nop 0
	v_addc_co_u32_e32 v3, vcc, -1, v1, vcc
	v_add_co_u32_e32 v6, vcc, 0xffffffe4, v0
	flat_load_dwordx4 v[2:5], v[2:3]
	s_nop 0
	v_addc_co_u32_e32 v7, vcc, -1, v1, vcc
	flat_load_dwordx4 v[6:9], v[6:7]
	s_waitcnt vmcnt(0) lgkmcnt(0)
	v_pk_mul_f32 v[4:5], s[16:17], v[4:5] op_sel_hi:[0,1]
	v_pk_mul_f32 v[2:3], s[16:17], v[2:3] op_sel_hi:[0,1]
	;; [unrolled: 1-line block ×4, first 2 shown]
	v_mov_b32_e32 v8, v5
	v_mov_b32_e32 v9, v4
	;; [unrolled: 1-line block ×8, first 2 shown]
	s_cbranch_scc1 .LBB12_42
; %bb.40:
	s_mul_i32 s1, s17, 48
	s_lshl_b32 s2, s0, 2
	s_add_i32 s1, s1, s2
	s_addk_i32 s1, 0xffb4
	s_mov_b32 s2, s7
.LBB12_41:                              ; =>This Inner Loop Header: Depth=1
	v_lshl_add_u64 v[10:11], s[2:3], 2, v[12:13]
	flat_load_dword v10, v[10:11]
	v_mov_b32_e32 v11, s1
	ds_read2_b32 v[14:15], v11 offset0:6 offset1:7
	ds_read2_b32 v[16:17], v11 offset0:4 offset1:5
	;; [unrolled: 1-line block ×3, first 2 shown]
	ds_read2_b32 v[20:21], v11 offset1:1
	s_add_i32 s2, s2, -1
	s_sub_i32 s1, s1, 48
	s_cmp_gt_i32 s2, s0
	s_waitcnt vmcnt(0) lgkmcnt(0)
	v_pk_mul_f32 v[14:15], v[10:11], v[14:15] op_sel_hi:[0,1]
	v_pk_mul_f32 v[16:17], v[10:11], v[16:17] op_sel_hi:[0,1]
	;; [unrolled: 1-line block ×4, first 2 shown]
	v_pk_add_f32 v[8:9], v[8:9], v[14:15] op_sel:[0,1] op_sel_hi:[1,0] neg_lo:[0,1] neg_hi:[0,1]
	v_pk_add_f32 v[6:7], v[6:7], v[16:17] op_sel:[0,1] op_sel_hi:[1,0] neg_lo:[0,1] neg_hi:[0,1]
	;; [unrolled: 1-line block ×4, first 2 shown]
	s_cbranch_scc1 .LBB12_41
.LBB12_42:
	s_add_i32 s2, s0, -1
	s_mul_i32 s6, s0, 48
	s_lshl_b32 s1, s2, 2
	s_sub_i32 s8, s6, 48
	s_add_i32 s3, s1, s6
	s_add_i32 s1, s1, s8
	s_add_i32 s4, s0, -3
	v_mov_b32_e32 v16, s1
	s_lshl_b32 s1, s4, 2
	s_add_i32 s5, s1, s6
	v_mov_b32_e32 v17, s5
	s_add_i32 s5, s1, s8
	s_add_i32 s9, s6, 0xffffffa0
	v_mov_b32_e32 v14, s3
	s_mov_b32 s3, 0
	v_mov_b32_e32 v18, s5
	s_add_i32 s5, s1, s9
	v_mov_b32_e32 v24, s5
	s_add_i32 s10, s6, 0xffffff70
	s_mov_b32 s5, s3
	s_add_i32 s1, s1, s10
	v_lshl_add_u64 v[22:23], s[4:5], 2, v[12:13]
	s_add_i32 s4, s0, -5
	v_mov_b32_e32 v26, s1
	s_lshl_b32 s1, s4, 2
	s_add_i32 s11, s1, s8
	v_mov_b32_e32 v28, s11
	s_add_i32 s11, s1, s9
	v_mov_b32_e32 v32, s11
	s_add_i32 s11, s1, s10
	v_mov_b32_e32 v33, s11
	s_add_i32 s11, s6, 0xffffff40
	s_add_i32 s5, s1, s6
	;; [unrolled: 1-line block ×3, first 2 shown]
	v_mov_b32_e32 v34, s1
	s_add_i32 s1, s5, 0xffffff10
	v_mov_b32_e32 v27, s5
	v_mov_b32_e32 v36, s1
	s_mov_b32 s5, s3
	ds_read2_b32 v[14:15], v14 offset1:1
	ds_read_b32 v56, v16
	ds_read2_b32 v[16:17], v17 offset1:1
	ds_read2_b32 v[18:19], v18 offset1:1
	;; [unrolled: 1-line block ×3, first 2 shown]
	ds_read_b32 v57, v26
	ds_read2_b32 v[26:27], v27 offset1:1
	ds_read2_b32 v[28:29], v28 offset1:1
	;; [unrolled: 1-line block ×5, first 2 shown]
	ds_read_b32 v58, v36
	v_lshl_add_u64 v[36:37], s[4:5], 2, v[12:13]
	s_add_i32 s4, s0, -7
	s_lshl_b32 s1, s4, 2
	s_add_i32 s5, s1, s6
	s_add_i32 s6, s1, s8
	v_mov_b32_e32 v40, s6
	s_add_i32 s6, s1, s9
	v_mov_b32_e32 v42, s6
	;; [unrolled: 2-line block ×3, first 2 shown]
	v_mov_b32_e32 v43, s6
	s_add_i32 s1, s1, s11
	ds_read2_b32 v[38:39], v38 offset1:1
	ds_read2_b32 v[40:41], v40 offset1:1
	;; [unrolled: 1-line block ×4, first 2 shown]
	v_mov_b32_e32 v44, s1
	s_sub_i32 s6, s1, 48
	s_addk_i32 s1, 0xffa0
	s_waitcnt lgkmcnt(14)
	v_mul_f32_e32 v8, v8, v15
	v_mov_b32_e32 v45, s6
	v_mov_b32_e32 v46, s1
	v_fma_f32 v9, -v8, v14, v9
	ds_read2_b32 v[64:65], v44 offset1:1
	ds_read2_b32 v[44:45], v45 offset1:1
	;; [unrolled: 1-line block ×3, first 2 shown]
	s_waitcnt lgkmcnt(14)
	v_mov_b32_e32 v54, v18
	v_mov_b32_e32 v18, v17
	flat_store_dword v[0:1], v8
	s_waitcnt lgkmcnt(0)
	v_mov_b32_e32 v0, v27
	v_mov_b32_e32 v1, v29
	v_mul_f32_e32 v9, v9, v56
	v_mov_b32_e32 v50, v40
	v_pk_mul_f32 v[18:19], v[8:9], v[18:19]
	v_pk_mul_f32 v[0:1], v[8:9], v[0:1]
	v_mov_b32_e32 v40, v39
	v_sub_f32_e32 v6, v6, v18
	v_sub_f32_e32 v0, v4, v0
	v_fma_f32 v17, -v8, v26, v5
	v_pk_mul_f32 v[4:5], v[8:9], v[40:41]
	v_mov_b32_e32 v55, v24
	v_sub_f32_e32 v4, v2, v4
	v_sub_f32_e32 v2, v6, v19
	v_fma_f32 v16, -v8, v16, v7
	v_fma_f32 v8, -v8, v38, v3
	v_mul_f32_e32 v3, v2, v25
	v_mov_b32_e32 v2, v9
	v_pk_mul_f32 v[6:7], v[2:3], v[54:55]
	v_lshl_add_u64 v[10:11], s[2:3], 2, v[12:13]
	v_sub_f32_e32 v6, v16, v6
	s_add_i32 s2, s0, -2
	flat_store_dword v[10:11], v9
	v_sub_f32_e32 v10, v4, v5
	v_sub_f32_e32 v4, v6, v7
	v_lshl_add_u64 v[20:21], s[2:3], 2, v[12:13]
	v_mov_b32_e32 v51, v62
	v_mov_b32_e32 v14, v61
	;; [unrolled: 1-line block ×4, first 2 shown]
	v_mul_f32_e32 v5, v4, v57
	v_mov_b32_e32 v4, v3
	v_sub_f32_e32 v9, v0, v1
	v_pk_mul_f32 v[0:1], v[2:3], v[28:29]
	flat_store_dword v[20:21], v3
	v_pk_mul_f32 v[6:7], v[4:5], v[14:15]
	v_pk_mul_f32 v[2:3], v[2:3], v[50:51]
	v_sub_f32_e32 v6, v9, v6
	v_sub_f32_e32 v2, v8, v2
	;; [unrolled: 1-line block ×4, first 2 shown]
	v_mov_b32_e32 v52, v42
	v_mov_b32_e32 v33, v34
	v_sub_f32_e32 v0, v17, v0
	v_mov_b32_e32 v42, v63
	v_mul_f32_e32 v3, v2, v35
	v_mov_b32_e32 v2, v5
	v_sub_f32_e32 v9, v0, v1
	v_pk_mul_f32 v[0:1], v[4:5], v[42:43]
	flat_store_dword v[22:23], v5
	v_pk_mul_f32 v[4:5], v[2:3], v[32:33]
	v_sub_f32_e32 v0, v10, v0
	v_sub_f32_e32 v4, v9, v4
	;; [unrolled: 1-line block ×4, first 2 shown]
	s_add_i32 s2, s0, -4
	v_mul_f32_e32 v1, v0, v58
	v_mov_b32_e32 v0, v3
	v_mov_b32_e32 v4, v65
	v_mov_b32_e32 v5, v45
	v_lshl_add_u64 v[30:31], s[2:3], 2, v[12:13]
	v_mov_b32_e32 v53, v64
	v_pk_mul_f32 v[4:5], v[0:1], v[4:5]
	flat_store_dword v[30:31], v3
	v_sub_f32_e32 v0, v6, v4
	v_pk_mul_f32 v[2:3], v[2:3], v[52:53]
	s_add_i32 s2, s0, -6
	v_sub_f32_e32 v2, v8, v2
	v_sub_f32_e32 v0, v0, v5
	v_lshl_add_u64 v[48:49], s[2:3], 2, v[12:13]
	v_sub_f32_e32 v4, v2, v3
	v_mul_f32_e32 v3, v0, v47
	s_add_i32 s1, s5, 0xfffffeb0
	flat_store_dword v[36:37], v1
	flat_store_dword v[48:49], v3
	v_mov_b32_e32 v0, s1
	ds_read_b32 v5, v0
	v_mov_b32_e32 v2, v1
	v_mov_b32_e32 v45, v46
	v_pk_mul_f32 v[0:1], v[2:3], v[44:45]
	s_mov_b32 s5, s3
	v_sub_f32_e32 v0, v4, v0
	v_sub_f32_e32 v0, v0, v1
	s_waitcnt lgkmcnt(0)
	v_mul_f32_e32 v2, v0, v5
	v_lshl_add_u64 v[0:1], s[4:5], 2, v[12:13]
	s_add_i32 s0, s0, -8
	flat_store_dword v[0:1], v2
.LBB12_43:
	s_cmp_lt_i32 s0, 0
	s_cbranch_scc1 .LBB12_60
; %bb.44:
	s_and_b32 s1, s0, 3
	s_cmp_eq_u32 s1, 3
	s_mul_i32 s1, s17, 48
	s_mov_b32 s2, s0
	s_cbranch_scc1 .LBB12_49
; %bb.45:
	s_add_i32 s2, s0, 1
	s_and_b32 s6, s2, 3
	s_lshl_b32 s2, s0, 2
	s_add_i32 s2, s1, s2
	s_sub_i32 s8, s2, 48
	s_mov_b32 s5, 0
	s_mov_b32 s2, s0
	;; [unrolled: 1-line block ×3, first 2 shown]
	s_branch .LBB12_47
.LBB12_46:                              ;   in Loop: Header=BB12_47 Depth=1
	s_mul_i32 s3, s2, 52
	v_mov_b32_e32 v1, s3
	ds_read_b32 v1, v1
	s_add_i32 s2, s2, -1
	s_add_i32 s9, s9, 1
	s_add_i32 s8, s8, -4
	s_cmp_lg_u32 s9, s6
	s_waitcnt lgkmcnt(0)
	v_mul_f32_e32 v0, v0, v1
	flat_store_dword v[2:3], v0
	s_cbranch_scc0 .LBB12_49
.LBB12_47:                              ; =>This Loop Header: Depth=1
                                        ;     Child Loop BB12_48 Depth 2
	s_mov_b32 s3, s5
	v_lshl_add_u64 v[2:3], s[2:3], 2, v[12:13]
	flat_load_dword v0, v[2:3]
	s_cmp_le_i32 s7, s2
	s_mov_b32 s3, s8
	s_mov_b32 s4, s7
	s_waitcnt vmcnt(0) lgkmcnt(0)
	v_mul_f32_e32 v0, s16, v0
	s_cbranch_scc1 .LBB12_46
.LBB12_48:                              ;   Parent Loop BB12_47 Depth=1
                                        ; =>  This Inner Loop Header: Depth=2
	v_lshl_add_u64 v[4:5], s[4:5], 2, v[12:13]
	flat_load_dword v1, v[4:5]
	v_mov_b32_e32 v4, s3
	ds_read_b32 v4, v4
	s_add_i32 s4, s4, -1
	s_sub_i32 s3, s3, 48
	s_cmp_gt_i32 s4, s2
	s_waitcnt vmcnt(0) lgkmcnt(0)
	v_fma_f32 v0, -v1, v4, v0
	s_cbranch_scc1 .LBB12_48
	s_branch .LBB12_46
.LBB12_49:
	s_cmp_lt_u32 s0, 3
	s_cbranch_scc1 .LBB12_60
; %bb.50:
	s_lshl_b32 s0, s2, 2
	s_add_i32 s1, s1, s0
	s_sub_i32 s6, s1, 48
	s_sub_i32 s8, s1, 52
	;; [unrolled: 1-line block ×4, first 2 shown]
	s_mov_b32 s1, 0
	s_branch .LBB12_52
.LBB12_51:                              ;   in Loop: Header=BB12_52 Depth=1
	s_sub_i32 s0, s3, 52
	v_mov_b32_e32 v1, s0
	ds_read_b32 v1, v1
	s_add_i32 s0, s2, -4
	s_add_i32 s6, s6, -16
	;; [unrolled: 1-line block ×5, first 2 shown]
	s_waitcnt lgkmcnt(0)
	v_mul_f32_e32 v0, v0, v1
	s_cmp_lt_i32 s2, 4
	s_mov_b32 s2, s0
	flat_store_dword v[2:3], v0
	s_cbranch_scc1 .LBB12_60
.LBB12_52:                              ; =>This Loop Header: Depth=1
                                        ;     Child Loop BB12_53 Depth 2
                                        ;     Child Loop BB12_55 Depth 2
	;; [unrolled: 1-line block ×4, first 2 shown]
	s_mov_b32 s3, s1
	v_lshl_add_u64 v[4:5], s[2:3], 2, v[12:13]
	flat_load_dword v0, v[4:5]
	s_cmp_le_i32 s7, s2
	s_mov_b32 s3, s6
	s_mov_b32 s0, s7
	s_waitcnt vmcnt(0) lgkmcnt(0)
	v_mul_f32_e32 v0, s16, v0
	s_cbranch_scc1 .LBB12_54
.LBB12_53:                              ;   Parent Loop BB12_52 Depth=1
                                        ; =>  This Inner Loop Header: Depth=2
	v_lshl_add_u64 v[2:3], s[0:1], 2, v[12:13]
	flat_load_dword v1, v[2:3]
	v_mov_b32_e32 v2, s3
	ds_read_b32 v2, v2
	s_add_i32 s0, s0, -1
	s_sub_i32 s3, s3, 48
	s_cmp_gt_i32 s0, s2
	s_waitcnt vmcnt(0) lgkmcnt(0)
	v_fma_f32 v0, -v1, v2, v0
	s_cbranch_scc1 .LBB12_53
.LBB12_54:                              ;   in Loop: Header=BB12_52 Depth=1
	s_add_i32 s0, s2, -1
	v_lshl_add_u64 v[2:3], s[0:1], 2, v[12:13]
	flat_load_dword v1, v[2:3]
	s_mul_i32 s3, s2, 52
	v_mov_b32_e32 v6, s3
	ds_read_b32 v6, v6
	s_mov_b32 s4, s8
	s_cmp_le_i32 s17, s2
	s_mov_b32 s0, s17
	s_waitcnt lgkmcnt(0)
	v_mul_f32_e32 v0, v0, v6
	flat_store_dword v[4:5], v0
	s_waitcnt vmcnt(0)
	v_mul_f32_e32 v0, s16, v1
	s_cbranch_scc1 .LBB12_56
.LBB12_55:                              ;   Parent Loop BB12_52 Depth=1
                                        ; =>  This Inner Loop Header: Depth=2
	s_add_i32 s0, s0, -1
	v_lshl_add_u64 v[4:5], s[0:1], 2, v[12:13]
	flat_load_dword v1, v[4:5]
	v_mov_b32_e32 v4, s4
	ds_read_b32 v4, v4
	s_sub_i32 s4, s4, 48
	s_cmp_gt_i32 s0, s2
	s_waitcnt vmcnt(0) lgkmcnt(0)
	v_fma_f32 v0, -v1, v4, v0
	s_cbranch_scc1 .LBB12_55
.LBB12_56:                              ;   in Loop: Header=BB12_52 Depth=1
	s_add_i32 s4, s2, -2
	s_mov_b32 s5, s1
	v_lshl_add_u64 v[4:5], s[4:5], 2, v[12:13]
	flat_load_dword v1, v[4:5]
	s_sub_i32 s3, s3, 52
	v_mov_b32_e32 v6, s3
	ds_read_b32 v6, v6
	s_mov_b32 s5, s9
	s_cmp_le_i32 s7, s4
	s_mov_b32 s0, s7
	s_waitcnt lgkmcnt(0)
	v_mul_f32_e32 v0, v0, v6
	flat_store_dword v[2:3], v0
	s_waitcnt vmcnt(0)
	v_mul_f32_e32 v0, s16, v1
	s_cbranch_scc1 .LBB12_58
.LBB12_57:                              ;   Parent Loop BB12_52 Depth=1
                                        ; =>  This Inner Loop Header: Depth=2
	v_lshl_add_u64 v[2:3], s[0:1], 2, v[12:13]
	flat_load_dword v1, v[2:3]
	v_mov_b32_e32 v2, s5
	ds_read_b32 v2, v2
	s_add_i32 s0, s0, -1
	s_sub_i32 s5, s5, 48
	s_cmp_gt_i32 s0, s4
	s_waitcnt vmcnt(0) lgkmcnt(0)
	v_fma_f32 v0, -v1, v2, v0
	s_cbranch_scc1 .LBB12_57
.LBB12_58:                              ;   in Loop: Header=BB12_52 Depth=1
	s_add_i32 s4, s2, -3
	s_mov_b32 s5, s1
	v_lshl_add_u64 v[2:3], s[4:5], 2, v[12:13]
	flat_load_dword v1, v[2:3]
	s_sub_i32 s3, s3, 52
	v_mov_b32_e32 v6, s3
	ds_read_b32 v6, v6
	s_mov_b32 s5, s10
	s_cmp_le_i32 s7, s4
	s_mov_b32 s0, s7
	s_waitcnt lgkmcnt(0)
	v_mul_f32_e32 v0, v0, v6
	flat_store_dword v[4:5], v0
	s_waitcnt vmcnt(0)
	v_mul_f32_e32 v0, s16, v1
	s_cbranch_scc1 .LBB12_51
.LBB12_59:                              ;   Parent Loop BB12_52 Depth=1
                                        ; =>  This Inner Loop Header: Depth=2
	v_lshl_add_u64 v[4:5], s[0:1], 2, v[12:13]
	flat_load_dword v1, v[4:5]
	v_mov_b32_e32 v4, s5
	ds_read_b32 v4, v4
	s_add_i32 s0, s0, -1
	s_sub_i32 s5, s5, 48
	s_cmp_gt_i32 s0, s4
	s_waitcnt vmcnt(0) lgkmcnt(0)
	v_fma_f32 v0, -v1, v4, v0
	s_cbranch_scc1 .LBB12_59
	s_branch .LBB12_51
.LBB12_60:
	s_endpgm
	.section	.rodata,"a",@progbits
	.p2align	6, 0x0
	.amdhsa_kernel _ZL30rocblas_trsm_small_left_deviceILi12ELi12ELb0EffPKPKfPKPfEv13rocblas_fill_18rocblas_operation_17rocblas_diagonal_iiT3_T4_lilT5_lili
		.amdhsa_group_segment_fixed_size 576
		.amdhsa_private_segment_fixed_size 0
		.amdhsa_kernarg_size 352
		.amdhsa_user_sgpr_count 2
		.amdhsa_user_sgpr_dispatch_ptr 0
		.amdhsa_user_sgpr_queue_ptr 0
		.amdhsa_user_sgpr_kernarg_segment_ptr 1
		.amdhsa_user_sgpr_dispatch_id 0
		.amdhsa_user_sgpr_kernarg_preload_length 0
		.amdhsa_user_sgpr_kernarg_preload_offset 0
		.amdhsa_user_sgpr_private_segment_size 0
		.amdhsa_uses_dynamic_stack 0
		.amdhsa_enable_private_segment 0
		.amdhsa_system_sgpr_workgroup_id_x 1
		.amdhsa_system_sgpr_workgroup_id_y 0
		.amdhsa_system_sgpr_workgroup_id_z 1
		.amdhsa_system_sgpr_workgroup_info 0
		.amdhsa_system_vgpr_workitem_id 0
		.amdhsa_next_free_vgpr 107
		.amdhsa_next_free_sgpr 30
		.amdhsa_accum_offset 108
		.amdhsa_reserve_vcc 1
		.amdhsa_float_round_mode_32 0
		.amdhsa_float_round_mode_16_64 0
		.amdhsa_float_denorm_mode_32 3
		.amdhsa_float_denorm_mode_16_64 3
		.amdhsa_dx10_clamp 1
		.amdhsa_ieee_mode 1
		.amdhsa_fp16_overflow 0
		.amdhsa_tg_split 0
		.amdhsa_exception_fp_ieee_invalid_op 0
		.amdhsa_exception_fp_denorm_src 0
		.amdhsa_exception_fp_ieee_div_zero 0
		.amdhsa_exception_fp_ieee_overflow 0
		.amdhsa_exception_fp_ieee_underflow 0
		.amdhsa_exception_fp_ieee_inexact 0
		.amdhsa_exception_int_div_zero 0
	.end_amdhsa_kernel
	.section	.text._ZL30rocblas_trsm_small_left_deviceILi12ELi12ELb0EffPKPKfPKPfEv13rocblas_fill_18rocblas_operation_17rocblas_diagonal_iiT3_T4_lilT5_lili,"axG",@progbits,_ZL30rocblas_trsm_small_left_deviceILi12ELi12ELb0EffPKPKfPKPfEv13rocblas_fill_18rocblas_operation_17rocblas_diagonal_iiT3_T4_lilT5_lili,comdat
.Lfunc_end12:
	.size	_ZL30rocblas_trsm_small_left_deviceILi12ELi12ELb0EffPKPKfPKPfEv13rocblas_fill_18rocblas_operation_17rocblas_diagonal_iiT3_T4_lilT5_lili, .Lfunc_end12-_ZL30rocblas_trsm_small_left_deviceILi12ELi12ELb0EffPKPKfPKPfEv13rocblas_fill_18rocblas_operation_17rocblas_diagonal_iiT3_T4_lilT5_lili
                                        ; -- End function
	.set _ZL30rocblas_trsm_small_left_deviceILi12ELi12ELb0EffPKPKfPKPfEv13rocblas_fill_18rocblas_operation_17rocblas_diagonal_iiT3_T4_lilT5_lili.num_vgpr, 107
	.set _ZL30rocblas_trsm_small_left_deviceILi12ELi12ELb0EffPKPKfPKPfEv13rocblas_fill_18rocblas_operation_17rocblas_diagonal_iiT3_T4_lilT5_lili.num_agpr, 0
	.set _ZL30rocblas_trsm_small_left_deviceILi12ELi12ELb0EffPKPKfPKPfEv13rocblas_fill_18rocblas_operation_17rocblas_diagonal_iiT3_T4_lilT5_lili.numbered_sgpr, 30
	.set _ZL30rocblas_trsm_small_left_deviceILi12ELi12ELb0EffPKPKfPKPfEv13rocblas_fill_18rocblas_operation_17rocblas_diagonal_iiT3_T4_lilT5_lili.num_named_barrier, 0
	.set _ZL30rocblas_trsm_small_left_deviceILi12ELi12ELb0EffPKPKfPKPfEv13rocblas_fill_18rocblas_operation_17rocblas_diagonal_iiT3_T4_lilT5_lili.private_seg_size, 0
	.set _ZL30rocblas_trsm_small_left_deviceILi12ELi12ELb0EffPKPKfPKPfEv13rocblas_fill_18rocblas_operation_17rocblas_diagonal_iiT3_T4_lilT5_lili.uses_vcc, 1
	.set _ZL30rocblas_trsm_small_left_deviceILi12ELi12ELb0EffPKPKfPKPfEv13rocblas_fill_18rocblas_operation_17rocblas_diagonal_iiT3_T4_lilT5_lili.uses_flat_scratch, 0
	.set _ZL30rocblas_trsm_small_left_deviceILi12ELi12ELb0EffPKPKfPKPfEv13rocblas_fill_18rocblas_operation_17rocblas_diagonal_iiT3_T4_lilT5_lili.has_dyn_sized_stack, 0
	.set _ZL30rocblas_trsm_small_left_deviceILi12ELi12ELb0EffPKPKfPKPfEv13rocblas_fill_18rocblas_operation_17rocblas_diagonal_iiT3_T4_lilT5_lili.has_recursion, 0
	.set _ZL30rocblas_trsm_small_left_deviceILi12ELi12ELb0EffPKPKfPKPfEv13rocblas_fill_18rocblas_operation_17rocblas_diagonal_iiT3_T4_lilT5_lili.has_indirect_call, 0
	.section	.AMDGPU.csdata,"",@progbits
; Kernel info:
; codeLenInByte = 6824
; TotalNumSgprs: 36
; NumVgprs: 107
; NumAgprs: 0
; TotalNumVgprs: 107
; ScratchSize: 0
; MemoryBound: 0
; FloatMode: 240
; IeeeMode: 1
; LDSByteSize: 576 bytes/workgroup (compile time only)
; SGPRBlocks: 4
; VGPRBlocks: 13
; NumSGPRsForWavesPerEU: 36
; NumVGPRsForWavesPerEU: 107
; AccumOffset: 108
; Occupancy: 4
; WaveLimiterHint : 1
; COMPUTE_PGM_RSRC2:SCRATCH_EN: 0
; COMPUTE_PGM_RSRC2:USER_SGPR: 2
; COMPUTE_PGM_RSRC2:TRAP_HANDLER: 0
; COMPUTE_PGM_RSRC2:TGID_X_EN: 1
; COMPUTE_PGM_RSRC2:TGID_Y_EN: 0
; COMPUTE_PGM_RSRC2:TGID_Z_EN: 1
; COMPUTE_PGM_RSRC2:TIDIG_COMP_CNT: 0
; COMPUTE_PGM_RSRC3_GFX90A:ACCUM_OFFSET: 26
; COMPUTE_PGM_RSRC3_GFX90A:TG_SPLIT: 0
	.section	.text._ZL38rocblas_trsm_small_left_device_sharedBILi12ELi12ELb1EffPKPKfPKPfEv13rocblas_fill_18rocblas_operation_17rocblas_diagonal_iiT3_T4_lilT5_lili,"axG",@progbits,_ZL38rocblas_trsm_small_left_device_sharedBILi12ELi12ELb1EffPKPKfPKPfEv13rocblas_fill_18rocblas_operation_17rocblas_diagonal_iiT3_T4_lilT5_lili,comdat
	.globl	_ZL38rocblas_trsm_small_left_device_sharedBILi12ELi12ELb1EffPKPKfPKPfEv13rocblas_fill_18rocblas_operation_17rocblas_diagonal_iiT3_T4_lilT5_lili ; -- Begin function _ZL38rocblas_trsm_small_left_device_sharedBILi12ELi12ELb1EffPKPKfPKPfEv13rocblas_fill_18rocblas_operation_17rocblas_diagonal_iiT3_T4_lilT5_lili
	.p2align	8
	.type	_ZL38rocblas_trsm_small_left_device_sharedBILi12ELi12ELb1EffPKPKfPKPfEv13rocblas_fill_18rocblas_operation_17rocblas_diagonal_iiT3_T4_lilT5_lili,@function
_ZL38rocblas_trsm_small_left_device_sharedBILi12ELi12ELb1EffPKPKfPKPfEv13rocblas_fill_18rocblas_operation_17rocblas_diagonal_iiT3_T4_lilT5_lili: ; @_ZL38rocblas_trsm_small_left_device_sharedBILi12ELi12ELb1EffPKPKfPKPfEv13rocblas_fill_18rocblas_operation_17rocblas_diagonal_iiT3_T4_lilT5_lili
; %bb.0:
	s_load_dwordx4 s[8:11], s[0:1], 0x38
	s_load_dwordx4 s[4:7], s[0:1], 0x4
	s_load_dword s24, s[0:1], 0x14
	s_mov_b32 s18, s3
	s_mov_b32 s19, 0
	s_lshl_b64 s[22:23], s[18:19], 3
	s_waitcnt lgkmcnt(0)
	s_add_u32 s8, s8, s22
	s_addc_u32 s9, s9, s23
	s_load_dwordx2 s[8:9], s[8:9], 0x0
	s_min_i32 s18, s6, 12
	v_cmp_gt_i32_e32 vcc, s18, v0
	s_and_saveexec_b64 s[16:17], vcc
	s_cbranch_execz .LBB13_11
; %bb.1:
	s_load_dwordx4 s[12:15], s[0:1], 0x18
	s_load_dword s20, s[0:1], 0x28
	v_lshlrev_b32_e32 v2, 2, v0
	v_mov_b32_e32 v3, 0
	s_mov_b32 s3, 1
	s_waitcnt lgkmcnt(0)
	s_add_u32 s12, s12, s22
	s_addc_u32 s13, s13, s23
	s_load_dwordx2 s[12:13], s[12:13], 0x0
	s_cmp_lt_u32 s18, 2
	s_cselect_b64 s[26:27], -1, 0
	s_cmp_lg_u32 s20, 1
	s_cselect_b64 s[28:29], -1, 0
	s_or_b64 s[26:27], s[26:27], s[28:29]
	s_mov_b64 s[22:23], -1
	s_and_b64 vcc, exec, s[26:27]
	s_cbranch_vccnz .LBB13_5
; %bb.2:
	s_lshl_b64 s[22:23], s[14:15], 2
	s_waitcnt lgkmcnt(0)
	s_add_u32 s22, s12, s22
	s_addc_u32 s23, s13, s23
	s_and_b32 s19, s18, -2
	v_lshl_add_u64 v[4:5], s[22:23], 0, v[2:3]
	s_mov_b32 s21, 0
	s_mov_b32 s22, s19
.LBB13_3:                               ; =>This Inner Loop Header: Depth=1
	flat_load_dwordx2 v[6:7], v[4:5]
	v_mad_u64_u32 v[8:9], s[26:27], s21, 48, v[2:3]
	v_mad_u64_u32 v[10:11], s[26:27], s3, 48, v[2:3]
	s_add_i32 s21, s21, 2
	s_add_i32 s3, s3, 2
	s_add_i32 s22, s22, -2
	v_lshl_add_u64 v[4:5], v[4:5], 0, 8
	s_cmp_lg_u32 s22, 0
	s_waitcnt vmcnt(0) lgkmcnt(0)
	ds_write_b32 v8, v6
	ds_write_b32 v10, v7
	s_cbranch_scc1 .LBB13_3
; %bb.4:
	s_cmp_lg_u32 s18, s19
	s_cselect_b64 s[22:23], -1, 0
.LBB13_5:
	s_and_b64 vcc, exec, s[22:23]
	s_cbranch_vccz .LBB13_8
; %bb.6:
	s_ashr_i32 s21, s20, 31
	s_mul_hi_u32 s3, s20, s19
	s_mul_i32 s22, s21, s19
	s_add_i32 s23, s3, s22
	s_mul_i32 s22, s20, s19
	s_lshl_b64 s[22:23], s[22:23], 2
	s_lshl_b64 s[14:15], s[14:15], 2
	s_add_u32 s3, s22, s14
	s_addc_u32 s14, s23, s15
	s_waitcnt lgkmcnt(0)
	s_add_u32 s12, s12, s3
	v_mov_b32_e32 v3, 0
	s_addc_u32 s13, s13, s14
	s_mul_i32 s14, s19, 48
	v_lshl_add_u64 v[4:5], s[12:13], 0, v[2:3]
	s_lshl_b64 s[12:13], s[20:21], 2
	s_sub_i32 s3, s18, s19
	v_lshl_add_u32 v1, v0, 2, s14
.LBB13_7:                               ; =>This Inner Loop Header: Depth=1
	flat_load_dword v3, v[4:5]
	s_add_i32 s3, s3, -1
	v_lshl_add_u64 v[4:5], v[4:5], 0, s[12:13]
	s_cmp_eq_u32 s3, 0
	s_waitcnt vmcnt(0) lgkmcnt(0)
	ds_write_b32 v1, v3
	v_add_u32_e32 v1, 48, v1
	s_cbranch_scc0 .LBB13_7
.LBB13_8:
	v_mul_u32_u24_e32 v1, 48, v0
	s_cmpk_lg_i32 s5, 0x84
	v_mov_b32_e32 v3, 1.0
	v_add_u32_e32 v1, v2, v1
	s_cbranch_scc0 .LBB13_10
; %bb.9:
	ds_read_b32 v2, v1
	s_waitcnt lgkmcnt(0)
	v_div_scale_f32 v3, s[12:13], v2, v2, 1.0
	v_rcp_f32_e32 v4, v3
	v_div_scale_f32 v5, vcc, 1.0, v2, 1.0
	v_fma_f32 v6, -v3, v4, 1.0
	v_fmac_f32_e32 v4, v6, v4
	v_mul_f32_e32 v6, v5, v4
	v_fma_f32 v7, -v3, v6, v5
	v_fmac_f32_e32 v6, v7, v4
	v_fma_f32 v3, -v3, v6, v5
	v_div_fmas_f32 v3, v3, v4, v6
	v_div_fixup_f32 v3, v3, v2, 1.0
.LBB13_10:
	ds_write_b32 v1, v3
.LBB13_11:
	s_or_b64 exec, exec, s[16:17]
	s_load_dword s3, s[0:1], 0x60
	s_waitcnt lgkmcnt(0)
	s_load_dword s12, s[0:1], 0x48
	s_lshl_b64 s[0:1], s[10:11], 2
	s_add_u32 s5, s8, s0
	s_mul_i32 s0, s2, -12
	s_addc_u32 s8, s9, s1
	s_add_i32 s3, s3, -1
	s_add_i32 s0, s7, s0
	s_cmp_ge_u32 s2, s3
	s_mul_i32 s2, s2, 12
	s_cselect_b32 s7, s0, 12
	s_waitcnt lgkmcnt(0)
	s_mul_hi_i32 s1, s12, s2
	s_mul_i32 s0, s12, s2
	s_lshl_b64 s[0:1], s[0:1], 2
	s_add_u32 s2, s5, s0
	s_addc_u32 s3, s8, s1
	s_cmp_gt_i32 s6, 0
	v_cmp_gt_i32_e64 s[0:1], s7, v0
	s_cselect_b64 s[8:9], -1, 0
	s_and_b64 s[14:15], s[0:1], s[8:9]
	s_and_saveexec_b64 s[10:11], s[14:15]
	s_cbranch_execz .LBB13_14
; %bb.12:
	v_mad_i64_i32 v[2:3], s[14:15], s12, v0, 0
	v_mov_b32_e32 v1, 0x240
	v_lshl_add_u64 v[2:3], v[2:3], 2, s[2:3]
	v_lshl_or_b32 v1, v0, 2, v1
	s_mov_b32 s5, s18
.LBB13_13:                              ; =>This Inner Loop Header: Depth=1
	flat_load_dword v4, v[2:3]
	s_add_i32 s5, s5, -1
	v_lshl_add_u64 v[2:3], v[2:3], 0, 4
	s_cmp_lg_u32 s5, 0
	s_waitcnt vmcnt(0) lgkmcnt(0)
	v_mul_f32_e32 v4, s24, v4
	ds_write_b32 v1, v4
	v_add_u32_e32 v1, 48, v1
	s_cbranch_scc1 .LBB13_13
.LBB13_14:
	s_or_b64 exec, exec, s[10:11]
	v_mov_b32_e32 v1, 0x240
	s_cmpk_eq_i32 s4, 0x6f
	v_lshl_or_b32 v1, v0, 2, v1
	s_mov_b64 s[4:5], -1
	s_waitcnt lgkmcnt(0)
	; wave barrier
	s_cbranch_scc1 .LBB13_37
; %bb.15:
	s_add_i32 s4, s18, -1
	s_cmp_gt_i32 s6, 11
	s_mov_b32 s5, -1
	s_cbranch_scc0 .LBB13_17
; %bb.16:
	v_mov_b32_e32 v60, 0
	ds_read2_b32 v[18:19], v1 offset0:120 offset1:132
	ds_read2_b32 v[26:27], v1 offset0:96 offset1:108
	;; [unrolled: 1-line block ×5, first 2 shown]
	ds_read2_b32 v[34:35], v1 offset1:12
	ds_read_b128 v[2:5], v60 offset:416
	ds_read_b32 v20, v60 offset:572
	ds_read2_b64 v[6:9], v60 offset0:59 offset1:65
	ds_read2_b32 v[36:37], v60 offset0:91 offset1:117
	ds_read_b128 v[10:13], v60 offset:368
	ds_read2_b32 v[40:41], v60 offset0:78 offset1:83
	ds_read2_b32 v[42:43], v60 offset0:39 offset1:59
	;; [unrolled: 1-line block ×4, first 2 shown]
	ds_read_b64 v[48:49], v60 offset:88
	ds_read2_b32 v[50:51], v60 offset0:27 offset1:28
	ds_read2_b32 v[52:53], v60 offset0:29 offset1:30
	;; [unrolled: 1-line block ×3, first 2 shown]
	ds_read_b96 v[22:24], v60 offset:208
	ds_read_b128 v[14:17], v60 offset:176
	s_waitcnt lgkmcnt(13)
	v_mul_f32_e32 v57, v19, v20
	v_mov_b32_e32 v38, v3
	s_waitcnt lgkmcnt(12)
	v_fma_f32 v3, -v57, v9, v18
	ds_read2_b64 v[18:21], v60 offset0:33 offset1:34
	ds_read_b64 v[58:59], v60 offset:280
	v_mul_f32_e32 v56, v3, v8
	v_pk_mul_f32 v[6:7], v[56:57], v[6:7]
	v_mov_b32_e32 v39, v4
	s_waitcnt lgkmcnt(7)
	v_pk_mul_f32 v[8:9], v[56:57], v[48:49]
	s_waitcnt lgkmcnt(2)
	v_pk_mul_f32 v[16:17], v[56:57], v[16:17]
	v_sub_f32_e32 v4, v27, v7
	v_sub_f32_e32 v3, v35, v9
	v_fma_f32 v46, -v57, v46, v34
	v_fma_f32 v45, -v57, v45, v32
	v_sub_f32_e32 v9, v33, v17
	v_fma_f32 v34, -v57, v43, v30
	s_waitcnt lgkmcnt(0)
	v_pk_mul_f32 v[32:33], v[56:57], v[58:59]
	v_fma_f32 v30, -v57, v5, v26
	v_sub_f32_e32 v6, v4, v6
	v_pk_mul_f32 v[4:5], v[56:57], v[12:13]
	v_sub_f32_e32 v17, v31, v33
	v_sub_f32_e32 v5, v29, v5
	ds_write2_b32 v1, v56, v57 offset0:120 offset1:132
	v_mul_f32_e32 v6, v6, v37
	v_mov_b32_e32 v7, v56
	v_fma_f32 v33, -v57, v41, v28
	v_mov_b32_e32 v26, v23
	v_mov_b32_e32 v27, v24
	v_sub_f32_e32 v23, v5, v4
	v_sub_f32_e32 v37, v17, v32
	ds_read2_b32 v[24:25], v60 offset0:79 offset1:80
	ds_read2_b32 v[12:13], v60 offset0:81 offset1:82
	v_pk_mul_f32 v[4:5], v[6:7], v[38:39]
	v_sub_f32_e32 v38, v9, v16
	v_sub_f32_e32 v39, v3, v8
	ds_read_b32 v41, v60 offset:260
	ds_read2_b32 v[16:17], v60 offset0:55 offset1:56
	ds_read2_b32 v[8:9], v60 offset0:57 offset1:58
	v_sub_f32_e32 v5, v30, v5
	v_sub_f32_e32 v3, v5, v4
	v_mul_f32_e32 v28, v3, v2
	ds_read_b128 v[2:5], v60 offset:160
	ds_read2_b32 v[30:31], v60 offset0:33 offset1:34
	s_waitcnt lgkmcnt(2)
	v_pk_mul_f32 v[8:9], v[6:7], v[8:9]
	v_pk_mul_f32 v[12:13], v[6:7], v[12:13]
	v_sub_f32_e32 v9, v34, v9
	v_sub_f32_e32 v13, v33, v13
	;; [unrolled: 1-line block ×3, first 2 shown]
	ds_read2_b32 v[8:9], v60 offset0:9 offset1:10
	ds_read2_b32 v[32:33], v60 offset0:7 offset1:8
	;; [unrolled: 1-line block ×3, first 2 shown]
	v_mov_b32_e32 v29, v6
	v_sub_f32_e32 v43, v13, v12
	s_waitcnt lgkmcnt(3)
	v_pk_mul_f32 v[12:13], v[6:7], v[30:31]
	v_pk_mul_f32 v[10:11], v[28:29], v[10:11]
	v_sub_f32_e32 v13, v45, v13
	v_sub_f32_e32 v11, v23, v11
	;; [unrolled: 1-line block ×3, first 2 shown]
	v_pk_mul_f32 v[12:13], v[28:29], v[20:21]
	s_waitcnt lgkmcnt(2)
	v_pk_mul_f32 v[8:9], v[6:7], v[8:9]
	v_sub_f32_e32 v13, v37, v13
	v_sub_f32_e32 v7, v46, v9
	ds_write2_b32 v1, v28, v6 offset0:96 offset1:108
	v_sub_f32_e32 v30, v7, v8
	v_sub_f32_e32 v20, v11, v10
	;; [unrolled: 1-line block ×3, first 2 shown]
	ds_read2_b64 v[6:9], v60 offset0:7 offset1:8
	ds_read2_b64 v[10:13], v60 offset0:9 offset1:10
	v_mul_f32_e32 v20, v20, v36
	v_mov_b32_e32 v21, v28
	v_pk_mul_f32 v[24:25], v[20:21], v[24:25]
	v_pk_mul_f32 v[14:15], v[28:29], v[14:15]
	s_waitcnt lgkmcnt(0)
	v_pk_mul_f32 v[12:13], v[28:29], v[12:13]
	v_sub_f32_e32 v25, v43, v25
	v_sub_f32_e32 v13, v39, v13
	v_pk_mul_f32 v[28:29], v[20:21], v[54:55]
	v_pk_mul_f32 v[16:17], v[20:21], v[16:17]
	v_sub_f32_e32 v23, v23, v29
	v_sub_f32_e32 v29, v13, v12
	;; [unrolled: 1-line block ×4, first 2 shown]
	v_mul_f32_e32 v12, v12, v40
	v_mov_b32_e32 v13, v20
	v_pk_mul_f32 v[18:19], v[12:13], v[18:19]
	v_sub_f32_e32 v24, v17, v16
	v_pk_mul_f32 v[16:17], v[20:21], v[32:33]
	v_sub_f32_e32 v19, v31, v19
	v_pk_mul_f32 v[4:5], v[12:13], v[4:5]
	v_pk_mul_f32 v[10:11], v[12:13], v[10:11]
	v_sub_f32_e32 v13, v30, v17
	v_sub_f32_e32 v21, v13, v16
	;; [unrolled: 1-line block ×3, first 2 shown]
	v_mul_f32_e32 v16, v13, v41
	v_mov_b32_e32 v17, v12
	v_sub_f32_e32 v15, v38, v15
	ds_write2_b32 v1, v12, v20 offset0:72 offset1:84
	v_pk_mul_f32 v[12:13], v[16:17], v[26:27]
	v_sub_f32_e32 v37, v15, v14
	v_sub_f32_e32 v11, v29, v11
	;; [unrolled: 1-line block ×8, first 2 shown]
	v_pk_mul_f32 v[4:5], v[16:17], v[52:53]
	v_mul_f32_e32 v10, v10, v22
	v_mov_b32_e32 v11, v16
	v_sub_f32_e32 v5, v23, v5
	v_pk_mul_f32 v[2:3], v[10:11], v[2:3]
	v_sub_f32_e32 v12, v5, v4
	v_sub_f32_e32 v3, v18, v3
	v_pk_mul_f32 v[4:5], v[10:11], v[8:9]
	v_pk_mul_f32 v[8:9], v[16:17], v[34:35]
	v_sub_f32_e32 v2, v3, v2
	v_sub_f32_e32 v9, v21, v9
	v_sub_f32_e32 v17, v9, v8
	v_mul_f32_e32 v8, v2, v42
	v_mov_b32_e32 v9, v10
	v_pk_mul_f32 v[2:3], v[8:9], v[50:51]
	ds_read2_b32 v[14:15], v60 offset0:3 offset1:4
	v_sub_f32_e32 v3, v12, v3
	v_sub_f32_e32 v2, v3, v2
	;; [unrolled: 1-line block ×3, first 2 shown]
	ds_write2_b32 v1, v10, v16 offset0:48 offset1:60
	v_mul_f32_e32 v10, v2, v44
	v_mov_b32_e32 v11, v8
	v_sub_f32_e32 v4, v5, v4
	v_pk_mul_f32 v[6:7], v[10:11], v[6:7]
	ds_write2_b32 v1, v10, v8 offset0:24 offset1:36
	v_sub_f32_e32 v5, v4, v7
	ds_read_b96 v[2:4], v60
	s_waitcnt lgkmcnt(3)
	v_pk_mul_f32 v[12:13], v[8:9], v[14:15]
	v_sub_f32_e32 v5, v5, v6
	v_sub_f32_e32 v7, v17, v13
	;; [unrolled: 1-line block ×3, first 2 shown]
	v_mul_f32_e32 v6, v5, v47
	s_waitcnt lgkmcnt(0)
	v_mov_b32_e32 v8, v3
	v_mov_b32_e32 v9, v4
	;; [unrolled: 1-line block ×3, first 2 shown]
	v_pk_mul_f32 v[4:5], v[6:7], v[8:9]
	s_nop 0
	v_sub_f32_e32 v3, v11, v5
	v_sub_f32_e32 v3, v3, v4
	v_mul_f32_e32 v2, v3, v2
	ds_write2_b32 v1, v2, v6 offset1:12
	s_cmp_gt_i32 s5, -1
	s_cbranch_scc1 .LBB13_18
	s_branch .LBB13_36
.LBB13_17:
	s_mov_b32 s5, s4
	s_cmp_gt_i32 s5, -1
	s_cbranch_scc0 .LBB13_36
.LBB13_18:
	s_cmp_lt_u32 s5, 7
	s_cbranch_scc1 .LBB13_23
; %bb.19:
	s_mul_i32 s7, s5, 48
	v_add_u32_e32 v10, s7, v1
	v_subrev_u32_e32 v2, 48, v10
	v_add_u32_e32 v3, 0xffffffa0, v10
	v_add_u32_e32 v4, 0xffffff70, v10
	;; [unrolled: 1-line block ×6, first 2 shown]
	ds_read_b32 v8, v10
	ds_read_b32 v9, v2
	;; [unrolled: 1-line block ×8, first 2 shown]
	s_cmp_le_i32 s4, s5
	s_cbranch_scc1 .LBB13_22
; %bb.20:
	s_mul_i32 s10, s18, 48
	v_lshl_add_u32 v11, v0, 2, s10
	s_lshl_b32 s10, s18, 2
	s_add_i32 s10, s7, s10
	v_add_u32_e32 v11, 0x210, v11
	s_addk_i32 s10, 0xfeac
	s_mov_b32 s11, s4
.LBB13_21:                              ; =>This Inner Loop Header: Depth=1
	v_mov_b32_e32 v13, s10
	ds_read_b32 v12, v11
	ds_read2_b32 v[16:17], v13 offset0:72 offset1:84
	ds_read2_b32 v[18:19], v13 offset0:48 offset1:60
	;; [unrolled: 1-line block ×3, first 2 shown]
	ds_read2_b32 v[22:23], v13 offset1:12
	s_add_i32 s11, s11, -1
	s_add_i32 s10, s10, -4
	s_waitcnt lgkmcnt(3)
	v_mov_b32_e32 v14, v17
	v_mov_b32_e32 v15, v16
	s_waitcnt lgkmcnt(2)
	v_mov_b32_e32 v16, v19
	v_mov_b32_e32 v17, v18
	;; [unrolled: 3-line block ×4, first 2 shown]
	v_subrev_u32_e32 v11, 48, v11
	s_cmp_gt_i32 s11, s5
	v_pk_fma_f32 v[8:9], v[12:13], v[14:15], v[8:9] op_sel_hi:[0,1,1] neg_lo:[1,0,0] neg_hi:[1,0,0]
	v_pk_fma_f32 v[6:7], v[12:13], v[16:17], v[6:7] op_sel_hi:[0,1,1] neg_lo:[1,0,0] neg_hi:[1,0,0]
	;; [unrolled: 1-line block ×4, first 2 shown]
	s_cbranch_scc1 .LBB13_21
.LBB13_22:
	s_mul_i32 s10, s5, 52
	s_lshl_b32 s11, s5, 2
	v_mov_b32_e32 v11, s10
	s_sub_i32 s10, s7, 48
	s_add_i32 s13, s11, -4
	s_add_i32 s14, s10, s13
	v_add_u32_e32 v36, s10, v1
	s_add_i32 s10, s7, 0xffffffa0
	v_mov_b32_e32 v12, s14
	s_add_i32 s14, s10, s13
	s_add_i32 s10, s11, s10
	s_add_i32 s10, s10, -8
	v_mov_b32_e32 v14, s10
	s_add_i32 s10, s7, 0xffffff70
	s_add_i32 s16, s11, -12
	s_add_i32 s15, s10, s11
	s_add_i32 s10, s10, s16
	v_mov_b32_e32 v16, s10
	s_add_i32 s10, s7, 0xffffff40
	s_add_i32 s17, s10, s13
	s_add_i32 s19, s10, s16
	s_add_i32 s10, s11, s10
	s_add_i32 s10, s10, -16
	v_mov_b32_e32 v17, s10
	s_add_i32 s10, s7, 0xffffff10
	s_sub_i32 s22, s11, 20
	s_add_i32 s20, s10, s11
	s_add_i32 s10, s10, s22
	s_addk_i32 s7, 0xfee0
	v_mov_b32_e32 v19, s10
	s_add_i32 s10, s7, s13
	s_add_i32 s13, s7, s16
	;; [unrolled: 1-line block ×4, first 2 shown]
	s_sub_i32 s11, s7, 24
	v_mov_b32_e32 v15, s15
	v_mov_b32_e32 v18, s20
	ds_read_b32 v11, v11
	ds_read2_b32 v[12:13], v12 offset1:1
	ds_read_b32 v40, v14
	ds_read_b32 v41, v15
	;; [unrolled: 1-line block ×6, first 2 shown]
	v_mov_b32_e32 v14, s11
	s_sub_i32 s11, s7, 48
	v_mov_b32_e32 v15, s11
	s_sub_i32 s11, s7, 56
	s_add_i32 s15, s15, -8
	s_add_i32 s21, s20, -8
	;; [unrolled: 1-line block ×3, first 2 shown]
	v_mov_b32_e32 v16, s11
	s_sub_i32 s11, s7, 64
	v_mov_b32_e32 v17, s11
	v_mov_b32_e32 v18, s16
	;; [unrolled: 1-line block ×9, first 2 shown]
	ds_read_b32 v48, v14
	ds_read_b32 v49, v15
	ds_read2_b32 v[14:15], v16 offset1:1
	ds_read2_b32 v[16:17], v17 offset1:1
	;; [unrolled: 1-line block ×10, first 2 shown]
	v_mov_b32_e32 v34, s10
	s_waitcnt lgkmcnt(14)
	v_mul_f32_e32 v11, v8, v11
	ds_read2_b32 v[34:35], v34 offset1:1
	v_fma_f32 v8, -v11, v13, v9
	ds_write_b32 v10, v11
	v_mul_f32_e32 v10, v8, v12
	s_waitcnt lgkmcnt(3)
	v_pk_mul_f32 v[8:9], v[10:11], v[30:31]
	s_add_i32 s11, s7, 0xffffffb8
	v_sub_f32_e32 v9, v6, v9
	v_fma_f32 v30, -v11, v41, v7
	s_waitcnt lgkmcnt(2)
	v_pk_mul_f32 v[6:7], v[10:11], v[32:33]
	s_addk_i32 s7, 0xffb4
	v_sub_f32_e32 v7, v4, v7
	v_mov_b32_e32 v4, s11
	v_mov_b32_e32 v12, s7
	v_fma_f32 v31, -v11, v44, v5
	ds_read2_b32 v[4:5], v4 offset1:1
	ds_read_b32 v32, v12
	s_waitcnt lgkmcnt(3)
	v_pk_mul_f32 v[12:13], v[10:11], v[34:35]
	v_fma_f32 v33, -v11, v49, v3
	v_sub_f32_e32 v13, v2, v13
	v_sub_f32_e32 v2, v9, v8
	v_mul_f32_e32 v2, v2, v40
	v_mov_b32_e32 v3, v10
	v_pk_mul_f32 v[8:9], v[2:3], v[26:27]
	v_subrev_u32_e32 v37, 48, v36
	v_sub_f32_e32 v9, v30, v9
	v_sub_f32_e32 v8, v9, v8
	;; [unrolled: 1-line block ×3, first 2 shown]
	v_pk_mul_f32 v[6:7], v[2:3], v[28:29]
	v_mul_f32_e32 v8, v8, v42
	v_mov_b32_e32 v9, v2
	ds_write_b32 v36, v10
	v_sub_f32_e32 v7, v31, v7
	ds_write_b32 v37, v2
	v_pk_mul_f32 v[10:11], v[8:9], v[22:23]
	v_pk_mul_f32 v[2:3], v[2:3], v[14:15]
	v_sub_f32_e32 v12, v13, v12
	v_sub_f32_e32 v11, v26, v11
	;; [unrolled: 1-line block ×3, first 2 shown]
	v_pk_mul_f32 v[6:7], v[8:9], v[24:25]
	v_sub_f32_e32 v3, v33, v3
	v_sub_f32_e32 v7, v12, v7
	;; [unrolled: 1-line block ×4, first 2 shown]
	v_add_u32_e32 v38, 0xffffffa0, v36
	v_mul_f32_e32 v2, v2, v43
	v_mov_b32_e32 v3, v8
	ds_write_b32 v38, v8
	v_pk_mul_f32 v[8:9], v[2:3], v[20:21]
	v_sub_f32_e32 v10, v7, v6
	v_sub_f32_e32 v9, v13, v9
	;; [unrolled: 1-line block ×3, first 2 shown]
	v_add_u32_e32 v39, 0xffffff70, v36
	v_mul_f32_e32 v6, v6, v45
	v_mov_b32_e32 v7, v2
	ds_write_b32 v39, v2
	v_pk_mul_f32 v[8:9], v[6:7], v[18:19]
	v_pk_mul_f32 v[2:3], v[2:3], v[16:17]
	v_sub_f32_e32 v7, v10, v9
	v_sub_f32_e32 v3, v12, v3
	;; [unrolled: 1-line block ×4, first 2 shown]
	v_add_u32_e32 v46, 0xffffff40, v36
	v_add_u32_e32 v47, 0xffffff10, v36
	v_mul_f32_e32 v2, v2, v48
	v_mov_b32_e32 v3, v6
	ds_write_b32 v46, v6
	ds_write_b32 v47, v2
	s_waitcnt lgkmcnt(7)
	v_pk_mul_f32 v[2:3], v[2:3], v[4:5]
	s_add_i32 s5, s5, -8
	v_sub_f32_e32 v3, v9, v3
	v_sub_f32_e32 v2, v3, v2
	s_waitcnt lgkmcnt(6)
	v_mul_f32_e32 v2, v2, v32
	v_add_u32_e32 v3, 0xfffffee0, v36
	ds_write_b32 v3, v2
.LBB13_23:
	s_cmp_lt_i32 s5, 0
	s_cbranch_scc1 .LBB13_36
; %bb.24:
	s_bitcmp1_b32 s5, 0
	s_cselect_b64 s[10:11], -1, 0
	s_and_b64 vcc, exec, s[10:11]
	s_mov_b32 s7, s5
	s_cbranch_vccnz .LBB13_29
; %bb.25:
	s_mul_i32 s7, s5, 48
	v_add_u32_e32 v3, s7, v1
	ds_read_b32 v2, v3
	s_cmp_le_i32 s4, s5
	s_cbranch_scc1 .LBB13_28
; %bb.26:
	s_lshl_b32 s10, s18, 2
	s_add_i32 s7, s7, s10
	s_mul_i32 s10, s18, 48
	v_lshl_add_u32 v4, v0, 2, s10
	s_add_i32 s7, s7, -4
	v_add_u32_e32 v4, 0x210, v4
	s_mov_b32 s10, s4
.LBB13_27:                              ; =>This Inner Loop Header: Depth=1
	v_mov_b32_e32 v6, s7
	ds_read_b32 v5, v4
	ds_read_b32 v6, v6
	s_add_i32 s10, s10, -1
	s_add_i32 s7, s7, -4
	v_subrev_u32_e32 v4, 48, v4
	s_cmp_gt_i32 s10, s5
	s_waitcnt lgkmcnt(0)
	v_fma_f32 v2, -v5, v6, v2
	s_cbranch_scc1 .LBB13_27
.LBB13_28:
	s_mul_i32 s7, s5, 52
	v_mov_b32_e32 v4, s7
	ds_read_b32 v4, v4
	s_add_i32 s7, s5, -1
	s_waitcnt lgkmcnt(0)
	v_mul_f32_e32 v2, v2, v4
	ds_write_b32 v3, v2
.LBB13_29:
	s_cmp_eq_u32 s5, 0
	s_cbranch_scc1 .LBB13_36
; %bb.30:
	s_mul_i32 s5, s7, 48
	s_lshl_b32 s10, s18, 2
	s_mul_i32 s11, s18, 48
	s_add_i32 s10, s5, s10
	v_lshl_add_u32 v2, v0, 2, s11
	s_add_i32 s5, s10, -4
	v_add_u32_e32 v3, 0x210, v2
	s_sub_i32 s10, s10, 52
	s_branch .LBB13_32
.LBB13_31:                              ;   in Loop: Header=BB13_32 Depth=1
	s_sub_i32 s11, s11, 52
	v_mov_b32_e32 v2, s11
	ds_read_b32 v2, v2
	s_add_i32 s11, s7, -2
	s_addk_i32 s5, 0xffa0
	s_addk_i32 s10, 0xffa0
	s_cmp_lt_i32 s7, 2
	s_waitcnt lgkmcnt(0)
	v_mul_f32_e32 v2, v4, v2
	s_mov_b32 s7, s11
	ds_write_b32 v5, v2
	s_cbranch_scc1 .LBB13_36
.LBB13_32:                              ; =>This Loop Header: Depth=1
                                        ;     Child Loop BB13_33 Depth 2
                                        ;     Child Loop BB13_35 Depth 2
	s_mul_i32 s13, s7, 48
	v_add_u32_e32 v6, s13, v1
	ds_read_b32 v2, v6
	s_cmp_le_i32 s4, s7
	v_mov_b32_e32 v4, v3
	s_mov_b32 s11, s5
	s_mov_b32 s14, s4
	s_cbranch_scc1 .LBB13_34
.LBB13_33:                              ;   Parent Loop BB13_32 Depth=1
                                        ; =>  This Inner Loop Header: Depth=2
	v_mov_b32_e32 v7, s11
	ds_read_b32 v5, v4
	ds_read_b32 v7, v7
	s_add_i32 s14, s14, -1
	s_add_i32 s11, s11, -4
	v_subrev_u32_e32 v4, 48, v4
	s_cmp_gt_i32 s14, s7
	s_waitcnt lgkmcnt(0)
	v_fma_f32 v2, -v5, v7, v2
	s_cbranch_scc1 .LBB13_33
.LBB13_34:                              ;   in Loop: Header=BB13_32 Depth=1
	s_mul_i32 s11, s7, 52
	v_mov_b32_e32 v4, s11
	ds_read_b32 v7, v4
	s_sub_i32 s13, s13, 48
	v_add_u32_e32 v5, s13, v1
	ds_read_b32 v4, v5
	s_cmp_le_i32 s18, s7
	s_waitcnt lgkmcnt(1)
	v_mul_f32_e32 v2, v2, v7
	ds_write_b32 v6, v2
	v_mov_b32_e32 v2, v3
	s_mov_b32 s13, s10
	s_mov_b32 s14, s18
	s_cbranch_scc1 .LBB13_31
.LBB13_35:                              ;   Parent Loop BB13_32 Depth=1
                                        ; =>  This Inner Loop Header: Depth=2
	v_mov_b32_e32 v7, s13
	ds_read_b32 v6, v2
	ds_read_b32 v7, v7
	s_add_i32 s14, s14, -1
	s_add_i32 s13, s13, -4
	v_subrev_u32_e32 v2, 48, v2
	s_cmp_gt_i32 s14, s7
	s_waitcnt lgkmcnt(0)
	v_fma_f32 v4, -v6, v7, v4
	s_cbranch_scc1 .LBB13_35
	s_branch .LBB13_31
.LBB13_36:
	s_mov_b64 s[4:5], 0
.LBB13_37:
	s_and_b64 vcc, exec, s[4:5]
	s_cbranch_vccz .LBB13_51
; %bb.38:
	s_cmp_gt_i32 s6, 11
	s_cselect_b64 s[4:5], -1, 0
	s_mov_b32 s7, 0
	s_and_b64 vcc, exec, s[4:5]
	s_cbranch_vccz .LBB13_40
; %bb.39:
	ds_read2_b32 v[28:29], v1 offset1:12
	ds_read2_b32 v[30:31], v1 offset0:48 offset1:60
	ds_read2_b32 v[32:33], v1 offset0:72 offset1:84
	v_mov_b32_e32 v51, 0
	ds_read_b128 v[8:11], v51
	ds_read_b128 v[12:15], v51 offset:16
	ds_read2_b64 v[16:19], v51 offset0:15 offset1:16
	ds_read_b128 v[20:23], v51 offset:208
	ds_read_b128 v[2:5], v51 offset:224
	ds_read2_b32 v[34:35], v51 offset0:15 offset1:16
	ds_read2_b32 v[36:37], v51 offset0:17 offset1:18
	;; [unrolled: 1-line block ×4, first 2 shown]
	ds_read2_b64 v[24:27], v51 offset0:13 offset1:14
	ds_read2_b32 v[42:43], v51 offset0:23 offset1:24
	ds_read2_b32 v[44:45], v51 offset0:41 offset1:42
	;; [unrolled: 1-line block ×5, first 2 shown]
	s_waitcnt lgkmcnt(14)
	v_mul_f32_e32 v8, v28, v8
	s_waitcnt lgkmcnt(5)
	v_mov_b32_e32 v52, v26
	v_mov_b32_e32 v54, v34
	v_mov_b32_e32 v34, v12
	v_mov_b32_e32 v26, v36
	v_mov_b32_e32 v36, v14
	s_waitcnt lgkmcnt(0)
	v_fma_f32 v7, -v8, v13, v31
	v_fma_f32 v62, -v8, v15, v33
	ds_read2_b32 v[56:57], v51 offset0:13 offset1:14
	ds_read_b128 v[12:15], v51 offset:32
	ds_read2_b32 v[58:59], v1 offset0:96 offset1:108
	v_mov_b32_e32 v28, v44
	v_mov_b32_e32 v44, v16
	;; [unrolled: 1-line block ×3, first 2 shown]
	s_waitcnt lgkmcnt(1)
	v_mov_b32_e32 v38, v12
	s_waitcnt lgkmcnt(0)
	v_fma_f32 v59, -v8, v13, v59
	ds_read2_b32 v[12:13], v1 offset0:24 offset1:36
	v_fma_f32 v9, -v8, v9, v29
	ds_read2_b32 v[60:61], v1 offset0:120 offset1:132
	v_mul_f32_e32 v9, v9, v56
	v_mov_b32_e32 v50, v22
	s_waitcnt lgkmcnt(1)
	v_fma_f32 v29, -v8, v11, v13
	v_mov_b32_e32 v11, v57
	v_pk_mul_f32 v[10:11], v[8:9], v[10:11]
	v_mov_b32_e32 v22, v46
	v_sub_f32_e32 v10, v12, v10
	v_sub_f32_e32 v12, v10, v11
	v_pk_mul_f32 v[10:11], v[8:9], v[34:35]
	v_mov_b32_e32 v46, v18
	v_mov_b32_e32 v18, v40
	;; [unrolled: 1-line block ×3, first 2 shown]
	v_sub_f32_e32 v10, v30, v10
	s_waitcnt lgkmcnt(0)
	v_fma_f32 v61, -v8, v15, v61
	v_pk_mul_f32 v[14:15], v[8:9], v[38:39]
	v_pk_mul_f32 v[36:37], v[8:9], v[36:37]
	v_pk_mul_f32 v[38:39], v[8:9], v[40:41]
	ds_write2_b32 v1, v8, v9 offset1:12
	v_mov_b32_e32 v30, v9
	v_sub_f32_e32 v41, v10, v11
	ds_read2_b64 v[8:11], v51 offset0:17 offset1:41
	v_sub_f32_e32 v13, v58, v14
	v_sub_f32_e32 v14, v32, v36
	ds_read2_b32 v[32:33], v51 offset0:39 offset1:40
	v_mul_f32_e32 v31, v12, v24
	v_mov_b32_e32 v55, v25
	v_pk_mul_f32 v[24:25], v[30:31], v[26:27]
	v_pk_mul_f32 v[34:35], v[30:31], v[54:55]
	;; [unrolled: 1-line block ×3, first 2 shown]
	s_waitcnt lgkmcnt(1)
	v_mov_b32_e32 v43, v9
	v_sub_f32_e32 v9, v60, v38
	v_sub_f32_e32 v29, v29, v34
	v_sub_f32_e32 v7, v7, v24
	v_sub_f32_e32 v56, v14, v37
	v_sub_f32_e32 v57, v13, v15
	v_pk_mul_f32 v[18:19], v[30:31], v[18:19]
	ds_read2_b64 v[12:15], v51 offset0:39 offset1:40
	ds_read2_b32 v[26:27], v51 offset0:91 offset1:92
	v_sub_f32_e32 v54, v9, v39
	v_sub_f32_e32 v9, v29, v35
	;; [unrolled: 1-line block ×3, first 2 shown]
	ds_read2_b32 v[24:25], v51 offset0:65 offset1:66
	ds_read2_b32 v[34:35], v51 offset0:67 offset1:68
	;; [unrolled: 1-line block ×4, first 2 shown]
	v_sub_f32_e32 v7, v62, v16
	v_sub_f32_e32 v58, v7, v17
	;; [unrolled: 1-line block ×3, first 2 shown]
	v_pk_mul_f32 v[16:17], v[30:31], v[42:43]
	s_waitcnt lgkmcnt(6)
	v_mov_b32_e32 v53, v33
	v_mul_f32_e32 v33, v9, v32
	v_sub_f32_e32 v59, v7, v19
	v_sub_f32_e32 v7, v61, v16
	v_mov_b32_e32 v32, v31
	s_waitcnt lgkmcnt(2)
	v_mov_b32_e32 v40, v34
	v_mov_b32_e32 v34, v2
	;; [unrolled: 1-line block ×4, first 2 shown]
	v_sub_f32_e32 v60, v7, v17
	ds_read_b128 v[16:19], v51 offset:416
	ds_read2_b32 v[42:43], v51 offset0:117 offset1:118
	v_pk_mul_f32 v[48:49], v[32:33], v[52:53]
	v_mov_b32_e32 v7, v5
	v_sub_f32_e32 v5, v41, v48
	ds_write2_b32 v1, v31, v33 offset0:24 offset1:36
	v_sub_f32_e32 v5, v5, v49
	ds_read2_b32 v[30:31], v51 offset0:93 offset1:94
	ds_read2_b32 v[48:49], v51 offset0:95 offset1:96
	v_mov_b32_e32 v29, v21
	v_pk_mul_f32 v[46:47], v[32:33], v[46:47]
	v_mul_f32_e32 v21, v5, v20
	v_mov_b32_e32 v20, v33
	v_pk_mul_f32 v[8:9], v[32:33], v[8:9]
	s_waitcnt lgkmcnt(0)
	v_mov_b32_e32 v49, v19
	v_sub_f32_e32 v19, v57, v46
	v_sub_f32_e32 v8, v54, v8
	v_pk_mul_f32 v[28:29], v[20:21], v[28:29]
	v_pk_mul_f32 v[44:45], v[32:33], v[44:45]
	v_sub_f32_e32 v5, v19, v47
	v_sub_f32_e32 v19, v8, v9
	v_mov_b32_e32 v8, v14
	v_sub_f32_e32 v14, v55, v28
	v_mov_b32_e32 v39, v11
	v_sub_f32_e32 v11, v56, v44
	v_pk_mul_f32 v[22:23], v[20:21], v[22:23]
	v_mov_b32_e32 v9, v27
	v_sub_f32_e32 v27, v14, v29
	v_sub_f32_e32 v11, v11, v45
	ds_read_b64 v[44:45], v51 offset:520
	ds_read_b32 v52, v51 offset:572
	ds_read2_b32 v[46:47], v51 offset0:119 offset1:120
	v_mov_b32_e32 v41, v13
	v_mov_b32_e32 v51, v25
	v_sub_f32_e32 v13, v58, v22
	v_mul_f32_e32 v25, v27, v24
	v_mov_b32_e32 v24, v21
	v_pk_mul_f32 v[2:3], v[20:21], v[2:3]
	v_sub_f32_e32 v13, v13, v23
	v_pk_mul_f32 v[22:23], v[24:25], v[34:35]
	v_mov_b32_e32 v29, v17
	v_sub_f32_e32 v2, v59, v2
	v_sub_f32_e32 v17, v5, v22
	v_mov_b32_e32 v5, v37
	v_pk_mul_f32 v[32:33], v[24:25], v[50:51]
	v_sub_f32_e32 v22, v2, v3
	v_pk_mul_f32 v[2:3], v[24:25], v[4:5]
	v_pk_mul_f32 v[4:5], v[20:21], v[6:7]
	v_sub_f32_e32 v11, v11, v32
	v_sub_f32_e32 v4, v60, v4
	;; [unrolled: 1-line block ×5, first 2 shown]
	v_mul_f32_e32 v5, v4, v12
	v_mov_b32_e32 v4, v25
	v_pk_mul_f32 v[6:7], v[4:5], v[40:41]
	v_mov_b32_e32 v14, v36
	v_sub_f32_e32 v6, v13, v6
	v_pk_mul_f32 v[12:13], v[4:5], v[14:15]
	v_sub_f32_e32 v14, v2, v3
	v_sub_f32_e32 v2, v6, v7
	v_mul_f32_e32 v3, v2, v26
	v_mov_b32_e32 v2, v5
	v_sub_f32_e32 v11, v17, v23
	v_pk_mul_f32 v[6:7], v[2:3], v[8:9]
	v_mov_b32_e32 v28, v30
	v_sub_f32_e32 v6, v11, v6
	v_mov_b32_e32 v11, v31
	v_pk_mul_f32 v[8:9], v[2:3], v[10:11]
	v_pk_mul_f32 v[10:11], v[4:5], v[38:39]
	v_sub_f32_e32 v12, v22, v12
	v_sub_f32_e32 v2, v19, v10
	;; [unrolled: 1-line block ×4, first 2 shown]
	ds_write2_b32 v1, v5, v3 offset0:72 offset1:84
	v_mul_f32_e32 v5, v2, v16
	v_mov_b32_e32 v4, v3
	v_sub_f32_e32 v12, v12, v13
	v_pk_mul_f32 v[2:3], v[4:5], v[28:29]
	v_sub_f32_e32 v8, v14, v8
	v_sub_f32_e32 v2, v12, v2
	;; [unrolled: 1-line block ×3, first 2 shown]
	v_mul_f32_e32 v3, v2, v42
	v_mov_b32_e32 v2, v5
	v_mov_b32_e32 v19, v43
	v_sub_f32_e32 v8, v8, v9
	v_pk_mul_f32 v[6:7], v[2:3], v[18:19]
	ds_write2_b32 v1, v5, v3 offset0:96 offset1:108
	v_sub_f32_e32 v2, v8, v6
	v_pk_mul_f32 v[8:9], v[4:5], v[48:49]
	v_sub_f32_e32 v2, v2, v7
	v_sub_f32_e32 v4, v10, v8
	;; [unrolled: 1-line block ×3, first 2 shown]
	s_waitcnt lgkmcnt(4)
	v_mul_f32_e32 v5, v2, v44
	v_mov_b32_e32 v4, v3
	s_waitcnt lgkmcnt(2)
	v_mov_b32_e32 v47, v45
	v_pk_mul_f32 v[2:3], v[4:5], v[46:47]
	s_mov_b32 s7, 12
	v_sub_f32_e32 v2, v6, v2
	v_sub_f32_e32 v2, v2, v3
	v_mul_f32_e32 v2, v2, v52
	ds_write2_b32 v1, v21, v25 offset0:48 offset1:60
	ds_write2_b32 v1, v5, v2 offset0:120 offset1:132
.LBB13_40:
	s_cmp_lt_i32 s7, s18
	s_cbranch_scc0 .LBB13_51
; %bb.41:
	s_add_i32 s6, s7, 7
	s_cmp_ge_u32 s6, s18
	s_cbranch_scc1 .LBB13_46
; %bb.42:
	s_mul_i32 s6, s7, 48
	v_add_u32_e32 v10, s6, v1
	ds_read2_b32 v[8:9], v10 offset1:12
	ds_read2_b32 v[6:7], v10 offset0:24 offset1:36
	ds_read2_b32 v[4:5], v10 offset0:48 offset1:60
	;; [unrolled: 1-line block ×3, first 2 shown]
	s_andn2_b64 vcc, exec, s[4:5]
	s_lshl_b32 s4, s7, 2
	s_cbranch_vccnz .LBB13_45
; %bb.43:
	v_mov_b32_e32 v11, 0x240
	v_lshl_or_b32 v11, v0, 2, v11
	s_mov_b32 s5, s4
	s_mov_b32 s10, s7
.LBB13_44:                              ; =>This Inner Loop Header: Depth=1
	v_mov_b32_e32 v16, s5
	ds_read_b32 v20, v11
	ds_read_b128 v[12:15], v16
	ds_read_b128 v[16:19], v16 offset:16
	s_add_i32 s10, s10, -1
	s_add_i32 s5, s5, 48
	v_add_u32_e32 v11, 48, v11
	s_cmp_lg_u32 s10, 0
	s_waitcnt lgkmcnt(1)
	v_pk_fma_f32 v[8:9], v[20:21], v[12:13], v[8:9] op_sel_hi:[0,1,1] neg_lo:[1,0,0] neg_hi:[1,0,0]
	v_pk_fma_f32 v[6:7], v[20:21], v[14:15], v[6:7] op_sel_hi:[0,1,1] neg_lo:[1,0,0] neg_hi:[1,0,0]
	s_waitcnt lgkmcnt(0)
	v_pk_fma_f32 v[4:5], v[20:21], v[16:17], v[4:5] op_sel_hi:[0,1,1] neg_lo:[1,0,0] neg_hi:[1,0,0]
	v_pk_fma_f32 v[2:3], v[20:21], v[18:19], v[2:3] op_sel_hi:[0,1,1] neg_lo:[1,0,0] neg_hi:[1,0,0]
	s_cbranch_scc1 .LBB13_44
.LBB13_45:
	s_add_i32 s5, s4, s6
	v_mov_b32_e32 v11, s5
	s_add_i32 s5, s6, 48
	ds_read_b128 v[12:15], v11
	ds_read_b128 v[16:19], v11 offset:16
	v_add_u32_e32 v45, s5, v1
	s_add_i32 s5, s4, s5
	v_mov_b32_e32 v41, s5
	ds_read2_b32 v[28:29], v11 offset0:13 offset1:14
	ds_read2_b64 v[20:23], v11 offset0:13 offset1:14
	s_add_i32 s10, s6, 0x60
	ds_read2_b32 v[30:31], v41 offset0:3 offset1:4
	ds_read2_b32 v[32:33], v11 offset0:39 offset1:40
	ds_read_b128 v[24:27], v11 offset:208
	v_add_u32_e32 v54, s10, v1
	s_add_i32 s5, s4, s10
	s_add_i32 s10, s6, 0x90
	v_add_u32_e32 v55, s10, v1
	s_add_i32 s10, s4, s10
	s_addk_i32 s6, 0xf0
	s_waitcnt lgkmcnt(6)
	v_mul_f32_e32 v8, v8, v12
	v_mov_b32_e32 v40, s10
	v_mov_b32_e32 v34, s5
	s_add_i32 s4, s4, s6
	v_fma_f32 v9, -v8, v13, v9
	ds_read_b64 v[34:35], v34 offset:24
	ds_read2_b32 v[36:37], v41 offset0:5 offset1:6
	ds_read2_b32 v[38:39], v40 offset0:5 offset1:6
	ds_read_b32 v40, v40 offset:28
	ds_read_b32 v42, v41 offset:28
	v_mov_b32_e32 v41, s4
	s_waitcnt lgkmcnt(9)
	v_mul_f32_e32 v9, v9, v28
	v_mov_b32_e32 v28, v14
	ds_read_b32 v44, v41 offset:28
	s_waitcnt lgkmcnt(6)
	v_mov_b32_e32 v49, v25
	ds_read2_b32 v[12:13], v11 offset0:65 offset1:66
	ds_read_b64 v[50:51], v11 offset:312
	ds_read_b32 v25, v11 offset:364
	v_mov_b32_e32 v52, v30
	v_mov_b32_e32 v30, v16
	ds_write_b32 v10, v8
	v_pk_mul_f32 v[10:11], v[8:9], v[28:29]
	v_mov_b32_e32 v46, v22
	s_waitcnt lgkmcnt(8)
	v_mov_b32_e32 v22, v36
	v_sub_f32_e32 v10, v6, v10
	v_fma_f32 v14, -v8, v15, v7
	v_pk_mul_f32 v[6:7], v[8:9], v[30:31]
	v_mov_b32_e32 v36, v18
	v_sub_f32_e32 v6, v4, v6
	v_fma_f32 v15, -v8, v17, v5
	v_pk_mul_f32 v[4:5], v[8:9], v[36:37]
	v_mov_b32_e32 v53, v21
	v_sub_f32_e32 v4, v2, v4
	v_sub_f32_e32 v2, v10, v11
	v_fma_f32 v16, -v8, v19, v3
	v_mul_f32_e32 v3, v2, v20
	v_mov_b32_e32 v2, v9
	ds_write_b32 v45, v9
	v_pk_mul_f32 v[8:9], v[2:3], v[52:53]
	v_sub_f32_e32 v11, v4, v5
	v_sub_f32_e32 v8, v14, v8
	;; [unrolled: 1-line block ×3, first 2 shown]
	v_mov_b32_e32 v43, v35
	v_mov_b32_e32 v47, v33
	v_sub_f32_e32 v10, v6, v7
	v_pk_mul_f32 v[6:7], v[2:3], v[22:23]
	v_mul_f32_e32 v5, v4, v32
	v_mov_b32_e32 v4, v3
	v_sub_f32_e32 v6, v15, v6
	ds_write_b32 v54, v3
	v_pk_mul_f32 v[8:9], v[4:5], v[46:47]
	s_waitcnt lgkmcnt(9)
	v_mov_b32_e32 v35, v39
	s_waitcnt lgkmcnt(7)
	v_pk_mul_f32 v[2:3], v[2:3], v[42:43]
	v_sub_f32_e32 v8, v10, v8
	v_sub_f32_e32 v10, v6, v7
	v_pk_mul_f32 v[6:7], v[4:5], v[34:35]
	v_sub_f32_e32 v2, v16, v2
	v_sub_f32_e32 v4, v11, v6
	;; [unrolled: 1-line block ×4, first 2 shown]
	v_mov_b32_e32 v48, v38
	v_mul_f32_e32 v3, v2, v24
	v_mov_b32_e32 v2, v5
	v_pk_mul_f32 v[8:9], v[2:3], v[48:49]
	v_mov_b32_e32 v41, v27
	v_sub_f32_e32 v6, v10, v8
	v_sub_f32_e32 v8, v4, v7
	;; [unrolled: 1-line block ×3, first 2 shown]
	ds_write2_b32 v55, v5, v3 offset1:12
	s_waitcnt lgkmcnt(6)
	v_mul_f32_e32 v5, v4, v12
	v_mov_b32_e32 v4, v3
	v_mov_b32_e32 v27, v13
	v_pk_mul_f32 v[6:7], v[4:5], v[26:27]
	v_pk_mul_f32 v[2:3], v[2:3], v[40:41]
	v_sub_f32_e32 v4, v8, v6
	v_sub_f32_e32 v2, v11, v2
	;; [unrolled: 1-line block ×4, first 2 shown]
	v_add_u32_e32 v56, s6, v1
	s_waitcnt lgkmcnt(5)
	v_mul_f32_e32 v3, v2, v50
	v_mov_b32_e32 v2, v5
	v_mov_b32_e32 v45, v51
	ds_write2_b32 v56, v5, v3 offset1:12
	v_pk_mul_f32 v[2:3], v[2:3], v[44:45]
	s_add_i32 s7, s7, 8
	v_sub_f32_e32 v2, v6, v2
	v_sub_f32_e32 v2, v2, v3
	s_waitcnt lgkmcnt(5)
	v_mul_f32_e32 v2, v2, v25
	ds_write_b32 v56, v2 offset:96
.LBB13_46:
	s_cmp_ge_i32 s7, s18
	s_cbranch_scc1 .LBB13_51
; %bb.47:
	v_mov_b32_e32 v2, 0x240
	s_lshl_b32 s4, s7, 2
	v_lshl_or_b32 v2, v0, 2, v2
	s_branch .LBB13_49
.LBB13_48:                              ;   in Loop: Header=BB13_49 Depth=1
	s_lshl_b32 s6, s7, 2
	s_add_i32 s5, s6, s5
	v_mov_b32_e32 v5, s5
	ds_read_b32 v5, v5
	s_add_i32 s7, s7, 1
	s_add_i32 s4, s4, 4
	s_cmp_ge_i32 s7, s18
	s_waitcnt lgkmcnt(0)
	v_mul_f32_e32 v4, v4, v5
	ds_write_b32 v3, v4
	s_cbranch_scc1 .LBB13_51
.LBB13_49:                              ; =>This Loop Header: Depth=1
                                        ;     Child Loop BB13_50 Depth 2
	s_mul_i32 s5, s7, 48
	v_add_u32_e32 v3, s5, v1
	ds_read_b32 v4, v3
	s_cmp_eq_u32 s7, 0
	v_mov_b32_e32 v5, v2
	s_mov_b32 s6, s4
	s_mov_b32 s10, s7
	s_cbranch_scc1 .LBB13_48
.LBB13_50:                              ;   Parent Loop BB13_49 Depth=1
                                        ; =>  This Inner Loop Header: Depth=2
	v_mov_b32_e32 v7, s6
	ds_read_b32 v6, v5
	ds_read_b32 v7, v7
	s_add_i32 s10, s10, -1
	s_add_i32 s6, s6, 48
	v_add_u32_e32 v5, 48, v5
	s_cmp_lg_u32 s10, 0
	s_waitcnt lgkmcnt(0)
	v_fma_f32 v4, -v6, v7, v4
	s_cbranch_scc1 .LBB13_50
	s_branch .LBB13_48
.LBB13_51:
	s_waitcnt lgkmcnt(0)
	; wave barrier
	s_and_saveexec_b64 s[4:5], s[0:1]
	s_cbranch_execz .LBB13_55
; %bb.52:
	s_andn2_b64 vcc, exec, s[8:9]
	s_cbranch_vccnz .LBB13_55
; %bb.53:
	v_mad_i64_i32 v[2:3], s[0:1], s12, v0, 0
	v_mov_b32_e32 v1, 0x240
	v_lshl_add_u64 v[2:3], v[2:3], 2, s[2:3]
	v_lshl_or_b32 v0, v0, 2, v1
.LBB13_54:                              ; =>This Inner Loop Header: Depth=1
	ds_read_b32 v1, v0
	s_add_i32 s18, s18, -1
	v_add_u32_e32 v0, 48, v0
	s_cmp_lg_u32 s18, 0
	s_waitcnt lgkmcnt(0)
	flat_store_dword v[2:3], v1
	v_lshl_add_u64 v[2:3], v[2:3], 0, 4
	s_cbranch_scc1 .LBB13_54
.LBB13_55:
	s_endpgm
	.section	.rodata,"a",@progbits
	.p2align	6, 0x0
	.amdhsa_kernel _ZL38rocblas_trsm_small_left_device_sharedBILi12ELi12ELb1EffPKPKfPKPfEv13rocblas_fill_18rocblas_operation_17rocblas_diagonal_iiT3_T4_lilT5_lili
		.amdhsa_group_segment_fixed_size 1152
		.amdhsa_private_segment_fixed_size 0
		.amdhsa_kernarg_size 352
		.amdhsa_user_sgpr_count 2
		.amdhsa_user_sgpr_dispatch_ptr 0
		.amdhsa_user_sgpr_queue_ptr 0
		.amdhsa_user_sgpr_kernarg_segment_ptr 1
		.amdhsa_user_sgpr_dispatch_id 0
		.amdhsa_user_sgpr_kernarg_preload_length 0
		.amdhsa_user_sgpr_kernarg_preload_offset 0
		.amdhsa_user_sgpr_private_segment_size 0
		.amdhsa_uses_dynamic_stack 0
		.amdhsa_enable_private_segment 0
		.amdhsa_system_sgpr_workgroup_id_x 1
		.amdhsa_system_sgpr_workgroup_id_y 0
		.amdhsa_system_sgpr_workgroup_id_z 1
		.amdhsa_system_sgpr_workgroup_info 0
		.amdhsa_system_vgpr_workitem_id 0
		.amdhsa_next_free_vgpr 63
		.amdhsa_next_free_sgpr 30
		.amdhsa_accum_offset 64
		.amdhsa_reserve_vcc 1
		.amdhsa_float_round_mode_32 0
		.amdhsa_float_round_mode_16_64 0
		.amdhsa_float_denorm_mode_32 3
		.amdhsa_float_denorm_mode_16_64 3
		.amdhsa_dx10_clamp 1
		.amdhsa_ieee_mode 1
		.amdhsa_fp16_overflow 0
		.amdhsa_tg_split 0
		.amdhsa_exception_fp_ieee_invalid_op 0
		.amdhsa_exception_fp_denorm_src 0
		.amdhsa_exception_fp_ieee_div_zero 0
		.amdhsa_exception_fp_ieee_overflow 0
		.amdhsa_exception_fp_ieee_underflow 0
		.amdhsa_exception_fp_ieee_inexact 0
		.amdhsa_exception_int_div_zero 0
	.end_amdhsa_kernel
	.section	.text._ZL38rocblas_trsm_small_left_device_sharedBILi12ELi12ELb1EffPKPKfPKPfEv13rocblas_fill_18rocblas_operation_17rocblas_diagonal_iiT3_T4_lilT5_lili,"axG",@progbits,_ZL38rocblas_trsm_small_left_device_sharedBILi12ELi12ELb1EffPKPKfPKPfEv13rocblas_fill_18rocblas_operation_17rocblas_diagonal_iiT3_T4_lilT5_lili,comdat
.Lfunc_end13:
	.size	_ZL38rocblas_trsm_small_left_device_sharedBILi12ELi12ELb1EffPKPKfPKPfEv13rocblas_fill_18rocblas_operation_17rocblas_diagonal_iiT3_T4_lilT5_lili, .Lfunc_end13-_ZL38rocblas_trsm_small_left_device_sharedBILi12ELi12ELb1EffPKPKfPKPfEv13rocblas_fill_18rocblas_operation_17rocblas_diagonal_iiT3_T4_lilT5_lili
                                        ; -- End function
	.set _ZL38rocblas_trsm_small_left_device_sharedBILi12ELi12ELb1EffPKPKfPKPfEv13rocblas_fill_18rocblas_operation_17rocblas_diagonal_iiT3_T4_lilT5_lili.num_vgpr, 63
	.set _ZL38rocblas_trsm_small_left_device_sharedBILi12ELi12ELb1EffPKPKfPKPfEv13rocblas_fill_18rocblas_operation_17rocblas_diagonal_iiT3_T4_lilT5_lili.num_agpr, 0
	.set _ZL38rocblas_trsm_small_left_device_sharedBILi12ELi12ELb1EffPKPKfPKPfEv13rocblas_fill_18rocblas_operation_17rocblas_diagonal_iiT3_T4_lilT5_lili.numbered_sgpr, 30
	.set _ZL38rocblas_trsm_small_left_device_sharedBILi12ELi12ELb1EffPKPKfPKPfEv13rocblas_fill_18rocblas_operation_17rocblas_diagonal_iiT3_T4_lilT5_lili.num_named_barrier, 0
	.set _ZL38rocblas_trsm_small_left_device_sharedBILi12ELi12ELb1EffPKPKfPKPfEv13rocblas_fill_18rocblas_operation_17rocblas_diagonal_iiT3_T4_lilT5_lili.private_seg_size, 0
	.set _ZL38rocblas_trsm_small_left_device_sharedBILi12ELi12ELb1EffPKPKfPKPfEv13rocblas_fill_18rocblas_operation_17rocblas_diagonal_iiT3_T4_lilT5_lili.uses_vcc, 1
	.set _ZL38rocblas_trsm_small_left_device_sharedBILi12ELi12ELb1EffPKPKfPKPfEv13rocblas_fill_18rocblas_operation_17rocblas_diagonal_iiT3_T4_lilT5_lili.uses_flat_scratch, 0
	.set _ZL38rocblas_trsm_small_left_device_sharedBILi12ELi12ELb1EffPKPKfPKPfEv13rocblas_fill_18rocblas_operation_17rocblas_diagonal_iiT3_T4_lilT5_lili.has_dyn_sized_stack, 0
	.set _ZL38rocblas_trsm_small_left_device_sharedBILi12ELi12ELb1EffPKPKfPKPfEv13rocblas_fill_18rocblas_operation_17rocblas_diagonal_iiT3_T4_lilT5_lili.has_recursion, 0
	.set _ZL38rocblas_trsm_small_left_device_sharedBILi12ELi12ELb1EffPKPKfPKPfEv13rocblas_fill_18rocblas_operation_17rocblas_diagonal_iiT3_T4_lilT5_lili.has_indirect_call, 0
	.section	.AMDGPU.csdata,"",@progbits
; Kernel info:
; codeLenInByte = 5784
; TotalNumSgprs: 36
; NumVgprs: 63
; NumAgprs: 0
; TotalNumVgprs: 63
; ScratchSize: 0
; MemoryBound: 0
; FloatMode: 240
; IeeeMode: 1
; LDSByteSize: 1152 bytes/workgroup (compile time only)
; SGPRBlocks: 4
; VGPRBlocks: 7
; NumSGPRsForWavesPerEU: 36
; NumVGPRsForWavesPerEU: 63
; AccumOffset: 64
; Occupancy: 8
; WaveLimiterHint : 0
; COMPUTE_PGM_RSRC2:SCRATCH_EN: 0
; COMPUTE_PGM_RSRC2:USER_SGPR: 2
; COMPUTE_PGM_RSRC2:TRAP_HANDLER: 0
; COMPUTE_PGM_RSRC2:TGID_X_EN: 1
; COMPUTE_PGM_RSRC2:TGID_Y_EN: 0
; COMPUTE_PGM_RSRC2:TGID_Z_EN: 1
; COMPUTE_PGM_RSRC2:TIDIG_COMP_CNT: 0
; COMPUTE_PGM_RSRC3_GFX90A:ACCUM_OFFSET: 15
; COMPUTE_PGM_RSRC3_GFX90A:TG_SPLIT: 0
	.section	.text._ZL30rocblas_trsm_small_left_deviceILi12ELi12ELb1EffPKPKfPKPfEv13rocblas_fill_18rocblas_operation_17rocblas_diagonal_iiT3_T4_lilT5_lili,"axG",@progbits,_ZL30rocblas_trsm_small_left_deviceILi12ELi12ELb1EffPKPKfPKPfEv13rocblas_fill_18rocblas_operation_17rocblas_diagonal_iiT3_T4_lilT5_lili,comdat
	.globl	_ZL30rocblas_trsm_small_left_deviceILi12ELi12ELb1EffPKPKfPKPfEv13rocblas_fill_18rocblas_operation_17rocblas_diagonal_iiT3_T4_lilT5_lili ; -- Begin function _ZL30rocblas_trsm_small_left_deviceILi12ELi12ELb1EffPKPKfPKPfEv13rocblas_fill_18rocblas_operation_17rocblas_diagonal_iiT3_T4_lilT5_lili
	.p2align	8
	.type	_ZL30rocblas_trsm_small_left_deviceILi12ELi12ELb1EffPKPKfPKPfEv13rocblas_fill_18rocblas_operation_17rocblas_diagonal_iiT3_T4_lilT5_lili,@function
_ZL30rocblas_trsm_small_left_deviceILi12ELi12ELb1EffPKPKfPKPfEv13rocblas_fill_18rocblas_operation_17rocblas_diagonal_iiT3_T4_lilT5_lili: ; @_ZL30rocblas_trsm_small_left_deviceILi12ELi12ELb1EffPKPKfPKPfEv13rocblas_fill_18rocblas_operation_17rocblas_diagonal_iiT3_T4_lilT5_lili
; %bb.0:
	s_load_dwordx4 s[8:11], s[0:1], 0x38
	s_load_dwordx4 s[4:7], s[0:1], 0x4
	s_load_dword s16, s[0:1], 0x14
	s_mov_b32 s20, s3
	s_mov_b32 s21, 0
	s_lshl_b64 s[24:25], s[20:21], 3
	s_waitcnt lgkmcnt(0)
	s_add_u32 s8, s8, s24
	s_addc_u32 s9, s9, s25
	s_load_dwordx2 s[8:9], s[8:9], 0x0
	s_min_i32 s17, s6, 12
	v_cmp_gt_i32_e32 vcc, s17, v0
	s_and_saveexec_b64 s[18:19], vcc
	s_cbranch_execz .LBB14_11
; %bb.1:
	s_load_dwordx4 s[12:15], s[0:1], 0x18
	s_load_dword s22, s[0:1], 0x28
	v_lshlrev_b32_e32 v2, 2, v0
	v_mov_b32_e32 v3, 0
	s_mov_b32 s3, 1
	s_waitcnt lgkmcnt(0)
	s_add_u32 s12, s12, s24
	s_addc_u32 s13, s13, s25
	s_load_dwordx2 s[12:13], s[12:13], 0x0
	s_cmp_lt_u32 s17, 2
	s_cselect_b64 s[26:27], -1, 0
	s_cmp_lg_u32 s22, 1
	s_cselect_b64 s[28:29], -1, 0
	s_or_b64 s[26:27], s[26:27], s[28:29]
	s_mov_b64 s[24:25], -1
	s_and_b64 vcc, exec, s[26:27]
	s_cbranch_vccnz .LBB14_5
; %bb.2:
	s_lshl_b64 s[20:21], s[14:15], 2
	s_waitcnt lgkmcnt(0)
	s_add_u32 s20, s12, s20
	s_addc_u32 s21, s13, s21
	v_lshl_add_u64 v[4:5], s[20:21], 0, v[2:3]
	s_and_b32 s21, s17, -2
	s_mov_b32 s20, 0
	s_mov_b32 s23, s21
.LBB14_3:                               ; =>This Inner Loop Header: Depth=1
	flat_load_dwordx2 v[6:7], v[4:5]
	v_mad_u64_u32 v[8:9], s[24:25], s20, 48, v[2:3]
	v_mad_u64_u32 v[10:11], s[24:25], s3, 48, v[2:3]
	s_add_i32 s20, s20, 2
	s_add_i32 s3, s3, 2
	s_add_i32 s23, s23, -2
	v_lshl_add_u64 v[4:5], v[4:5], 0, 8
	s_cmp_lg_u32 s23, 0
	s_waitcnt vmcnt(0) lgkmcnt(0)
	ds_write_b32 v8, v6
	ds_write_b32 v10, v7
	s_cbranch_scc1 .LBB14_3
; %bb.4:
	s_cmp_lg_u32 s17, s21
	s_cselect_b64 s[24:25], -1, 0
.LBB14_5:
	s_and_b64 vcc, exec, s[24:25]
	s_cbranch_vccz .LBB14_8
; %bb.6:
	s_ashr_i32 s23, s22, 31
	s_mul_hi_u32 s3, s22, s21
	s_mul_i32 s20, s23, s21
	s_add_i32 s25, s3, s20
	s_mul_i32 s24, s22, s21
	s_lshl_b64 s[24:25], s[24:25], 2
	s_lshl_b64 s[14:15], s[14:15], 2
	s_add_u32 s3, s24, s14
	s_addc_u32 s14, s25, s15
	s_waitcnt lgkmcnt(0)
	s_add_u32 s12, s12, s3
	v_mov_b32_e32 v3, 0
	s_addc_u32 s13, s13, s14
	s_mul_i32 s14, s21, 48
	v_lshl_add_u64 v[4:5], s[12:13], 0, v[2:3]
	s_lshl_b64 s[12:13], s[22:23], 2
	s_sub_i32 s3, s17, s21
	v_lshl_add_u32 v1, v0, 2, s14
.LBB14_7:                               ; =>This Inner Loop Header: Depth=1
	flat_load_dword v3, v[4:5]
	s_add_i32 s3, s3, -1
	v_lshl_add_u64 v[4:5], v[4:5], 0, s[12:13]
	s_cmp_eq_u32 s3, 0
	s_waitcnt vmcnt(0) lgkmcnt(0)
	ds_write_b32 v1, v3
	v_add_u32_e32 v1, 48, v1
	s_cbranch_scc0 .LBB14_7
.LBB14_8:
	v_mul_u32_u24_e32 v1, 48, v0
	s_cmpk_lg_i32 s5, 0x84
	v_mov_b32_e32 v3, 1.0
	v_add_u32_e32 v1, v2, v1
	s_cbranch_scc0 .LBB14_10
; %bb.9:
	ds_read_b32 v2, v1
	s_waitcnt lgkmcnt(0)
	v_div_scale_f32 v3, s[12:13], v2, v2, 1.0
	v_rcp_f32_e32 v4, v3
	v_div_scale_f32 v5, vcc, 1.0, v2, 1.0
	v_fma_f32 v6, -v3, v4, 1.0
	v_fmac_f32_e32 v4, v6, v4
	v_mul_f32_e32 v6, v5, v4
	v_fma_f32 v7, -v3, v6, v5
	v_fmac_f32_e32 v6, v7, v4
	v_fma_f32 v3, -v3, v6, v5
	v_div_fmas_f32 v3, v3, v4, v6
	v_div_fixup_f32 v3, v3, v2, 1.0
.LBB14_10:
	ds_write_b32 v1, v3
.LBB14_11:
	s_or_b64 exec, exec, s[18:19]
	s_load_dword s3, s[0:1], 0x60
	s_mul_i32 s5, s2, -12
	s_add_i32 s5, s7, s5
	s_waitcnt lgkmcnt(0)
	; wave barrier
	s_add_i32 s3, s3, -1
	s_cmp_ge_u32 s2, s3
	s_cselect_b32 s3, s5, 12
	v_cmp_gt_i32_e32 vcc, s3, v0
	s_and_saveexec_b64 s[12:13], vcc
	s_cbranch_execz .LBB14_53
; %bb.12:
	s_load_dword s5, s[0:1], 0x48
	s_lshl_b64 s[0:1], s[10:11], 2
	s_add_u32 s0, s8, s0
	v_mad_u64_u32 v[0:1], s[2:3], s2, 12, v[0:1]
	s_addc_u32 s1, s9, s1
	s_waitcnt lgkmcnt(0)
	v_mad_i64_i32 v[0:1], s[2:3], s5, v0, 0
	v_lshl_add_u64 v[4:5], v[0:1], 2, s[0:1]
	s_cmpk_eq_i32 s4, 0x6f
	s_mov_b64 s[0:1], -1
	s_cbranch_scc1 .LBB14_39
; %bb.13:
	s_add_i32 s7, s17, -1
	s_cmp_gt_i32 s6, 11
	s_mov_b32 s0, -1
	s_cbranch_scc0 .LBB14_15
; %bb.14:
	flat_load_dwordx4 v[8:11], v[4:5] offset:32
	flat_load_dwordx4 v[12:15], v[4:5] offset:16
	flat_load_dwordx4 v[16:19], v[4:5]
	v_mov_b32_e32 v39, 0
	ds_read_b32 v41, v39 offset:572
	ds_read2_b64 v[20:23], v39 offset0:59 offset1:65
	ds_read2_b32 v[42:43], v39 offset0:78 offset1:83
	ds_read2_b32 v[6:7], v39 offset0:39 offset1:59
	;; [unrolled: 1-line block ×4, first 2 shown]
	ds_read_b64 v[44:45], v39 offset:280
	ds_read_b128 v[24:27], v39 offset:416
	ds_read_b128 v[28:31], v39 offset:368
	ds_read_b64 v[46:47], v39 offset:88
	ds_read2_b32 v[48:49], v39 offset0:27 offset1:28
	ds_read2_b32 v[50:51], v39 offset0:29 offset1:30
	;; [unrolled: 1-line block ×3, first 2 shown]
	ds_read_b128 v[32:35], v39 offset:176
	ds_read_b96 v[36:38], v39 offset:208
	s_waitcnt lgkmcnt(0)
	v_mov_b32_e32 v61, v3
	v_mov_b32_e32 v40, s16
	;; [unrolled: 1-line block ×6, first 2 shown]
	s_waitcnt vmcnt(0)
	v_mul_f32_e32 v3, s16, v11
	v_mov_b32_e32 v11, v23
	v_mul_f32_e32 v41, v3, v41
	v_pk_mul_f32 v[10:11], v[40:41], v[10:11]
	v_mov_b32_e32 v26, v8
	v_mov_b32_e32 v56, v14
	;; [unrolled: 1-line block ×4, first 2 shown]
	v_sub_f32_e32 v3, v10, v11
	v_pk_mul_f32 v[26:27], v[40:41], v[26:27]
	v_pk_mul_f32 v[56:57], v[40:41], v[56:57]
	;; [unrolled: 1-line block ×4, first 2 shown]
	v_mul_f32_e32 v40, v3, v22
	v_pk_mul_f32 v[22:23], v[40:41], v[34:35]
	v_pk_mul_f32 v[34:35], v[40:41], v[44:45]
	;; [unrolled: 1-line block ×3, first 2 shown]
	v_fma_f32 v8, s16, v13, -v35
	v_pk_mul_f32 v[12:13], v[40:41], v[30:31]
	ds_read2_b32 v[30:31], v39 offset0:91 offset1:117
	v_fma_f32 v3, s16, v17, -v11
	v_fma_f32 v11, s16, v15, -v13
	v_pk_mul_f32 v[14:15], v[40:41], v[20:21]
	v_mul_f32_e32 v0, v41, v0
	v_fma_f32 v9, s16, v9, -v15
	v_fma_f32 v0, s16, v16, -v0
	;; [unrolled: 1-line block ×3, first 2 shown]
	ds_read2_b64 v[16:19], v39 offset0:33 offset1:34
	v_sub_f32_e32 v43, v9, v14
	ds_read2_b32 v[44:45], v39 offset0:81 offset1:82
	ds_read2_b32 v[46:47], v39 offset0:79 offset1:80
	v_sub_f32_e32 v74, v11, v12
	v_sub_f32_e32 v75, v8, v34
	;; [unrolled: 1-line block ×4, first 2 shown]
	ds_read2_b32 v[34:35], v39 offset0:9 offset1:10
	ds_read2_b32 v[62:63], v39 offset0:7 offset1:8
	;; [unrolled: 1-line block ×4, first 2 shown]
	ds_read_b32 v77, v39 offset:260
	ds_read2_b32 v[68:69], v39 offset0:55 offset1:56
	ds_read2_b32 v[70:71], v39 offset0:57 offset1:58
	;; [unrolled: 1-line block ×3, first 2 shown]
	ds_read_b128 v[8:11], v39 offset:160
	ds_read2_b64 v[12:15], v39 offset0:7 offset1:8
	ds_read2_b64 v[20:23], v39 offset0:9 offset1:10
	flat_store_dwordx2 v[4:5], v[40:41] offset:40
	v_mov_b32_e32 v41, v40
	s_waitcnt lgkmcnt(0)
	v_mul_f32_e32 v40, v43, v31
	v_sub_f32_e32 v76, v26, v27
	v_pk_mul_f32 v[26:27], v[40:41], v[54:55]
	v_sub_f32_e32 v31, v56, v57
	v_sub_f32_e32 v25, v76, v27
	;; [unrolled: 1-line block ×3, first 2 shown]
	v_pk_mul_f32 v[26:27], v[40:41], v[44:45]
	s_nop 0
	v_sub_f32_e32 v27, v31, v27
	v_sub_f32_e32 v31, v27, v26
	v_pk_mul_f32 v[26:27], v[40:41], v[34:35]
	s_nop 0
	v_sub_f32_e32 v0, v0, v27
	v_sub_f32_e32 v0, v0, v26
	v_mul_f32_e32 v26, v25, v24
	v_mov_b32_e32 v27, v40
	v_pk_mul_f32 v[24:25], v[26:27], v[28:29]
	v_pk_mul_f32 v[18:19], v[26:27], v[18:19]
	v_sub_f32_e32 v25, v74, v25
	v_sub_f32_e32 v24, v25, v24
	;; [unrolled: 1-line block ×3, first 2 shown]
	v_pk_mul_f32 v[28:29], v[26:27], v[32:33]
	v_sub_f32_e32 v32, v19, v18
	v_mul_f32_e32 v18, v24, v30
	v_mov_b32_e32 v19, v26
	v_pk_mul_f32 v[24:25], v[18:19], v[46:47]
	v_pk_mul_f32 v[22:23], v[26:27], v[22:23]
	v_sub_f32_e32 v25, v31, v25
	v_sub_f32_e32 v24, v25, v24
	v_mul_f32_e32 v24, v24, v42
	v_sub_f32_e32 v3, v3, v23
	v_mov_b32_e32 v25, v18
	v_sub_f32_e32 v3, v3, v22
	v_pk_mul_f32 v[16:17], v[24:25], v[16:17]
	v_pk_mul_f32 v[22:23], v[18:19], v[62:63]
	v_sub_f32_e32 v7, v7, v29
	v_sub_f32_e32 v0, v0, v23
	;; [unrolled: 1-line block ×4, first 2 shown]
	v_pk_mul_f32 v[20:21], v[24:25], v[20:21]
	v_sub_f32_e32 v0, v0, v22
	v_pk_mul_f32 v[22:23], v[18:19], v[68:69]
	v_pk_mul_f32 v[28:29], v[18:19], v[52:53]
	;; [unrolled: 1-line block ×4, first 2 shown]
	v_sub_f32_e32 v16, v17, v16
	flat_store_dwordx4 v[4:5], v[24:27] offset:24
	v_mov_b32_e32 v17, v24
	v_sub_f32_e32 v7, v7, v11
	v_sub_f32_e32 v24, v58, v59
	;; [unrolled: 1-line block ×5, first 2 shown]
	v_mov_b32_e32 v10, v37
	v_mov_b32_e32 v11, v38
	v_mul_f32_e32 v16, v16, v77
	v_sub_f32_e32 v18, v18, v23
	v_pk_mul_f32 v[10:11], v[16:17], v[10:11]
	v_sub_f32_e32 v18, v18, v22
	v_sub_f32_e32 v11, v18, v11
	;; [unrolled: 1-line block ×4, first 2 shown]
	v_mul_f32_e32 v10, v10, v36
	v_mov_b32_e32 v11, v16
	v_sub_f32_e32 v3, v3, v20
	v_pk_mul_f32 v[14:15], v[10:11], v[14:15]
	v_pk_mul_f32 v[30:31], v[40:41], v[72:73]
	v_sub_f32_e32 v3, v3, v15
	v_pk_mul_f32 v[8:9], v[10:11], v[8:9]
	v_sub_f32_e32 v11, v3, v14
	v_sub_f32_e32 v3, v60, v61
	;; [unrolled: 1-line block ×6, first 2 shown]
	v_pk_mul_f32 v[20:21], v[16:17], v[50:51]
	v_sub_f32_e32 v7, v7, v8
	v_sub_f32_e32 v3, v3, v28
	v_mul_f32_e32 v6, v7, v6
	v_mov_b32_e32 v7, v10
	v_sub_f32_e32 v3, v3, v21
	v_pk_mul_f32 v[8:9], v[6:7], v[48:49]
	v_sub_f32_e32 v3, v3, v20
	v_sub_f32_e32 v3, v3, v9
	;; [unrolled: 1-line block ×3, first 2 shown]
	v_mul_f32_e32 v8, v3, v2
	v_mov_b32_e32 v9, v6
	v_pk_mul_f32 v[2:3], v[8:9], v[12:13]
	v_pk_mul_f32 v[18:19], v[16:17], v[64:65]
	v_sub_f32_e32 v3, v11, v3
	v_mov_b32_e32 v11, v16
	flat_store_dwordx4 v[4:5], v[8:11] offset:8
	ds_read_b96 v[10:12], v39
	v_sub_f32_e32 v0, v0, v19
	v_sub_f32_e32 v0, v0, v18
	v_pk_mul_f32 v[6:7], v[6:7], v[66:67]
	s_nop 0
	v_sub_f32_e32 v0, v0, v7
	v_sub_f32_e32 v6, v0, v6
	;; [unrolled: 1-line block ×3, first 2 shown]
	s_waitcnt lgkmcnt(0)
	v_mov_b32_e32 v2, v11
	v_mov_b32_e32 v3, v12
	v_mul_f32_e32 v0, v0, v1
	v_mov_b32_e32 v1, v8
	v_pk_mul_f32 v[2:3], v[0:1], v[2:3]
	s_nop 0
	v_sub_f32_e32 v1, v6, v3
	v_sub_f32_e32 v1, v1, v2
	v_mul_f32_e32 v2, v1, v10
	v_mov_b32_e32 v3, v0
	flat_store_dwordx2 v[4:5], v[2:3]
	s_cmp_gt_i32 s0, -1
	s_cbranch_scc1 .LBB14_16
	s_branch .LBB14_38
.LBB14_15:
	s_mov_b32 s0, s7
	s_cmp_gt_i32 s0, -1
	s_cbranch_scc0 .LBB14_38
.LBB14_16:
	s_cmp_lt_u32 s0, 7
	s_cbranch_scc1 .LBB14_21
; %bb.17:
	s_mov_b32 s3, 0
	s_mov_b32 s1, s3
	v_lshl_add_u64 v[0:1], s[0:1], 2, v[4:5]
	v_add_co_u32_e32 v2, vcc, -12, v0
	s_cmp_le_i32 s7, s0
	s_nop 0
	v_addc_co_u32_e32 v3, vcc, -1, v1, vcc
	flat_load_dwordx4 v[6:9], v[2:3]
	v_add_co_u32_e32 v2, vcc, 0xffffffe4, v0
	s_waitcnt vmcnt(0) lgkmcnt(0)
	v_pk_mul_f32 v[6:7], s[16:17], v[6:7] op_sel_hi:[0,1]
	v_addc_co_u32_e32 v3, vcc, -1, v1, vcc
	flat_load_dwordx4 v[10:13], v[2:3]
	v_pk_mul_f32 v[2:3], s[16:17], v[8:9] op_sel_hi:[0,1]
	v_mov_b32_e32 v8, v7
	v_mov_b32_e32 v9, v6
	s_waitcnt vmcnt(0) lgkmcnt(0)
	v_pk_mul_f32 v[12:13], s[16:17], v[12:13] op_sel_hi:[0,1]
	v_pk_mul_f32 v[14:15], s[16:17], v[10:11] op_sel_hi:[0,1]
	v_mov_b32_e32 v10, v3
	v_mov_b32_e32 v11, v2
	v_mov_b32_e32 v6, v13
	v_mov_b32_e32 v7, v12
	v_mov_b32_e32 v2, v15
	v_mov_b32_e32 v3, v14
	s_cbranch_scc1 .LBB14_20
; %bb.18:
	s_mul_i32 s1, s0, 48
	s_lshl_b32 s2, s17, 2
	s_add_i32 s1, s1, s2
	s_addk_i32 s1, 0xfeac
	s_mov_b32 s2, s7
.LBB14_19:                              ; =>This Inner Loop Header: Depth=1
	v_lshl_add_u64 v[12:13], s[2:3], 2, v[4:5]
	flat_load_dword v12, v[12:13]
	v_mov_b32_e32 v13, s1
	ds_read2_b32 v[16:17], v13 offset0:72 offset1:84
	ds_read2_b32 v[18:19], v13 offset0:48 offset1:60
	;; [unrolled: 1-line block ×3, first 2 shown]
	ds_read2_b32 v[22:23], v13 offset1:12
	s_add_i32 s2, s2, -1
	s_add_i32 s1, s1, -4
	s_waitcnt lgkmcnt(0)
	v_mov_b32_e32 v14, v17
	v_mov_b32_e32 v15, v16
	;; [unrolled: 1-line block ×8, first 2 shown]
	s_cmp_gt_i32 s2, s0
	s_waitcnt vmcnt(0)
	v_pk_fma_f32 v[10:11], v[12:13], v[14:15], v[10:11] op_sel_hi:[0,1,1] neg_lo:[1,0,0] neg_hi:[1,0,0]
	v_pk_fma_f32 v[8:9], v[12:13], v[16:17], v[8:9] op_sel_hi:[0,1,1] neg_lo:[1,0,0] neg_hi:[1,0,0]
	;; [unrolled: 1-line block ×4, first 2 shown]
	s_cbranch_scc1 .LBB14_19
.LBB14_20:
	s_mul_i32 s1, s0, 52
	s_add_i32 s2, s0, -1
	v_mov_b32_e32 v20, s1
	s_mul_i32 s1, s2, 48
	s_lshl_b32 s4, s2, 2
	s_add_i32 s3, s1, s4
	v_mov_b32_e32 v21, s3
	s_mov_b32 s3, 0
	v_lshl_add_u64 v[12:13], s[2:3], 2, v[4:5]
	s_add_i32 s2, s0, -2
	s_sub_i32 s5, s1, 48
	s_lshl_b32 s9, s2, 2
	s_add_i32 s8, s5, s4
	s_add_i32 s5, s5, s9
	v_lshl_add_u64 v[14:15], s[2:3], 2, v[4:5]
	s_add_i32 s2, s0, -3
	v_mov_b32_e32 v22, s5
	s_add_i32 s5, s1, 0xffffffa0
	s_lshl_b32 s9, s0, 2
	s_lshl_b32 s11, s2, 2
	s_add_i32 s10, s5, s9
	s_add_i32 s5, s5, s11
	v_lshl_add_u64 v[16:17], s[2:3], 2, v[4:5]
	s_add_i32 s2, s0, -4
	v_mov_b32_e32 v24, s5
	s_add_i32 s5, s1, 0xffffff70
	s_lshl_b32 s14, s2, 2
	s_add_i32 s12, s5, s4
	s_add_i32 s13, s5, s11
	;; [unrolled: 1-line block ×3, first 2 shown]
	v_lshl_add_u64 v[18:19], s[2:3], 2, v[4:5]
	s_add_i32 s2, s0, -5
	v_mov_b32_e32 v25, s5
	s_add_i32 s5, s1, 0xffffff40
	s_lshl_b32 s18, s2, 2
	v_mov_b32_e32 v23, s10
	s_add_i32 s14, s5, s9
	s_add_i32 s5, s5, s18
	v_mov_b32_e32 v26, s14
	v_mov_b32_e32 v27, s5
	ds_read_b32 v48, v20
	ds_read2_b32 v[20:21], v21 offset1:1
	ds_read_b32 v50, v22
	ds_read_b32 v51, v23
	;; [unrolled: 1-line block ×6, first 2 shown]
	v_lshl_add_u64 v[22:23], s[2:3], 2, v[4:5]
	s_add_i32 s2, s0, -6
	s_add_i32 s5, s1, 0xffffff10
	s_lshl_b32 s19, s2, 2
	s_add_i32 s4, s5, s4
	s_add_i32 s11, s5, s11
	;; [unrolled: 1-line block ×4, first 2 shown]
	s_addk_i32 s1, 0xfee0
	v_mov_b32_e32 v26, s5
	s_add_i32 s5, s1, s9
	s_add_i32 s9, s5, -8
	s_add_i32 s10, s10, -8
	;; [unrolled: 1-line block ×4, first 2 shown]
	v_mov_b32_e32 v28, s9
	s_add_i32 s9, s5, -16
	v_mov_b32_e32 v27, s5
	v_mov_b32_e32 v29, s9
	;; [unrolled: 1-line block ×10, first 2 shown]
	ds_read_b32 v56, v26
	ds_read_b32 v57, v27
	ds_read2_b32 v[26:27], v28 offset1:1
	ds_read2_b32 v[28:29], v29 offset1:1
	;; [unrolled: 1-line block ×10, first 2 shown]
	v_mov_b32_e32 v46, s4
	s_waitcnt lgkmcnt(14)
	v_mul_f32_e32 v49, v10, v48
	ds_read2_b32 v[46:47], v46 offset1:1
	flat_store_dword v[0:1], v49
	v_fma_f32 v0, -v49, v21, v11
	v_mul_f32_e32 v48, v0, v20
	s_waitcnt lgkmcnt(0)
	v_pk_mul_f32 v[0:1], v[48:49], v[42:43]
	v_fma_f32 v10, -v49, v51, v9
	v_sub_f32_e32 v1, v8, v1
	v_pk_mul_f32 v[8:9], v[48:49], v[44:45]
	v_sub_f32_e32 v0, v1, v0
	v_sub_f32_e32 v9, v6, v9
	v_fma_f32 v11, -v49, v54, v7
	v_pk_mul_f32 v[6:7], v[48:49], v[46:47]
	v_mul_f32_e32 v0, v0, v50
	v_mov_b32_e32 v1, v48
	v_sub_f32_e32 v7, v2, v7
	v_fma_f32 v20, -v49, v57, v3
	v_pk_mul_f32 v[2:3], v[0:1], v[38:39]
	flat_store_dword v[14:15], v0
	v_sub_f32_e32 v3, v10, v3
	v_sub_f32_e32 v2, v3, v2
	;; [unrolled: 1-line block ×3, first 2 shown]
	v_pk_mul_f32 v[8:9], v[0:1], v[40:41]
	v_mul_f32_e32 v2, v2, v52
	v_mov_b32_e32 v3, v0
	v_sub_f32_e32 v9, v11, v9
	v_sub_f32_e32 v11, v7, v6
	v_pk_mul_f32 v[6:7], v[2:3], v[34:35]
	v_pk_mul_f32 v[0:1], v[0:1], v[26:27]
	v_sub_f32_e32 v7, v10, v7
	v_sub_f32_e32 v10, v9, v8
	v_pk_mul_f32 v[8:9], v[2:3], v[36:37]
	v_sub_f32_e32 v1, v20, v1
	v_sub_f32_e32 v9, v11, v9
	;; [unrolled: 1-line block ×4, first 2 shown]
	v_mul_f32_e32 v0, v0, v53
	v_mov_b32_e32 v1, v2
	flat_store_dword v[16:17], v2
	v_pk_mul_f32 v[2:3], v[0:1], v[32:33]
	v_sub_f32_e32 v8, v9, v8
	v_sub_f32_e32 v3, v10, v3
	;; [unrolled: 1-line block ×3, first 2 shown]
	v_mul_f32_e32 v2, v2, v55
	v_mov_b32_e32 v3, v0
	flat_store_dword v[18:19], v0
	v_pk_mul_f32 v[6:7], v[2:3], v[30:31]
	v_pk_mul_f32 v[0:1], v[0:1], v[28:29]
	v_sub_f32_e32 v3, v8, v7
	v_sub_f32_e32 v1, v11, v1
	;; [unrolled: 1-line block ×4, first 2 shown]
	v_lshl_add_u64 v[24:25], s[2:3], 2, v[4:5]
	s_sub_i32 s5, s5, 24
	v_mul_f32_e32 v0, v0, v56
	s_add_i32 s2, s0, -7
	flat_store_dword v[12:13], v48
	flat_store_dword v[22:23], v2
	;; [unrolled: 1-line block ×3, first 2 shown]
	v_mov_b32_e32 v1, s5
	ds_read2_b32 v[6:7], v1 offset1:1
	s_lshl_b32 s4, s2, 2
	s_add_i32 s1, s1, s4
	v_mov_b32_e32 v1, s1
	ds_read_b32 v3, v1
	v_mov_b32_e32 v1, v2
	s_waitcnt lgkmcnt(0)
	v_pk_mul_f32 v[0:1], v[0:1], v[6:7]
	s_add_i32 s0, s0, -8
	v_sub_f32_e32 v1, v8, v1
	v_sub_f32_e32 v0, v1, v0
	v_mul_f32_e32 v2, v0, v3
	v_lshl_add_u64 v[0:1], s[2:3], 2, v[4:5]
	flat_store_dword v[0:1], v2
.LBB14_21:
	s_cmp_lt_i32 s0, 0
	s_cbranch_scc1 .LBB14_38
; %bb.22:
	s_and_b32 s1, s0, 3
	s_cmp_eq_u32 s1, 3
	s_mov_b32 s2, s0
	s_cbranch_scc1 .LBB14_27
; %bb.23:
	s_mul_i32 s2, s0, 48
	s_lshl_b32 s3, s17, 2
	s_add_i32 s1, s0, 1
	s_add_i32 s2, s2, s3
	s_and_b32 s1, s1, 3
	s_add_i32 s8, s2, -4
	s_mov_b32 s5, 0
	s_mov_b32 s2, s0
	;; [unrolled: 1-line block ×3, first 2 shown]
	s_branch .LBB14_25
.LBB14_24:                              ;   in Loop: Header=BB14_25 Depth=1
	s_mul_i32 s3, s2, 52
	v_mov_b32_e32 v1, s3
	ds_read_b32 v1, v1
	s_add_i32 s2, s2, -1
	s_add_i32 s9, s9, 1
	s_sub_i32 s8, s8, 48
	s_cmp_lg_u32 s9, s1
	s_waitcnt lgkmcnt(0)
	v_mul_f32_e32 v0, v0, v1
	flat_store_dword v[2:3], v0
	s_cbranch_scc0 .LBB14_27
.LBB14_25:                              ; =>This Loop Header: Depth=1
                                        ;     Child Loop BB14_26 Depth 2
	s_mov_b32 s3, s5
	v_lshl_add_u64 v[2:3], s[2:3], 2, v[4:5]
	flat_load_dword v0, v[2:3]
	s_cmp_le_i32 s7, s2
	s_mov_b32 s3, s8
	s_mov_b32 s4, s7
	s_waitcnt vmcnt(0) lgkmcnt(0)
	v_mul_f32_e32 v0, s16, v0
	s_cbranch_scc1 .LBB14_24
.LBB14_26:                              ;   Parent Loop BB14_25 Depth=1
                                        ; =>  This Inner Loop Header: Depth=2
	v_lshl_add_u64 v[6:7], s[4:5], 2, v[4:5]
	flat_load_dword v1, v[6:7]
	v_mov_b32_e32 v6, s3
	ds_read_b32 v6, v6
	s_add_i32 s4, s4, -1
	s_add_i32 s3, s3, -4
	s_cmp_gt_i32 s4, s2
	s_waitcnt vmcnt(0) lgkmcnt(0)
	v_fma_f32 v0, -v1, v6, v0
	s_cbranch_scc1 .LBB14_26
	s_branch .LBB14_24
.LBB14_27:
	s_cmp_lt_u32 s0, 3
	s_cbranch_scc1 .LBB14_38
; %bb.28:
	s_mul_i32 s0, s2, 48
	s_lshl_b32 s1, s17, 2
	s_add_i32 s0, s0, s1
	s_add_i32 s8, s0, -4
	s_sub_i32 s9, s0, 52
	s_add_i32 s10, s0, 0xffffff9c
	s_add_i32 s11, s0, 0xffffff6c
	s_mov_b32 s1, 0
	s_branch .LBB14_30
.LBB14_29:                              ;   in Loop: Header=BB14_30 Depth=1
	s_sub_i32 s0, s3, 52
	v_mov_b32_e32 v1, s0
	ds_read_b32 v1, v1
	s_add_i32 s0, s2, -4
	s_addk_i32 s8, 0xff40
	s_addk_i32 s9, 0xff40
	s_addk_i32 s10, 0xff40
	s_addk_i32 s11, 0xff40
	s_waitcnt lgkmcnt(0)
	v_mul_f32_e32 v0, v0, v1
	s_cmp_lt_i32 s2, 4
	s_mov_b32 s2, s0
	flat_store_dword v[2:3], v0
	s_cbranch_scc1 .LBB14_38
.LBB14_30:                              ; =>This Loop Header: Depth=1
                                        ;     Child Loop BB14_31 Depth 2
                                        ;     Child Loop BB14_33 Depth 2
	;; [unrolled: 1-line block ×4, first 2 shown]
	s_mov_b32 s3, s1
	v_lshl_add_u64 v[6:7], s[2:3], 2, v[4:5]
	flat_load_dword v0, v[6:7]
	s_cmp_le_i32 s7, s2
	s_mov_b32 s3, s8
	s_mov_b32 s0, s7
	s_waitcnt vmcnt(0) lgkmcnt(0)
	v_mul_f32_e32 v0, s16, v0
	s_cbranch_scc1 .LBB14_32
.LBB14_31:                              ;   Parent Loop BB14_30 Depth=1
                                        ; =>  This Inner Loop Header: Depth=2
	v_lshl_add_u64 v[2:3], s[0:1], 2, v[4:5]
	flat_load_dword v1, v[2:3]
	v_mov_b32_e32 v2, s3
	ds_read_b32 v2, v2
	s_add_i32 s0, s0, -1
	s_add_i32 s3, s3, -4
	s_cmp_gt_i32 s0, s2
	s_waitcnt vmcnt(0) lgkmcnt(0)
	v_fma_f32 v0, -v1, v2, v0
	s_cbranch_scc1 .LBB14_31
.LBB14_32:                              ;   in Loop: Header=BB14_30 Depth=1
	s_add_i32 s0, s2, -1
	v_lshl_add_u64 v[2:3], s[0:1], 2, v[4:5]
	flat_load_dword v1, v[2:3]
	s_mul_i32 s3, s2, 52
	v_mov_b32_e32 v8, s3
	ds_read_b32 v8, v8
	s_mov_b32 s4, s9
	s_cmp_le_i32 s17, s2
	s_mov_b32 s0, s17
	s_waitcnt lgkmcnt(0)
	v_mul_f32_e32 v0, v0, v8
	flat_store_dword v[6:7], v0
	s_waitcnt vmcnt(0)
	v_mul_f32_e32 v0, s16, v1
	s_cbranch_scc1 .LBB14_34
.LBB14_33:                              ;   Parent Loop BB14_30 Depth=1
                                        ; =>  This Inner Loop Header: Depth=2
	s_add_i32 s0, s0, -1
	v_lshl_add_u64 v[6:7], s[0:1], 2, v[4:5]
	flat_load_dword v1, v[6:7]
	v_mov_b32_e32 v6, s4
	ds_read_b32 v6, v6
	s_add_i32 s4, s4, -4
	s_cmp_gt_i32 s0, s2
	s_waitcnt vmcnt(0) lgkmcnt(0)
	v_fma_f32 v0, -v1, v6, v0
	s_cbranch_scc1 .LBB14_33
.LBB14_34:                              ;   in Loop: Header=BB14_30 Depth=1
	s_add_i32 s4, s2, -2
	s_mov_b32 s5, s1
	v_lshl_add_u64 v[6:7], s[4:5], 2, v[4:5]
	flat_load_dword v1, v[6:7]
	s_sub_i32 s3, s3, 52
	v_mov_b32_e32 v8, s3
	ds_read_b32 v8, v8
	s_mov_b32 s5, s10
	s_cmp_le_i32 s7, s4
	s_mov_b32 s0, s7
	s_waitcnt lgkmcnt(0)
	v_mul_f32_e32 v0, v0, v8
	flat_store_dword v[2:3], v0
	s_waitcnt vmcnt(0)
	v_mul_f32_e32 v0, s16, v1
	s_cbranch_scc1 .LBB14_36
.LBB14_35:                              ;   Parent Loop BB14_30 Depth=1
                                        ; =>  This Inner Loop Header: Depth=2
	v_lshl_add_u64 v[2:3], s[0:1], 2, v[4:5]
	flat_load_dword v1, v[2:3]
	v_mov_b32_e32 v2, s5
	ds_read_b32 v2, v2
	s_add_i32 s0, s0, -1
	s_add_i32 s5, s5, -4
	s_cmp_gt_i32 s0, s4
	s_waitcnt vmcnt(0) lgkmcnt(0)
	v_fma_f32 v0, -v1, v2, v0
	s_cbranch_scc1 .LBB14_35
.LBB14_36:                              ;   in Loop: Header=BB14_30 Depth=1
	s_add_i32 s4, s2, -3
	s_mov_b32 s5, s1
	v_lshl_add_u64 v[2:3], s[4:5], 2, v[4:5]
	flat_load_dword v1, v[2:3]
	s_sub_i32 s3, s3, 52
	v_mov_b32_e32 v8, s3
	ds_read_b32 v8, v8
	s_mov_b32 s5, s11
	s_cmp_le_i32 s7, s4
	s_mov_b32 s0, s7
	s_waitcnt lgkmcnt(0)
	v_mul_f32_e32 v0, v0, v8
	flat_store_dword v[6:7], v0
	s_waitcnt vmcnt(0)
	v_mul_f32_e32 v0, s16, v1
	s_cbranch_scc1 .LBB14_29
.LBB14_37:                              ;   Parent Loop BB14_30 Depth=1
                                        ; =>  This Inner Loop Header: Depth=2
	v_lshl_add_u64 v[6:7], s[0:1], 2, v[4:5]
	flat_load_dword v1, v[6:7]
	v_mov_b32_e32 v6, s5
	ds_read_b32 v6, v6
	s_add_i32 s0, s0, -1
	s_add_i32 s5, s5, -4
	s_cmp_gt_i32 s0, s4
	s_waitcnt vmcnt(0) lgkmcnt(0)
	v_fma_f32 v0, -v1, v6, v0
	s_cbranch_scc1 .LBB14_37
	s_branch .LBB14_29
.LBB14_38:
	s_mov_b64 s[0:1], 0
.LBB14_39:
	s_and_b64 vcc, exec, s[0:1]
	s_cbranch_vccz .LBB14_53
; %bb.40:
	s_cmp_gt_i32 s6, 11
	s_cselect_b64 s[0:1], -1, 0
	s_mov_b32 s2, 0
	s_and_b64 vcc, exec, s[0:1]
	s_cbranch_vccz .LBB14_42
; %bb.41:
	flat_load_dwordx4 v[0:3], v[4:5]
	flat_load_dwordx4 v[6:9], v[4:5] offset:32
	flat_load_dwordx4 v[10:13], v[4:5] offset:16
	v_mov_b32_e32 v74, 0
	ds_read_b128 v[14:17], v74
	ds_read_b128 v[18:21], v74 offset:16
	ds_read_b128 v[22:25], v74 offset:32
	ds_read2_b32 v[40:41], v74 offset0:13 offset1:14
	ds_read_b128 v[26:29], v74 offset:208
	ds_read_b128 v[30:33], v74 offset:224
	ds_read2_b32 v[42:43], v74 offset0:19 offset1:20
	ds_read2_b32 v[44:45], v74 offset0:21 offset1:22
	;; [unrolled: 1-line block ×3, first 2 shown]
	ds_read2_b64 v[34:37], v74 offset0:15 offset1:16
	ds_read2_b32 v[48:49], v74 offset0:39 offset1:40
	ds_read2_b32 v[50:51], v74 offset0:43 offset1:44
	;; [unrolled: 1-line block ×5, first 2 shown]
	s_waitcnt lgkmcnt(0)
	v_mov_b32_e32 v60, v28
	v_mov_b32_e32 v28, v50
	;; [unrolled: 1-line block ×11, first 2 shown]
	s_mov_b32 s2, 12
	s_waitcnt vmcnt(0)
	v_mul_f32_e32 v0, s16, v0
	v_mul_f32_e32 v39, v0, v14
	v_mov_b32_e32 v62, v7
	v_mul_f32_e32 v7, v39, v25
	ds_read2_b32 v[24:25], v74 offset0:15 offset1:16
	v_mov_b32_e32 v58, v1
	v_pk_mul_f32 v[0:1], v[38:39], v[58:59]
	v_mov_b32_e32 v59, v21
	v_sub_f32_e32 v1, v0, v1
	v_mov_b32_e32 v0, v39
	v_mul_f32_e32 v1, v1, v40
	v_pk_mul_f32 v[14:15], v[0:1], v[22:23]
	v_pk_mul_f32 v[22:23], v[0:1], v[44:45]
	v_mov_b32_e32 v45, v19
	s_waitcnt lgkmcnt(0)
	v_mov_b32_e32 v19, v25
	v_mov_b32_e32 v21, v47
	v_pk_mul_f32 v[20:21], v[0:1], v[20:21]
	v_pk_mul_f32 v[18:19], v[0:1], v[18:19]
	v_fma_f32 v43, s16, v9, -v7
	v_fma_f32 v55, s16, v6, -v14
	;; [unrolled: 1-line block ×3, first 2 shown]
	v_mov_b32_e32 v44, v11
	v_mov_b32_e32 v58, v13
	v_fma_f32 v25, s16, v12, -v20
	v_fma_f32 v47, s16, v10, -v18
	ds_read2_b64 v[6:9], v74 offset0:17 offset1:41
	ds_read2_b32 v[40:41], v74 offset0:23 offset1:24
	ds_read2_b64 v[10:13], v74 offset0:13 offset1:14
	v_pk_mul_f32 v[16:17], v[0:1], v[16:17]
	v_mov_b32_e32 v64, v3
	v_fma_f32 v0, s16, v2, -v16
	v_sub_f32_e32 v0, v0, v17
	v_sub_f32_e32 v21, v25, v21
	s_waitcnt lgkmcnt(0)
	v_mov_b32_e32 v25, v11
	v_mul_f32_e32 v11, v0, v10
	v_mov_b32_e32 v10, v1
	v_pk_mul_f32 v[2:3], v[38:39], v[64:65]
	v_mov_b32_e32 v41, v7
	v_sub_f32_e32 v0, v2, v3
	v_pk_mul_f32 v[2:3], v[10:11], v[24:25]
	v_mov_b32_e32 v14, v12
	v_mov_b32_e32 v12, v46
	v_sub_f32_e32 v0, v0, v2
	v_sub_f32_e32 v19, v47, v19
	;; [unrolled: 1-line block ×3, first 2 shown]
	v_pk_mul_f32 v[22:23], v[10:11], v[12:13]
	v_sub_f32_e32 v0, v0, v3
	v_pk_mul_f32 v[12:13], v[10:11], v[40:41]
	v_mov_b32_e32 v20, v56
	v_mov_b32_e32 v56, v34
	v_sub_f32_e32 v46, v55, v15
	v_mov_b32_e32 v15, v49
	v_mul_f32_e32 v3, v0, v48
	v_sub_f32_e32 v0, v43, v12
	v_mov_b32_e32 v2, v11
	ds_read2_b32 v[66:67], v74 offset0:67 offset1:68
	ds_read2_b32 v[68:69], v74 offset0:69 offset1:70
	;; [unrolled: 1-line block ×4, first 2 shown]
	v_mov_b32_e32 v7, v53
	v_mov_b32_e32 v34, v42
	v_sub_f32_e32 v64, v0, v13
	v_pk_mul_f32 v[12:13], v[2:3], v[14:15]
	v_pk_mul_f32 v[14:15], v[2:3], v[56:57]
	;; [unrolled: 1-line block ×6, first 2 shown]
	v_mov_b32_e32 v0, v39
	v_pk_mul_f32 v[6:7], v[2:3], v[6:7]
	v_sub_f32_e32 v10, v19, v12
	v_sub_f32_e32 v11, v21, v14
	;; [unrolled: 1-line block ×3, first 2 shown]
	s_waitcnt lgkmcnt(3)
	v_mov_b32_e32 v18, v66
	v_mov_b32_e32 v66, v30
	;; [unrolled: 1-line block ×3, first 2 shown]
	v_pk_mul_f32 v[40:41], v[38:39], v[58:59]
	v_pk_mul_f32 v[42:43], v[38:39], v[62:63]
	v_sub_f32_e32 v19, v10, v13
	v_sub_f32_e32 v58, v11, v15
	;; [unrolled: 1-line block ×3, first 2 shown]
	ds_read2_b64 v[10:13], v74 offset0:39 offset1:40
	ds_read2_b32 v[38:39], v74 offset0:91 offset1:92
	v_sub_f32_e32 v6, v47, v6
	ds_read2_b32 v[44:45], v74 offset0:93 offset1:94
	ds_read2_b32 v[46:47], v74 offset0:95 offset1:96
	ds_read_b64 v[48:49], v74 offset:520
	ds_read2_b32 v[50:51], v74 offset0:119 offset1:120
	ds_read2_b32 v[52:53], v74 offset0:117 offset1:118
	ds_read_b128 v[14:17], v74 offset:416
	flat_store_dwordx4 v[4:5], v[0:3]
	v_mov_b32_e32 v56, v3
	v_mul_f32_e32 v57, v19, v26
	v_sub_f32_e32 v0, v36, v37
	v_mov_b32_e32 v21, v27
	v_sub_f32_e32 v0, v0, v22
	v_sub_f32_e32 v62, v6, v7
	v_sub_f32_e32 v7, v0, v23
	v_pk_mul_f32 v[0:1], v[56:57], v[20:21]
	v_mov_b32_e32 v55, v33
	v_sub_f32_e32 v0, v7, v0
	v_sub_f32_e32 v0, v0, v1
	v_pk_mul_f32 v[26:27], v[56:57], v[54:55]
	s_waitcnt lgkmcnt(0)
	v_mov_b32_e32 v61, v73
	v_mul_f32_e32 v1, v0, v72
	v_mov_b32_e32 v0, v57
	v_sub_f32_e32 v7, v64, v26
	v_pk_mul_f32 v[2:3], v[56:57], v[28:29]
	v_sub_f32_e32 v28, v7, v27
	v_pk_mul_f32 v[26:27], v[0:1], v[60:61]
	v_mov_b32_e32 v47, v17
	v_sub_f32_e32 v17, v40, v41
	v_sub_f32_e32 v7, v58, v26
	v_sub_f32_e32 v17, v17, v24
	v_sub_f32_e32 v29, v7, v27
	v_sub_f32_e32 v17, v17, v25
	v_mov_b32_e32 v19, v11
	v_mul_f32_e32 v11, v29, v10
	v_mov_b32_e32 v10, v1
	v_sub_f32_e32 v2, v17, v2
	v_pk_mul_f32 v[18:19], v[10:11], v[18:19]
	v_sub_f32_e32 v2, v2, v3
	v_sub_f32_e32 v2, v2, v18
	v_mov_b32_e32 v33, v69
	v_pk_mul_f32 v[26:27], v[0:1], v[66:67]
	v_sub_f32_e32 v2, v2, v19
	v_mov_b32_e32 v6, v12
	v_pk_mul_f32 v[22:23], v[0:1], v[32:33]
	v_mov_b32_e32 v71, v9
	v_mov_b32_e32 v7, v39
	v_sub_f32_e32 v0, v59, v26
	v_mul_f32_e32 v3, v2, v38
	v_mov_b32_e32 v2, v11
	v_sub_f32_e32 v0, v0, v27
	v_pk_mul_f32 v[6:7], v[2:3], v[6:7]
	v_pk_mul_f32 v[18:19], v[10:11], v[70:71]
	v_mov_b32_e32 v12, v68
	v_sub_f32_e32 v6, v0, v6
	v_sub_f32_e32 v0, v28, v18
	v_pk_mul_f32 v[12:13], v[10:11], v[12:13]
	v_sub_f32_e32 v10, v0, v19
	v_mov_b32_e32 v0, v57
	flat_store_dwordx4 v[4:5], v[0:3] offset:16
	v_pk_mul_f32 v[20:21], v[56:57], v[30:31]
	v_sub_f32_e32 v9, v62, v22
	v_sub_f32_e32 v0, v6, v7
	;; [unrolled: 1-line block ×7, first 2 shown]
	v_mov_b32_e32 v26, v44
	v_mov_b32_e32 v27, v15
	v_sub_f32_e32 v15, v9, v23
	v_mov_b32_e32 v9, v45
	v_mul_f32_e32 v1, v0, v14
	v_mov_b32_e32 v0, v3
	v_sub_f32_e32 v6, v6, v12
	v_pk_mul_f32 v[8:9], v[2:3], v[8:9]
	v_pk_mul_f32 v[2:3], v[0:1], v[26:27]
	v_sub_f32_e32 v6, v6, v13
	v_sub_f32_e32 v2, v6, v2
	;; [unrolled: 1-line block ×4, first 2 shown]
	v_mov_b32_e32 v17, v53
	v_mul_f32_e32 v3, v2, v52
	v_mov_b32_e32 v2, v1
	v_sub_f32_e32 v8, v8, v9
	v_pk_mul_f32 v[6:7], v[2:3], v[16:17]
	v_pk_mul_f32 v[0:1], v[0:1], v[46:47]
	v_sub_f32_e32 v6, v8, v6
	v_sub_f32_e32 v0, v10, v0
	flat_store_dwordx2 v[4:5], v[2:3] offset:32
	v_sub_f32_e32 v8, v0, v1
	v_sub_f32_e32 v0, v6, v7
	ds_read_b32 v6, v74 offset:572
	v_mov_b32_e32 v51, v49
	v_mul_f32_e32 v1, v0, v48
	v_mov_b32_e32 v0, v3
	v_pk_mul_f32 v[2:3], v[0:1], v[50:51]
	s_nop 0
	v_sub_f32_e32 v0, v8, v2
	v_sub_f32_e32 v0, v0, v3
	s_waitcnt lgkmcnt(0)
	v_mul_f32_e32 v3, v0, v6
	v_mov_b32_e32 v2, v1
	flat_store_dwordx2 v[4:5], v[2:3] offset:40
.LBB14_42:
	s_cmp_lt_i32 s2, s17
	s_cbranch_scc0 .LBB14_53
; %bb.43:
	s_add_i32 s3, s2, 7
	s_cmp_ge_u32 s3, s17
	s_cbranch_scc1 .LBB14_48
; %bb.44:
	s_lshl_b32 s4, s2, 2
	s_mov_b32 s5, 0
	v_lshl_add_u64 v[0:1], v[4:5], 0, s[4:5]
	flat_load_dwordx4 v[6:9], v[0:1]
	flat_load_dwordx4 v[12:15], v[0:1] offset:16
	s_andn2_b64 vcc, exec, s[0:1]
	s_waitcnt vmcnt(0) lgkmcnt(0)
	v_pk_mul_f32 v[10:11], s[16:17], v[6:7] op_sel_hi:[0,1]
	v_pk_mul_f32 v[8:9], s[16:17], v[8:9] op_sel_hi:[0,1]
	;; [unrolled: 1-line block ×4, first 2 shown]
	s_cbranch_vccnz .LBB14_47
; %bb.45:
	v_mov_b64_e32 v[12:13], v[4:5]
	s_mov_b32 s0, s2
.LBB14_46:                              ; =>This Inner Loop Header: Depth=1
	flat_load_dword v22, v[12:13]
	v_mov_b32_e32 v18, s4
	ds_read_b128 v[14:17], v18
	ds_read_b128 v[18:21], v18 offset:16
	s_add_i32 s0, s0, -1
	s_add_i32 s4, s4, 48
	v_lshl_add_u64 v[12:13], v[12:13], 0, 4
	s_cmp_lg_u32 s0, 0
	s_waitcnt vmcnt(0) lgkmcnt(0)
	v_pk_fma_f32 v[10:11], v[22:23], v[14:15], v[10:11] op_sel_hi:[0,1,1] neg_lo:[1,0,0] neg_hi:[1,0,0]
	v_pk_fma_f32 v[8:9], v[22:23], v[16:17], v[8:9] op_sel_hi:[0,1,1] neg_lo:[1,0,0] neg_hi:[1,0,0]
	;; [unrolled: 1-line block ×4, first 2 shown]
	s_cbranch_scc1 .LBB14_46
.LBB14_47:
	s_lshl_b32 s0, s2, 2
	s_mul_i32 s1, s2, 48
	s_add_i32 s0, s0, s1
	v_mov_b32_e32 v56, s0
	ds_read_b128 v[12:15], v56
	ds_read_b128 v[16:19], v56 offset:16
	ds_read2_b32 v[28:29], v56 offset0:39 offset1:40
	ds_read2_b32 v[30:31], v56 offset0:41 offset1:42
	ds_read_b128 v[20:23], v56 offset:208
	ds_read2_b32 v[32:33], v56 offset0:65 offset1:66
	ds_read2_b64 v[24:27], v56 offset0:13 offset1:14
	ds_read_b64 v[34:35], v56 offset:120
	ds_read_b64 v[36:37], v56 offset:312
	ds_read2_b32 v[58:59], v56 offset0:43 offset1:67
	ds_read2_b32 v[38:39], v56 offset0:13 offset1:14
	ds_read2_b32 v[40:41], v56 offset0:15 offset1:16
	ds_read2_b32 v[42:43], v56 offset0:17 offset1:18
	ds_read_b32 v44, v56 offset:76
	s_waitcnt lgkmcnt(13)
	v_mul_f32_e32 v10, v10, v12
	v_fma_f32 v11, -v10, v13, v11
	v_mov_b32_e32 v54, v14
	s_waitcnt lgkmcnt(3)
	v_mov_b32_e32 v55, v39
	v_mul_f32_e32 v11, v11, v38
	s_waitcnt lgkmcnt(2)
	v_mov_b32_e32 v52, v40
	v_mov_b32_e32 v40, v16
	v_pk_mul_f32 v[12:13], v[10:11], v[54:55]
	v_mov_b32_e32 v48, v26
	s_waitcnt lgkmcnt(1)
	v_mov_b32_e32 v26, v42
	v_mov_b32_e32 v42, v18
	v_sub_f32_e32 v12, v8, v12
	v_fma_f32 v14, -v10, v15, v9
	v_pk_mul_f32 v[8:9], v[10:11], v[40:41]
	v_fma_f32 v15, -v10, v17, v7
	v_sub_f32_e32 v8, v6, v8
	v_pk_mul_f32 v[6:7], v[10:11], v[42:43]
	v_fma_f32 v16, -v10, v19, v3
	v_sub_f32_e32 v2, v2, v6
	v_sub_f32_e32 v3, v12, v13
	v_mov_b32_e32 v53, v25
	v_sub_f32_e32 v18, v2, v7
	v_mul_f32_e32 v3, v3, v24
	v_mov_b32_e32 v2, v11
	v_pk_mul_f32 v[6:7], v[2:3], v[52:53]
	v_mov_b32_e32 v45, v35
	v_sub_f32_e32 v6, v14, v6
	v_sub_f32_e32 v6, v6, v7
	v_mov_b32_e32 v49, v29
	v_sub_f32_e32 v17, v8, v9
	v_pk_mul_f32 v[8:9], v[2:3], v[26:27]
	v_mul_f32_e32 v13, v6, v28
	v_mov_b32_e32 v12, v3
	v_sub_f32_e32 v8, v15, v8
	v_pk_mul_f32 v[6:7], v[12:13], v[48:49]
	s_waitcnt lgkmcnt(0)
	v_pk_mul_f32 v[14:15], v[2:3], v[44:45]
	v_sub_f32_e32 v6, v17, v6
	v_sub_f32_e32 v2, v16, v14
	;; [unrolled: 1-line block ×4, first 2 shown]
	v_mov_b32_e32 v50, v30
	v_mov_b32_e32 v51, v21
	v_mul_f32_e32 v3, v2, v20
	v_mov_b32_e32 v2, v13
	v_sub_f32_e32 v17, v8, v9
	v_pk_mul_f32 v[6:7], v[2:3], v[50:51]
	v_mov_b32_e32 v35, v31
	v_sub_f32_e32 v6, v17, v6
	v_pk_mul_f32 v[8:9], v[12:13], v[34:35]
	v_sub_f32_e32 v6, v6, v7
	v_mov_b32_e32 v47, v23
	v_sub_f32_e32 v8, v18, v8
	v_mov_b32_e32 v23, v33
	v_mul_f32_e32 v7, v6, v32
	v_mov_b32_e32 v6, v3
	v_mov_b32_e32 v46, v58
	flat_store_dwordx4 v[0:1], v[10:13]
	v_pk_mul_f32 v[2:3], v[2:3], v[46:47]
	flat_store_dwordx2 v[0:1], v[6:7] offset:16
	v_sub_f32_e32 v10, v8, v9
	v_pk_mul_f32 v[8:9], v[6:7], v[22:23]
	v_sub_f32_e32 v2, v14, v2
	v_sub_f32_e32 v8, v10, v8
	;; [unrolled: 1-line block ×3, first 2 shown]
	ds_read_b32 v11, v56 offset:364
	v_sub_f32_e32 v10, v2, v3
	v_mov_b32_e32 v2, v59
	v_mov_b32_e32 v3, v37
	v_mul_f32_e32 v9, v6, v36
	v_mov_b32_e32 v8, v7
	v_pk_mul_f32 v[2:3], v[8:9], v[2:3]
	s_add_i32 s2, s2, 8
	v_sub_f32_e32 v2, v10, v2
	v_sub_f32_e32 v2, v2, v3
	s_waitcnt lgkmcnt(0)
	v_mul_f32_e32 v3, v2, v11
	v_mov_b32_e32 v2, v9
	flat_store_dwordx2 v[0:1], v[2:3] offset:24
.LBB14_48:
	s_cmp_ge_i32 s2, s17
	s_cbranch_scc1 .LBB14_53
; %bb.49:
	s_lshl_b32 s0, s2, 2
	s_mov_b32 s3, 0
	s_branch .LBB14_51
.LBB14_50:                              ;   in Loop: Header=BB14_51 Depth=1
	s_mul_i32 s1, s2, 52
	v_mov_b32_e32 v2, s1
	ds_read_b32 v2, v2
	s_add_i32 s2, s2, 1
	s_add_i32 s0, s0, 4
	s_cmp_ge_i32 s2, s17
	s_waitcnt lgkmcnt(0)
	v_mul_f32_e32 v2, v6, v2
	flat_store_dword v[0:1], v2
	s_cbranch_scc1 .LBB14_53
.LBB14_51:                              ; =>This Loop Header: Depth=1
                                        ;     Child Loop BB14_52 Depth 2
	v_lshl_add_u64 v[0:1], s[2:3], 2, v[4:5]
	flat_load_dword v6, v[0:1]
	s_cmp_eq_u32 s2, 0
	v_mov_b64_e32 v[2:3], v[4:5]
	s_mov_b32 s1, s0
	s_mov_b32 s4, s2
	s_waitcnt vmcnt(0) lgkmcnt(0)
	v_mul_f32_e32 v6, s16, v6
	s_cbranch_scc1 .LBB14_50
.LBB14_52:                              ;   Parent Loop BB14_51 Depth=1
                                        ; =>  This Inner Loop Header: Depth=2
	flat_load_dword v7, v[2:3]
	v_mov_b32_e32 v8, s1
	ds_read_b32 v8, v8
	s_add_i32 s4, s4, -1
	s_add_i32 s1, s1, 48
	v_lshl_add_u64 v[2:3], v[2:3], 0, 4
	s_cmp_lg_u32 s4, 0
	s_waitcnt vmcnt(0) lgkmcnt(0)
	v_fma_f32 v6, -v7, v8, v6
	s_cbranch_scc1 .LBB14_52
	s_branch .LBB14_50
.LBB14_53:
	s_endpgm
	.section	.rodata,"a",@progbits
	.p2align	6, 0x0
	.amdhsa_kernel _ZL30rocblas_trsm_small_left_deviceILi12ELi12ELb1EffPKPKfPKPfEv13rocblas_fill_18rocblas_operation_17rocblas_diagonal_iiT3_T4_lilT5_lili
		.amdhsa_group_segment_fixed_size 576
		.amdhsa_private_segment_fixed_size 0
		.amdhsa_kernarg_size 352
		.amdhsa_user_sgpr_count 2
		.amdhsa_user_sgpr_dispatch_ptr 0
		.amdhsa_user_sgpr_queue_ptr 0
		.amdhsa_user_sgpr_kernarg_segment_ptr 1
		.amdhsa_user_sgpr_dispatch_id 0
		.amdhsa_user_sgpr_kernarg_preload_length 0
		.amdhsa_user_sgpr_kernarg_preload_offset 0
		.amdhsa_user_sgpr_private_segment_size 0
		.amdhsa_uses_dynamic_stack 0
		.amdhsa_enable_private_segment 0
		.amdhsa_system_sgpr_workgroup_id_x 1
		.amdhsa_system_sgpr_workgroup_id_y 0
		.amdhsa_system_sgpr_workgroup_id_z 1
		.amdhsa_system_sgpr_workgroup_info 0
		.amdhsa_system_vgpr_workitem_id 0
		.amdhsa_next_free_vgpr 78
		.amdhsa_next_free_sgpr 30
		.amdhsa_accum_offset 80
		.amdhsa_reserve_vcc 1
		.amdhsa_float_round_mode_32 0
		.amdhsa_float_round_mode_16_64 0
		.amdhsa_float_denorm_mode_32 3
		.amdhsa_float_denorm_mode_16_64 3
		.amdhsa_dx10_clamp 1
		.amdhsa_ieee_mode 1
		.amdhsa_fp16_overflow 0
		.amdhsa_tg_split 0
		.amdhsa_exception_fp_ieee_invalid_op 0
		.amdhsa_exception_fp_denorm_src 0
		.amdhsa_exception_fp_ieee_div_zero 0
		.amdhsa_exception_fp_ieee_overflow 0
		.amdhsa_exception_fp_ieee_underflow 0
		.amdhsa_exception_fp_ieee_inexact 0
		.amdhsa_exception_int_div_zero 0
	.end_amdhsa_kernel
	.section	.text._ZL30rocblas_trsm_small_left_deviceILi12ELi12ELb1EffPKPKfPKPfEv13rocblas_fill_18rocblas_operation_17rocblas_diagonal_iiT3_T4_lilT5_lili,"axG",@progbits,_ZL30rocblas_trsm_small_left_deviceILi12ELi12ELb1EffPKPKfPKPfEv13rocblas_fill_18rocblas_operation_17rocblas_diagonal_iiT3_T4_lilT5_lili,comdat
.Lfunc_end14:
	.size	_ZL30rocblas_trsm_small_left_deviceILi12ELi12ELb1EffPKPKfPKPfEv13rocblas_fill_18rocblas_operation_17rocblas_diagonal_iiT3_T4_lilT5_lili, .Lfunc_end14-_ZL30rocblas_trsm_small_left_deviceILi12ELi12ELb1EffPKPKfPKPfEv13rocblas_fill_18rocblas_operation_17rocblas_diagonal_iiT3_T4_lilT5_lili
                                        ; -- End function
	.set _ZL30rocblas_trsm_small_left_deviceILi12ELi12ELb1EffPKPKfPKPfEv13rocblas_fill_18rocblas_operation_17rocblas_diagonal_iiT3_T4_lilT5_lili.num_vgpr, 78
	.set _ZL30rocblas_trsm_small_left_deviceILi12ELi12ELb1EffPKPKfPKPfEv13rocblas_fill_18rocblas_operation_17rocblas_diagonal_iiT3_T4_lilT5_lili.num_agpr, 0
	.set _ZL30rocblas_trsm_small_left_deviceILi12ELi12ELb1EffPKPKfPKPfEv13rocblas_fill_18rocblas_operation_17rocblas_diagonal_iiT3_T4_lilT5_lili.numbered_sgpr, 30
	.set _ZL30rocblas_trsm_small_left_deviceILi12ELi12ELb1EffPKPKfPKPfEv13rocblas_fill_18rocblas_operation_17rocblas_diagonal_iiT3_T4_lilT5_lili.num_named_barrier, 0
	.set _ZL30rocblas_trsm_small_left_deviceILi12ELi12ELb1EffPKPKfPKPfEv13rocblas_fill_18rocblas_operation_17rocblas_diagonal_iiT3_T4_lilT5_lili.private_seg_size, 0
	.set _ZL30rocblas_trsm_small_left_deviceILi12ELi12ELb1EffPKPKfPKPfEv13rocblas_fill_18rocblas_operation_17rocblas_diagonal_iiT3_T4_lilT5_lili.uses_vcc, 1
	.set _ZL30rocblas_trsm_small_left_deviceILi12ELi12ELb1EffPKPKfPKPfEv13rocblas_fill_18rocblas_operation_17rocblas_diagonal_iiT3_T4_lilT5_lili.uses_flat_scratch, 0
	.set _ZL30rocblas_trsm_small_left_deviceILi12ELi12ELb1EffPKPKfPKPfEv13rocblas_fill_18rocblas_operation_17rocblas_diagonal_iiT3_T4_lilT5_lili.has_dyn_sized_stack, 0
	.set _ZL30rocblas_trsm_small_left_deviceILi12ELi12ELb1EffPKPKfPKPfEv13rocblas_fill_18rocblas_operation_17rocblas_diagonal_iiT3_T4_lilT5_lili.has_recursion, 0
	.set _ZL30rocblas_trsm_small_left_deviceILi12ELi12ELb1EffPKPKfPKPfEv13rocblas_fill_18rocblas_operation_17rocblas_diagonal_iiT3_T4_lilT5_lili.has_indirect_call, 0
	.section	.AMDGPU.csdata,"",@progbits
; Kernel info:
; codeLenInByte = 5920
; TotalNumSgprs: 36
; NumVgprs: 78
; NumAgprs: 0
; TotalNumVgprs: 78
; ScratchSize: 0
; MemoryBound: 0
; FloatMode: 240
; IeeeMode: 1
; LDSByteSize: 576 bytes/workgroup (compile time only)
; SGPRBlocks: 4
; VGPRBlocks: 9
; NumSGPRsForWavesPerEU: 36
; NumVGPRsForWavesPerEU: 78
; AccumOffset: 80
; Occupancy: 6
; WaveLimiterHint : 1
; COMPUTE_PGM_RSRC2:SCRATCH_EN: 0
; COMPUTE_PGM_RSRC2:USER_SGPR: 2
; COMPUTE_PGM_RSRC2:TRAP_HANDLER: 0
; COMPUTE_PGM_RSRC2:TGID_X_EN: 1
; COMPUTE_PGM_RSRC2:TGID_Y_EN: 0
; COMPUTE_PGM_RSRC2:TGID_Z_EN: 1
; COMPUTE_PGM_RSRC2:TIDIG_COMP_CNT: 0
; COMPUTE_PGM_RSRC3_GFX90A:ACCUM_OFFSET: 19
; COMPUTE_PGM_RSRC3_GFX90A:TG_SPLIT: 0
	.section	.text._ZL31rocblas_trsm_small_right_deviceIffPKPKfPKPfLi12EEv13rocblas_fill_18rocblas_operation_17rocblas_diagonal_iiT0_T1_lilT2_lili,"axG",@progbits,_ZL31rocblas_trsm_small_right_deviceIffPKPKfPKPfLi12EEv13rocblas_fill_18rocblas_operation_17rocblas_diagonal_iiT0_T1_lilT2_lili,comdat
	.globl	_ZL31rocblas_trsm_small_right_deviceIffPKPKfPKPfLi12EEv13rocblas_fill_18rocblas_operation_17rocblas_diagonal_iiT0_T1_lilT2_lili ; -- Begin function _ZL31rocblas_trsm_small_right_deviceIffPKPKfPKPfLi12EEv13rocblas_fill_18rocblas_operation_17rocblas_diagonal_iiT0_T1_lilT2_lili
	.p2align	8
	.type	_ZL31rocblas_trsm_small_right_deviceIffPKPKfPKPfLi12EEv13rocblas_fill_18rocblas_operation_17rocblas_diagonal_iiT0_T1_lilT2_lili,@function
_ZL31rocblas_trsm_small_right_deviceIffPKPKfPKPfLi12EEv13rocblas_fill_18rocblas_operation_17rocblas_diagonal_iiT0_T1_lilT2_lili: ; @_ZL31rocblas_trsm_small_right_deviceIffPKPKfPKPfLi12EEv13rocblas_fill_18rocblas_operation_17rocblas_diagonal_iiT0_T1_lilT2_lili
; %bb.0:
	s_load_dwordx4 s[8:11], s[0:1], 0x38
	s_load_dwordx4 s[4:7], s[0:1], 0x0
	s_load_dwordx2 s[16:17], s[0:1], 0x10
	s_mov_b32 s20, s3
	s_mov_b32 s21, 0
	s_lshl_b64 s[24:25], s[20:21], 3
	s_waitcnt lgkmcnt(0)
	s_add_u32 s8, s8, s24
	s_addc_u32 s9, s9, s25
	s_load_dwordx2 s[8:9], s[8:9], 0x0
	s_min_i32 s20, s16, 12
	v_cmp_gt_i32_e32 vcc, s20, v0
	s_and_saveexec_b64 s[18:19], vcc
	s_cbranch_execz .LBB15_10
; %bb.1:
	s_load_dwordx4 s[12:15], s[0:1], 0x18
	s_load_dword s22, s[0:1], 0x28
	v_lshlrev_b32_e32 v2, 2, v0
	v_mov_b32_e32 v3, 0
	s_mov_b32 s3, 1
	s_waitcnt lgkmcnt(0)
	s_add_u32 s12, s12, s24
	s_addc_u32 s13, s13, s25
	s_load_dwordx2 s[12:13], s[12:13], 0x0
	s_cmp_lt_u32 s20, 2
	s_cselect_b64 s[26:27], -1, 0
	s_cmp_lg_u32 s22, 1
	s_cselect_b64 s[28:29], -1, 0
	s_or_b64 s[26:27], s[26:27], s[28:29]
	s_mov_b64 s[24:25], -1
	s_and_b64 vcc, exec, s[26:27]
	s_cbranch_vccnz .LBB15_5
; %bb.2:
	s_lshl_b64 s[24:25], s[14:15], 2
	s_waitcnt lgkmcnt(0)
	s_add_u32 s24, s12, s24
	s_addc_u32 s25, s13, s25
	s_and_b32 s21, s20, -2
	v_lshl_add_u64 v[4:5], s[24:25], 0, v[2:3]
	s_mov_b32 s23, 0
	s_mov_b32 s24, s21
.LBB15_3:                               ; =>This Inner Loop Header: Depth=1
	flat_load_dwordx2 v[6:7], v[4:5]
	v_mad_u64_u32 v[8:9], s[26:27], s23, 48, v[2:3]
	v_mad_u64_u32 v[10:11], s[26:27], s3, 48, v[2:3]
	s_add_i32 s23, s23, 2
	s_add_i32 s3, s3, 2
	s_add_i32 s24, s24, -2
	v_lshl_add_u64 v[4:5], v[4:5], 0, 8
	s_cmp_lg_u32 s24, 0
	s_waitcnt vmcnt(0) lgkmcnt(0)
	ds_write_b32 v8, v6
	ds_write_b32 v10, v7
	s_cbranch_scc1 .LBB15_3
; %bb.4:
	s_cmp_lg_u32 s20, s21
	s_cselect_b64 s[24:25], -1, 0
.LBB15_5:
	s_and_b64 vcc, exec, s[24:25]
	s_cbranch_vccz .LBB15_8
; %bb.6:
	s_ashr_i32 s23, s22, 31
	s_mul_hi_u32 s3, s22, s21
	s_mul_i32 s24, s23, s21
	s_add_i32 s25, s3, s24
	s_mul_i32 s24, s22, s21
	s_lshl_b64 s[24:25], s[24:25], 2
	s_lshl_b64 s[14:15], s[14:15], 2
	s_add_u32 s3, s24, s14
	s_addc_u32 s14, s25, s15
	s_waitcnt lgkmcnt(0)
	s_add_u32 s12, s12, s3
	v_mov_b32_e32 v3, 0
	s_addc_u32 s13, s13, s14
	s_mul_i32 s14, s21, 48
	v_lshl_add_u64 v[4:5], s[12:13], 0, v[2:3]
	s_lshl_b64 s[12:13], s[22:23], 2
	s_sub_i32 s3, s20, s21
	v_lshl_add_u32 v1, v0, 2, s14
.LBB15_7:                               ; =>This Inner Loop Header: Depth=1
	flat_load_dword v3, v[4:5]
	s_add_i32 s3, s3, -1
	v_lshl_add_u64 v[4:5], v[4:5], 0, s[12:13]
	s_cmp_eq_u32 s3, 0
	s_waitcnt vmcnt(0) lgkmcnt(0)
	ds_write_b32 v1, v3
	v_add_u32_e32 v1, 48, v1
	s_cbranch_scc0 .LBB15_7
.LBB15_8:
	s_cmpk_eq_i32 s6, 0x84
	s_cbranch_scc0 .LBB15_10
; %bb.9:
	v_mad_u32_u24 v1, v0, 48, v2
	v_mov_b32_e32 v2, 1.0
	ds_write_b32 v1, v2
.LBB15_10:
	s_or_b64 exec, exec, s[18:19]
	s_load_dword s3, s[0:1], 0x60
	s_load_dword s6, s[0:1], 0x48
	s_lshl_b64 s[10:11], s[10:11], 2
	s_waitcnt lgkmcnt(0)
	s_add_u32 s0, s8, s10
	s_mul_i32 s12, s2, -12
	s_addc_u32 s1, s9, s11
	s_add_i32 s3, s3, -1
	s_add_i32 s7, s7, s12
	s_cmp_ge_u32 s2, s3
	s_mul_i32 s22, s2, 48
	s_cselect_b32 s7, s7, 12
	s_mul_hi_i32 s21, s2, 48
	s_add_u32 s2, s0, s22
	s_addc_u32 s3, s1, s21
	v_cmp_gt_i32_e64 s[0:1], s7, v0
	s_and_saveexec_b64 s[12:13], s[0:1]
	s_cbranch_execz .LBB15_19
; %bb.11:
	s_cmp_lt_i32 s16, 1
	s_cbranch_scc1 .LBB15_19
; %bb.12:
	s_cmp_eq_u32 s16, 1
	s_cselect_b64 s[14:15], -1, 0
	s_cmp_lg_u32 s6, 1
	s_cselect_b64 s[18:19], -1, 0
	s_or_b64 s[14:15], s[14:15], s[18:19]
	v_mov_b32_e32 v3, 0
	s_and_b64 vcc, exec, s[14:15]
	s_cbranch_vccnz .LBB15_16
; %bb.13:
	v_lshlrev_b32_e32 v2, 2, v0
	v_mov_b32_e32 v1, 0x240
	s_and_b32 s18, s16, 0x7ffffffe
	v_lshl_add_u64 v[2:3], s[2:3], 0, v[2:3]
	v_lshl_or_b32 v4, v0, 2, v1
	s_mov_b32 s14, s17
	s_mov_b32 s15, s17
	;; [unrolled: 1-line block ×5, first 2 shown]
.LBB15_14:                              ; =>This Inner Loop Header: Depth=1
	flat_load_dwordx2 v[6:7], v[2:3]
	v_mad_u64_u32 v[8:9], s[24:25], s19, 48, v[4:5]
	v_mad_u64_u32 v[10:11], s[24:25], s7, 48, v[4:5]
	s_add_i32 s19, s19, 2
	s_add_i32 s7, s7, 2
	s_add_i32 s23, s23, -2
	v_lshl_add_u64 v[2:3], v[2:3], 0, 8
	s_cmp_lg_u32 s23, 0
	s_waitcnt vmcnt(0) lgkmcnt(0)
	v_pk_mul_f32 v[6:7], s[14:15], v[6:7]
	ds_write_b32 v8, v6
	ds_write_b32 v10, v7
	s_cbranch_scc1 .LBB15_14
; %bb.15:
	s_cmp_lg_u32 s16, s18
	s_cselect_b64 s[14:15], -1, 0
	s_and_b64 vcc, exec, s[14:15]
	s_cbranch_vccnz .LBB15_17
	s_branch .LBB15_19
.LBB15_16:
	s_mov_b32 s18, 0
	s_cbranch_execz .LBB15_19
.LBB15_17:
	s_mul_hi_i32 s15, s6, s18
	s_mul_i32 s14, s6, s18
	s_ashr_i32 s7, s6, 31
	s_sub_i32 s19, s16, s18
	s_lshl_b64 s[14:15], s[14:15], 2
	s_add_u32 s14, s14, s22
	s_addc_u32 s15, s15, s21
	s_add_u32 s14, s14, s10
	s_addc_u32 s15, s15, s11
	s_add_u32 s14, s8, s14
	v_lshlrev_b32_e32 v2, 2, v0
	v_mov_b32_e32 v3, 0
	s_addc_u32 s15, s9, s15
	v_lshl_add_u64 v[2:3], s[14:15], 0, v[2:3]
	s_lshl_b64 s[14:15], s[6:7], 2
	s_mul_i32 s7, s18, 48
	v_lshl_add_u32 v1, v0, 2, s7
	v_add_u32_e32 v1, 0x240, v1
.LBB15_18:                              ; =>This Inner Loop Header: Depth=1
	flat_load_dword v4, v[2:3]
	s_add_i32 s19, s19, -1
	v_lshl_add_u64 v[2:3], v[2:3], 0, s[14:15]
	s_cmp_lg_u32 s19, 0
	s_waitcnt vmcnt(0) lgkmcnt(0)
	v_mul_f32_e32 v4, s17, v4
	ds_write_b32 v1, v4
	v_add_u32_e32 v1, 48, v1
	s_cbranch_scc1 .LBB15_18
.LBB15_19:
	s_or_b64 exec, exec, s[12:13]
	s_cmpk_eq_i32 s5, 0x6f
	s_cselect_b64 s[14:15], -1, 0
	s_cmpk_lg_i32 s4, 0x79
	s_cselect_b64 s[12:13], -1, 0
	s_cmpk_eq_i32 s4, 0x79
	s_cselect_b64 s[18:19], -1, 0
	s_and_b64 s[18:19], s[18:19], s[14:15]
	s_andn2_b64 vcc, exec, s[18:19]
	s_mov_b64 s[18:19], -1
	s_waitcnt lgkmcnt(0)
	; wave barrier
	s_cbranch_vccz .LBB15_76
; %bb.20:
	s_cmpk_lg_i32 s4, 0x7a
	s_cselect_b64 s[4:5], -1, 0
	s_xor_b64 s[14:15], s[14:15], -1
	s_add_i32 s7, s20, -1
	s_or_b64 s[14:15], s[4:5], s[14:15]
	v_mov_b32_e32 v1, 0x240
	s_cmp_gt_i32 s16, 3
	v_lshl_or_b32 v2, v0, 2, v1
	s_cselect_b64 s[4:5], -1, 0
	s_and_b64 vcc, exec, s[14:15]
	s_cbranch_vccz .LBB15_55
; %bb.21:
	s_andn2_b64 vcc, exec, s[12:13]
	s_mov_b64 s[12:13], -1
	s_cbranch_vccnz .LBB15_34
; %bb.22:
	s_andn2_b64 vcc, exec, s[4:5]
	s_mov_b32 s14, 0
	s_cbranch_vccnz .LBB15_28
; %bb.23:
	v_mov_b32_e32 v1, 0x240
	v_lshl_or_b32 v1, v0, 2, v1
	s_mov_b32 s12, 0
	s_mov_b32 s13, 0
.LBB15_24:                              ; =>This Loop Header: Depth=1
                                        ;     Child Loop BB15_25 Depth 2
	s_or_b32 s17, s13, 3
	v_mad_u64_u32 v[4:5], s[14:15], s13, 48, v[2:3]
	s_mul_i32 s17, s17, 48
	ds_read2_b32 v[8:9], v4 offset1:12
	v_add_u32_e32 v3, s17, v2
	ds_read_b32 v6, v4 offset:96
	ds_read_b32 v7, v3
	s_cmp_eq_u32 s13, 0
	v_mov_b32_e32 v5, v1
	s_mov_b32 s14, s12
	s_mov_b32 s15, s13
	s_cbranch_scc1 .LBB15_26
.LBB15_25:                              ;   Parent Loop BB15_24 Depth=1
                                        ; =>  This Inner Loop Header: Depth=2
	v_mov_b32_e32 v10, s14
	ds_read_b32 v14, v5
	ds_read_b128 v[10:13], v10
	s_add_i32 s15, s15, -1
	s_add_i32 s14, s14, 48
	v_add_u32_e32 v5, 48, v5
	s_cmp_eq_u32 s15, 0
	s_waitcnt lgkmcnt(0)
	v_pk_fma_f32 v[8:9], v[14:15], v[10:11], v[8:9] op_sel_hi:[0,1,1] neg_lo:[1,0,0] neg_hi:[1,0,0]
	v_pk_fma_f32 v[6:7], v[14:15], v[12:13], v[6:7] op_sel_hi:[0,1,1] neg_lo:[1,0,0] neg_hi:[1,0,0]
	s_cbranch_scc0 .LBB15_25
.LBB15_26:                              ;   in Loop: Header=BB15_24 Depth=1
	s_lshl_b32 s17, s13, 2
	s_mul_i32 s14, s13, 48
	s_add_i32 s18, s17, s14
	v_mov_b32_e32 v5, s18
	ds_read_b128 v[10:13], v5
	ds_read2_b32 v[14:15], v5 offset0:13 offset1:14
	s_add_i32 s18, s18, 52
	s_add_i32 s12, s12, 16
	s_waitcnt lgkmcnt(1)
	v_div_scale_f32 v16, s[14:15], v10, v10, v8
	v_rcp_f32_e32 v17, v16
	v_div_scale_f32 v18, vcc, v8, v10, v8
	v_fma_f32 v19, -v16, v17, 1.0
	v_fmac_f32_e32 v17, v19, v17
	v_mul_f32_e32 v19, v18, v17
	v_fma_f32 v20, -v16, v19, v18
	v_fmac_f32_e32 v19, v20, v17
	v_fma_f32 v16, -v16, v19, v18
	v_div_fmas_f32 v16, v16, v17, v19
	v_div_fixup_f32 v10, v16, v10, v8
	v_fma_f32 v8, -v10, v11, v9
	s_waitcnt lgkmcnt(0)
	v_div_scale_f32 v9, s[14:15], v14, v14, v8
	v_rcp_f32_e32 v11, v9
	v_div_scale_f32 v16, vcc, v8, v14, v8
	v_fma_f32 v6, -v10, v12, v6
	v_fma_f32 v17, -v9, v11, 1.0
	v_fmac_f32_e32 v11, v17, v11
	v_mul_f32_e32 v17, v16, v11
	v_fma_f32 v18, -v9, v17, v16
	v_fmac_f32_e32 v17, v18, v11
	v_fma_f32 v9, -v9, v17, v16
	v_div_fmas_f32 v9, v9, v11, v17
	v_div_fixup_f32 v11, v9, v14, v8
	ds_read_b64 v[8:9], v5 offset:104
	s_or_b32 s14, s17, 4
	v_fma_f32 v6, -v11, v15, v6
	s_sub_i32 s18, s18, s14
	ds_read_b32 v5, v5 offset:156
	s_waitcnt lgkmcnt(1)
	v_div_scale_f32 v12, s[14:15], v8, v8, v6
	v_rcp_f32_e32 v14, v12
	s_add_i32 s14, s18, s17
	v_mov_b32_e32 v15, s14
	ds_read_b32 v15, v15 offset:12
	v_fma_f32 v16, -v12, v14, 1.0
	v_fmac_f32_e32 v14, v16, v14
	v_div_scale_f32 v16, vcc, v6, v8, v6
	v_mul_f32_e32 v17, v16, v14
	v_fma_f32 v18, -v12, v17, v16
	v_fmac_f32_e32 v17, v18, v14
	v_fma_f32 v12, -v12, v17, v16
	v_div_fmas_f32 v12, v12, v14, v17
	v_fma_f32 v7, -v10, v13, v7
	v_div_fixup_f32 v6, v12, v8, v6
	s_waitcnt lgkmcnt(0)
	v_fma_f32 v7, -v11, v15, v7
	v_fma_f32 v7, -v6, v9, v7
	v_div_scale_f32 v8, s[14:15], v5, v5, v7
	v_rcp_f32_e32 v9, v8
	ds_write2_b32 v4, v10, v11 offset1:12
	ds_write_b32 v4, v6 offset:96
	s_add_i32 s14, s13, 4
	s_add_i32 s13, s13, 7
	v_fma_f32 v4, -v8, v9, 1.0
	v_fmac_f32_e32 v9, v4, v9
	v_div_scale_f32 v4, vcc, v7, v5, v7
	v_mul_f32_e32 v6, v4, v9
	v_fma_f32 v10, -v8, v6, v4
	v_fmac_f32_e32 v6, v10, v9
	v_fma_f32 v4, -v8, v6, v4
	v_div_fmas_f32 v4, v4, v9, v6
	v_div_fixup_f32 v4, v4, v5, v7
	s_cmp_ge_i32 s13, s20
	ds_write_b32 v3, v4
	s_cbranch_scc1 .LBB15_28
; %bb.27:                               ;   in Loop: Header=BB15_24 Depth=1
	s_mov_b32 s13, s14
	s_branch .LBB15_24
.LBB15_28:
	s_cmp_ge_i32 s14, s20
	s_cbranch_scc1 .LBB15_33
; %bb.29:
	v_mov_b32_e32 v1, 0x240
	s_lshl_b32 s12, s14, 2
	v_lshl_or_b32 v1, v0, 2, v1
	s_branch .LBB15_31
.LBB15_30:                              ;   in Loop: Header=BB15_31 Depth=1
	s_lshl_b32 s15, s14, 2
	s_add_i32 s13, s15, s13
	v_mov_b32_e32 v5, s13
	ds_read_b32 v5, v5
	s_add_i32 s14, s14, 1
	s_add_i32 s12, s12, 4
	s_cmp_ge_i32 s14, s20
	s_waitcnt lgkmcnt(0)
	v_div_scale_f32 v6, s[18:19], v5, v5, v4
	v_rcp_f32_e32 v7, v6
	v_div_scale_f32 v8, vcc, v4, v5, v4
	v_fma_f32 v9, -v6, v7, 1.0
	v_fmac_f32_e32 v7, v9, v7
	v_mul_f32_e32 v9, v8, v7
	v_fma_f32 v10, -v6, v9, v8
	v_fmac_f32_e32 v9, v10, v7
	v_fma_f32 v6, -v6, v9, v8
	v_div_fmas_f32 v6, v6, v7, v9
	v_div_fixup_f32 v4, v6, v5, v4
	ds_write_b32 v3, v4
	s_cbranch_scc1 .LBB15_33
.LBB15_31:                              ; =>This Loop Header: Depth=1
                                        ;     Child Loop BB15_32 Depth 2
	s_mul_i32 s13, s14, 48
	v_add_u32_e32 v3, s13, v2
	ds_read_b32 v4, v3
	s_cmp_eq_u32 s14, 0
	v_mov_b32_e32 v5, v1
	s_mov_b32 s15, s12
	s_mov_b32 s17, s14
	s_cbranch_scc1 .LBB15_30
.LBB15_32:                              ;   Parent Loop BB15_31 Depth=1
                                        ; =>  This Inner Loop Header: Depth=2
	v_mov_b32_e32 v7, s15
	ds_read_b32 v6, v5
	ds_read_b32 v7, v7
	s_add_i32 s17, s17, -1
	s_add_i32 s15, s15, 48
	v_add_u32_e32 v5, 48, v5
	s_cmp_eq_u32 s17, 0
	s_waitcnt lgkmcnt(0)
	v_fma_f32 v4, -v6, v7, v4
	s_cbranch_scc0 .LBB15_32
	s_branch .LBB15_30
.LBB15_33:
	s_mov_b64 s[12:13], 0
.LBB15_34:
	s_and_b64 vcc, exec, s[12:13]
	s_cbranch_vccz .LBB15_54
; %bb.35:
	s_andn2_b64 vcc, exec, s[4:5]
	s_mov_b32 s14, s7
	s_cbranch_vccnz .LBB15_41
; %bb.36:
	s_mul_i32 s13, s20, 48
	s_mul_i32 s12, s20, 52
	v_lshl_add_u32 v1, v0, 2, s13
	s_sub_i32 s12, s12, 64
	v_add_u32_e32 v1, 0x210, v1
	s_mov_b32 s13, s7
.LBB15_37:                              ; =>This Loop Header: Depth=1
                                        ;     Child Loop BB15_38 Depth 2
	s_mul_i32 s14, s13, 48
	v_add_u32_e32 v8, s14, v2
	s_addk_i32 s14, 0xff70
	v_subrev_u32_e32 v9, 48, v8
	v_add_u32_e32 v10, 0xffffffa0, v8
	v_add_u32_e32 v3, s14, v2
	ds_read_b32 v7, v8
	ds_read_b32 v6, v9
	;; [unrolled: 1-line block ×4, first 2 shown]
	s_cmp_le_i32 s7, s13
	v_mov_b32_e32 v11, v1
	s_mov_b32 s15, s12
	s_mov_b32 s17, s7
	s_cbranch_scc1 .LBB15_39
.LBB15_38:                              ;   Parent Loop BB15_37 Depth=1
                                        ; =>  This Inner Loop Header: Depth=2
	v_mov_b32_e32 v13, s15
	ds_read_b32 v12, v11
	ds_read2_b32 v[14:15], v13 offset0:2 offset1:3
	ds_read2_b32 v[16:17], v13 offset1:1
	s_add_i32 s17, s17, -1
	s_sub_i32 s15, s15, 48
	v_subrev_u32_e32 v11, 48, v11
	s_cmp_le_i32 s17, s13
	s_waitcnt lgkmcnt(1)
	v_pk_fma_f32 v[6:7], v[12:13], v[14:15], v[6:7] op_sel_hi:[0,1,1] neg_lo:[1,0,0] neg_hi:[1,0,0]
	s_waitcnt lgkmcnt(0)
	v_pk_fma_f32 v[4:5], v[12:13], v[16:17], v[4:5] op_sel_hi:[0,1,1] neg_lo:[1,0,0] neg_hi:[1,0,0]
	s_cbranch_scc0 .LBB15_38
.LBB15_39:                              ;   in Loop: Header=BB15_37 Depth=1
	s_add_i32 s15, s13, -3
	s_add_i32 s17, s13, -1
	s_mul_i32 s19, s13, 52
	s_lshl_b32 s18, s17, 2
	s_lshl_b32 s15, s15, 2
	s_add_i32 s23, s19, -4
	s_mul_i32 s17, s17, 48
	v_mov_b32_e32 v11, s23
	s_add_i32 s23, s18, s17
	s_add_i32 s18, s19, -12
	s_add_i32 s17, s15, s17
	v_mov_b32_e32 v14, s23
	v_mov_b32_e32 v15, s18
	;; [unrolled: 1-line block ×3, first 2 shown]
	ds_read2_b32 v[12:13], v11 offset1:1
	ds_read_b32 v11, v14
	ds_read2_b32 v[14:15], v15 offset1:1
	ds_read2_b32 v[16:17], v16 offset1:1
	s_lshl_b32 s17, s13, 2
	s_waitcnt lgkmcnt(3)
	v_div_scale_f32 v18, s[18:19], v13, v13, v7
	v_rcp_f32_e32 v19, v18
	s_sub_i32 s17, s23, s17
	s_add_i32 s17, s17, s15
	s_sub_i32 s17, s17, 44
	v_fma_f32 v20, -v18, v19, 1.0
	v_fmac_f32_e32 v19, v20, v19
	v_div_scale_f32 v20, vcc, v7, v13, v7
	v_mul_f32_e32 v21, v20, v19
	v_fma_f32 v22, -v18, v21, v20
	v_fmac_f32_e32 v21, v22, v19
	v_fma_f32 v18, -v18, v21, v20
	v_div_fmas_f32 v18, v18, v19, v21
	v_div_fixup_f32 v13, v18, v13, v7
	v_fma_f32 v6, -v13, v12, v6
	s_waitcnt lgkmcnt(2)
	v_div_scale_f32 v7, s[18:19], v11, v11, v6
	v_rcp_f32_e32 v12, v7
	s_waitcnt lgkmcnt(1)
	v_fma_f32 v5, -v13, v15, v5
	s_add_i32 s14, s15, s14
	v_fma_f32 v4, -v13, v14, v4
	v_fma_f32 v18, -v7, v12, 1.0
	v_fmac_f32_e32 v12, v18, v12
	v_div_scale_f32 v18, vcc, v6, v11, v6
	v_mul_f32_e32 v19, v18, v12
	v_fma_f32 v20, -v7, v19, v18
	v_fmac_f32_e32 v19, v20, v12
	v_fma_f32 v7, -v7, v19, v18
	v_div_fmas_f32 v7, v7, v12, v19
	v_div_fixup_f32 v11, v7, v11, v6
	v_mov_b32_e32 v6, s17
	ds_read2_b32 v[6:7], v6 offset1:1
	s_waitcnt lgkmcnt(1)
	v_fma_f32 v5, -v11, v17, v5
	v_mov_b32_e32 v12, s14
	ds_read_b32 v12, v12
	v_fma_f32 v4, -v11, v16, v4
	s_waitcnt lgkmcnt(1)
	v_div_scale_f32 v15, s[14:15], v7, v7, v5
	v_rcp_f32_e32 v17, v15
	s_add_i32 s12, s12, -16
	v_fma_f32 v18, -v15, v17, 1.0
	v_fmac_f32_e32 v17, v18, v17
	v_div_scale_f32 v18, vcc, v5, v7, v5
	v_mul_f32_e32 v19, v18, v17
	v_fma_f32 v20, -v15, v19, v18
	v_fmac_f32_e32 v19, v20, v17
	v_fma_f32 v15, -v15, v19, v18
	v_div_fmas_f32 v15, v15, v17, v19
	v_div_fixup_f32 v5, v15, v7, v5
	v_fma_f32 v4, -v5, v6, v4
	s_waitcnt lgkmcnt(0)
	v_div_scale_f32 v6, s[14:15], v12, v12, v4
	v_rcp_f32_e32 v7, v6
	ds_write_b32 v8, v13
	ds_write_b32 v9, v11
	;; [unrolled: 1-line block ×3, first 2 shown]
	s_add_i32 s14, s13, -4
	s_cmp_lt_i32 s13, 7
	v_fma_f32 v5, -v6, v7, 1.0
	v_fmac_f32_e32 v7, v5, v7
	v_div_scale_f32 v5, vcc, v4, v12, v4
	v_mul_f32_e32 v8, v5, v7
	v_fma_f32 v9, -v6, v8, v5
	v_fmac_f32_e32 v8, v9, v7
	v_fma_f32 v5, -v6, v8, v5
	v_div_fmas_f32 v5, v5, v7, v8
	v_div_fixup_f32 v4, v5, v12, v4
	ds_write_b32 v3, v4
	s_cbranch_scc1 .LBB15_41
; %bb.40:                               ;   in Loop: Header=BB15_37 Depth=1
	s_mov_b32 s13, s14
	s_branch .LBB15_37
.LBB15_41:
	s_cmp_lt_i32 s14, 0
	s_cbranch_scc1 .LBB15_54
; %bb.42:
	s_bitcmp1_b32 s14, 0
	s_cselect_b64 s[12:13], -1, 0
	s_and_b64 vcc, exec, s[12:13]
	s_mov_b32 s12, s14
	s_cbranch_vccnz .LBB15_47
; %bb.43:
	s_mul_i32 s12, s14, 48
	v_add_u32_e32 v1, s12, v2
	ds_read_b32 v3, v1
	s_cmp_le_i32 s7, s14
	s_cbranch_scc1 .LBB15_46
; %bb.44:
	s_mul_i32 s15, s20, 48
	s_lshl_b32 s13, s14, 2
	s_add_i32 s13, s15, s13
	v_lshl_add_u32 v4, v0, 2, s15
	s_sub_i32 s13, s13, 48
	v_add_u32_e32 v4, 0x210, v4
	s_mov_b32 s15, s7
.LBB15_45:                              ; =>This Inner Loop Header: Depth=1
	v_mov_b32_e32 v6, s13
	ds_read_b32 v5, v4
	ds_read_b32 v6, v6
	s_add_i32 s15, s15, -1
	s_sub_i32 s13, s13, 48
	v_subrev_u32_e32 v4, 48, v4
	s_cmp_gt_u32 s15, s14
	s_waitcnt lgkmcnt(0)
	v_fma_f32 v3, -v5, v6, v3
	s_cbranch_scc1 .LBB15_45
.LBB15_46:
	s_lshl_b32 s13, s14, 2
	s_add_i32 s12, s13, s12
	v_mov_b32_e32 v4, s12
	ds_read_b32 v4, v4
	s_waitcnt lgkmcnt(0)
	v_div_scale_f32 v5, s[12:13], v4, v4, v3
	v_rcp_f32_e32 v6, v5
	v_div_scale_f32 v7, vcc, v3, v4, v3
	s_add_i32 s12, s14, -1
	v_fma_f32 v8, -v5, v6, 1.0
	v_fmac_f32_e32 v6, v8, v6
	v_mul_f32_e32 v8, v7, v6
	v_fma_f32 v9, -v5, v8, v7
	v_fmac_f32_e32 v8, v9, v6
	v_fma_f32 v5, -v5, v8, v7
	v_div_fmas_f32 v5, v5, v6, v8
	v_div_fixup_f32 v3, v5, v4, v3
	ds_write_b32 v1, v3
.LBB15_47:
	s_cmp_eq_u32 s14, 0
	s_cbranch_scc1 .LBB15_54
; %bb.48:
	s_mul_i32 s14, s20, 48
	s_lshl_b32 s13, s12, 2
	s_add_i32 s15, s14, s13
	v_lshl_add_u32 v1, v0, 2, s14
	s_sub_i32 s13, s15, 48
	v_add_u32_e32 v1, 0x210, v1
	s_sub_i32 s14, s15, 52
	s_branch .LBB15_50
.LBB15_49:                              ;   in Loop: Header=BB15_50 Depth=1
	s_mul_i32 s18, s17, 48
	s_add_i32 s15, s15, s18
	s_add_i32 s15, s15, -4
	v_mov_b32_e32 v5, s15
	ds_read_b32 v5, v5
	s_add_i32 s12, s12, -2
	s_add_i32 s13, s13, -8
	;; [unrolled: 1-line block ×3, first 2 shown]
	s_cmp_eq_u32 s17, 0
	s_waitcnt lgkmcnt(0)
	v_div_scale_f32 v6, s[18:19], v5, v5, v4
	v_rcp_f32_e32 v7, v6
	v_div_scale_f32 v8, vcc, v4, v5, v4
	v_fma_f32 v9, -v6, v7, 1.0
	v_fmac_f32_e32 v7, v9, v7
	v_mul_f32_e32 v9, v8, v7
	v_fma_f32 v10, -v6, v9, v8
	v_fmac_f32_e32 v9, v10, v7
	v_fma_f32 v6, -v6, v9, v8
	v_div_fmas_f32 v6, v6, v7, v9
	v_div_fixup_f32 v4, v6, v5, v4
	ds_write_b32 v3, v4
	s_cbranch_scc1 .LBB15_54
.LBB15_50:                              ; =>This Loop Header: Depth=1
                                        ;     Child Loop BB15_51 Depth 2
                                        ;     Child Loop BB15_53 Depth 2
	s_mul_i32 s17, s12, 48
	v_add_u32_e32 v5, s17, v2
	ds_read_b32 v6, v5
	s_cmp_le_i32 s7, s12
	v_mov_b32_e32 v3, v1
	s_mov_b32 s15, s13
	s_mov_b32 s18, s7
	s_cbranch_scc1 .LBB15_52
.LBB15_51:                              ;   Parent Loop BB15_50 Depth=1
                                        ; =>  This Inner Loop Header: Depth=2
	v_mov_b32_e32 v7, s15
	ds_read_b32 v4, v3
	ds_read_b32 v7, v7
	s_add_i32 s18, s18, -1
	s_sub_i32 s15, s15, 48
	v_subrev_u32_e32 v3, 48, v3
	s_cmp_le_u32 s18, s12
	s_waitcnt lgkmcnt(0)
	v_fma_f32 v6, -v4, v7, v6
	s_cbranch_scc0 .LBB15_51
.LBB15_52:                              ;   in Loop: Header=BB15_50 Depth=1
	s_lshl_b32 s15, s12, 2
	s_add_i32 s18, s15, s17
	v_mov_b32_e32 v3, s18
	ds_read_b32 v7, v3
	s_sub_i32 s17, s17, 48
	v_add_u32_e32 v3, s17, v2
	ds_read_b32 v4, v3
	s_add_i32 s17, s12, -1
	s_waitcnt lgkmcnt(1)
	v_div_scale_f32 v8, s[18:19], v7, v7, v6
	v_rcp_f32_e32 v9, v8
	v_div_scale_f32 v10, vcc, v6, v7, v6
	s_cmp_le_i32 s20, s12
	v_fma_f32 v11, -v8, v9, 1.0
	v_fmac_f32_e32 v9, v11, v9
	v_mul_f32_e32 v11, v10, v9
	v_fma_f32 v12, -v8, v11, v10
	v_fmac_f32_e32 v11, v12, v9
	v_fma_f32 v8, -v8, v11, v10
	v_div_fmas_f32 v8, v8, v9, v11
	v_div_fixup_f32 v6, v8, v7, v6
	ds_write_b32 v5, v6
	v_mov_b32_e32 v5, v1
	s_mov_b32 s18, s14
	s_mov_b32 s19, s7
	s_cbranch_scc1 .LBB15_49
.LBB15_53:                              ;   Parent Loop BB15_50 Depth=1
                                        ; =>  This Inner Loop Header: Depth=2
	v_mov_b32_e32 v7, s18
	ds_read_b32 v6, v5
	ds_read_b32 v7, v7
	s_add_i32 s19, s19, -1
	s_sub_i32 s18, s18, 48
	v_subrev_u32_e32 v5, 48, v5
	s_cmp_gt_u32 s19, s17
	s_waitcnt lgkmcnt(0)
	v_fma_f32 v4, -v6, v7, v4
	s_cbranch_scc1 .LBB15_53
	s_branch .LBB15_49
.LBB15_54:
	s_mov_b64 s[18:19], 0
.LBB15_55:
	s_andn2_b64 vcc, exec, s[18:19]
	s_cbranch_vccnz .LBB15_75
; %bb.56:
	s_andn2_b64 vcc, exec, s[4:5]
	s_mov_b32 s12, s7
	s_cbranch_vccnz .LBB15_62
; %bb.57:
	s_mul_i32 s4, s20, 48
	v_lshl_add_u32 v1, v0, 2, s4
	s_mul_i32 s4, s20, 52
	v_add_u32_e32 v1, 0x210, v1
	s_addk_i32 s4, 0xff3c
	s_mov_b32 s5, s7
.LBB15_58:                              ; =>This Loop Header: Depth=1
                                        ;     Child Loop BB15_59 Depth 2
	s_mul_i32 s12, s5, 12
	v_lshl_add_u32 v8, s12, 2, v2
	v_subrev_u32_e32 v9, 48, v8
	v_add_u32_e32 v10, 0xffffffa0, v8
	v_add_u32_e32 v3, 0xffffff70, v8
	ds_read_b32 v6, v8
	ds_read_b32 v7, v9
	;; [unrolled: 1-line block ×4, first 2 shown]
	s_cmp_le_i32 s7, s5
	s_mov_b32 s13, s4
	v_mov_b32_e32 v11, v1
	s_mov_b32 s14, s7
	s_cbranch_scc1 .LBB15_60
.LBB15_59:                              ;   Parent Loop BB15_58 Depth=1
                                        ; =>  This Inner Loop Header: Depth=2
	v_mov_b32_e32 v13, s13
	ds_read_b32 v12, v11
	ds_read2_b32 v[16:17], v13 offset0:24 offset1:36
	ds_read2_b32 v[18:19], v13 offset1:12
	s_add_i32 s14, s14, -1
	s_add_i32 s13, s13, -4
	v_subrev_u32_e32 v11, 48, v11
	s_waitcnt lgkmcnt(1)
	v_mov_b32_e32 v14, v17
	v_mov_b32_e32 v15, v16
	s_waitcnt lgkmcnt(0)
	v_mov_b32_e32 v16, v19
	v_mov_b32_e32 v17, v18
	s_cmp_le_i32 s14, s5
	v_pk_fma_f32 v[6:7], v[12:13], v[14:15], v[6:7] op_sel_hi:[0,1,1] neg_lo:[1,0,0] neg_hi:[1,0,0]
	v_pk_fma_f32 v[4:5], v[12:13], v[16:17], v[4:5] op_sel_hi:[0,1,1] neg_lo:[1,0,0] neg_hi:[1,0,0]
	s_cbranch_scc0 .LBB15_59
.LBB15_60:                              ;   in Loop: Header=BB15_58 Depth=1
	s_mul_i32 s13, s5, 52
	s_lshl_b32 s12, s12, 2
	v_mov_b32_e32 v11, s13
	s_lshl_b32 s13, s5, 2
	s_add_i32 s14, s12, s13
	s_sub_i32 s12, s14, 52
	v_mov_b32_e32 v12, s12
	s_add_i32 s12, s14, 0xffffffa0
	v_mov_b32_e32 v14, s12
	s_add_i32 s12, s14, 0xffffff98
	v_mov_b32_e32 v15, s12
	ds_read_b32 v11, v11
	ds_read2_b32 v[12:13], v12 offset1:1
	ds_read_b32 v16, v14
	ds_read2_b32 v[14:15], v15 offset1:1
	s_addk_i32 s4, 0xff40
	s_waitcnt lgkmcnt(3)
	v_div_scale_f32 v17, s[12:13], v11, v11, v6
	v_rcp_f32_e32 v18, v17
	s_nop 0
	v_fma_f32 v19, -v17, v18, 1.0
	v_fmac_f32_e32 v18, v19, v18
	v_div_scale_f32 v19, vcc, v6, v11, v6
	v_mul_f32_e32 v20, v19, v18
	v_fma_f32 v21, -v17, v20, v19
	v_fmac_f32_e32 v20, v21, v18
	v_fma_f32 v17, -v17, v20, v19
	v_div_fmas_f32 v17, v17, v18, v20
	v_div_fixup_f32 v11, v17, v11, v6
	s_waitcnt lgkmcnt(2)
	v_fma_f32 v6, -v11, v13, v7
	v_div_scale_f32 v7, s[12:13], v12, v12, v6
	v_rcp_f32_e32 v13, v7
	s_waitcnt lgkmcnt(1)
	v_fma_f32 v4, -v11, v16, v4
	v_fma_f32 v17, -v7, v13, 1.0
	v_fmac_f32_e32 v13, v17, v13
	v_div_scale_f32 v17, vcc, v6, v12, v6
	v_mul_f32_e32 v18, v17, v13
	v_fma_f32 v19, -v7, v18, v17
	v_fmac_f32_e32 v18, v19, v13
	v_fma_f32 v7, -v7, v18, v17
	v_div_fmas_f32 v7, v7, v13, v18
	v_div_fixup_f32 v17, v7, v12, v6
	s_waitcnt lgkmcnt(0)
	v_fma_f32 v4, -v17, v15, v4
	v_div_scale_f32 v6, s[12:13], v14, v14, v4
	v_rcp_f32_e32 v15, v6
	s_add_i32 s12, s14, 0xffffff6c
	v_fma_f32 v7, -v6, v15, 1.0
	v_fmac_f32_e32 v15, v7, v15
	v_div_scale_f32 v7, vcc, v4, v14, v4
	v_mul_f32_e32 v16, v7, v15
	v_fma_f32 v12, -v6, v16, v7
	v_fmac_f32_e32 v16, v12, v15
	v_fma_f32 v18, -v6, v16, v7
	v_mov_b32_e32 v6, s12
	s_add_i32 s12, s14, 0xffffff64
	v_mov_b32_e32 v12, s12
	ds_read2_b32 v[6:7], v6 offset1:1
	ds_read2_b32 v[12:13], v12 offset1:1
	v_div_fmas_f32 v15, v18, v15, v16
	v_div_fixup_f32 v4, v15, v14, v4
	ds_write_b32 v8, v11
	ds_write_b32 v9, v17
	;; [unrolled: 1-line block ×3, first 2 shown]
	s_waitcnt lgkmcnt(4)
	v_fma_f32 v5, -v11, v7, v5
	v_fma_f32 v5, -v17, v6, v5
	s_waitcnt lgkmcnt(3)
	v_fma_f32 v5, -v4, v13, v5
	v_div_scale_f32 v6, s[12:13], v12, v12, v5
	v_rcp_f32_e32 v7, v6
	s_add_i32 s12, s5, -4
	s_cmp_lt_i32 s5, 7
	v_fma_f32 v4, -v6, v7, 1.0
	v_fmac_f32_e32 v7, v4, v7
	v_div_scale_f32 v4, vcc, v5, v12, v5
	v_mul_f32_e32 v8, v4, v7
	v_fma_f32 v9, -v6, v8, v4
	v_fmac_f32_e32 v8, v9, v7
	v_fma_f32 v4, -v6, v8, v4
	v_div_fmas_f32 v4, v4, v7, v8
	v_div_fixup_f32 v4, v4, v12, v5
	ds_write_b32 v3, v4
	s_cbranch_scc1 .LBB15_62
; %bb.61:                               ;   in Loop: Header=BB15_58 Depth=1
	s_mov_b32 s5, s12
	s_branch .LBB15_58
.LBB15_62:
	s_cmp_lt_i32 s12, 0
	s_cbranch_scc1 .LBB15_75
; %bb.63:
	s_bitcmp1_b32 s12, 0
	s_cselect_b64 s[4:5], -1, 0
	s_and_b64 vcc, exec, s[4:5]
	s_mov_b32 s4, s12
	s_cbranch_vccnz .LBB15_68
; %bb.64:
	v_mad_u64_u32 v[4:5], s[4:5], s12, 48, v[2:3]
	ds_read_b32 v1, v4
	s_cmp_le_i32 s7, s12
	s_cbranch_scc1 .LBB15_67
; %bb.65:
	s_mul_i32 s4, s12, 48
	s_lshl_b32 s5, s20, 2
	s_add_i32 s4, s4, s5
	s_mul_i32 s5, s20, 48
	v_lshl_add_u32 v3, v0, 2, s5
	s_add_i32 s4, s4, -4
	v_add_u32_e32 v3, 0x210, v3
	s_mov_b32 s5, s7
.LBB15_66:                              ; =>This Inner Loop Header: Depth=1
	v_mov_b32_e32 v6, s4
	ds_read_b32 v5, v3
	ds_read_b32 v6, v6
	s_add_i32 s5, s5, -1
	s_add_i32 s4, s4, -4
	v_subrev_u32_e32 v3, 48, v3
	s_cmp_gt_u32 s5, s12
	s_waitcnt lgkmcnt(0)
	v_fma_f32 v1, -v5, v6, v1
	s_cbranch_scc1 .LBB15_66
.LBB15_67:
	s_mul_i32 s4, s12, 52
	v_mov_b32_e32 v3, s4
	ds_read_b32 v3, v3
	s_waitcnt lgkmcnt(0)
	v_div_scale_f32 v5, s[4:5], v3, v3, v1
	v_rcp_f32_e32 v6, v5
	v_div_scale_f32 v7, vcc, v1, v3, v1
	s_add_i32 s4, s12, -1
	v_fma_f32 v8, -v5, v6, 1.0
	v_fmac_f32_e32 v6, v8, v6
	v_mul_f32_e32 v8, v7, v6
	v_fma_f32 v9, -v5, v8, v7
	v_fmac_f32_e32 v8, v9, v6
	v_fma_f32 v5, -v5, v8, v7
	v_div_fmas_f32 v5, v5, v6, v8
	v_div_fixup_f32 v1, v5, v3, v1
	ds_write_b32 v4, v1
.LBB15_68:
	s_cmp_eq_u32 s12, 0
	s_cbranch_scc1 .LBB15_75
; %bb.69:
	s_mul_i32 s5, s20, 48
	v_lshl_add_u32 v1, v0, 2, s5
	s_mul_i32 s5, s4, 48
	s_lshl_b32 s12, s20, 2
	s_add_i32 s12, s5, s12
	v_add_u32_e32 v1, 0x210, v1
	s_add_i32 s5, s12, -4
	s_sub_i32 s12, s12, 52
	s_branch .LBB15_71
.LBB15_70:                              ;   in Loop: Header=BB15_71 Depth=1
	s_sub_i32 s14, s14, 52
	v_mov_b32_e32 v4, s14
	ds_read_b32 v4, v4
	s_add_i32 s4, s4, -2
	s_addk_i32 s5, 0xffa0
	s_addk_i32 s12, 0xffa0
	s_cmp_eq_u32 s13, 0
	s_waitcnt lgkmcnt(0)
	v_div_scale_f32 v6, s[14:15], v4, v4, v5
	v_rcp_f32_e32 v7, v6
	v_div_scale_f32 v8, vcc, v5, v4, v5
	v_fma_f32 v9, -v6, v7, 1.0
	v_fmac_f32_e32 v7, v9, v7
	v_mul_f32_e32 v9, v8, v7
	v_fma_f32 v10, -v6, v9, v8
	v_fmac_f32_e32 v9, v10, v7
	v_fma_f32 v6, -v6, v9, v8
	v_div_fmas_f32 v6, v6, v7, v9
	v_div_fixup_f32 v4, v6, v4, v5
	ds_write_b32 v3, v4
	s_cbranch_scc1 .LBB15_75
.LBB15_71:                              ; =>This Loop Header: Depth=1
                                        ;     Child Loop BB15_72 Depth 2
                                        ;     Child Loop BB15_74 Depth 2
	v_mad_u64_u32 v[4:5], s[14:15], s4, 48, v[2:3]
	ds_read_b32 v6, v4
	s_cmp_le_i32 s7, s4
	s_mov_b32 s13, s5
	v_mov_b32_e32 v3, v1
	s_mov_b32 s14, s7
	s_cbranch_scc1 .LBB15_73
.LBB15_72:                              ;   Parent Loop BB15_71 Depth=1
                                        ; =>  This Inner Loop Header: Depth=2
	v_mov_b32_e32 v7, s13
	ds_read_b32 v5, v3
	ds_read_b32 v7, v7
	s_add_i32 s14, s14, -1
	s_add_i32 s13, s13, -4
	v_subrev_u32_e32 v3, 48, v3
	s_cmp_le_u32 s14, s4
	s_waitcnt lgkmcnt(0)
	v_fma_f32 v6, -v5, v7, v6
	s_cbranch_scc0 .LBB15_72
.LBB15_73:                              ;   in Loop: Header=BB15_71 Depth=1
	s_mul_i32 s14, s4, 52
	v_mov_b32_e32 v3, s14
	ds_read_b32 v7, v3
	v_subrev_u32_e32 v3, 48, v4
	ds_read_b32 v5, v3
	s_add_i32 s13, s4, -1
	s_cmp_le_i32 s20, s4
	s_waitcnt lgkmcnt(1)
	v_div_scale_f32 v8, s[18:19], v7, v7, v6
	v_rcp_f32_e32 v9, v8
	v_div_scale_f32 v10, vcc, v6, v7, v6
	s_mov_b32 s15, s12
	v_fma_f32 v11, -v8, v9, 1.0
	v_fmac_f32_e32 v9, v11, v9
	v_mul_f32_e32 v11, v10, v9
	v_fma_f32 v12, -v8, v11, v10
	v_fmac_f32_e32 v11, v12, v9
	v_fma_f32 v8, -v8, v11, v10
	v_div_fmas_f32 v8, v8, v9, v11
	v_div_fixup_f32 v6, v8, v7, v6
	ds_write_b32 v4, v6
	v_mov_b32_e32 v4, v1
	s_mov_b32 s17, s7
	s_cbranch_scc1 .LBB15_70
.LBB15_74:                              ;   Parent Loop BB15_71 Depth=1
                                        ; =>  This Inner Loop Header: Depth=2
	v_mov_b32_e32 v7, s15
	ds_read_b32 v6, v4
	ds_read_b32 v7, v7
	s_add_i32 s17, s17, -1
	s_add_i32 s15, s15, -4
	v_subrev_u32_e32 v4, 48, v4
	s_cmp_gt_u32 s17, s13
	s_waitcnt lgkmcnt(0)
	v_fma_f32 v5, -v6, v7, v5
	s_cbranch_scc1 .LBB15_74
	s_branch .LBB15_70
.LBB15_75:
	s_mov_b64 s[18:19], 0
.LBB15_76:
	s_andn2_b64 vcc, exec, s[18:19]
	s_cbranch_vccnz .LBB15_88
; %bb.77:
	v_mov_b32_e32 v1, 0x240
	v_lshl_or_b32 v2, v0, 2, v1
	s_cmp_lt_i32 s16, 4
	s_mov_b32 s7, 0
	s_cbranch_scc1 .LBB15_83
; %bb.78:
	s_mov_b32 s4, 0
	s_mov_b32 s5, 0
.LBB15_79:                              ; =>This Loop Header: Depth=1
                                        ;     Child Loop BB15_80 Depth 2
	s_mul_i32 s7, s5, 12
	v_lshl_add_u32 v1, s7, 2, v2
	ds_read2_b32 v[6:7], v1 offset1:12
	ds_read2_b32 v[4:5], v1 offset0:24 offset1:36
	s_cmp_eq_u32 s5, 0
	s_mov_b32 s12, s4
	v_mov_b32_e32 v3, v2
	s_mov_b32 s13, s5
	s_cbranch_scc1 .LBB15_81
.LBB15_80:                              ;   Parent Loop BB15_79 Depth=1
                                        ; =>  This Inner Loop Header: Depth=2
	v_mov_b32_e32 v9, s12
	ds_read_b32 v8, v3
	ds_read2_b32 v[10:11], v9 offset1:12
	ds_read2_b32 v[12:13], v9 offset0:24 offset1:36
	s_add_i32 s13, s13, -1
	s_add_i32 s12, s12, 4
	v_add_u32_e32 v3, 48, v3
	s_cmp_eq_u32 s13, 0
	s_waitcnt lgkmcnt(1)
	v_pk_fma_f32 v[6:7], v[8:9], v[10:11], v[6:7] op_sel_hi:[0,1,1] neg_lo:[1,0,0] neg_hi:[1,0,0]
	s_waitcnt lgkmcnt(0)
	v_pk_fma_f32 v[4:5], v[8:9], v[12:13], v[4:5] op_sel_hi:[0,1,1] neg_lo:[1,0,0] neg_hi:[1,0,0]
	s_cbranch_scc0 .LBB15_80
.LBB15_81:                              ;   in Loop: Header=BB15_79 Depth=1
	s_mul_i32 s12, s5, 52
	v_mov_b32_e32 v3, s12
	ds_read_b32 v3, v3
	s_lshl_b32 s7, s7, 2
	s_lshl_b32 s12, s5, 2
	s_add_i32 s7, s7, s12
	v_mov_b32_e32 v11, s7
	s_waitcnt lgkmcnt(0)
	v_div_scale_f32 v14, s[12:13], v3, v3, v6
	v_rcp_f32_e32 v15, v14
	ds_read_b64 v[12:13], v11 offset:48
	ds_read_b96 v[8:10], v11 offset:96
	s_add_i32 s7, s5, 4
	s_add_i32 s5, s5, 7
	v_fma_f32 v16, -v14, v15, 1.0
	v_fmac_f32_e32 v15, v16, v15
	v_div_scale_f32 v16, vcc, v6, v3, v6
	v_mul_f32_e32 v17, v16, v15
	v_fma_f32 v18, -v14, v17, v16
	v_fmac_f32_e32 v17, v18, v15
	v_fma_f32 v14, -v14, v17, v16
	v_div_fmas_f32 v14, v14, v15, v17
	v_div_fixup_f32 v3, v14, v3, v6
	s_waitcnt lgkmcnt(1)
	v_fma_f32 v6, -v3, v12, v7
	v_div_scale_f32 v7, s[12:13], v13, v13, v6
	v_rcp_f32_e32 v12, v7
	s_waitcnt lgkmcnt(0)
	v_fma_f32 v4, -v3, v8, v4
	s_addk_i32 s4, 0xc0
	s_cmp_ge_i32 s5, s20
	v_fma_f32 v14, -v7, v12, 1.0
	v_fmac_f32_e32 v12, v14, v12
	v_div_scale_f32 v14, vcc, v6, v13, v6
	v_mul_f32_e32 v15, v14, v12
	v_fma_f32 v16, -v7, v15, v14
	v_fmac_f32_e32 v15, v16, v12
	v_fma_f32 v7, -v7, v15, v14
	v_div_fmas_f32 v7, v7, v12, v15
	v_div_fixup_f32 v12, v7, v13, v6
	v_fma_f32 v4, -v12, v9, v4
	v_div_scale_f32 v13, s[12:13], v10, v10, v4
	v_rcp_f32_e32 v14, v13
	v_div_scale_f32 v15, vcc, v4, v10, v4
	ds_write2_b32 v1, v3, v12 offset1:12
	v_fma_f32 v6, -v13, v14, 1.0
	v_fmac_f32_e32 v14, v6, v14
	v_mul_f32_e32 v16, v15, v14
	v_fma_f32 v6, -v13, v16, v15
	v_fmac_f32_e32 v16, v6, v14
	ds_read_b128 v[6:9], v11 offset:144
	v_fma_f32 v11, -v13, v16, v15
	v_div_fmas_f32 v11, v11, v14, v16
	v_div_fixup_f32 v4, v11, v10, v4
	s_waitcnt lgkmcnt(0)
	v_fma_f32 v5, -v3, v6, v5
	v_fma_f32 v5, -v12, v7, v5
	;; [unrolled: 1-line block ×3, first 2 shown]
	v_div_scale_f32 v6, s[12:13], v9, v9, v5
	v_rcp_f32_e32 v7, v6
	s_nop 0
	v_fma_f32 v3, -v6, v7, 1.0
	v_fmac_f32_e32 v7, v3, v7
	v_div_scale_f32 v3, vcc, v5, v9, v5
	v_mul_f32_e32 v8, v3, v7
	v_fma_f32 v10, -v6, v8, v3
	v_fmac_f32_e32 v8, v10, v7
	v_fma_f32 v3, -v6, v8, v3
	v_div_fmas_f32 v3, v3, v7, v8
	v_div_fixup_f32 v3, v3, v9, v5
	ds_write2_b32 v1, v4, v3 offset0:24 offset1:36
	s_cbranch_scc1 .LBB15_83
; %bb.82:                               ;   in Loop: Header=BB15_79 Depth=1
	s_mov_b32 s5, s7
	s_branch .LBB15_79
.LBB15_83:
	s_cmp_ge_i32 s7, s20
	s_cbranch_scc1 .LBB15_88
; %bb.84:
	v_mov_b32_e32 v1, 0x240
	v_lshl_or_b32 v1, v0, 2, v1
	s_mul_i32 s4, s7, 48
	s_branch .LBB15_86
.LBB15_85:                              ;   in Loop: Header=BB15_86 Depth=1
	s_mul_i32 s5, s7, 52
	v_mov_b32_e32 v5, s5
	ds_read_b32 v5, v5
	s_add_i32 s7, s7, 1
	s_add_i32 s4, s4, 48
	s_cmp_ge_i32 s7, s20
	s_waitcnt lgkmcnt(0)
	v_div_scale_f32 v6, s[12:13], v5, v5, v3
	v_rcp_f32_e32 v7, v6
	v_div_scale_f32 v8, vcc, v3, v5, v3
	v_fma_f32 v9, -v6, v7, 1.0
	v_fmac_f32_e32 v7, v9, v7
	v_mul_f32_e32 v9, v8, v7
	v_fma_f32 v10, -v6, v9, v8
	v_fmac_f32_e32 v9, v10, v7
	v_fma_f32 v6, -v6, v9, v8
	v_div_fmas_f32 v6, v6, v7, v9
	v_div_fixup_f32 v3, v6, v5, v3
	ds_write_b32 v4, v3
	s_cbranch_scc1 .LBB15_88
.LBB15_86:                              ; =>This Loop Header: Depth=1
                                        ;     Child Loop BB15_87 Depth 2
	v_mad_u64_u32 v[4:5], s[12:13], s7, 48, v[2:3]
	ds_read_b32 v3, v4
	s_cmp_eq_u32 s7, 0
	s_mov_b32 s5, s4
	v_mov_b32_e32 v5, v1
	s_mov_b32 s12, s7
	s_cbranch_scc1 .LBB15_85
.LBB15_87:                              ;   Parent Loop BB15_86 Depth=1
                                        ; =>  This Inner Loop Header: Depth=2
	v_mov_b32_e32 v7, s5
	ds_read_b32 v6, v5
	ds_read_b32 v7, v7
	s_add_i32 s12, s12, -1
	s_add_i32 s5, s5, 4
	v_add_u32_e32 v5, 48, v5
	s_cmp_eq_u32 s12, 0
	s_waitcnt lgkmcnt(0)
	v_fma_f32 v3, -v6, v7, v3
	s_cbranch_scc0 .LBB15_87
	s_branch .LBB15_85
.LBB15_88:
	s_and_saveexec_b64 s[4:5], s[0:1]
	s_cbranch_execz .LBB15_97
; %bb.89:
	s_cmp_lt_i32 s16, 1
	s_cbranch_scc1 .LBB15_97
; %bb.90:
	s_cmp_eq_u32 s16, 1
	s_cselect_b64 s[0:1], -1, 0
	s_cmp_lg_u32 s6, 1
	s_cselect_b64 s[4:5], -1, 0
	s_or_b64 s[0:1], s[0:1], s[4:5]
	v_mov_b32_e32 v3, 0
	s_and_b64 vcc, exec, s[0:1]
	v_lshlrev_b32_e32 v2, 2, v0
	s_cbranch_vccnz .LBB15_94
; %bb.91:
	v_lshl_add_u64 v[4:5], s[2:3], 0, v[2:3]
	v_mov_b32_e32 v1, 0x240
	s_and_b32 s2, s16, 0x7ffffffe
	v_lshl_or_b32 v6, v0, 2, v1
	s_mov_b32 s0, 1
	s_mov_b32 s1, 0
	;; [unrolled: 1-line block ×3, first 2 shown]
.LBB15_92:                              ; =>This Inner Loop Header: Depth=1
	v_mad_u64_u32 v[8:9], s[4:5], s1, 48, v[6:7]
	v_mad_u64_u32 v[10:11], s[4:5], s0, 48, v[6:7]
	ds_read_b32 v8, v8
	ds_read_b32 v9, v10
	s_add_i32 s1, s1, 2
	s_add_i32 s0, s0, 2
	s_add_i32 s3, s3, -2
	s_cmp_lg_u32 s3, 0
	s_waitcnt lgkmcnt(0)
	flat_store_dwordx2 v[4:5], v[8:9]
	v_lshl_add_u64 v[4:5], v[4:5], 0, 8
	s_cbranch_scc1 .LBB15_92
; %bb.93:
	s_cmp_lg_u32 s16, s2
	s_cselect_b64 s[0:1], -1, 0
	s_and_b64 vcc, exec, s[0:1]
	s_cbranch_vccnz .LBB15_95
	s_branch .LBB15_97
.LBB15_94:
	s_mov_b32 s2, 0
	s_cbranch_execz .LBB15_97
.LBB15_95:
	s_mul_hi_i32 s1, s6, s2
	s_mul_i32 s0, s6, s2
	s_ashr_i32 s7, s6, 31
	s_sub_i32 s3, s16, s2
	s_lshl_b64 s[0:1], s[0:1], 2
	s_add_u32 s0, s0, s22
	s_addc_u32 s1, s1, s21
	s_add_u32 s0, s0, s10
	s_addc_u32 s1, s1, s11
	s_add_u32 s0, s8, s0
	s_mul_i32 s2, s2, 48
	v_mov_b32_e32 v3, 0
	s_addc_u32 s1, s9, s1
	v_lshl_add_u32 v0, v0, 2, s2
	v_lshl_add_u64 v[2:3], s[0:1], 0, v[2:3]
	s_lshl_b64 s[0:1], s[6:7], 2
	v_add_u32_e32 v0, 0x240, v0
.LBB15_96:                              ; =>This Inner Loop Header: Depth=1
	ds_read_b32 v1, v0
	s_add_i32 s3, s3, -1
	v_add_u32_e32 v0, 48, v0
	s_cmp_lg_u32 s3, 0
	s_waitcnt lgkmcnt(0)
	flat_store_dword v[2:3], v1
	v_lshl_add_u64 v[2:3], v[2:3], 0, s[0:1]
	s_cbranch_scc1 .LBB15_96
.LBB15_97:
	s_endpgm
	.section	.rodata,"a",@progbits
	.p2align	6, 0x0
	.amdhsa_kernel _ZL31rocblas_trsm_small_right_deviceIffPKPKfPKPfLi12EEv13rocblas_fill_18rocblas_operation_17rocblas_diagonal_iiT0_T1_lilT2_lili
		.amdhsa_group_segment_fixed_size 1152
		.amdhsa_private_segment_fixed_size 0
		.amdhsa_kernarg_size 352
		.amdhsa_user_sgpr_count 2
		.amdhsa_user_sgpr_dispatch_ptr 0
		.amdhsa_user_sgpr_queue_ptr 0
		.amdhsa_user_sgpr_kernarg_segment_ptr 1
		.amdhsa_user_sgpr_dispatch_id 0
		.amdhsa_user_sgpr_kernarg_preload_length 0
		.amdhsa_user_sgpr_kernarg_preload_offset 0
		.amdhsa_user_sgpr_private_segment_size 0
		.amdhsa_uses_dynamic_stack 0
		.amdhsa_enable_private_segment 0
		.amdhsa_system_sgpr_workgroup_id_x 1
		.amdhsa_system_sgpr_workgroup_id_y 0
		.amdhsa_system_sgpr_workgroup_id_z 1
		.amdhsa_system_sgpr_workgroup_info 0
		.amdhsa_system_vgpr_workitem_id 0
		.amdhsa_next_free_vgpr 23
		.amdhsa_next_free_sgpr 30
		.amdhsa_accum_offset 24
		.amdhsa_reserve_vcc 1
		.amdhsa_float_round_mode_32 0
		.amdhsa_float_round_mode_16_64 0
		.amdhsa_float_denorm_mode_32 3
		.amdhsa_float_denorm_mode_16_64 3
		.amdhsa_dx10_clamp 1
		.amdhsa_ieee_mode 1
		.amdhsa_fp16_overflow 0
		.amdhsa_tg_split 0
		.amdhsa_exception_fp_ieee_invalid_op 0
		.amdhsa_exception_fp_denorm_src 0
		.amdhsa_exception_fp_ieee_div_zero 0
		.amdhsa_exception_fp_ieee_overflow 0
		.amdhsa_exception_fp_ieee_underflow 0
		.amdhsa_exception_fp_ieee_inexact 0
		.amdhsa_exception_int_div_zero 0
	.end_amdhsa_kernel
	.section	.text._ZL31rocblas_trsm_small_right_deviceIffPKPKfPKPfLi12EEv13rocblas_fill_18rocblas_operation_17rocblas_diagonal_iiT0_T1_lilT2_lili,"axG",@progbits,_ZL31rocblas_trsm_small_right_deviceIffPKPKfPKPfLi12EEv13rocblas_fill_18rocblas_operation_17rocblas_diagonal_iiT0_T1_lilT2_lili,comdat
.Lfunc_end15:
	.size	_ZL31rocblas_trsm_small_right_deviceIffPKPKfPKPfLi12EEv13rocblas_fill_18rocblas_operation_17rocblas_diagonal_iiT0_T1_lilT2_lili, .Lfunc_end15-_ZL31rocblas_trsm_small_right_deviceIffPKPKfPKPfLi12EEv13rocblas_fill_18rocblas_operation_17rocblas_diagonal_iiT0_T1_lilT2_lili
                                        ; -- End function
	.set _ZL31rocblas_trsm_small_right_deviceIffPKPKfPKPfLi12EEv13rocblas_fill_18rocblas_operation_17rocblas_diagonal_iiT0_T1_lilT2_lili.num_vgpr, 23
	.set _ZL31rocblas_trsm_small_right_deviceIffPKPKfPKPfLi12EEv13rocblas_fill_18rocblas_operation_17rocblas_diagonal_iiT0_T1_lilT2_lili.num_agpr, 0
	.set _ZL31rocblas_trsm_small_right_deviceIffPKPKfPKPfLi12EEv13rocblas_fill_18rocblas_operation_17rocblas_diagonal_iiT0_T1_lilT2_lili.numbered_sgpr, 30
	.set _ZL31rocblas_trsm_small_right_deviceIffPKPKfPKPfLi12EEv13rocblas_fill_18rocblas_operation_17rocblas_diagonal_iiT0_T1_lilT2_lili.num_named_barrier, 0
	.set _ZL31rocblas_trsm_small_right_deviceIffPKPKfPKPfLi12EEv13rocblas_fill_18rocblas_operation_17rocblas_diagonal_iiT0_T1_lilT2_lili.private_seg_size, 0
	.set _ZL31rocblas_trsm_small_right_deviceIffPKPKfPKPfLi12EEv13rocblas_fill_18rocblas_operation_17rocblas_diagonal_iiT0_T1_lilT2_lili.uses_vcc, 1
	.set _ZL31rocblas_trsm_small_right_deviceIffPKPKfPKPfLi12EEv13rocblas_fill_18rocblas_operation_17rocblas_diagonal_iiT0_T1_lilT2_lili.uses_flat_scratch, 0
	.set _ZL31rocblas_trsm_small_right_deviceIffPKPKfPKPfLi12EEv13rocblas_fill_18rocblas_operation_17rocblas_diagonal_iiT0_T1_lilT2_lili.has_dyn_sized_stack, 0
	.set _ZL31rocblas_trsm_small_right_deviceIffPKPKfPKPfLi12EEv13rocblas_fill_18rocblas_operation_17rocblas_diagonal_iiT0_T1_lilT2_lili.has_recursion, 0
	.set _ZL31rocblas_trsm_small_right_deviceIffPKPKfPKPfLi12EEv13rocblas_fill_18rocblas_operation_17rocblas_diagonal_iiT0_T1_lilT2_lili.has_indirect_call, 0
	.section	.AMDGPU.csdata,"",@progbits
; Kernel info:
; codeLenInByte = 5976
; TotalNumSgprs: 36
; NumVgprs: 23
; NumAgprs: 0
; TotalNumVgprs: 23
; ScratchSize: 0
; MemoryBound: 0
; FloatMode: 240
; IeeeMode: 1
; LDSByteSize: 1152 bytes/workgroup (compile time only)
; SGPRBlocks: 4
; VGPRBlocks: 2
; NumSGPRsForWavesPerEU: 36
; NumVGPRsForWavesPerEU: 23
; AccumOffset: 24
; Occupancy: 8
; WaveLimiterHint : 0
; COMPUTE_PGM_RSRC2:SCRATCH_EN: 0
; COMPUTE_PGM_RSRC2:USER_SGPR: 2
; COMPUTE_PGM_RSRC2:TRAP_HANDLER: 0
; COMPUTE_PGM_RSRC2:TGID_X_EN: 1
; COMPUTE_PGM_RSRC2:TGID_Y_EN: 0
; COMPUTE_PGM_RSRC2:TGID_Z_EN: 1
; COMPUTE_PGM_RSRC2:TIDIG_COMP_CNT: 0
; COMPUTE_PGM_RSRC3_GFX90A:ACCUM_OFFSET: 5
; COMPUTE_PGM_RSRC3_GFX90A:TG_SPLIT: 0
	.section	.text._ZL38rocblas_trsm_small_left_device_sharedBILi16ELi16ELb0EffPKPKfPKPfEv13rocblas_fill_18rocblas_operation_17rocblas_diagonal_iiT3_T4_lilT5_lili,"axG",@progbits,_ZL38rocblas_trsm_small_left_device_sharedBILi16ELi16ELb0EffPKPKfPKPfEv13rocblas_fill_18rocblas_operation_17rocblas_diagonal_iiT3_T4_lilT5_lili,comdat
	.globl	_ZL38rocblas_trsm_small_left_device_sharedBILi16ELi16ELb0EffPKPKfPKPfEv13rocblas_fill_18rocblas_operation_17rocblas_diagonal_iiT3_T4_lilT5_lili ; -- Begin function _ZL38rocblas_trsm_small_left_device_sharedBILi16ELi16ELb0EffPKPKfPKPfEv13rocblas_fill_18rocblas_operation_17rocblas_diagonal_iiT3_T4_lilT5_lili
	.p2align	8
	.type	_ZL38rocblas_trsm_small_left_device_sharedBILi16ELi16ELb0EffPKPKfPKPfEv13rocblas_fill_18rocblas_operation_17rocblas_diagonal_iiT3_T4_lilT5_lili,@function
_ZL38rocblas_trsm_small_left_device_sharedBILi16ELi16ELb0EffPKPKfPKPfEv13rocblas_fill_18rocblas_operation_17rocblas_diagonal_iiT3_T4_lilT5_lili: ; @_ZL38rocblas_trsm_small_left_device_sharedBILi16ELi16ELb0EffPKPKfPKPfEv13rocblas_fill_18rocblas_operation_17rocblas_diagonal_iiT3_T4_lilT5_lili
; %bb.0:
	s_load_dwordx4 s[8:11], s[0:1], 0x38
	s_load_dwordx4 s[4:7], s[0:1], 0x4
	s_load_dword s16, s[0:1], 0x14
	s_mov_b32 s20, s3
	s_mov_b32 s21, 0
	s_lshl_b64 s[24:25], s[20:21], 3
	s_waitcnt lgkmcnt(0)
	s_add_u32 s8, s8, s24
	s_addc_u32 s9, s9, s25
	s_load_dwordx2 s[8:9], s[8:9], 0x0
	s_min_i32 s26, s6, 16
	v_cmp_gt_i32_e32 vcc, s26, v0
	s_and_saveexec_b64 s[18:19], vcc
	s_cbranch_execz .LBB16_11
; %bb.1:
	s_load_dwordx4 s[12:15], s[0:1], 0x18
	s_load_dword s22, s[0:1], 0x28
	v_lshlrev_b32_e32 v2, 2, v0
	v_mov_b32_e32 v3, 0
	s_mov_b32 s3, 1
	s_waitcnt lgkmcnt(0)
	s_add_u32 s12, s12, s24
	s_addc_u32 s13, s13, s25
	s_load_dwordx2 s[12:13], s[12:13], 0x0
	s_cmp_lt_u32 s26, 2
	s_cselect_b64 s[28:29], -1, 0
	s_cmp_lg_u32 s22, 1
	s_cselect_b64 s[30:31], -1, 0
	s_or_b64 s[28:29], s[28:29], s[30:31]
	s_mov_b64 s[24:25], -1
	s_and_b64 vcc, exec, s[28:29]
	s_cbranch_vccnz .LBB16_5
; %bb.2:
	s_lshl_b64 s[20:21], s[14:15], 2
	s_waitcnt lgkmcnt(0)
	s_add_u32 s20, s12, s20
	s_addc_u32 s21, s13, s21
	v_lshl_add_u64 v[4:5], s[20:21], 0, v[2:3]
	s_and_b32 s21, s26, -2
	s_mov_b32 s17, 0
	s_mov_b32 s20, s21
.LBB16_3:                               ; =>This Inner Loop Header: Depth=1
	flat_load_dwordx2 v[6:7], v[4:5]
	v_lshl_or_b32 v1, s17, 6, v2
	v_lshl_or_b32 v3, s3, 6, v2
	s_add_i32 s17, s17, 2
	s_add_i32 s3, s3, 2
	s_add_i32 s20, s20, -2
	v_lshl_add_u64 v[4:5], v[4:5], 0, 8
	s_cmp_lg_u32 s20, 0
	s_waitcnt vmcnt(0) lgkmcnt(0)
	ds_write_b32 v1, v6
	ds_write_b32 v3, v7
	s_cbranch_scc1 .LBB16_3
; %bb.4:
	s_cmp_lg_u32 s26, s21
	s_cselect_b64 s[24:25], -1, 0
.LBB16_5:
	s_and_b64 vcc, exec, s[24:25]
	s_cbranch_vccz .LBB16_8
; %bb.6:
	s_ashr_i32 s23, s22, 31
	s_mul_hi_u32 s3, s22, s21
	s_mul_i32 s17, s23, s21
	s_add_i32 s25, s3, s17
	s_mul_i32 s24, s22, s21
	s_lshl_b64 s[24:25], s[24:25], 2
	s_lshl_b64 s[14:15], s[14:15], 2
	s_add_u32 s3, s24, s14
	s_addc_u32 s14, s25, s15
	s_waitcnt lgkmcnt(0)
	s_add_u32 s12, s12, s3
	v_mov_b32_e32 v3, 0
	s_addc_u32 s13, s13, s14
	v_lshl_add_u64 v[4:5], s[12:13], 0, v[2:3]
	s_lshl_b64 s[12:13], s[22:23], 2
	s_sub_i32 s3, s26, s21
	v_lshl_or_b32 v1, s21, 6, v2
.LBB16_7:                               ; =>This Inner Loop Header: Depth=1
	flat_load_dword v3, v[4:5]
	s_add_i32 s3, s3, -1
	v_lshl_add_u64 v[4:5], v[4:5], 0, s[12:13]
	s_cmp_eq_u32 s3, 0
	s_waitcnt vmcnt(0) lgkmcnt(0)
	ds_write_b32 v1, v3
	v_add_u32_e32 v1, 64, v1
	s_cbranch_scc0 .LBB16_7
.LBB16_8:
	v_lshlrev_b32_e32 v1, 6, v0
	s_cmpk_lg_i32 s5, 0x84
	v_mov_b32_e32 v3, 1.0
	v_add_u32_e32 v1, v2, v1
	s_cbranch_scc0 .LBB16_10
; %bb.9:
	ds_read_b32 v2, v1
	s_waitcnt lgkmcnt(0)
	v_div_scale_f32 v3, s[12:13], v2, v2, 1.0
	v_rcp_f32_e32 v4, v3
	v_div_scale_f32 v5, vcc, 1.0, v2, 1.0
	v_fma_f32 v6, -v3, v4, 1.0
	v_fmac_f32_e32 v4, v6, v4
	v_mul_f32_e32 v6, v5, v4
	v_fma_f32 v7, -v3, v6, v5
	v_fmac_f32_e32 v6, v7, v4
	v_fma_f32 v3, -v3, v6, v5
	v_div_fmas_f32 v3, v3, v4, v6
	v_div_fixup_f32 v3, v3, v2, 1.0
.LBB16_10:
	ds_write_b32 v1, v3
.LBB16_11:
	s_or_b64 exec, exec, s[18:19]
	s_load_dword s3, s[0:1], 0x60
	s_load_dword s22, s[0:1], 0x48
	s_lshl_b64 s[10:11], s[10:11], 2
	s_waitcnt lgkmcnt(0)
	s_ashr_i32 s23, s22, 31
	s_add_u32 s5, s8, s10
	s_addc_u32 s14, s9, s11
	s_lshl_b32 s12, s2, 4
	s_add_i32 s3, s3, -1
	s_sub_i32 s0, s7, s12
	s_cmp_ge_u32 s2, s3
	s_cselect_b32 s7, s0, 16
	s_mul_hi_i32 s1, s22, s12
	s_mul_i32 s0, s22, s12
	s_ashr_i32 s13, s12, 31
	s_lshl_b64 s[0:1], s[0:1], 2
	s_add_u32 s2, s5, s0
	s_addc_u32 s3, s14, s1
	s_cmp_gt_i32 s6, 0
	v_cmp_gt_i32_e64 s[0:1], s7, v0
	s_cselect_b64 s[14:15], -1, 0
	s_mov_b32 s5, 0
	s_and_b64 s[20:21], s[0:1], s[14:15]
	s_and_saveexec_b64 s[18:19], s[20:21]
	s_cbranch_execz .LBB16_19
; %bb.12:
	s_cmp_lt_i32 s6, 2
	s_mov_b64 s[20:21], -1
	s_cbranch_scc1 .LBB16_16
; %bb.13:
	v_mad_i64_i32 v[2:3], s[20:21], s22, v0, 0
	v_mov_b32_e32 v1, 0x400
	s_and_b32 s5, s26, 30
	v_lshl_add_u64 v[2:3], v[2:3], 2, s[2:3]
	v_lshl_or_b32 v1, v0, 2, v1
	s_mov_b32 s17, s16
	s_mov_b32 s7, 1
	;; [unrolled: 1-line block ×4, first 2 shown]
.LBB16_14:                              ; =>This Inner Loop Header: Depth=1
	flat_load_dwordx2 v[4:5], v[2:3]
	v_lshl_add_u32 v6, s20, 6, v1
	v_lshl_add_u32 v7, s7, 6, v1
	s_add_i32 s20, s20, 2
	s_add_i32 s7, s7, 2
	s_add_i32 s21, s21, -2
	v_lshl_add_u64 v[2:3], v[2:3], 0, 8
	s_cmp_lg_u32 s21, 0
	s_waitcnt vmcnt(0) lgkmcnt(0)
	v_pk_mul_f32 v[4:5], s[16:17], v[4:5]
	ds_write_b32 v6, v4
	ds_write_b32 v7, v5
	s_cbranch_scc1 .LBB16_14
; %bb.15:
	s_cmp_lg_u32 s26, s5
	s_cselect_b64 s[20:21], -1, 0
.LBB16_16:
	s_and_b64 vcc, exec, s[20:21]
	s_cbranch_vccz .LBB16_19
; %bb.17:
	s_sub_i32 s7, s26, s5
	s_lshl_b32 s17, s5, 2
	s_add_u32 s17, s8, s17
	s_addc_u32 s21, s9, 0
	s_add_u32 s20, s17, s10
	v_lshlrev_b32_e32 v4, 2, v0
	v_mov_b32_e32 v5, 0
	s_addc_u32 s21, s21, s11
	v_lshl_add_u64 v[6:7], s[12:13], 2, v[4:5]
	v_mov_b64_e32 v[2:3], s[20:21]
	v_mad_u64_u32 v[2:3], s[20:21], v6, s22, v[2:3]
	v_mul_lo_u32 v1, v6, s23
	v_mul_lo_u32 v5, v7, s22
	v_add3_u32 v3, v5, v3, v1
	v_lshl_or_b32 v1, s5, 6, v4
	v_add_u32_e32 v1, 0x400, v1
.LBB16_18:                              ; =>This Inner Loop Header: Depth=1
	flat_load_dword v4, v[2:3]
	s_add_i32 s7, s7, -1
	v_lshl_add_u64 v[2:3], v[2:3], 0, 4
	s_cmp_lg_u32 s7, 0
	s_waitcnt vmcnt(0) lgkmcnt(0)
	v_mul_f32_e32 v4, s16, v4
	ds_write_b32 v1, v4
	v_add_u32_e32 v1, 64, v1
	s_cbranch_scc1 .LBB16_18
.LBB16_19:
	s_or_b64 exec, exec, s[18:19]
	v_mov_b32_e32 v1, 0x400
	s_cmpk_eq_i32 s4, 0x6f
	v_lshl_or_b32 v1, v0, 2, v1
	s_mov_b64 s[4:5], -1
	s_waitcnt lgkmcnt(0)
	; wave barrier
	s_cbranch_scc1 .LBB16_34
; %bb.20:
	s_cmp_gt_i32 s6, 15
	s_cselect_b64 s[4:5], -1, 0
	s_mov_b32 s7, 0
	s_and_b64 vcc, exec, s[4:5]
	s_cbranch_vccz .LBB16_22
; %bb.21:
	v_mov_b32_e32 v5, 0
	ds_read2_b32 v[54:55], v1 offset1:16
	ds_read2_b32 v[56:57], v1 offset0:32 offset1:48
	ds_read2_b32 v[58:59], v1 offset0:64 offset1:80
	;; [unrolled: 1-line block ×7, first 2 shown]
	ds_read_b128 v[12:15], v5 offset:192
	ds_read_b32 v9, v5
	ds_read_b64 v[86:87], v5 offset:64
	ds_read_b96 v[66:68], v5 offset:128
	ds_read_b96 v[40:42], v5 offset:320
	ds_read_b128 v[16:19], v5 offset:256
	ds_read2_b32 v[90:91], v5 offset0:68 offset1:85
	ds_read2_b32 v[92:93], v5 offset0:83 offset1:84
	ds_read_b96 v[44:46], v5 offset:448
	ds_read_b128 v[20:23], v5 offset:384
	ds_read_b96 v[70:72], v5 offset:400
	ds_read2_b32 v[96:97], v5 offset0:115 offset1:116
	s_waitcnt lgkmcnt(7)
	v_mov_b32_e32 v94, v41
	v_mov_b32_e32 v95, v42
	;; [unrolled: 1-line block ×3, first 2 shown]
	s_waitcnt lgkmcnt(3)
	v_mov_b32_e32 v99, v46
	ds_read_b96 v[46:48], v5 offset:576
	ds_read2_b32 v[100:101], v5 offset0:119 offset1:136
	ds_read_b96 v[6:8], v5 offset:672
	ds_read_b96 v[50:52], v5 offset:704
	ds_read_b128 v[24:27], v5 offset:528
	ds_read2_b32 v[104:105], v5 offset0:153 offset1:187
	ds_read_b128 v[28:31], v5 offset:768
	ds_read2_b32 v[10:11], v5 offset0:204 offset1:221
	ds_read_b96 v[74:76], v5 offset:832
	ds_read_b96 v[78:80], v5 offset:976
	ds_read_b128 v[32:35], v5 offset:896
	ds_read_b96 v[2:4], v5 offset:944
	ds_read_b128 v[36:39], v5 offset:960
	ds_read2_b32 v[108:109], v5 offset0:247 offset1:248
	s_waitcnt lgkmcnt(4)
	v_mov_b32_e32 v111, v80
	v_mul_f32_e32 v80, v54, v9
	v_fma_f32 v69, -v80, v40, v59
	ds_read_b128 v[40:43], v5 offset:640
	v_fma_f32 v9, -v80, v86, v55
	v_mul_f32_e32 v81, v9, v87
	v_mov_b32_e32 v98, v45
	v_mov_b32_e32 v102, v47
	v_fma_f32 v73, -v80, v44, v61
	v_fma_f32 v77, -v80, v46, v63
	ds_read_b128 v[44:47], v5 offset:784
	s_waitcnt lgkmcnt(1)
	v_pk_mul_f32 v[40:41], v[80:81], v[40:41]
	v_mov_b32_e32 v110, v79
	v_fma_f32 v79, -v80, v50, v65
	v_sub_f32_e32 v9, v64, v40
	v_pk_mul_f32 v[64:65], v[80:81], v[66:67]
	v_pk_mul_f32 v[16:17], v[80:81], v[16:17]
	v_mov_b32_e32 v89, v14
	v_mov_b32_e32 v103, v48
	;; [unrolled: 1-line block ×4, first 2 shown]
	v_fma_f32 v14, -v80, v12, v57
	v_fma_f32 v28, -v80, v28, v82
	ds_read_b128 v[48:51], v5 offset:800
	ds_read2_b32 v[12:13], v5 offset0:219 offset1:220
	v_fma_f32 v74, -v80, v74, v83
	v_fma_f32 v32, -v80, v32, v84
	;; [unrolled: 1-line block ×3, first 2 shown]
	ds_read2_b32 v[82:83], v5 offset0:249 offset1:250
	ds_read_b128 v[52:55], v5 offset:656
	v_sub_f32_e32 v40, v56, v64
	v_sub_f32_e32 v16, v58, v16
	ds_read_b128 v[56:59], v5 offset:512
	ds_read2_b32 v[84:85], v5 offset0:117 offset1:118
	v_sub_f32_e32 v86, v16, v17
	v_pk_mul_f32 v[16:17], v[80:81], v[20:21]
	v_sub_f32_e32 v40, v40, v65
	v_sub_f32_e32 v16, v60, v16
	;; [unrolled: 1-line block ×3, first 2 shown]
	s_waitcnt lgkmcnt(1)
	v_pk_mul_f32 v[16:17], v[80:81], v[56:57]
	v_sub_f32_e32 v9, v9, v41
	v_sub_f32_e32 v16, v62, v16
	;; [unrolled: 1-line block ×3, first 2 shown]
	v_mul_f32_e32 v17, v40, v68
	v_mov_b32_e32 v16, v81
	v_pk_mul_f32 v[20:21], v[16:17], v[88:89]
	v_pk_mul_f32 v[56:57], v[16:17], v[94:95]
	v_sub_f32_e32 v14, v14, v20
	v_sub_f32_e32 v14, v14, v21
	v_pk_mul_f32 v[40:41], v[16:17], v[102:103]
	v_sub_f32_e32 v56, v69, v56
	v_sub_f32_e32 v40, v77, v40
	;; [unrolled: 1-line block ×3, first 2 shown]
	v_pk_mul_f32 v[56:57], v[16:17], v[98:99]
	v_mul_f32_e32 v15, v14, v15
	v_mov_b32_e32 v14, v17
	v_fma_f32 v113, -v81, v37, v36
	v_pk_mul_f32 v[36:37], v[16:17], v[106:107]
	v_sub_f32_e32 v16, v73, v56
	v_pk_mul_f32 v[18:19], v[14:15], v[18:19]
	ds_read_b128 v[60:63], v5 offset:928
	ds_read_b128 v[64:67], v5 offset:912
	ds_write2_b32 v1, v80, v81 offset1:16
	v_fma_f32 v74, -v81, v75, v74
	v_fma_f32 v75, -v81, v33, v32
	v_sub_f32_e32 v36, v79, v36
	v_sub_f32_e32 v73, v16, v57
	v_pk_mul_f32 v[42:43], v[14:15], v[42:43]
	v_pk_mul_f32 v[58:59], v[14:15], v[58:59]
	v_sub_f32_e32 v16, v86, v18
	v_fma_f32 v80, -v81, v29, v28
	ds_read2_b32 v[20:21], v5 offset0:151 offset1:152
	ds_read2_b32 v[28:29], v5 offset0:147 offset1:148
	;; [unrolled: 1-line block ×3, first 2 shown]
	v_sub_f32_e32 v79, v40, v41
	v_sub_f32_e32 v81, v36, v37
	v_fma_f32 v74, -v17, v76, v74
	v_fma_f32 v34, -v17, v34, v75
	;; [unrolled: 1-line block ×3, first 2 shown]
	ds_read2_b32 v[36:37], v5 offset0:185 offset1:186
	ds_read2_b32 v[40:41], v5 offset0:183 offset1:184
	;; [unrolled: 1-line block ×4, first 2 shown]
	v_pk_mul_f32 v[30:31], v[14:15], v[30:31]
	v_sub_f32_e32 v9, v9, v42
	v_sub_f32_e32 v42, v112, v58
	ds_write2_b32 v1, v17, v15 offset0:32 offset1:48
	v_sub_f32_e32 v58, v16, v19
	v_pk_mul_f32 v[16:17], v[14:15], v[22:23]
	v_sub_f32_e32 v30, v80, v30
	v_sub_f32_e32 v14, v87, v16
	;; [unrolled: 1-line block ×4, first 2 shown]
	ds_read2_b32 v[16:17], v5 offset0:217 offset1:218
	ds_read2_b32 v[18:19], v5 offset0:211 offset1:212
	;; [unrolled: 1-line block ×4, first 2 shown]
	v_fma_f32 v80, -v15, v35, v34
	v_mul_f32_e32 v35, v58, v90
	v_mov_b32_e32 v34, v15
	v_sub_f32_e32 v59, v42, v59
	v_sub_f32_e32 v9, v9, v43
	v_pk_mul_f32 v[42:43], v[34:35], v[92:93]
	v_fma_f32 v86, -v15, v39, v38
	s_waitcnt lgkmcnt(2)
	v_pk_mul_f32 v[14:15], v[34:35], v[18:19]
	v_pk_mul_f32 v[18:19], v[34:35], v[56:57]
	;; [unrolled: 1-line block ×4, first 2 shown]
	v_sub_f32_e32 v34, v77, v42
	v_sub_f32_e32 v14, v74, v14
	;; [unrolled: 1-line block ×5, first 2 shown]
	v_mul_f32_e32 v15, v34, v91
	v_mov_b32_e32 v14, v35
	v_sub_f32_e32 v18, v81, v18
	v_sub_f32_e32 v28, v79, v28
	v_pk_mul_f32 v[42:43], v[14:15], v[70:71]
	v_sub_f32_e32 v56, v38, v39
	v_sub_f32_e32 v57, v28, v29
	;; [unrolled: 1-line block ×3, first 2 shown]
	v_pk_mul_f32 v[18:19], v[14:15], v[64:65]
	v_pk_mul_f32 v[28:29], v[14:15], v[44:45]
	v_pk_mul_f32 v[38:39], v[14:15], v[52:53]
	v_pk_mul_f32 v[24:25], v[14:15], v[24:25]
	v_sub_f32_e32 v14, v75, v42
	v_sub_f32_e32 v14, v14, v43
	v_fma_f32 v64, -v35, v78, v86
	ds_write2_b32 v1, v35, v15 offset0:64 offset1:80
	v_mul_f32_e32 v35, v14, v72
	v_mov_b32_e32 v34, v15
	v_pk_mul_f32 v[14:15], v[34:35], v[84:85]
	v_sub_f32_e32 v24, v59, v24
	v_sub_f32_e32 v14, v56, v14
	;; [unrolled: 1-line block ×7, first 2 shown]
	v_pk_mul_f32 v[24:25], v[34:35], v[32:33]
	v_mul_f32_e32 v15, v14, v100
	v_mov_b32_e32 v14, v35
	v_sub_f32_e32 v24, v57, v24
	v_sub_f32_e32 v9, v9, v39
	v_pk_mul_f32 v[32:33], v[34:35], v[68:69]
	v_sub_f32_e32 v39, v28, v29
	s_waitcnt lgkmcnt(1)
	v_pk_mul_f32 v[28:29], v[34:35], v[30:31]
	v_sub_f32_e32 v30, v18, v19
	v_pk_mul_f32 v[18:19], v[14:15], v[26:27]
	v_sub_f32_e32 v32, v58, v32
	v_sub_f32_e32 v28, v73, v28
	;; [unrolled: 1-line block ×4, first 2 shown]
	v_pk_mul_f32 v[24:25], v[14:15], v[54:55]
	v_pk_mul_f32 v[26:27], v[14:15], v[46:47]
	v_sub_f32_e32 v9, v9, v24
	v_sub_f32_e32 v24, v32, v33
	;; [unrolled: 1-line block ×3, first 2 shown]
	v_pk_mul_f32 v[28:29], v[14:15], v[66:67]
	ds_write2_b32 v1, v35, v15 offset0:96 offset1:112
	v_sub_f32_e32 v28, v30, v28
	v_pk_mul_f32 v[30:31], v[34:35], v[110:111]
	v_sub_f32_e32 v26, v39, v26
	v_sub_f32_e32 v14, v64, v30
	;; [unrolled: 1-line block ×4, first 2 shown]
	v_mul_f32_e32 v19, v14, v101
	v_mov_b32_e32 v18, v15
	v_pk_mul_f32 v[14:15], v[18:19], v[20:21]
	v_pk_mul_f32 v[20:21], v[18:19], v[40:41]
	v_sub_f32_e32 v14, v38, v14
	v_sub_f32_e32 v14, v14, v15
	v_pk_mul_f32 v[22:23], v[18:19], v[22:23]
	v_mul_f32_e32 v15, v14, v104
	v_mov_b32_e32 v14, v19
	v_sub_f32_e32 v9, v9, v25
	v_sub_f32_e32 v20, v24, v20
	;; [unrolled: 1-line block ×3, first 2 shown]
	v_pk_mul_f32 v[6:7], v[14:15], v[6:7]
	v_sub_f32_e32 v24, v26, v27
	v_sub_f32_e32 v25, v28, v29
	;; [unrolled: 1-line block ×4, first 2 shown]
	v_pk_mul_f32 v[20:21], v[14:15], v[48:49]
	v_sub_f32_e32 v27, v22, v23
	v_pk_mul_f32 v[22:23], v[14:15], v[60:61]
	v_sub_f32_e32 v20, v24, v20
	v_sub_f32_e32 v22, v25, v22
	v_pk_mul_f32 v[24:25], v[18:19], v[108:109]
	v_sub_f32_e32 v6, v6, v7
	v_sub_f32_e32 v9, v30, v24
	v_mul_f32_e32 v7, v6, v8
	v_mov_b32_e32 v6, v15
	v_sub_f32_e32 v24, v9, v25
	v_pk_mul_f32 v[8:9], v[6:7], v[36:37]
	ds_write2_b32 v1, v19, v15 offset0:128 offset1:144
	v_sub_f32_e32 v8, v26, v8
	v_sub_f32_e32 v8, v8, v9
	v_mul_f32_e32 v9, v8, v105
	v_mov_b32_e32 v8, v7
	v_sub_f32_e32 v18, v20, v21
	v_pk_mul_f32 v[14:15], v[6:7], v[16:17]
	v_pk_mul_f32 v[16:17], v[8:9], v[50:51]
	v_sub_f32_e32 v14, v27, v14
	v_sub_f32_e32 v16, v18, v16
	v_sub_f32_e32 v19, v22, v23
	v_sub_f32_e32 v25, v14, v15
	v_pk_mul_f32 v[14:15], v[8:9], v[62:63]
	v_pk_mul_f32 v[22:23], v[6:7], v[82:83]
	v_sub_f32_e32 v6, v16, v17
	v_sub_f32_e32 v14, v19, v14
	ds_read2_b32 v[18:19], v5 offset0:251 offset1:252
	ds_read2_b32 v[20:21], v5 offset0:253 offset1:254
	ds_read_b32 v26, v5 offset:1020
	ds_write2_b32 v1, v7, v9 offset0:160 offset1:176
	v_mul_f32_e32 v7, v6, v10
	v_mov_b32_e32 v6, v9
	v_pk_mul_f32 v[8:9], v[6:7], v[12:13]
	v_sub_f32_e32 v10, v14, v15
	v_sub_f32_e32 v8, v25, v8
	;; [unrolled: 1-line block ×3, first 2 shown]
	v_mul_f32_e32 v9, v8, v11
	v_mov_b32_e32 v8, v7
	v_pk_mul_f32 v[2:3], v[8:9], v[2:3]
	v_sub_f32_e32 v5, v24, v22
	v_sub_f32_e32 v2, v10, v2
	;; [unrolled: 1-line block ×3, first 2 shown]
	s_waitcnt lgkmcnt(3)
	v_pk_mul_f32 v[10:11], v[6:7], v[18:19]
	v_sub_f32_e32 v2, v2, v3
	v_sub_f32_e32 v5, v5, v10
	v_mul_f32_e32 v3, v2, v4
	v_mov_b32_e32 v2, v9
	v_sub_f32_e32 v6, v5, v11
	s_waitcnt lgkmcnt(2)
	v_pk_mul_f32 v[4:5], v[2:3], v[20:21]
	s_mov_b32 s7, 16
	v_sub_f32_e32 v2, v6, v4
	v_sub_f32_e32 v2, v2, v5
	s_waitcnt lgkmcnt(1)
	v_mul_f32_e32 v2, v2, v26
	ds_write2_b32 v1, v7, v9 offset0:192 offset1:208
	ds_write2_b32 v1, v3, v2 offset0:224 offset1:240
.LBB16_22:
	s_cmp_lt_i32 s7, s26
	s_cbranch_scc0 .LBB16_33
; %bb.23:
	s_or_b32 s17, s7, 11
	s_cmp_ge_u32 s17, s26
	s_cbranch_scc1 .LBB16_28
; %bb.24:
	s_lshl_b32 s16, s7, 6
	v_add_u32_e32 v15, s16, v1
	ds_read2_b32 v[10:11], v15 offset1:16
	ds_read2_b32 v[2:3], v15 offset0:32 offset1:48
	ds_read2_b32 v[4:5], v15 offset0:64 offset1:80
	;; [unrolled: 1-line block ×4, first 2 shown]
	s_lshl_b32 s17, s17, 6
	v_add_u32_e32 v14, s17, v1
	ds_read_b32 v12, v15 offset:640
	ds_read_b32 v13, v14
	s_andn2_b64 vcc, exec, s[4:5]
	s_cbranch_vccnz .LBB16_27
; %bb.25:
	v_mov_b32_e32 v16, 0x400
	v_lshl_or_b32 v16, v0, 2, v16
	s_mov_b32 s4, s7
	s_mov_b32 s5, s16
.LBB16_26:                              ; =>This Inner Loop Header: Depth=1
	v_mov_b32_e32 v17, s5
	ds_read2_b32 v[42:43], v16 offset1:16
	ds_read2_b32 v[44:45], v16 offset0:32 offset1:48
	ds_read_b128 v[72:75], v17
	ds_read_b128 v[18:21], v17 offset:64
	ds_read_b128 v[76:79], v17 offset:128
	ds_read_b128 v[22:25], v17 offset:192
	ds_read_b128 v[80:83], v17 offset:256
	ds_read_b128 v[26:29], v17 offset:320
	ds_read_b128 v[84:87], v17 offset:384
	ds_read_b128 v[30:33], v17 offset:448
	ds_read_b128 v[88:91], v17 offset:512
	ds_read_b128 v[34:37], v17 offset:576
	ds_read_b128 v[92:95], v17 offset:640
	ds_read_b128 v[38:41], v17 offset:704
	s_waitcnt lgkmcnt(11)
	v_mov_b32_e32 v50, v72
	s_waitcnt lgkmcnt(10)
	v_mov_b32_e32 v51, v18
	;; [unrolled: 2-line block ×12, first 2 shown]
	v_mov_b32_e32 v46, v43
	v_mov_b32_e32 v18, v73
	;; [unrolled: 1-line block ×7, first 2 shown]
	v_pk_fma_f32 v[10:11], v[42:43], v[50:51], v[10:11] op_sel_hi:[0,1,1] neg_lo:[1,0,0] neg_hi:[1,0,0]
	v_pk_fma_f32 v[2:3], v[42:43], v[52:53], v[2:3] op_sel_hi:[0,1,1] neg_lo:[1,0,0] neg_hi:[1,0,0]
	;; [unrolled: 1-line block ×6, first 2 shown]
	v_mov_b32_e32 v62, v74
	v_mov_b32_e32 v63, v20
	;; [unrolled: 1-line block ×12, first 2 shown]
	v_pk_fma_f32 v[10:11], v[46:47], v[18:19], v[10:11] op_sel_hi:[0,1,1] neg_lo:[1,0,0] neg_hi:[1,0,0]
	v_pk_fma_f32 v[2:3], v[46:47], v[22:23], v[2:3] op_sel_hi:[0,1,1] neg_lo:[1,0,0] neg_hi:[1,0,0]
	;; [unrolled: 1-line block ×6, first 2 shown]
	s_add_i32 s5, s5, 16
	s_add_i32 s4, s4, -4
	v_mov_b32_e32 v48, v45
	v_mov_b32_e32 v20, v75
	;; [unrolled: 1-line block ×7, first 2 shown]
	v_pk_fma_f32 v[10:11], v[44:45], v[62:63], v[10:11] op_sel_hi:[0,1,1] neg_lo:[1,0,0] neg_hi:[1,0,0]
	v_pk_fma_f32 v[2:3], v[44:45], v[64:65], v[2:3] op_sel_hi:[0,1,1] neg_lo:[1,0,0] neg_hi:[1,0,0]
	;; [unrolled: 1-line block ×6, first 2 shown]
	v_add_u32_e32 v16, 0x100, v16
	s_cmp_lg_u32 s4, 0
	v_pk_fma_f32 v[10:11], v[48:49], v[20:21], v[10:11] op_sel_hi:[0,1,1] neg_lo:[1,0,0] neg_hi:[1,0,0]
	v_pk_fma_f32 v[2:3], v[48:49], v[24:25], v[2:3] op_sel_hi:[0,1,1] neg_lo:[1,0,0] neg_hi:[1,0,0]
	;; [unrolled: 1-line block ×6, first 2 shown]
	s_cbranch_scc1 .LBB16_26
.LBB16_27:
	s_lshl_b32 s4, s7, 2
	s_add_i32 s5, s4, s16
	v_mov_b32_e32 v47, s5
	s_or_b32 s5, s16, 64
	s_add_i32 s18, s4, s5
	v_add_u32_e32 v55, s5, v1
	s_or_b32 s5, s16, 0x80
	v_mov_b32_e32 v16, s18
	s_add_i32 s18, s4, s5
	v_add_u32_e32 v63, s5, v1
	s_or_b32 s5, s16, 0xc0
	v_mov_b32_e32 v17, s18
	s_add_i32 s18, s4, s5
	ds_read2_b32 v[68:69], v47 offset1:68
	ds_read_b64 v[70:71], v16
	ds_read_b96 v[44:46], v17
	v_mov_b32_e32 v16, s18
	ds_read_b128 v[16:19], v16
	s_or_b32 s18, s16, 0x140
	s_add_i32 s19, s4, s18
	v_mov_b32_e32 v40, s19
	ds_read_b96 v[48:50], v40
	s_waitcnt lgkmcnt(1)
	v_mov_b32_e32 v73, v18
	v_add_u32_e32 v18, s5, v1
	s_or_b32 s5, s16, 0x100
	s_add_i32 s19, s4, s5
	v_add_u32_e32 v96, s5, v1
	s_or_b32 s5, s16, 0x180
	s_add_i32 s20, s4, s5
	v_mov_b32_e32 v72, v17
	v_mov_b32_e32 v17, s20
	s_or_b32 s20, s16, 0x1c0
	s_add_i32 s21, s4, s20
	v_mov_b32_e32 v41, s21
	ds_read_b96 v[52:54], v17 offset:16
	ds_read_b96 v[56:58], v41
	s_waitcnt lgkmcnt(2)
	v_mov_b32_e32 v74, v49
	v_add_u32_e32 v49, s18, v1
	s_or_b32 s18, s16, 0x240
	v_add_u32_e32 v97, s5, v1
	s_waitcnt lgkmcnt(0)
	v_mov_b32_e32 v76, v57
	v_add_u32_e32 v57, s20, v1
	s_add_i32 s20, s4, s18
	v_mov_b32_e32 v36, s20
	v_mov_b32_e32 v77, v58
	ds_read_b96 v[58:60], v36
	ds_read2_b32 v[80:81], v36 offset0:3 offset1:4
	s_or_b32 s5, s16, 0x200
	s_add_i32 s20, s4, s5
	v_add_u32_e32 v98, s5, v1
	s_or_b32 s5, s16, 0x280
	s_add_i32 s16, s4, s5
	v_mov_b32_e32 v24, s16
	s_add_i32 s4, s4, s17
	v_mov_b32_e32 v75, v50
	ds_read2_b32 v[50:51], v47 offset0:85 offset1:119
	ds_read2_b32 v[78:79], v47 offset0:136 offset1:153
	s_waitcnt lgkmcnt(3)
	v_mov_b32_e32 v82, v59
	v_mov_b32_e32 v83, v60
	;; [unrolled: 1-line block ×3, first 2 shown]
	ds_read_b96 v[60:62], v24 offset:32
	ds_read_b96 v[64:66], v59
	ds_read_b128 v[20:23], v24
	ds_read_b128 v[24:27], v24 offset:16
	v_mov_b32_e32 v32, s20
	v_mul_f32_e32 v10, v10, v68
	v_fma_f32 v11, -v10, v70, v11
	s_waitcnt lgkmcnt(2)
	v_mov_b32_e32 v85, v66
	ds_read2_b32 v[66:67], v59 offset0:3 offset1:4
	ds_read_b128 v[28:31], v32
	ds_read_b128 v[32:35], v32 offset:16
	ds_read2_b32 v[86:87], v36 offset0:7 offset1:8
	ds_read2_b32 v[88:89], v36 offset0:5 offset1:6
	ds_read_b128 v[36:39], v17
	ds_read2_b32 v[90:91], v40 offset0:3 offset1:4
	ds_read2_b32 v[92:93], v41 offset0:5 offset1:6
	;; [unrolled: 1-line block ×3, first 2 shown]
	v_mov_b32_e32 v17, s19
	ds_read_b128 v[40:43], v17
	v_mul_f32_e32 v11, v11, v71
	ds_write_b32 v15, v10
	v_fma_f32 v15, -v10, v16, v3
	s_waitcnt lgkmcnt(12)
	v_pk_mul_f32 v[16:17], v[10:11], v[20:21]
	v_fma_f32 v20, -v10, v64, v13
	v_sub_f32_e32 v16, v12, v16
	s_waitcnt lgkmcnt(9)
	v_pk_mul_f32 v[12:13], v[10:11], v[28:29]
	v_fma_f32 v58, -v10, v58, v9
	v_sub_f32_e32 v12, v8, v12
	;; [unrolled: 4-line block ×4, first 2 shown]
	v_pk_mul_f32 v[4:5], v[10:11], v[44:45]
	v_mov_b32_e32 v84, v65
	v_sub_f32_e32 v2, v2, v4
	v_sub_f32_e32 v2, v2, v5
	v_mul_f32_e32 v3, v2, v46
	v_mov_b32_e32 v2, v11
	v_pk_mul_f32 v[4:5], v[2:3], v[72:73]
	ds_write_b32 v55, v11
	v_sub_f32_e32 v4, v15, v4
	v_sub_f32_e32 v4, v4, v5
	v_mul_f32_e32 v5, v4, v19
	v_mov_b32_e32 v4, v3
	v_sub_f32_e32 v15, v6, v7
	v_pk_mul_f32 v[6:7], v[2:3], v[74:75]
	v_sub_f32_e32 v21, v8, v9
	v_pk_mul_f32 v[8:9], v[2:3], v[76:77]
	;; [unrolled: 2-line block ×3, first 2 shown]
	ds_write_b32 v63, v3
	v_pk_mul_f32 v[12:13], v[4:5], v[42:43]
	v_pk_mul_f32 v[2:3], v[2:3], v[84:85]
	v_sub_f32_e32 v12, v15, v12
	v_sub_f32_e32 v2, v20, v2
	;; [unrolled: 1-line block ×7, first 2 shown]
	v_mul_f32_e32 v3, v2, v69
	v_mov_b32_e32 v2, v5
	v_sub_f32_e32 v16, v16, v17
	v_sub_f32_e32 v15, v6, v7
	v_pk_mul_f32 v[6:7], v[4:5], v[38:39]
	v_sub_f32_e32 v17, v8, v9
	v_pk_mul_f32 v[8:9], v[4:5], v[30:31]
	;; [unrolled: 2-line block ×3, first 2 shown]
	ds_write_b32 v18, v5
	v_pk_mul_f32 v[4:5], v[2:3], v[90:91]
	v_sub_f32_e32 v8, v28, v8
	v_sub_f32_e32 v4, v15, v4
	;; [unrolled: 1-line block ×6, first 2 shown]
	v_pk_mul_f32 v[8:9], v[2:3], v[80:81]
	v_mul_f32_e32 v5, v4, v50
	v_mov_b32_e32 v4, v3
	v_sub_f32_e32 v12, v6, v7
	v_pk_mul_f32 v[6:7], v[2:3], v[94:95]
	v_sub_f32_e32 v8, v19, v8
	v_sub_f32_e32 v15, v10, v11
	ds_write_b32 v96, v3
	v_pk_mul_f32 v[10:11], v[4:5], v[52:53]
	v_pk_mul_f32 v[2:3], v[2:3], v[66:67]
	v_sub_f32_e32 v10, v12, v10
	v_sub_f32_e32 v22, v8, v9
	v_pk_mul_f32 v[8:9], v[4:5], v[24:25]
	v_sub_f32_e32 v2, v20, v2
	v_sub_f32_e32 v6, v17, v6
	;; [unrolled: 1-line block ×6, first 2 shown]
	v_pk_mul_f32 v[6:7], v[4:5], v[32:33]
	v_mul_f32_e32 v3, v2, v54
	v_mov_b32_e32 v2, v5
	v_sub_f32_e32 v6, v13, v6
	ds_read2_b32 v[12:13], v59 offset0:5 offset1:6
	ds_read2_b32 v[16:17], v59 offset0:7 offset1:8
	;; [unrolled: 1-line block ×3, first 2 shown]
	ds_write_b32 v49, v5
	v_pk_mul_f32 v[4:5], v[2:3], v[92:93]
	v_sub_f32_e32 v10, v6, v7
	v_sub_f32_e32 v4, v21, v4
	;; [unrolled: 1-line block ×3, first 2 shown]
	v_pk_mul_f32 v[6:7], v[2:3], v[88:89]
	v_mul_f32_e32 v5, v4, v51
	v_mov_b32_e32 v4, v3
	v_sub_f32_e32 v6, v22, v6
	v_sub_f32_e32 v11, v8, v9
	ds_write_b32 v97, v3
	v_pk_mul_f32 v[8:9], v[4:5], v[34:35]
	s_waitcnt lgkmcnt(4)
	v_pk_mul_f32 v[2:3], v[2:3], v[12:13]
	v_sub_f32_e32 v8, v10, v8
	v_sub_f32_e32 v10, v6, v7
	v_pk_mul_f32 v[6:7], v[4:5], v[26:27]
	v_sub_f32_e32 v2, v15, v2
	v_sub_f32_e32 v6, v11, v6
	;; [unrolled: 1-line block ×4, first 2 shown]
	v_mul_f32_e32 v3, v2, v78
	v_mov_b32_e32 v2, v5
	ds_write_b32 v57, v5
	v_pk_mul_f32 v[4:5], v[2:3], v[86:87]
	v_sub_f32_e32 v8, v6, v7
	v_sub_f32_e32 v4, v10, v4
	v_sub_f32_e32 v4, v4, v5
	v_mul_f32_e32 v5, v4, v79
	v_mov_b32_e32 v4, v3
	ds_write_b32 v98, v3
	v_pk_mul_f32 v[6:7], v[4:5], v[60:61]
	s_waitcnt lgkmcnt(5)
	v_pk_mul_f32 v[2:3], v[2:3], v[16:17]
	v_sub_f32_e32 v4, v8, v6
	v_sub_f32_e32 v2, v11, v2
	;; [unrolled: 1-line block ×4, first 2 shown]
	ds_read_b32 v4, v47 offset:748
	v_add_u32_e32 v100, s5, v1
	v_mul_f32_e32 v3, v2, v62
	v_mov_b32_e32 v2, v5
	ds_write_b32 v100, v3
	s_waitcnt lgkmcnt(6)
	v_pk_mul_f32 v[2:3], v[2:3], v[18:19]
	v_add_u32_e32 v99, s18, v1
	v_sub_f32_e32 v2, v6, v2
	v_sub_f32_e32 v2, v2, v3
	s_waitcnt lgkmcnt(1)
	v_mul_f32_e32 v2, v2, v4
	s_or_b32 s7, s7, 12
	ds_write_b32 v99, v5
	ds_write_b32 v14, v2
.LBB16_28:
	s_cmp_ge_i32 s7, s26
	s_cbranch_scc1 .LBB16_33
; %bb.29:
	v_mov_b32_e32 v2, 0x400
	s_lshl_b32 s4, s7, 6
	v_lshl_or_b32 v2, v0, 2, v2
	s_branch .LBB16_31
.LBB16_30:                              ;   in Loop: Header=BB16_31 Depth=1
	s_mul_i32 s5, s7, 0x44
	v_mov_b32_e32 v5, s5
	ds_read_b32 v5, v5
	s_add_i32 s7, s7, 1
	s_add_i32 s4, s4, 64
	s_cmp_ge_i32 s7, s26
	s_waitcnt lgkmcnt(0)
	v_mul_f32_e32 v4, v4, v5
	ds_write_b32 v3, v4
	s_cbranch_scc1 .LBB16_33
.LBB16_31:                              ; =>This Loop Header: Depth=1
                                        ;     Child Loop BB16_32 Depth 2
	s_lshl_b32 s5, s7, 6
	v_add_u32_e32 v3, s5, v1
	ds_read_b32 v4, v3
	s_cmp_eq_u32 s7, 0
	v_mov_b32_e32 v5, v2
	s_mov_b32 s5, s7
	s_mov_b32 s16, s4
	s_cbranch_scc1 .LBB16_30
.LBB16_32:                              ;   Parent Loop BB16_31 Depth=1
                                        ; =>  This Inner Loop Header: Depth=2
	v_mov_b32_e32 v7, s16
	ds_read_b32 v6, v5
	ds_read_b32 v7, v7
	s_add_i32 s16, s16, 4
	s_add_i32 s5, s5, -1
	v_add_u32_e32 v5, 64, v5
	s_cmp_lg_u32 s5, 0
	s_waitcnt lgkmcnt(0)
	v_fma_f32 v4, -v6, v7, v4
	s_cbranch_scc1 .LBB16_32
	s_branch .LBB16_30
.LBB16_33:
	s_mov_b64 s[4:5], 0
.LBB16_34:
	s_and_b64 vcc, exec, s[4:5]
	s_cbranch_vccz .LBB16_60
; %bb.35:
	s_add_i32 s4, s26, -1
	s_cmp_gt_i32 s6, 15
	s_mov_b32 s5, -1
	s_cbranch_scc0 .LBB16_37
; %bb.36:
	v_mov_b32_e32 v64, 0
	ds_read2_b32 v[8:9], v1 offset0:224 offset1:240
	ds_read2_b32 v[46:47], v1 offset0:192 offset1:208
	;; [unrolled: 1-line block ×7, first 2 shown]
	ds_read2_b32 v[42:43], v1 offset1:16
	ds_read2_b32 v[6:7], v64 offset0:237 offset1:238
	ds_read_b64 v[62:63], v64 offset:1016
	ds_read_b96 v[22:24], v64 offset:1008
	ds_read2_b64 v[18:21], v64 offset0:110 offset1:114
	ds_read2_b32 v[32:33], v64 offset0:203 offset1:204
	s_waitcnt lgkmcnt(2)
	ds_read_b64 v[24:25], v64 offset:744
	ds_read2_b32 v[76:77], v64 offset0:246 offset1:250
	ds_read2_b32 v[90:91], v64 offset0:214 offset1:218
	;; [unrolled: 1-line block ×3, first 2 shown]
	ds_read_b96 v[70:72], v64 offset:992
	ds_read_b64 v[48:49], v64 offset:944
	s_waitcnt lgkmcnt(2)
	ds_read_b32 v53, v64 offset:940
	ds_read_b64 v[44:45], v64 offset:936
	ds_read_b32 v59, v64 offset:932
	ds_read_b128 v[36:39], v64 offset:960
	ds_read2_b32 v[56:57], v64 offset0:219 offset1:220
	ds_read_b128 v[66:69], v64 offset:896
	ds_read_b96 v[26:28], v64 offset:832
	ds_read_b96 v[82:84], v64 offset:864
	ds_read_b64 v[34:35], v64 offset:808
	ds_read_b32 v61, v64 offset:804
	ds_read_b128 v[14:17], v64 offset:768
	ds_read2_b32 v[54:55], v64 offset0:215 offset1:216
	ds_read2_b64 v[2:5], v64 offset0:76 offset1:80
	ds_read2_b32 v[80:81], v64 offset0:247 offset1:248
	s_waitcnt lgkmcnt(14)
	ds_read_b96 v[72:74], v64 offset:976
	s_waitcnt lgkmcnt(0)
	ds_read_b64 v[74:75], v64 offset:928
	ds_read_b32 v81, v64 offset:924
	s_waitcnt lgkmcnt(1)
	v_mov_b32_e32 v75, v82
	v_mul_f32_e32 v82, v9, v63
	v_mov_b32_e32 v49, v18
	v_fma_f32 v18, -v82, v37, v43
	v_fma_f32 v21, -v82, v36, v42
	ds_read_b64 v[42:43], v64 offset:800
	ds_read_b32 v55, v64 offset:796
	ds_read_b96 v[84:86], v64 offset:736
	ds_read2_b32 v[36:37], v64 offset0:183 offset1:184
	v_mov_b32_e32 v78, v23
	v_mov_b32_e32 v57, v32
	;; [unrolled: 1-line block ×3, first 2 shown]
	v_fma_f32 v5, -v82, v39, v31
	v_fma_f32 v17, -v82, v38, v30
	;; [unrolled: 1-line block ×3, first 2 shown]
	ds_read2_b32 v[38:39], v64 offset0:169 offset1:170
	ds_read_b96 v[22:24], v64 offset:704
	ds_read_b64 v[30:31], v64 offset:672
	s_waitcnt lgkmcnt(3)
	ds_read_b32 v37, v64 offset:668
	ds_read_b32 v63, v64 offset:916
	v_mov_b32_e32 v79, v6
	v_fma_f32 v6, -v82, v62, v8
	v_mov_b32_e32 v60, v83
	v_mov_b32_e32 v62, v73
	v_mul_f32_e32 v83, v6, v7
	v_mov_b32_e32 v58, v71
	v_fma_f32 v43, -v82, v70, v12
	v_fma_f32 v65, -v82, v72, v50
	ds_read2_b64 v[6:9], v64 offset0:59 offset1:64
	ds_read2_b32 v[96:97], v64 offset0:178 offset1:182
	ds_read2_b32 v[102:103], v64 offset0:146 offset1:150
	ds_read_b64 v[70:71], v64 offset:920
	s_waitcnt lgkmcnt(4)
	v_pk_mul_f32 v[72:73], v[82:83], v[62:63]
	v_fma_f32 v31, -v82, v76, v10
	s_waitcnt lgkmcnt(3)
	v_sub_f32_e32 v9, v51, v72
	v_pk_mul_f32 v[50:51], v[82:83], v[78:79]
	v_fma_f32 v24, -v82, v77, v40
	v_sub_f32_e32 v10, v47, v50
	v_pk_mul_f32 v[46:47], v[82:83], v[52:53]
	v_sub_f32_e32 v29, v10, v51
	v_sub_f32_e32 v10, v41, v46
	v_pk_mul_f32 v[50:51], v[82:83], v[58:59]
	ds_read_b96 v[76:78], v64 offset:848
	v_sub_f32_e32 v62, v10, v47
	v_sub_f32_e32 v10, v13, v50
	ds_read2_b32 v[40:41], v64 offset0:151 offset1:152
	ds_read_b64 v[46:47], v64 offset:648
	ds_read_b32 v63, v64 offset:644
	ds_read_b96 v[86:88], v64 offset:592
	v_pk_mul_f32 v[12:13], v[82:83], v[80:81]
	s_waitcnt lgkmcnt(3)
	v_sub_f32_e32 v41, v10, v51
	v_sub_f32_e32 v10, v11, v12
	s_waitcnt lgkmcnt(2)
	v_sub_f32_e32 v47, v10, v13
	ds_read2_b64 v[10:13], v64 offset0:42 offset1:48
	v_mov_b32_e32 v45, v91
	s_waitcnt lgkmcnt(0)
	v_fma_f32 v13, -v83, v68, v17
	v_fma_f32 v17, -v83, v67, v18
	v_mul_f32_e32 v19, v29, v19
	v_mov_b32_e32 v18, v83
	ds_write2_b32 v1, v83, v82 offset0:224 offset1:240
	v_pk_mul_f32 v[44:45], v[18:19], v[44:45]
	v_fma_f32 v72, -v83, v66, v21
	ds_read2_b32 v[58:59], v64 offset0:135 offset1:136
	ds_read_b64 v[52:53], v64 offset:536
	ds_read_b32 v29, v64 offset:532
	ds_read_b64 v[50:51], v64 offset:528
	ds_read2_b32 v[66:67], v64 offset0:211 offset1:212
	v_sub_f32_e32 v24, v24, v44
	v_pk_mul_f32 v[48:49], v[18:19], v[48:49]
	s_waitcnt lgkmcnt(1)
	v_sub_f32_e32 v51, v24, v45
	v_pk_mul_f32 v[44:45], v[18:19], v[74:75]
	v_sub_f32_e32 v32, v32, v48
	v_sub_f32_e32 v24, v43, v44
	v_fma_f32 v5, -v83, v69, v5
	v_sub_f32_e32 v32, v32, v49
	v_sub_f32_e32 v53, v24, v45
	ds_read_b64 v[44:45], v64 offset:792
	ds_read_b32 v49, v64 offset:788
	ds_read_b64 v[68:69], v64 offset:784
	s_waitcnt lgkmcnt(3)
	ds_read_b32 v67, v64 offset:780
	v_mov_b32_e32 v71, v90
	v_mov_b32_e32 v21, v76
	v_pk_mul_f32 v[70:71], v[18:19], v[70:71]
	v_pk_mul_f32 v[20:21], v[18:19], v[20:21]
	v_sub_f32_e32 v18, v31, v70
	v_sub_f32_e32 v31, v18, v71
	v_fma_f32 v17, -v19, v27, v17
	v_fma_f32 v24, -v19, v26, v72
	v_sub_f32_e32 v18, v65, v20
	v_mul_f32_e32 v27, v32, v33
	v_mov_b32_e32 v26, v19
	ds_read_b96 v[88:90], v64 offset:720
	ds_read2_b32 v[70:71], v64 offset0:179 offset1:180
	v_fma_f32 v13, -v19, v28, v13
	v_sub_f32_e32 v28, v18, v21
	v_pk_mul_f32 v[20:21], v[26:27], v[56:57]
	v_sub_f32_e32 v9, v9, v73
	ds_read_b64 v[32:33], v64 offset:664
	ds_read_b32 v73, v64 offset:660
	ds_read_b64 v[74:75], v64 offset:656
	s_waitcnt lgkmcnt(3)
	ds_read_b32 v71, v64 offset:652
	v_sub_f32_e32 v18, v62, v20
	v_pk_mul_f32 v[56:57], v[26:27], v[60:61]
	v_pk_mul_f32 v[60:61], v[26:27], v[66:67]
	s_waitcnt lgkmcnt(3)
	v_sub_f32_e32 v33, v18, v21
	v_sub_f32_e32 v5, v5, v60
	;; [unrolled: 1-line block ×3, first 2 shown]
	v_fma_f32 v5, -v27, v14, v24
	v_mul_f32_e32 v25, v33, v25
	v_fma_f32 v79, -v27, v15, v17
	v_mov_b32_e32 v24, v27
	v_mov_b32_e32 v17, v96
	;; [unrolled: 1-line block ×3, first 2 shown]
	v_pk_mul_f32 v[14:15], v[24:25], v[16:17]
	v_pk_mul_f32 v[16:17], v[24:25], v[34:35]
	;; [unrolled: 1-line block ×3, first 2 shown]
	v_fma_f32 v78, -v25, v22, v5
	v_sub_f32_e32 v5, v51, v16
	v_mov_b32_e32 v43, v84
	ds_write2_b32 v1, v27, v19 offset0:192 offset1:208
	ds_read2_b64 v[18:21], v64 offset0:25 offset1:32
	v_pk_mul_f32 v[54:55], v[26:27], v[54:55]
	v_sub_f32_e32 v9, v9, v48
	v_sub_f32_e32 v5, v5, v17
	v_pk_mul_f32 v[16:17], v[24:25], v[42:43]
	s_waitcnt lgkmcnt(0)
	v_sub_f32_e32 v21, v41, v56
	v_sub_f32_e32 v41, v47, v54
	;; [unrolled: 1-line block ×4, first 2 shown]
	v_mov_b32_e32 v45, v97
	v_sub_f32_e32 v80, v9, v17
	v_pk_mul_f32 v[16:17], v[24:25], v[44:45]
	v_mov_b32_e32 v69, v88
	v_sub_f32_e32 v9, v31, v16
	v_sub_f32_e32 v44, v9, v17
	v_pk_mul_f32 v[16:17], v[24:25], v[68:69]
	v_sub_f32_e32 v21, v21, v57
	v_sub_f32_e32 v9, v28, v16
	;; [unrolled: 1-line block ×5, first 2 shown]
	v_mul_f32_e32 v15, v5, v39
	v_mov_b32_e32 v14, v25
	v_mov_b32_e32 v17, v38
	;; [unrolled: 1-line block ×3, first 2 shown]
	ds_read2_b32 v[56:57], v64 offset0:147 offset1:148
	ds_read_b96 v[90:92], v64 offset:576
	v_pk_mul_f32 v[16:17], v[14:15], v[16:17]
	v_sub_f32_e32 v41, v41, v55
	s_waitcnt lgkmcnt(0)
	ds_read_b96 v[92:94], v64 offset:464
	ds_read_b32 v57, v64 offset:524
	ds_read_b64 v[48:49], v64 offset:520
	ds_read_b32 v55, v64 offset:516
	v_sub_f32_e32 v5, v21, v16
	ds_read2_b32 v[60:61], v64 offset0:115 offset1:116
	s_waitcnt lgkmcnt(2)
	ds_read_b32 v49, v64 offset:456
	v_mov_b32_e32 v72, v89
	v_pk_mul_f32 v[36:37], v[14:15], v[36:37]
	v_sub_f32_e32 v5, v5, v17
	v_mov_b32_e32 v62, v23
	ds_read2_b32 v[22:23], v64 offset0:101 offset1:102
	ds_read_b64 v[26:27], v64 offset:400
	s_waitcnt lgkmcnt(3)
	ds_read_b32 v61, v64 offset:396
	ds_read_b64 v[66:67], v64 offset:392
	v_pk_mul_f32 v[68:69], v[14:15], v[70:71]
	v_pk_mul_f32 v[70:71], v[14:15], v[72:73]
	v_mul_f32_e32 v73, v5, v3
	v_mov_b32_e32 v72, v15
	v_sub_f32_e32 v3, v41, v36
	v_mov_b32_e32 v31, v2
	s_waitcnt lgkmcnt(2)
	v_mov_b32_e32 v27, v10
	v_sub_f32_e32 v10, v3, v37
	v_pk_mul_f32 v[2:3], v[72:73], v[30:31]
	ds_read2_b32 v[34:35], v64 offset0:67 offset1:68
	ds_read_b64 v[76:77], v64 offset:264
	ds_read_b96 v[94:96], v64 offset:448
	v_sub_f32_e32 v2, v80, v2
	ds_read2_b32 v[42:43], v64 offset0:83 offset1:84
	ds_read_b32 v45, v64 offset:388
	s_waitcnt lgkmcnt(5)
	ds_read_b32 v67, v64 offset:328
	s_waitcnt lgkmcnt(3)
	ds_read_b96 v[96:98], v64 offset:320
	ds_write2_b32 v1, v15, v25 offset0:160 offset1:176
	v_mov_b32_e32 v33, v103
	v_mov_b32_e32 v75, v86
	v_sub_f32_e32 v2, v2, v3
	ds_read2_b32 v[24:25], v64 offset0:33 offset1:34
	ds_read_b32 v39, v64 offset:260
	s_waitcnt lgkmcnt(3)
	ds_read_b96 v[98:100], v64 offset:192
	v_pk_mul_f32 v[62:63], v[14:15], v[62:63]
	ds_read2_b64 v[14:17], v64 offset0:8 offset1:16
	v_mov_b32_e32 v77, v18
	v_mov_b32_e32 v28, v87
	;; [unrolled: 1-line block ×3, first 2 shown]
	v_sub_f32_e32 v18, v54, v70
	v_pk_mul_f32 v[30:31], v[72:73], v[32:33]
	v_pk_mul_f32 v[32:33], v[72:73], v[74:75]
	v_mul_f32_e32 v3, v2, v59
	v_mov_b32_e32 v2, v73
	v_mov_b32_e32 v5, v90
	;; [unrolled: 1-line block ×4, first 2 shown]
	s_waitcnt lgkmcnt(0)
	v_sub_f32_e32 v17, v65, v68
	v_sub_f32_e32 v22, v44, v30
	;; [unrolled: 1-line block ×4, first 2 shown]
	v_pk_mul_f32 v[46:47], v[72:73], v[46:47]
	v_pk_mul_f32 v[28:29], v[2:3], v[28:29]
	v_sub_f32_e32 v17, v17, v69
	v_sub_f32_e32 v32, v82, v46
	v_pk_mul_f32 v[40:41], v[2:3], v[40:41]
	v_sub_f32_e32 v22, v22, v31
	v_sub_f32_e32 v18, v18, v28
	v_sub_f32_e32 v28, v30, v33
	v_pk_mul_f32 v[30:31], v[2:3], v[56:57]
	v_mov_b32_e32 v54, v91
	v_pk_mul_f32 v[4:5], v[72:73], v[4:5]
	v_sub_f32_e32 v10, v10, v40
	v_sub_f32_e32 v17, v17, v30
	;; [unrolled: 1-line block ×3, first 2 shown]
	v_pk_mul_f32 v[32:33], v[2:3], v[54:55]
	v_sub_f32_e32 v2, v78, v4
	v_mov_b32_e32 v43, v34
	v_sub_f32_e32 v34, v2, v5
	v_sub_f32_e32 v2, v10, v41
	v_mov_b32_e32 v53, v6
	v_mul_f32_e32 v5, v2, v7
	v_mov_b32_e32 v4, v3
	ds_write2_b32 v1, v3, v73 offset0:128 offset1:144
	v_pk_mul_f32 v[2:3], v[4:5], v[52:53]
	v_sub_f32_e32 v6, v79, v62
	v_sub_f32_e32 v2, v22, v2
	v_mov_b32_e32 v51, v92
	v_sub_f32_e32 v6, v6, v63
	v_sub_f32_e32 v2, v2, v3
	v_mov_b32_e32 v36, v93
	v_sub_f32_e32 v32, v6, v32
	v_pk_mul_f32 v[6:7], v[4:5], v[50:51]
	v_mul_f32_e32 v3, v2, v23
	v_mov_b32_e32 v2, v5
	v_mov_b32_e32 v9, v94
	v_sub_f32_e32 v10, v18, v29
	v_sub_f32_e32 v6, v28, v6
	v_pk_mul_f32 v[28:29], v[4:5], v[48:49]
	v_pk_mul_f32 v[22:23], v[2:3], v[36:37]
	v_sub_f32_e32 v17, v17, v31
	v_sub_f32_e32 v18, v30, v28
	;; [unrolled: 1-line block ×4, first 2 shown]
	v_pk_mul_f32 v[6:7], v[2:3], v[60:61]
	v_mov_b32_e32 v44, v95
	v_pk_mul_f32 v[8:9], v[4:5], v[8:9]
	v_sub_f32_e32 v30, v32, v33
	v_sub_f32_e32 v6, v17, v6
	;; [unrolled: 1-line block ×3, first 2 shown]
	v_pk_mul_f32 v[28:29], v[2:3], v[44:45]
	v_sub_f32_e32 v2, v34, v8
	v_sub_f32_e32 v18, v30, v28
	;; [unrolled: 1-line block ×4, first 2 shown]
	ds_write2_b32 v1, v3, v5 offset0:96 offset1:112
	v_mul_f32_e32 v5, v2, v11
	v_mov_b32_e32 v4, v3
	v_pk_mul_f32 v[2:3], v[4:5], v[26:27]
	v_sub_f32_e32 v10, v6, v7
	v_sub_f32_e32 v2, v22, v2
	v_pk_mul_f32 v[6:7], v[4:5], v[66:67]
	v_sub_f32_e32 v2, v2, v3
	v_sub_f32_e32 v6, v17, v6
	v_mul_f32_e32 v3, v2, v35
	v_mov_b32_e32 v2, v5
	v_mov_b32_e32 v38, v97
	;; [unrolled: 1-line block ×3, first 2 shown]
	v_sub_f32_e32 v11, v18, v29
	v_pk_mul_f32 v[8:9], v[2:3], v[42:43]
	v_sub_f32_e32 v17, v6, v7
	v_pk_mul_f32 v[6:7], v[2:3], v[38:39]
	v_sub_f32_e32 v8, v10, v8
	v_sub_f32_e32 v6, v11, v6
	v_pk_mul_f32 v[10:11], v[4:5], v[12:13]
	ds_write2_b32 v1, v3, v5 offset0:64 offset1:80
	v_sub_f32_e32 v2, v28, v10
	v_sub_f32_e32 v10, v2, v11
	;; [unrolled: 1-line block ×3, first 2 shown]
	v_mul_f32_e32 v5, v2, v19
	v_mov_b32_e32 v4, v3
	v_pk_mul_f32 v[2:3], v[4:5], v[76:77]
	v_sub_f32_e32 v8, v6, v7
	v_sub_f32_e32 v2, v17, v2
	;; [unrolled: 1-line block ×3, first 2 shown]
	v_mul_f32_e32 v3, v2, v25
	v_mov_b32_e32 v2, v5
	v_mov_b32_e32 v6, v99
	;; [unrolled: 1-line block ×4, first 2 shown]
	v_pk_mul_f32 v[6:7], v[2:3], v[6:7]
	ds_read_b32 v11, v64
	v_sub_f32_e32 v2, v8, v6
	v_pk_mul_f32 v[8:9], v[4:5], v[20:21]
	v_sub_f32_e32 v2, v2, v7
	v_sub_f32_e32 v4, v10, v8
	;; [unrolled: 1-line block ×3, first 2 shown]
	ds_write2_b32 v1, v3, v5 offset0:32 offset1:48
	v_mul_f32_e32 v5, v2, v15
	v_mov_b32_e32 v4, v3
	v_mov_b32_e32 v17, v14
	v_pk_mul_f32 v[2:3], v[4:5], v[16:17]
	s_nop 0
	v_sub_f32_e32 v2, v6, v2
	v_sub_f32_e32 v2, v2, v3
	s_waitcnt lgkmcnt(1)
	v_mul_f32_e32 v2, v2, v11
	ds_write2_b32 v1, v2, v5 offset1:16
	s_cmp_gt_i32 s5, -1
	s_cbranch_scc1 .LBB16_38
	s_branch .LBB16_60
.LBB16_37:
	s_mov_b32 s5, s4
	s_cmp_gt_i32 s5, -1
	s_cbranch_scc0 .LBB16_60
.LBB16_38:
	s_cmp_lt_u32 s5, 11
	s_cbranch_scc1 .LBB16_43
; %bb.39:
	s_lshl_b32 s7, s5, 6
	v_add_u32_e32 v30, s7, v1
	v_add_u32_e32 v6, 0xfffffec0, v30
	;; [unrolled: 1-line block ×3, first 2 shown]
	v_subrev_u32_e32 v2, 64, v30
	v_add_u32_e32 v3, 0xffffff80, v30
	v_add_u32_e32 v4, 0xffffff40, v30
	;; [unrolled: 1-line block ×4, first 2 shown]
	ds_read_b32 v12, v30
	ds_read_b32 v13, v2
	;; [unrolled: 1-line block ×8, first 2 shown]
	v_add_u32_e32 v2, 0xfffffe00, v30
	v_add_u32_e32 v3, 0xfffffdc0, v30
	;; [unrolled: 1-line block ×4, first 2 shown]
	ds_read_b32 v4, v2
	ds_read_b32 v5, v3
	;; [unrolled: 1-line block ×4, first 2 shown]
	s_cmp_le_i32 s4, s5
	s_cbranch_scc1 .LBB16_42
; %bb.40:
	s_lshl_b32 s16, s26, 6
	s_lshl_b32 s17, s5, 2
	v_lshl_or_b32 v14, v0, 2, s16
	s_add_i32 s16, s16, s17
	v_add_u32_e32 v14, 0x3c0, v14
	s_addk_i32 s16, 0xff94
	s_mov_b32 s17, s4
.LBB16_41:                              ; =>This Inner Loop Header: Depth=1
	v_mov_b32_e32 v15, s16
	ds_read_b32 v16, v14
	ds_read2_b32 v[18:19], v15 offset0:10 offset1:11
	ds_read2_b32 v[20:21], v15 offset0:8 offset1:9
	;; [unrolled: 1-line block ×5, first 2 shown]
	ds_read2_b32 v[28:29], v15 offset1:1
	s_add_i32 s17, s17, -1
	s_sub_i32 s16, s16, 64
	v_subrev_u32_e32 v14, 64, v14
	s_waitcnt lgkmcnt(5)
	v_pk_mul_f32 v[18:19], v[16:17], v[18:19] op_sel_hi:[0,1]
	s_waitcnt lgkmcnt(4)
	v_pk_mul_f32 v[20:21], v[16:17], v[20:21] op_sel_hi:[0,1]
	;; [unrolled: 2-line block ×6, first 2 shown]
	s_cmp_gt_i32 s17, s5
	v_pk_add_f32 v[12:13], v[12:13], v[18:19] op_sel:[0,1] op_sel_hi:[1,0] neg_lo:[0,1] neg_hi:[0,1]
	v_pk_add_f32 v[10:11], v[10:11], v[20:21] op_sel:[0,1] op_sel_hi:[1,0] neg_lo:[0,1] neg_hi:[0,1]
	;; [unrolled: 1-line block ×6, first 2 shown]
	s_cbranch_scc1 .LBB16_41
.LBB16_42:
	s_add_i32 s16, s5, -1
	s_lshl_b32 s17, s16, 2
	s_lshl_b32 s30, s16, 6
	s_add_i32 s16, s17, s30
	v_mov_b32_e32 v15, s16
	s_add_i32 s16, s5, -3
	s_add_i32 s18, s17, s7
	s_lshl_b32 s17, s16, 2
	v_mov_b32_e32 v14, s18
	s_add_i32 s18, s17, s7
	v_mov_b32_e32 v16, s18
	s_add_i32 s18, s17, s30
	;; [unrolled: 2-line block ×3, first 2 shown]
	s_add_i32 s19, s17, s18
	ds_read2_b32 v[32:33], v14 offset1:1
	ds_read_b32 v44, v15
	ds_read2_b32 v[34:35], v16 offset1:1
	ds_read2_b32 v[24:25], v17 offset1:1
	v_mov_b32_e32 v14, s19
	s_lshl_b32 s19, s16, 6
	s_add_i32 s16, s17, s19
	v_mov_b32_e32 v15, s16
	s_add_i32 s16, s5, -5
	s_lshl_b32 s17, s16, 2
	s_add_i32 s20, s17, s7
	v_mov_b32_e32 v16, s20
	s_add_i32 s20, s17, s30
	v_mov_b32_e32 v17, s20
	s_add_i32 s20, s17, s18
	ds_read2_b32 v[36:37], v14 offset1:1
	ds_read_b32 v51, v15
	ds_read2_b32 v[38:39], v16 offset1:1
	ds_read2_b32 v[26:27], v17 offset1:1
	v_mov_b32_e32 v14, s20
	s_add_i32 s20, s17, s19
	v_mov_b32_e32 v15, s20
	s_add_i32 s20, s7, 0xffffff00
	s_add_i32 s21, s17, s20
	v_mov_b32_e32 v16, s21
	s_lshl_b32 s21, s16, 6
	s_add_i32 s16, s17, s21
	v_mov_b32_e32 v17, s16
	s_add_i32 s16, s5, -7
	s_lshl_b32 s17, s16, 2
	s_add_i32 s24, s17, s7
	ds_read2_b32 v[68:69], v14 offset1:1
	ds_read2_b32 v[20:21], v15 offset1:1
	;; [unrolled: 1-line block ×3, first 2 shown]
	ds_read_b32 v53, v17
	v_mov_b32_e32 v14, s24
	s_add_i32 s24, s17, s30
	v_mov_b32_e32 v15, s24
	s_add_i32 s24, s17, s18
	;; [unrolled: 2-line block ×4, first 2 shown]
	ds_read2_b32 v[40:41], v14 offset1:1
	ds_read2_b32 v[28:29], v15 offset1:1
	;; [unrolled: 1-line block ×4, first 2 shown]
	v_mov_b32_e32 v14, s24
	s_add_i32 s24, s17, s21
	v_mov_b32_e32 v15, s24
	s_add_i32 s24, s7, 0xfffffe80
	s_add_i32 s25, s17, s24
	v_mov_b32_e32 v31, s25
	s_lshl_b32 s25, s16, 6
	s_add_i32 s16, s17, s25
	v_mov_b32_e32 v42, s16
	s_add_i32 s16, s5, -9
	s_lshl_b32 s29, s16, 2
	s_add_i32 s17, s29, s7
	v_mov_b32_e32 v46, s17
	s_add_i32 s17, s29, s30
	v_mov_b32_e32 v47, s17
	s_add_i32 s17, s29, s18
	s_lshl_b32 s28, s16, 6
	v_mov_b32_e32 v58, s17
	s_add_i32 s17, s29, s19
	s_add_i32 s27, s7, 0xfffffe00
	;; [unrolled: 1-line block ×3, first 2 shown]
	ds_read2_b32 v[72:73], v14 offset1:1
	ds_read2_b32 v[16:17], v15 offset1:1
	;; [unrolled: 1-line block ×3, first 2 shown]
	ds_read_b32 v56, v42
	v_mov_b32_e32 v59, s17
	s_add_i32 s17, s29, s27
	v_mov_b32_e32 v42, s16
	s_add_i32 s16, s5, -11
	v_mov_b32_e32 v31, s17
	s_lshl_b32 s17, s16, 2
	s_add_i32 s31, s17, s7
	s_waitcnt lgkmcnt(14)
	v_mul_f32_e32 v12, v12, v33
	v_add_u32_e32 v48, s30, v1
	v_mov_b32_e32 v43, s31
	s_add_i32 s30, s17, s30
	ds_write_b32 v30, v12
	v_mov_b32_e32 v45, s30
	v_fma_f32 v13, -v12, v32, v13
	ds_read2_b32 v[30:31], v31 offset1:1
	ds_read_b32 v60, v42
	ds_read2_b32 v[32:33], v43 offset1:1
	ds_read2_b32 v[42:43], v45 offset1:1
	v_mul_f32_e32 v13, v13, v44
	v_mov_b32_e32 v44, v35
	v_mov_b32_e32 v45, v25
	v_fma_f32 v61, -v12, v34, v11
	v_pk_mul_f32 v[34:35], v[12:13], v[44:45]
	s_add_i32 s30, s29, s20
	v_sub_f32_e32 v25, v10, v34
	ds_read2_b32 v[10:11], v46 offset1:1
	ds_read2_b32 v[44:45], v47 offset1:1
	ds_read2_b32 v[74:75], v58 offset1:1
	ds_read2_b32 v[46:47], v59 offset1:1
	s_waitcnt lgkmcnt(4)
	v_mov_b32_e32 v34, v42
	v_mov_b32_e32 v42, v33
	v_fma_f32 v58, -v12, v32, v3
	v_mov_b32_e32 v32, v39
	v_mov_b32_e32 v33, v27
	;; [unrolled: 1-line block ×3, first 2 shown]
	s_add_i32 s30, s29, s21
	v_fma_f32 v59, -v12, v38, v9
	v_mov_b32_e32 v38, v41
	v_mov_b32_e32 v39, v29
	s_waitcnt lgkmcnt(3)
	v_fma_f32 v62, -v12, v10, v5
	v_mov_b32_e32 v10, v11
	s_waitcnt lgkmcnt(2)
	v_mov_b32_e32 v11, v45
	v_pk_mul_f32 v[32:33], v[12:13], v[32:33]
	v_mov_b32_e32 v5, s30
	s_add_i32 s30, s29, s24
	ds_write_b32 v48, v13
	v_fma_f32 v48, -v12, v40, v7
	v_pk_mul_f32 v[40:41], v[12:13], v[42:43]
	v_pk_mul_f32 v[10:11], v[12:13], v[10:11]
	;; [unrolled: 1-line block ×3, first 2 shown]
	v_sub_f32_e32 v7, v8, v32
	v_mov_b32_e32 v12, s30
	s_add_i32 s29, s29, s25
	v_add_u32_e32 v49, s18, v1
	v_sub_f32_e32 v35, v25, v35
	v_mov_b32_e32 v25, v36
	v_mov_b32_e32 v36, v13
	v_sub_f32_e32 v42, v7, v33
	v_mov_b32_e32 v7, s29
	ds_read2_b32 v[76:77], v3 offset1:1
	ds_read2_b32 v[8:9], v5 offset1:1
	;; [unrolled: 1-line block ×4, first 2 shown]
	v_sub_f32_e32 v3, v6, v38
	s_add_i32 s18, s17, s18
	v_sub_f32_e32 v64, v3, v39
	v_mov_b32_e32 v3, s18
	s_add_i32 s18, s17, s19
	v_mov_b32_e32 v5, s18
	s_add_i32 s18, s17, s20
	;; [unrolled: 2-line block ×3, first 2 shown]
	v_sub_f32_e32 v4, v4, v10
	v_mov_b32_e32 v7, s18
	s_add_i32 s18, s17, s24
	v_sub_f32_e32 v65, v4, v11
	ds_read2_b32 v[80:81], v3 offset1:1
	ds_read2_b32 v[4:5], v5 offset1:1
	;; [unrolled: 1-line block ×4, first 2 shown]
	v_mov_b32_e32 v3, s18
	s_add_i32 s18, s17, s25
	v_mov_b32_e32 v10, s18
	s_add_i32 s18, s17, s27
	;; [unrolled: 2-line block ×3, first 2 shown]
	v_sub_f32_e32 v2, v2, v40
	v_mov_b32_e32 v27, s18
	v_mul_f32_e32 v37, v35, v37
	v_sub_f32_e32 v66, v2, v41
	ds_read2_b32 v[84:85], v3 offset1:1
	ds_read2_b32 v[2:3], v10 offset1:1
	;; [unrolled: 1-line block ×4, first 2 shown]
	v_mov_b32_e32 v27, v68
	v_pk_mul_f32 v[24:25], v[36:37], v[24:25]
	v_pk_mul_f32 v[26:27], v[36:37], v[26:27]
	v_mov_b32_e32 v29, v70
	v_sub_f32_e32 v24, v61, v24
	s_waitcnt lgkmcnt(7)
	v_mov_b32_e32 v35, v80
	v_sub_f32_e32 v26, v59, v26
	v_pk_mul_f32 v[28:29], v[36:37], v[28:29]
	v_mov_b32_e32 v45, v74
	v_sub_f32_e32 v38, v24, v25
	v_sub_f32_e32 v59, v26, v27
	s_waitcnt lgkmcnt(6)
	v_mov_b32_e32 v26, v4
	v_sub_f32_e32 v4, v48, v28
	v_pk_mul_f32 v[32:33], v[36:37], v[44:45]
	v_pk_mul_f32 v[34:35], v[36:37], v[34:35]
	v_sub_f32_e32 v48, v4, v29
	v_sub_f32_e32 v4, v62, v32
	s_waitcnt lgkmcnt(2)
	v_mov_b32_e32 v32, v2
	v_mul_f32_e32 v39, v38, v51
	v_mov_b32_e32 v38, v37
	v_sub_f32_e32 v2, v58, v34
	v_mov_b32_e32 v34, v20
	v_mov_b32_e32 v20, v69
	v_pk_mul_f32 v[20:21], v[38:39], v[20:21]
	v_mov_b32_e32 v28, v6
	v_sub_f32_e32 v6, v4, v33
	v_sub_f32_e32 v4, v42, v20
	;; [unrolled: 1-line block ×3, first 2 shown]
	v_mov_b32_e32 v40, v75
	v_mov_b32_e32 v41, v47
	v_sub_f32_e32 v2, v2, v35
	v_mov_b32_e32 v35, v18
	v_mul_f32_e32 v21, v4, v19
	v_pk_mul_f32 v[40:41], v[38:39], v[40:41]
	v_mov_b32_e32 v4, v81
	v_mov_b32_e32 v20, v39
	ds_write_b32 v49, v37
	v_mov_b32_e32 v37, v13
	v_mov_b32_e32 v13, v30
	v_pk_mul_f32 v[4:5], v[38:39], v[4:5]
	v_mov_b32_e32 v47, v76
	v_sub_f32_e32 v30, v65, v40
	v_pk_mul_f32 v[34:35], v[20:21], v[34:35]
	v_mov_b32_e32 v18, v22
	v_mov_b32_e32 v22, v71
	v_sub_f32_e32 v4, v66, v4
	v_sub_f32_e32 v34, v59, v34
	;; [unrolled: 1-line block ×3, first 2 shown]
	v_pk_mul_f32 v[40:41], v[20:21], v[46:47]
	v_add_u32_e32 v50, s19, v1
	v_pk_mul_f32 v[22:23], v[38:39], v[22:23]
	v_sub_f32_e32 v6, v6, v40
	v_sub_f32_e32 v40, v4, v5
	;; [unrolled: 1-line block ×3, first 2 shown]
	v_add_u32_e32 v52, s20, v1
	v_mov_b32_e32 v27, v82
	ds_write_b32 v50, v39
	v_mov_b32_e32 v38, v16
	v_mov_b32_e32 v39, v14
	;; [unrolled: 1-line block ×3, first 2 shown]
	v_sub_f32_e32 v14, v64, v22
	v_mov_b32_e32 v19, v72
	v_mul_f32_e32 v5, v4, v53
	v_mov_b32_e32 v4, v21
	v_sub_f32_e32 v14, v14, v23
	v_pk_mul_f32 v[18:19], v[20:21], v[18:19]
	ds_write_b32 v52, v21
	v_pk_mul_f32 v[16:17], v[4:5], v[16:17]
	v_pk_mul_f32 v[20:21], v[20:21], v[26:27]
	v_sub_f32_e32 v14, v14, v16
	v_sub_f32_e32 v2, v2, v20
	v_mov_b32_e32 v22, v77
	v_mov_b32_e32 v23, v9
	v_sub_f32_e32 v18, v48, v18
	v_sub_f32_e32 v20, v2, v21
	;; [unrolled: 1-line block ×3, first 2 shown]
	v_add_u32_e32 v54, s21, v1
	v_sub_f32_e32 v16, v18, v19
	v_pk_mul_f32 v[18:19], v[4:5], v[22:23]
	v_sub_f32_e32 v22, v6, v41
	v_mov_b32_e32 v6, v83
	v_mul_f32_e32 v15, v2, v15
	v_mov_b32_e32 v14, v5
	v_pk_mul_f32 v[6:7], v[4:5], v[6:7]
	ds_write_b32 v54, v5
	v_pk_mul_f32 v[4:5], v[14:15], v[38:39]
	v_mov_b32_e32 v9, v78
	v_sub_f32_e32 v2, v16, v4
	v_sub_f32_e32 v2, v2, v5
	v_mov_b32_e32 v36, v79
	v_sub_f32_e32 v18, v30, v18
	v_sub_f32_e32 v6, v40, v6
	v_pk_mul_f32 v[8:9], v[14:15], v[8:9]
	v_mul_f32_e32 v5, v2, v56
	v_mov_b32_e32 v4, v15
	v_mov_b32_e32 v29, v84
	v_sub_f32_e32 v16, v18, v19
	v_sub_f32_e32 v8, v22, v8
	;; [unrolled: 1-line block ×3, first 2 shown]
	v_pk_mul_f32 v[6:7], v[4:5], v[36:37]
	v_mov_b32_e32 v2, v85
	v_sub_f32_e32 v6, v16, v6
	v_sub_f32_e32 v16, v8, v9
	v_pk_mul_f32 v[8:9], v[14:15], v[28:29]
	v_pk_mul_f32 v[2:3], v[4:5], v[2:3]
	v_sub_f32_e32 v4, v20, v8
	v_sub_f32_e32 v8, v4, v9
	;; [unrolled: 1-line block ×3, first 2 shown]
	v_add_u32_e32 v57, s25, v1
	v_mul_f32_e32 v7, v4, v31
	v_mov_b32_e32 v6, v5
	s_addk_i32 s7, 0xfd80
	ds_write_b32 v57, v5
	v_pk_mul_f32 v[4:5], v[6:7], v[12:13]
	s_add_i32 s18, s17, s7
	v_sub_f32_e32 v2, v17, v2
	v_sub_f32_e32 v4, v16, v4
	v_mov_b32_e32 v24, s18
	v_sub_f32_e32 v9, v2, v3
	v_sub_f32_e32 v2, v4, v5
	v_add_u32_e32 v43, s27, v1
	ds_read2_b32 v[24:25], v24 offset1:1
	s_waitcnt lgkmcnt(7)
	v_mov_b32_e32 v33, v86
	v_mul_f32_e32 v3, v2, v60
	v_mov_b32_e32 v2, v7
	v_mov_b32_e32 v4, v87
	s_waitcnt lgkmcnt(6)
	v_mov_b32_e32 v5, v11
	v_add_u32_e32 v49, s7, v1
	ds_write_b32 v43, v7
	v_pk_mul_f32 v[4:5], v[2:3], v[4:5]
	v_pk_mul_f32 v[6:7], v[6:7], v[32:33]
	s_lshl_b32 s7, s16, 6
	v_sub_f32_e32 v2, v9, v4
	v_sub_f32_e32 v4, v8, v6
	s_add_i32 s16, s17, s7
	v_sub_f32_e32 v6, v4, v7
	v_mov_b32_e32 v4, s16
	v_sub_f32_e32 v2, v2, v5
	ds_read_b32 v7, v4
	v_add_u32_e32 v63, s28, v1
	s_waitcnt lgkmcnt(2)
	v_mul_f32_e32 v5, v2, v25
	v_mov_b32_e32 v4, v3
	v_mov_b32_e32 v11, v24
	ds_write_b32 v63, v3
	v_pk_mul_f32 v[2:3], v[4:5], v[10:11]
	v_add_u32_e32 v55, s24, v1
	v_sub_f32_e32 v2, v6, v2
	v_sub_f32_e32 v2, v2, v3
	s_waitcnt lgkmcnt(1)
	v_mul_f32_e32 v2, v2, v7
	v_add_u32_e32 v3, s7, v1
	s_add_i32 s5, s5, -12
	ds_write_b32 v55, v15
	ds_write_b32 v49, v5
	;; [unrolled: 1-line block ×3, first 2 shown]
.LBB16_43:
	s_cmp_lt_i32 s5, 0
	s_cbranch_scc1 .LBB16_60
; %bb.44:
	s_and_b32 s7, s5, 3
	s_cmp_eq_u32 s7, 3
	s_mov_b32 s7, s5
	s_cbranch_scc1 .LBB16_49
; %bb.45:
	s_add_i32 s7, s5, 1
	s_and_b32 s16, s7, 3
	s_lshl_b32 s7, s26, 6
	s_lshl_b32 s17, s5, 2
	s_add_i32 s17, s7, s17
	v_lshl_or_b32 v2, v0, 2, s7
	s_sub_i32 s17, s17, 64
	v_add_u32_e32 v3, 0x3c0, v2
	s_mov_b32 s18, 0
	s_mov_b32 s7, s5
	s_branch .LBB16_47
.LBB16_46:                              ;   in Loop: Header=BB16_47 Depth=1
	s_mul_i32 s19, s7, 0x44
	v_mov_b32_e32 v5, s19
	ds_read_b32 v5, v5
	s_add_i32 s7, s7, -1
	s_add_i32 s18, s18, 1
	s_add_i32 s17, s17, -4
	s_cmp_lg_u32 s18, s16
	s_waitcnt lgkmcnt(0)
	v_mul_f32_e32 v2, v2, v5
	ds_write_b32 v4, v2
	s_cbranch_scc0 .LBB16_49
.LBB16_47:                              ; =>This Loop Header: Depth=1
                                        ;     Child Loop BB16_48 Depth 2
	s_lshl_b32 s19, s7, 6
	v_add_u32_e32 v4, s19, v1
	ds_read_b32 v2, v4
	s_cmp_le_i32 s4, s7
	v_mov_b32_e32 v5, v3
	s_mov_b32 s19, s17
	s_mov_b32 s20, s4
	s_cbranch_scc1 .LBB16_46
.LBB16_48:                              ;   Parent Loop BB16_47 Depth=1
                                        ; =>  This Inner Loop Header: Depth=2
	v_mov_b32_e32 v7, s19
	ds_read_b32 v6, v5
	ds_read_b32 v7, v7
	s_add_i32 s20, s20, -1
	s_sub_i32 s19, s19, 64
	v_subrev_u32_e32 v5, 64, v5
	s_cmp_gt_i32 s20, s7
	s_waitcnt lgkmcnt(0)
	v_fma_f32 v2, -v6, v7, v2
	s_cbranch_scc1 .LBB16_48
	s_branch .LBB16_46
.LBB16_49:
	s_cmp_lt_u32 s5, 3
	s_cbranch_scc1 .LBB16_60
; %bb.50:
	s_lshl_b32 s16, s26, 6
	s_lshl_b32 s5, s7, 2
	s_add_i32 s18, s16, s5
	v_lshl_or_b32 v2, v0, 2, s16
	s_sub_i32 s5, s18, 64
	v_add_u32_e32 v3, 0x3c0, v2
	s_add_i32 s16, s18, 0xffffffbc
	s_add_i32 s17, s18, 0xffffffb8
	s_addk_i32 s18, 0xffb4
	s_branch .LBB16_52
.LBB16_51:                              ;   in Loop: Header=BB16_52 Depth=1
	s_addk_i32 s19, 0xffbc
	v_mov_b32_e32 v2, s19
	ds_read_b32 v2, v2
	s_add_i32 s19, s7, -4
	s_add_i32 s5, s5, -16
	;; [unrolled: 1-line block ×5, first 2 shown]
	s_waitcnt lgkmcnt(0)
	v_mul_f32_e32 v2, v4, v2
	s_cmp_lt_i32 s7, 4
	s_mov_b32 s7, s19
	ds_write_b32 v5, v2
	s_cbranch_scc1 .LBB16_60
.LBB16_52:                              ; =>This Loop Header: Depth=1
                                        ;     Child Loop BB16_53 Depth 2
                                        ;     Child Loop BB16_55 Depth 2
	;; [unrolled: 1-line block ×4, first 2 shown]
	s_lshl_b32 s20, s7, 6
	v_add_u32_e32 v6, s20, v1
	ds_read_b32 v2, v6
	s_cmp_le_i32 s4, s7
	v_mov_b32_e32 v4, v3
	s_mov_b32 s19, s5
	s_mov_b32 s21, s4
	s_cbranch_scc1 .LBB16_54
.LBB16_53:                              ;   Parent Loop BB16_52 Depth=1
                                        ; =>  This Inner Loop Header: Depth=2
	v_mov_b32_e32 v7, s19
	ds_read_b32 v5, v4
	ds_read_b32 v7, v7
	s_add_i32 s21, s21, -1
	s_sub_i32 s19, s19, 64
	v_subrev_u32_e32 v4, 64, v4
	s_cmp_gt_i32 s21, s7
	s_waitcnt lgkmcnt(0)
	v_fma_f32 v2, -v5, v7, v2
	s_cbranch_scc1 .LBB16_53
.LBB16_54:                              ;   in Loop: Header=BB16_52 Depth=1
	s_mul_i32 s19, s7, 0x44
	v_mov_b32_e32 v4, s19
	ds_read_b32 v7, v4
	s_sub_i32 s20, s20, 64
	v_add_u32_e32 v5, s20, v1
	ds_read_b32 v4, v5
	s_cmp_le_i32 s26, s7
	s_waitcnt lgkmcnt(1)
	v_mul_f32_e32 v2, v2, v7
	ds_write_b32 v6, v2
	v_mov_b32_e32 v2, v3
	s_mov_b32 s20, s16
	s_mov_b32 s21, s26
	s_cbranch_scc1 .LBB16_56
.LBB16_55:                              ;   Parent Loop BB16_52 Depth=1
                                        ; =>  This Inner Loop Header: Depth=2
	v_mov_b32_e32 v7, s20
	ds_read_b32 v6, v2
	ds_read_b32 v7, v7
	s_add_i32 s21, s21, -1
	s_sub_i32 s20, s20, 64
	v_subrev_u32_e32 v2, 64, v2
	s_cmp_gt_i32 s21, s7
	s_waitcnt lgkmcnt(0)
	v_fma_f32 v4, -v6, v7, v4
	s_cbranch_scc1 .LBB16_55
.LBB16_56:                              ;   in Loop: Header=BB16_52 Depth=1
	s_addk_i32 s19, 0xffbc
	v_mov_b32_e32 v2, s19
	s_add_i32 s20, s7, -2
	ds_read_b32 v7, v2
	s_lshl_b32 s21, s20, 6
	v_add_u32_e32 v6, s21, v1
	ds_read_b32 v2, v6
	s_cmp_le_i32 s4, s20
	s_waitcnt lgkmcnt(1)
	v_mul_f32_e32 v4, v4, v7
	ds_write_b32 v5, v4
	v_mov_b32_e32 v4, v3
	s_mov_b32 s21, s17
	s_mov_b32 s24, s4
	s_cbranch_scc1 .LBB16_58
.LBB16_57:                              ;   Parent Loop BB16_52 Depth=1
                                        ; =>  This Inner Loop Header: Depth=2
	v_mov_b32_e32 v7, s21
	ds_read_b32 v5, v4
	ds_read_b32 v7, v7
	s_add_i32 s24, s24, -1
	s_sub_i32 s21, s21, 64
	v_subrev_u32_e32 v4, 64, v4
	s_cmp_gt_i32 s24, s20
	s_waitcnt lgkmcnt(0)
	v_fma_f32 v2, -v5, v7, v2
	s_cbranch_scc1 .LBB16_57
.LBB16_58:                              ;   in Loop: Header=BB16_52 Depth=1
	s_addk_i32 s19, 0xffbc
	v_mov_b32_e32 v4, s19
	s_add_i32 s20, s7, -3
	ds_read_b32 v7, v4
	s_lshl_b32 s21, s20, 6
	v_add_u32_e32 v5, s21, v1
	ds_read_b32 v4, v5
	s_cmp_le_i32 s4, s20
	s_waitcnt lgkmcnt(1)
	v_mul_f32_e32 v2, v2, v7
	ds_write_b32 v6, v2
	v_mov_b32_e32 v2, v3
	s_mov_b32 s21, s18
	s_mov_b32 s24, s4
	s_cbranch_scc1 .LBB16_51
.LBB16_59:                              ;   Parent Loop BB16_52 Depth=1
                                        ; =>  This Inner Loop Header: Depth=2
	v_mov_b32_e32 v7, s21
	ds_read_b32 v6, v2
	ds_read_b32 v7, v7
	s_add_i32 s24, s24, -1
	s_sub_i32 s21, s21, 64
	v_subrev_u32_e32 v2, 64, v2
	s_cmp_gt_i32 s24, s20
	s_waitcnt lgkmcnt(0)
	v_fma_f32 v4, -v6, v7, v4
	s_cbranch_scc1 .LBB16_59
	s_branch .LBB16_51
.LBB16_60:
	s_waitcnt lgkmcnt(0)
	; wave barrier
	s_and_saveexec_b64 s[4:5], s[0:1]
	s_cbranch_execz .LBB16_69
; %bb.61:
	s_andn2_b64 vcc, exec, s[14:15]
	s_cbranch_vccnz .LBB16_69
; %bb.62:
	s_cmp_eq_u32 s6, 1
	s_cbranch_scc1 .LBB16_66
; %bb.63:
	v_mad_i64_i32 v[2:3], s[0:1], s22, v0, 0
	v_lshl_add_u64 v[2:3], v[2:3], 2, s[2:3]
	s_and_b32 s2, s26, 30
	s_mov_b32 s0, 1
	s_mov_b32 s1, 0
	;; [unrolled: 1-line block ×3, first 2 shown]
.LBB16_64:                              ; =>This Inner Loop Header: Depth=1
	v_lshl_add_u32 v4, s1, 6, v1
	v_lshl_add_u32 v5, s0, 6, v1
	ds_read_b32 v4, v4
	ds_read_b32 v5, v5
	s_add_i32 s1, s1, 2
	s_add_i32 s0, s0, 2
	s_add_i32 s3, s3, -2
	s_cmp_lg_u32 s3, 0
	s_waitcnt lgkmcnt(0)
	flat_store_dwordx2 v[2:3], v[4:5]
	v_lshl_add_u64 v[2:3], v[2:3], 0, 8
	s_cbranch_scc1 .LBB16_64
; %bb.65:
	s_cmp_lg_u32 s26, s2
	s_cselect_b64 s[0:1], -1, 0
	s_and_b64 vcc, exec, s[0:1]
	s_cbranch_vccnz .LBB16_67
	s_branch .LBB16_69
.LBB16_66:
	s_mov_b32 s2, 0
	s_cbranch_execz .LBB16_69
.LBB16_67:
	s_sub_i32 s0, s26, s2
	s_lshl_b32 s1, s2, 2
	s_add_u32 s1, s8, s1
	s_addc_u32 s3, s9, 0
	s_add_u32 s4, s1, s10
	v_lshlrev_b32_e32 v2, 2, v0
	v_mov_b32_e32 v3, 0
	s_addc_u32 s5, s3, s11
	v_lshl_add_u64 v[4:5], s[12:13], 2, v[2:3]
	v_mov_b64_e32 v[0:1], s[4:5]
	v_mad_u64_u32 v[0:1], s[4:5], v4, s22, v[0:1]
	v_mul_lo_u32 v3, v4, s23
	v_mul_lo_u32 v4, v5, s22
	v_lshl_or_b32 v2, s2, 6, v2
	v_add3_u32 v1, v4, v1, v3
	v_add_u32_e32 v2, 0x400, v2
.LBB16_68:                              ; =>This Inner Loop Header: Depth=1
	ds_read_b32 v3, v2
	s_add_i32 s0, s0, -1
	v_add_u32_e32 v2, 64, v2
	s_cmp_lg_u32 s0, 0
	s_waitcnt lgkmcnt(0)
	flat_store_dword v[0:1], v3
	v_lshl_add_u64 v[0:1], v[0:1], 0, 4
	s_cbranch_scc1 .LBB16_68
.LBB16_69:
	s_endpgm
	.section	.rodata,"a",@progbits
	.p2align	6, 0x0
	.amdhsa_kernel _ZL38rocblas_trsm_small_left_device_sharedBILi16ELi16ELb0EffPKPKfPKPfEv13rocblas_fill_18rocblas_operation_17rocblas_diagonal_iiT3_T4_lilT5_lili
		.amdhsa_group_segment_fixed_size 2048
		.amdhsa_private_segment_fixed_size 0
		.amdhsa_kernarg_size 352
		.amdhsa_user_sgpr_count 2
		.amdhsa_user_sgpr_dispatch_ptr 0
		.amdhsa_user_sgpr_queue_ptr 0
		.amdhsa_user_sgpr_kernarg_segment_ptr 1
		.amdhsa_user_sgpr_dispatch_id 0
		.amdhsa_user_sgpr_kernarg_preload_length 0
		.amdhsa_user_sgpr_kernarg_preload_offset 0
		.amdhsa_user_sgpr_private_segment_size 0
		.amdhsa_uses_dynamic_stack 0
		.amdhsa_enable_private_segment 0
		.amdhsa_system_sgpr_workgroup_id_x 1
		.amdhsa_system_sgpr_workgroup_id_y 0
		.amdhsa_system_sgpr_workgroup_id_z 1
		.amdhsa_system_sgpr_workgroup_info 0
		.amdhsa_system_vgpr_workitem_id 0
		.amdhsa_next_free_vgpr 114
		.amdhsa_next_free_sgpr 32
		.amdhsa_accum_offset 116
		.amdhsa_reserve_vcc 1
		.amdhsa_float_round_mode_32 0
		.amdhsa_float_round_mode_16_64 0
		.amdhsa_float_denorm_mode_32 3
		.amdhsa_float_denorm_mode_16_64 3
		.amdhsa_dx10_clamp 1
		.amdhsa_ieee_mode 1
		.amdhsa_fp16_overflow 0
		.amdhsa_tg_split 0
		.amdhsa_exception_fp_ieee_invalid_op 0
		.amdhsa_exception_fp_denorm_src 0
		.amdhsa_exception_fp_ieee_div_zero 0
		.amdhsa_exception_fp_ieee_overflow 0
		.amdhsa_exception_fp_ieee_underflow 0
		.amdhsa_exception_fp_ieee_inexact 0
		.amdhsa_exception_int_div_zero 0
	.end_amdhsa_kernel
	.section	.text._ZL38rocblas_trsm_small_left_device_sharedBILi16ELi16ELb0EffPKPKfPKPfEv13rocblas_fill_18rocblas_operation_17rocblas_diagonal_iiT3_T4_lilT5_lili,"axG",@progbits,_ZL38rocblas_trsm_small_left_device_sharedBILi16ELi16ELb0EffPKPKfPKPfEv13rocblas_fill_18rocblas_operation_17rocblas_diagonal_iiT3_T4_lilT5_lili,comdat
.Lfunc_end16:
	.size	_ZL38rocblas_trsm_small_left_device_sharedBILi16ELi16ELb0EffPKPKfPKPfEv13rocblas_fill_18rocblas_operation_17rocblas_diagonal_iiT3_T4_lilT5_lili, .Lfunc_end16-_ZL38rocblas_trsm_small_left_device_sharedBILi16ELi16ELb0EffPKPKfPKPfEv13rocblas_fill_18rocblas_operation_17rocblas_diagonal_iiT3_T4_lilT5_lili
                                        ; -- End function
	.set _ZL38rocblas_trsm_small_left_device_sharedBILi16ELi16ELb0EffPKPKfPKPfEv13rocblas_fill_18rocblas_operation_17rocblas_diagonal_iiT3_T4_lilT5_lili.num_vgpr, 114
	.set _ZL38rocblas_trsm_small_left_device_sharedBILi16ELi16ELb0EffPKPKfPKPfEv13rocblas_fill_18rocblas_operation_17rocblas_diagonal_iiT3_T4_lilT5_lili.num_agpr, 0
	.set _ZL38rocblas_trsm_small_left_device_sharedBILi16ELi16ELb0EffPKPKfPKPfEv13rocblas_fill_18rocblas_operation_17rocblas_diagonal_iiT3_T4_lilT5_lili.numbered_sgpr, 32
	.set _ZL38rocblas_trsm_small_left_device_sharedBILi16ELi16ELb0EffPKPKfPKPfEv13rocblas_fill_18rocblas_operation_17rocblas_diagonal_iiT3_T4_lilT5_lili.num_named_barrier, 0
	.set _ZL38rocblas_trsm_small_left_device_sharedBILi16ELi16ELb0EffPKPKfPKPfEv13rocblas_fill_18rocblas_operation_17rocblas_diagonal_iiT3_T4_lilT5_lili.private_seg_size, 0
	.set _ZL38rocblas_trsm_small_left_device_sharedBILi16ELi16ELb0EffPKPKfPKPfEv13rocblas_fill_18rocblas_operation_17rocblas_diagonal_iiT3_T4_lilT5_lili.uses_vcc, 1
	.set _ZL38rocblas_trsm_small_left_device_sharedBILi16ELi16ELb0EffPKPKfPKPfEv13rocblas_fill_18rocblas_operation_17rocblas_diagonal_iiT3_T4_lilT5_lili.uses_flat_scratch, 0
	.set _ZL38rocblas_trsm_small_left_device_sharedBILi16ELi16ELb0EffPKPKfPKPfEv13rocblas_fill_18rocblas_operation_17rocblas_diagonal_iiT3_T4_lilT5_lili.has_dyn_sized_stack, 0
	.set _ZL38rocblas_trsm_small_left_device_sharedBILi16ELi16ELb0EffPKPKfPKPfEv13rocblas_fill_18rocblas_operation_17rocblas_diagonal_iiT3_T4_lilT5_lili.has_recursion, 0
	.set _ZL38rocblas_trsm_small_left_device_sharedBILi16ELi16ELb0EffPKPKfPKPfEv13rocblas_fill_18rocblas_operation_17rocblas_diagonal_iiT3_T4_lilT5_lili.has_indirect_call, 0
	.section	.AMDGPU.csdata,"",@progbits
; Kernel info:
; codeLenInByte = 10316
; TotalNumSgprs: 38
; NumVgprs: 114
; NumAgprs: 0
; TotalNumVgprs: 114
; ScratchSize: 0
; MemoryBound: 0
; FloatMode: 240
; IeeeMode: 1
; LDSByteSize: 2048 bytes/workgroup (compile time only)
; SGPRBlocks: 4
; VGPRBlocks: 14
; NumSGPRsForWavesPerEU: 38
; NumVGPRsForWavesPerEU: 114
; AccumOffset: 116
; Occupancy: 4
; WaveLimiterHint : 0
; COMPUTE_PGM_RSRC2:SCRATCH_EN: 0
; COMPUTE_PGM_RSRC2:USER_SGPR: 2
; COMPUTE_PGM_RSRC2:TRAP_HANDLER: 0
; COMPUTE_PGM_RSRC2:TGID_X_EN: 1
; COMPUTE_PGM_RSRC2:TGID_Y_EN: 0
; COMPUTE_PGM_RSRC2:TGID_Z_EN: 1
; COMPUTE_PGM_RSRC2:TIDIG_COMP_CNT: 0
; COMPUTE_PGM_RSRC3_GFX90A:ACCUM_OFFSET: 28
; COMPUTE_PGM_RSRC3_GFX90A:TG_SPLIT: 0
	.section	.text._ZL30rocblas_trsm_small_left_deviceILi16ELi16ELb0EffPKPKfPKPfEv13rocblas_fill_18rocblas_operation_17rocblas_diagonal_iiT3_T4_lilT5_lili,"axG",@progbits,_ZL30rocblas_trsm_small_left_deviceILi16ELi16ELb0EffPKPKfPKPfEv13rocblas_fill_18rocblas_operation_17rocblas_diagonal_iiT3_T4_lilT5_lili,comdat
	.globl	_ZL30rocblas_trsm_small_left_deviceILi16ELi16ELb0EffPKPKfPKPfEv13rocblas_fill_18rocblas_operation_17rocblas_diagonal_iiT3_T4_lilT5_lili ; -- Begin function _ZL30rocblas_trsm_small_left_deviceILi16ELi16ELb0EffPKPKfPKPfEv13rocblas_fill_18rocblas_operation_17rocblas_diagonal_iiT3_T4_lilT5_lili
	.p2align	8
	.type	_ZL30rocblas_trsm_small_left_deviceILi16ELi16ELb0EffPKPKfPKPfEv13rocblas_fill_18rocblas_operation_17rocblas_diagonal_iiT3_T4_lilT5_lili,@function
_ZL30rocblas_trsm_small_left_deviceILi16ELi16ELb0EffPKPKfPKPfEv13rocblas_fill_18rocblas_operation_17rocblas_diagonal_iiT3_T4_lilT5_lili: ; @_ZL30rocblas_trsm_small_left_deviceILi16ELi16ELb0EffPKPKfPKPfEv13rocblas_fill_18rocblas_operation_17rocblas_diagonal_iiT3_T4_lilT5_lili
; %bb.0:
	s_load_dwordx4 s[8:11], s[0:1], 0x38
	s_load_dwordx4 s[4:7], s[0:1], 0x4
	s_load_dword s16, s[0:1], 0x14
	s_mov_b32 s20, s3
	s_mov_b32 s21, 0
	s_lshl_b64 s[24:25], s[20:21], 3
	s_waitcnt lgkmcnt(0)
	s_add_u32 s8, s8, s24
	s_addc_u32 s9, s9, s25
	s_load_dwordx2 s[8:9], s[8:9], 0x0
	s_min_i32 s17, s6, 16
	v_cmp_gt_i32_e32 vcc, s17, v0
	s_and_saveexec_b64 s[18:19], vcc
	s_cbranch_execz .LBB17_11
; %bb.1:
	s_load_dwordx4 s[12:15], s[0:1], 0x18
	s_load_dword s22, s[0:1], 0x28
	v_lshlrev_b32_e32 v2, 2, v0
	v_mov_b32_e32 v3, 0
	s_mov_b32 s3, 1
	s_waitcnt lgkmcnt(0)
	s_add_u32 s12, s12, s24
	s_addc_u32 s13, s13, s25
	s_load_dwordx2 s[12:13], s[12:13], 0x0
	s_cmp_lt_u32 s17, 2
	s_cselect_b64 s[26:27], -1, 0
	s_cmp_lg_u32 s22, 1
	s_cselect_b64 s[28:29], -1, 0
	s_or_b64 s[26:27], s[26:27], s[28:29]
	s_mov_b64 s[24:25], -1
	s_and_b64 vcc, exec, s[26:27]
	s_cbranch_vccnz .LBB17_5
; %bb.2:
	s_lshl_b64 s[20:21], s[14:15], 2
	s_waitcnt lgkmcnt(0)
	s_add_u32 s20, s12, s20
	s_addc_u32 s21, s13, s21
	v_lshl_add_u64 v[4:5], s[20:21], 0, v[2:3]
	s_and_b32 s21, s17, -2
	s_mov_b32 s20, 0
	s_mov_b32 s23, s21
.LBB17_3:                               ; =>This Inner Loop Header: Depth=1
	flat_load_dwordx2 v[6:7], v[4:5]
	v_lshl_or_b32 v1, s20, 6, v2
	v_lshl_or_b32 v3, s3, 6, v2
	s_add_i32 s20, s20, 2
	s_add_i32 s3, s3, 2
	s_add_i32 s23, s23, -2
	v_lshl_add_u64 v[4:5], v[4:5], 0, 8
	s_cmp_lg_u32 s23, 0
	s_waitcnt vmcnt(0) lgkmcnt(0)
	ds_write_b32 v1, v6
	ds_write_b32 v3, v7
	s_cbranch_scc1 .LBB17_3
; %bb.4:
	s_cmp_lg_u32 s17, s21
	s_cselect_b64 s[24:25], -1, 0
.LBB17_5:
	s_and_b64 vcc, exec, s[24:25]
	s_cbranch_vccz .LBB17_8
; %bb.6:
	s_ashr_i32 s23, s22, 31
	s_mul_hi_u32 s3, s22, s21
	s_mul_i32 s20, s23, s21
	s_add_i32 s25, s3, s20
	s_mul_i32 s24, s22, s21
	s_lshl_b64 s[24:25], s[24:25], 2
	s_lshl_b64 s[14:15], s[14:15], 2
	s_add_u32 s3, s24, s14
	s_addc_u32 s14, s25, s15
	s_waitcnt lgkmcnt(0)
	s_add_u32 s12, s12, s3
	v_mov_b32_e32 v3, 0
	s_addc_u32 s13, s13, s14
	v_lshl_add_u64 v[4:5], s[12:13], 0, v[2:3]
	s_lshl_b64 s[12:13], s[22:23], 2
	s_sub_i32 s3, s17, s21
	v_lshl_or_b32 v1, s21, 6, v2
.LBB17_7:                               ; =>This Inner Loop Header: Depth=1
	flat_load_dword v3, v[4:5]
	s_add_i32 s3, s3, -1
	v_lshl_add_u64 v[4:5], v[4:5], 0, s[12:13]
	s_cmp_eq_u32 s3, 0
	s_waitcnt vmcnt(0) lgkmcnt(0)
	ds_write_b32 v1, v3
	v_add_u32_e32 v1, 64, v1
	s_cbranch_scc0 .LBB17_7
.LBB17_8:
	v_lshlrev_b32_e32 v1, 6, v0
	s_cmpk_lg_i32 s5, 0x84
	v_mov_b32_e32 v3, 1.0
	v_add_u32_e32 v1, v2, v1
	s_cbranch_scc0 .LBB17_10
; %bb.9:
	ds_read_b32 v2, v1
	s_waitcnt lgkmcnt(0)
	v_div_scale_f32 v3, s[12:13], v2, v2, 1.0
	v_rcp_f32_e32 v4, v3
	v_div_scale_f32 v5, vcc, 1.0, v2, 1.0
	v_fma_f32 v6, -v3, v4, 1.0
	v_fmac_f32_e32 v4, v6, v4
	v_mul_f32_e32 v6, v5, v4
	v_fma_f32 v7, -v3, v6, v5
	v_fmac_f32_e32 v6, v7, v4
	v_fma_f32 v3, -v3, v6, v5
	v_div_fmas_f32 v3, v3, v4, v6
	v_div_fixup_f32 v3, v3, v2, 1.0
.LBB17_10:
	ds_write_b32 v1, v3
.LBB17_11:
	s_or_b64 exec, exec, s[18:19]
	s_load_dword s3, s[0:1], 0x60
	s_waitcnt lgkmcnt(0)
	; wave barrier
	s_add_i32 s5, s3, -1
	s_lshl_b32 s3, s2, 4
	s_sub_i32 s7, s7, s3
	s_cmp_ge_u32 s2, s5
	s_cselect_b32 s2, s7, 16
	v_cmp_gt_i32_e32 vcc, s2, v0
	s_and_saveexec_b64 s[12:13], vcc
	s_cbranch_execz .LBB17_56
; %bb.12:
	s_load_dword s2, s[0:1], 0x48
	s_lshl_b64 s[0:1], s[10:11], 2
	s_add_u32 s0, s8, s0
	v_add_u32_e32 v0, s3, v0
	s_addc_u32 s1, s9, s1
	s_waitcnt lgkmcnt(0)
	v_mad_i64_i32 v[0:1], s[2:3], s2, v0, 0
	v_lshl_add_u64 v[20:21], v[0:1], 2, s[0:1]
	s_cmpk_eq_i32 s4, 0x6f
	s_mov_b64 s[0:1], -1
	s_cbranch_scc1 .LBB17_30
; %bb.13:
	s_cmp_lt_i32 s6, 16
	s_cselect_b64 s[2:3], -1, 0
	s_cmp_gt_i32 s6, 15
	s_mov_b32 s0, 16
	s_cbranch_scc0 .LBB17_15
; %bb.14:
	flat_load_dwordx4 v[16:19], v[20:21]
	flat_load_dwordx4 v[22:25], v[20:21] offset:16
	flat_load_dwordx4 v[26:29], v[20:21] offset:32
	flat_load_dwordx4 v[30:33], v[20:21] offset:48
	v_mov_b32_e32 v73, 0
	ds_read_b32 v81, v73
	ds_read_b64 v[92:93], v73 offset:64
	ds_read_b96 v[70:72], v73 offset:128
	ds_read2_b32 v[94:95], v73 offset0:68 offset1:85
	ds_read_b128 v[34:37], v73 offset:192
	ds_read_b128 v[38:41], v73 offset:256
	ds_read2_b32 v[96:97], v73 offset0:136 offset1:153
	ds_read2_b32 v[10:11], v73 offset0:170 offset1:187
	;; [unrolled: 1-line block ×3, first 2 shown]
	ds_read_b128 v[42:45], v73 offset:960
	ds_read_b96 v[74:76], v73 offset:976
	ds_read_b96 v[78:80], v73 offset:400
	ds_read_b128 v[46:49], v73 offset:384
	ds_read_b96 v[128:130], v73 offset:320
	ds_read2_b32 v[98:99], v73 offset0:83 offset1:84
	ds_read_b96 v[132:134], v73 offset:448
	ds_read2_b32 v[100:101], v73 offset0:115 offset1:116
	ds_read2_b32 v[102:103], v73 offset0:247 offset1:248
	;; [unrolled: 1-line block ×4, first 2 shown]
	ds_read_b32 v89, v73 offset:952
	ds_read2_b64 v[0:3], v73 offset0:117 offset1:118
	ds_read2_b32 v[8:9], v73 offset0:219 offset1:220
	ds_read2_b32 v[104:105], v73 offset0:217 offset1:218
	ds_read_b96 v[82:84], v73 offset:704
	ds_read2_b64 v[50:53], v73 offset0:83 offset1:84
	ds_read_b64 v[14:15], v73 offset:808
	ds_read2_b64 v[54:57], v73 offset0:99 offset1:100
	ds_read_b128 v[58:61], v73 offset:896
	ds_read2_b64 v[62:65], v73 offset0:115 offset1:116
	ds_read_b64 v[106:107], v73 offset:768
	ds_read2_b32 v[108:109], v73 offset0:185 offset1:186
	ds_read2_b32 v[110:111], v73 offset0:183 offset1:184
	ds_read_b96 v[86:88], v73 offset:832
	ds_read2_b32 v[112:113], v73 offset0:215 offset1:216
	ds_read_b128 v[66:69], v73 offset:512
	ds_read_b64 v[114:115], v73 offset:536
	ds_read_b32 v140, v73 offset:476
	ds_read2_b32 v[116:117], v73 offset0:117 offset1:118
	ds_read_b96 v[142:144], v73 offset:576
	ds_read2_b32 v[118:119], v73 offset0:147 offset1:148
	ds_read2_b32 v[120:121], v73 offset0:151 offset1:152
	ds_read_b64 v[122:123], v73 offset:640
	v_mov_b32_e32 v90, s16
	s_waitcnt lgkmcnt(0)
	v_mov_b32_e32 v77, v92
	v_mov_b32_e32 v137, v76
	;; [unrolled: 1-line block ×17, first 2 shown]
	s_waitcnt vmcnt(0)
	v_mul_f32_e32 v16, s16, v16
	v_mov_b32_e32 v76, v17
	v_mul_f32_e32 v91, v16, v81
	v_pk_mul_f32 v[16:17], v[90:91], v[76:77]
	v_mov_b32_e32 v92, v91
	v_sub_f32_e32 v16, v16, v17
	v_mul_f32_e32 v93, v16, v93
	v_mov_b32_e32 v34, v19
	v_mov_b32_e32 v84, v23
	v_mul_f32_e32 v19, v91, v82
	v_mul_f32_e32 v23, v91, v106
	v_pk_mul_f32 v[16:17], v[92:93], v[122:123]
	v_fma_f32 v36, s16, v29, -v19
	v_fma_f32 v19, s16, v30, -v23
	;; [unrolled: 1-line block ×3, first 2 shown]
	v_mul_f32_e32 v23, v91, v86
	v_pk_mul_f32 v[28:29], v[92:93], v[66:67]
	v_mov_b32_e32 v138, v27
	v_fma_f32 v30, s16, v31, -v23
	v_mul_f32_e32 v23, v91, v58
	v_fma_f32 v28, s16, v26, -v28
	v_pk_mul_f32 v[26:27], v[92:93], v[46:47]
	v_mov_b32_e32 v130, v25
	v_fma_f32 v31, s16, v32, -v23
	v_mul_f32_e32 v23, v91, v42
	v_fma_f32 v26, s16, v24, -v26
	v_pk_mul_f32 v[24:25], v[92:93], v[38:39]
	v_fma_f32 v32, s16, v33, -v23
	v_fma_f32 v24, s16, v22, -v24
	v_pk_mul_f32 v[22:23], v[92:93], v[70:71]
	v_pk_mul_f32 v[34:35], v[90:91], v[34:35]
	v_fma_f32 v18, s16, v18, -v22
	v_sub_f32_e32 v38, v18, v23
	v_mul_f32_e32 v39, v38, v72
	v_mov_b32_e32 v38, v93
	flat_store_dwordx2 v[20:21], v[92:93]
	v_pk_mul_f32 v[66:67], v[38:39], v[124:125]
	v_sub_f32_e32 v34, v34, v35
	v_sub_f32_e32 v70, v24, v25
	;; [unrolled: 1-line block ×5, first 2 shown]
	v_fma_f32 v82, -v93, v107, v19
	v_fma_f32 v83, -v93, v87, v30
	v_fma_f32 v86, -v93, v59, v31
	v_fma_f32 v87, -v93, v43, v32
	ds_read2_b32 v[22:23], v73 offset0:149 offset1:150
	ds_read_b64 v[24:25], v73 offset:528
	ds_read2_b32 v[26:27], v73 offset0:179 offset1:180
	ds_read2_b64 v[16:19], v73 offset0:81 offset1:82
	ds_read2_b32 v[28:29], v73 offset0:181 offset1:182
	ds_read2_b32 v[30:31], v73 offset0:211 offset1:212
	ds_read_b64 v[32:33], v73 offset:776
	v_pk_mul_f32 v[42:43], v[38:39], v[134:135]
	v_sub_f32_e32 v34, v34, v66
	v_sub_f32_e32 v36, v36, v42
	;; [unrolled: 1-line block ×4, first 2 shown]
	v_mul_f32_e32 v37, v42, v37
	v_mov_b32_e32 v36, v39
	v_pk_mul_f32 v[40:41], v[36:37], v[40:41]
	v_pk_mul_f32 v[42:43], v[36:37], v[48:49]
	v_sub_f32_e32 v40, v70, v40
	v_pk_mul_f32 v[46:47], v[38:39], v[132:133]
	v_pk_mul_f32 v[58:59], v[38:39], v[128:129]
	;; [unrolled: 1-line block ×3, first 2 shown]
	s_waitcnt lgkmcnt(0)
	v_pk_mul_f32 v[32:33], v[36:37], v[32:33]
	v_fma_f32 v67, -v39, v88, v83
	v_fma_f32 v60, -v39, v60, v86
	;; [unrolled: 1-line block ×3, first 2 shown]
	v_pk_mul_f32 v[16:17], v[36:37], v[16:17]
	v_pk_mul_f32 v[38:39], v[36:37], v[68:69]
	v_sub_f32_e32 v42, v71, v42
	flat_store_dwordx2 v[20:21], v[36:37] offset:8
	v_sub_f32_e32 v36, v40, v41
	v_pk_mul_f32 v[76:77], v[90:91], v[84:85]
	v_sub_f32_e32 v16, v81, v16
	v_sub_f32_e32 v48, v42, v43
	v_mul_f32_e32 v43, v36, v94
	v_mov_b32_e32 v42, v37
	v_sub_f32_e32 v68, v16, v17
	v_fma_f32 v60, -v37, v61, v60
	v_fma_f32 v61, -v37, v45, v44
	v_pk_mul_f32 v[30:31], v[42:43], v[30:31]
	v_pk_mul_f32 v[16:17], v[42:43], v[26:27]
	;; [unrolled: 1-line block ×5, first 2 shown]
	v_sub_f32_e32 v42, v76, v77
	v_sub_f32_e32 v34, v42, v34
	;; [unrolled: 1-line block ×7, first 2 shown]
	ds_read2_b32 v[32:33], v73 offset0:213 offset1:214
	ds_read_b64 v[38:39], v73 offset:912
	ds_read_b64 v[40:41], v73 offset:784
	v_sub_f32_e32 v34, v34, v36
	v_sub_f32_e32 v16, v66, v16
	;; [unrolled: 1-line block ×4, first 2 shown]
	v_mul_f32_e32 v17, v34, v95
	v_mov_b32_e32 v16, v43
	v_pk_mul_f32 v[18:19], v[16:17], v[18:19]
	v_pk_mul_f32 v[84:85], v[90:91], v[130:131]
	v_sub_f32_e32 v30, v67, v30
	v_sub_f32_e32 v18, v68, v18
	v_pk_mul_f32 v[36:37], v[16:17], v[78:79]
	s_waitcnt lgkmcnt(0)
	v_pk_mul_f32 v[34:35], v[16:17], v[40:41]
	v_sub_f32_e32 v40, v30, v31
	v_pk_mul_f32 v[30:31], v[16:17], v[38:39]
	v_pk_mul_f32 v[24:25], v[16:17], v[24:25]
	v_sub_f32_e32 v16, v48, v36
	v_sub_f32_e32 v48, v18, v19
	;; [unrolled: 1-line block ×6, first 2 shown]
	v_mul_f32_e32 v37, v16, v80
	v_mov_b32_e32 v36, v17
	v_sub_f32_e32 v18, v18, v44
	v_pk_mul_f32 v[38:39], v[36:37], v[116:117]
	v_sub_f32_e32 v18, v18, v45
	v_sub_f32_e32 v24, v49, v24
	;; [unrolled: 1-line block ×4, first 2 shown]
	v_pk_mul_f32 v[24:25], v[36:37], v[28:29]
	v_pk_mul_f32 v[28:29], v[36:37], v[32:33]
	v_sub_f32_e32 v18, v18, v39
	v_sub_f32_e32 v34, v69, v34
	;; [unrolled: 1-line block ×5, first 2 shown]
	v_mul_f32_e32 v19, v18, v140
	v_mov_b32_e32 v18, v37
	v_sub_f32_e32 v34, v34, v35
	v_sub_f32_e32 v35, v30, v31
	;; [unrolled: 1-line block ×3, first 2 shown]
	v_pk_mul_f32 v[24:25], v[18:19], v[54:55]
	v_sub_f32_e32 v39, v28, v29
	v_pk_mul_f32 v[28:29], v[18:19], v[62:63]
	v_fma_f32 v41, -v43, v74, v61
	v_pk_mul_f32 v[30:31], v[18:19], v[114:115]
	v_sub_f32_e32 v24, v34, v24
	v_sub_f32_e32 v28, v35, v28
	v_pk_mul_f32 v[34:35], v[36:37], v[136:137]
	v_sub_f32_e32 v30, v16, v30
	v_pk_mul_f32 v[32:33], v[18:19], v[50:51]
	;; [unrolled: 2-line block ×3, first 2 shown]
	v_sub_f32_e32 v32, v48, v32
	v_sub_f32_e32 v34, v16, v35
	v_mov_b32_e32 v16, v43
	flat_store_dwordx4 v[20:21], v[16:19] offset:16
	v_pk_mul_f32 v[22:23], v[36:37], v[22:23]
	s_nop 0
	v_sub_f32_e32 v16, v30, v31
	v_sub_f32_e32 v30, v32, v33
	;; [unrolled: 1-line block ×8, first 2 shown]
	v_mul_f32_e32 v25, v16, v96
	v_mov_b32_e32 v24, v19
	v_sub_f32_e32 v22, v26, v22
	v_pk_mul_f32 v[16:17], v[24:25], v[120:121]
	v_sub_f32_e32 v22, v22, v23
	v_sub_f32_e32 v16, v22, v16
	v_sub_f32_e32 v16, v16, v17
	v_mul_f32_e32 v17, v16, v97
	v_mov_b32_e32 v16, v25
	v_pk_mul_f32 v[18:19], v[24:25], v[110:111]
	v_pk_mul_f32 v[22:23], v[16:17], v[52:53]
	v_sub_f32_e32 v32, v28, v29
	v_sub_f32_e32 v18, v38, v18
	v_pk_mul_f32 v[28:29], v[24:25], v[112:113]
	v_sub_f32_e32 v22, v30, v22
	v_sub_f32_e32 v28, v39, v28
	;; [unrolled: 1-line block ×3, first 2 shown]
	v_pk_mul_f32 v[18:19], v[16:17], v[56:57]
	v_sub_f32_e32 v22, v22, v23
	v_sub_f32_e32 v18, v31, v18
	;; [unrolled: 1-line block ×3, first 2 shown]
	v_pk_mul_f32 v[28:29], v[24:25], v[102:103]
	v_mul_f32_e32 v23, v22, v10
	v_mov_b32_e32 v22, v17
	v_sub_f32_e32 v24, v34, v28
	v_sub_f32_e32 v28, v18, v19
	v_pk_mul_f32 v[18:19], v[22:23], v[108:109]
	v_pk_mul_f32 v[26:27], v[16:17], v[64:65]
	v_sub_f32_e32 v10, v30, v18
	v_sub_f32_e32 v10, v10, v19
	v_mul_f32_e32 v19, v10, v11
	v_mov_b32_e32 v18, v23
	v_sub_f32_e32 v16, v32, v26
	v_pk_mul_f32 v[10:11], v[18:19], v[14:15]
	v_sub_f32_e32 v16, v16, v27
	v_sub_f32_e32 v10, v28, v10
	v_pk_mul_f32 v[0:1], v[18:19], v[0:1]
	v_pk_mul_f32 v[26:27], v[22:23], v[104:105]
	v_sub_f32_e32 v0, v16, v0
	v_sub_f32_e32 v10, v10, v11
	;; [unrolled: 1-line block ×4, first 2 shown]
	v_mul_f32_e32 v1, v10, v4
	v_mov_b32_e32 v0, v19
	v_sub_f32_e32 v14, v26, v27
	v_pk_mul_f32 v[8:9], v[0:1], v[8:9]
	v_sub_f32_e32 v24, v24, v29
	v_pk_mul_f32 v[12:13], v[22:23], v[12:13]
	v_sub_f32_e32 v4, v14, v8
	v_sub_f32_e32 v12, v24, v12
	;; [unrolled: 1-line block ×4, first 2 shown]
	v_mov_b32_e32 v16, v25
	v_mul_f32_e32 v5, v4, v5
	v_mov_b32_e32 v4, v1
	v_pk_mul_f32 v[0:1], v[0:1], v[6:7]
	flat_store_dwordx4 v[20:21], v[16:19] offset:32
	v_sub_f32_e32 v0, v12, v0
	flat_store_dwordx2 v[20:21], v[4:5] offset:48
	v_sub_f32_e32 v6, v0, v1
	ds_read2_b32 v[0:1], v73 offset0:253 offset1:254
	v_pk_mul_f32 v[2:3], v[4:5], v[2:3]
	ds_read_b32 v4, v73 offset:1020
	v_sub_f32_e32 v2, v11, v2
	v_sub_f32_e32 v2, v2, v3
	v_mul_f32_e32 v3, v2, v89
	v_mov_b32_e32 v2, v5
	s_waitcnt lgkmcnt(0)
	v_pk_mul_f32 v[0:1], v[2:3], v[0:1]
	s_nop 0
	v_sub_f32_e32 v0, v6, v0
	v_sub_f32_e32 v0, v0, v1
	v_mul_f32_e32 v1, v0, v4
	v_mov_b32_e32 v0, v3
	flat_store_dwordx2 v[20:21], v[0:1] offset:56
	s_cmp_lt_i32 s0, s17
	s_cbranch_scc1 .LBB17_16
	s_branch .LBB17_29
.LBB17_15:
	s_mov_b32 s0, 0
	s_cmp_lt_i32 s0, s17
	s_cbranch_scc0 .LBB17_29
.LBB17_16:
	s_or_b32 s7, s0, 11
	s_cmp_ge_u32 s7, s17
	s_cbranch_scc1 .LBB17_24
; %bb.17:
	s_lshl_b32 s4, s0, 2
	s_mov_b32 s5, 0
	v_lshl_add_u64 v[0:1], v[20:21], 0, s[4:5]
	flat_load_dwordx4 v[2:5], v[0:1]
	flat_load_dwordx4 v[6:9], v[0:1] offset:16
	flat_load_dwordx4 v[14:17], v[0:1] offset:32
	s_andn2_b64 vcc, exec, s[2:3]
	s_waitcnt vmcnt(0) lgkmcnt(0)
	v_pk_mul_f32 v[12:13], s[16:17], v[2:3] op_sel_hi:[0,1]
	v_pk_mul_f32 v[2:3], s[16:17], v[4:5] op_sel_hi:[0,1]
	;; [unrolled: 1-line block ×6, first 2 shown]
	s_cbranch_vccnz .LBB17_19
; %bb.18:
	s_lshl_b32 s5, s0, 6
	s_lshl_b32 s1, s7, 6
	s_mov_b64 s[2:3], 0
	s_branch .LBB17_20
.LBB17_19:
	s_mov_b64 s[2:3], -1
                                        ; implicit-def: $sgpr5
                                        ; implicit-def: $sgpr1
.LBB17_20:
	s_andn2_b64 vcc, exec, s[2:3]
	s_cbranch_vccnz .LBB17_23
; %bb.21:
	s_lshl_b32 s5, s0, 6
	s_lshl_b32 s1, s7, 6
	v_mov_b64_e32 v[14:15], v[20:21]
	s_mov_b32 s2, s0
	s_mov_b32 s3, s5
.LBB17_22:                              ; =>This Inner Loop Header: Depth=1
	flat_load_dwordx4 v[16:19], v[14:15]
	v_mov_b32_e32 v42, s3
	ds_read_b128 v[68:71], v42
	ds_read_b128 v[22:25], v42 offset:64
	ds_read_b128 v[72:75], v42 offset:128
	;; [unrolled: 1-line block ×11, first 2 shown]
	s_waitcnt lgkmcnt(0)
	v_mov_b32_e32 v46, v68
	v_mov_b32_e32 v47, v22
	v_mov_b32_e32 v48, v72
	v_mov_b32_e32 v49, v26
	v_mov_b32_e32 v50, v76
	v_mov_b32_e32 v51, v30
	v_mov_b32_e32 v52, v80
	v_mov_b32_e32 v53, v34
	v_mov_b32_e32 v54, v84
	v_mov_b32_e32 v55, v38
	v_mov_b32_e32 v56, v88
	v_mov_b32_e32 v57, v42
	v_mov_b32_e32 v22, v69
	v_mov_b32_e32 v26, v73
	v_mov_b32_e32 v30, v77
	v_mov_b32_e32 v34, v81
	v_mov_b32_e32 v38, v85
	v_mov_b32_e32 v42, v89
	v_mov_b32_e32 v58, v70
	v_mov_b32_e32 v59, v24
	v_mov_b32_e32 v60, v74
	v_mov_b32_e32 v61, v28
	v_mov_b32_e32 v62, v78
	v_mov_b32_e32 v63, v32
	v_mov_b32_e32 v64, v82
	v_mov_b32_e32 v65, v36
	v_mov_b32_e32 v66, v86
	v_mov_b32_e32 v67, v40
	v_mov_b32_e32 v68, v90
	v_mov_b32_e32 v69, v44
	s_add_i32 s3, s3, 16
	s_add_i32 s2, s2, -4
	v_mov_b32_e32 v24, v71
	v_mov_b32_e32 v28, v75
	;; [unrolled: 1-line block ×6, first 2 shown]
	v_lshl_add_u64 v[14:15], v[14:15], 0, 16
	s_cmp_lg_u32 s2, 0
	s_waitcnt vmcnt(0)
	v_pk_fma_f32 v[12:13], v[16:17], v[46:47], v[12:13] op_sel_hi:[0,1,1] neg_lo:[1,0,0] neg_hi:[1,0,0]
	v_pk_fma_f32 v[2:3], v[16:17], v[48:49], v[2:3] op_sel_hi:[0,1,1] neg_lo:[1,0,0] neg_hi:[1,0,0]
	;; [unrolled: 1-line block ×6, first 2 shown]
	v_pk_fma_f32 v[12:13], v[16:17], v[22:23], v[12:13] op_sel:[1,0,0] neg_lo:[1,0,0] neg_hi:[1,0,0]
	v_pk_fma_f32 v[2:3], v[16:17], v[26:27], v[2:3] op_sel:[1,0,0] neg_lo:[1,0,0] neg_hi:[1,0,0]
	;; [unrolled: 1-line block ×6, first 2 shown]
	v_mov_b32_e32 v46, v19
	v_pk_fma_f32 v[12:13], v[18:19], v[58:59], v[12:13] op_sel_hi:[0,1,1] neg_lo:[1,0,0] neg_hi:[1,0,0]
	v_pk_fma_f32 v[2:3], v[18:19], v[60:61], v[2:3] op_sel_hi:[0,1,1] neg_lo:[1,0,0] neg_hi:[1,0,0]
	;; [unrolled: 1-line block ×12, first 2 shown]
	s_cbranch_scc1 .LBB17_22
.LBB17_23:
	s_add_i32 s2, s4, s5
	v_mov_b32_e32 v49, s2
	s_lshl_b32 s2, s0, 6
	s_add_i32 s2, s4, s2
	v_mov_b32_e32 v42, s2
	ds_read2_b32 v[18:19], v49 offset1:68
	ds_read_b128 v[14:17], v42 offset:192
	ds_read_b64 v[70:71], v42 offset:64
	ds_read_b96 v[46:48], v42 offset:128
	ds_read_b96 v[50:52], v42 offset:320
	ds_read_b128 v[22:25], v42 offset:256
	ds_read_b96 v[54:56], v42 offset:448
	ds_read2_b32 v[74:75], v42 offset0:83 offset1:84
	s_add_i32 s1, s4, s1
	s_waitcnt lgkmcnt(6)
	v_mov_b32_e32 v72, v15
	s_waitcnt lgkmcnt(3)
	v_mov_b32_e32 v76, v51
	v_mov_b32_e32 v77, v52
	ds_read2_b32 v[52:53], v49 offset0:85 offset1:119
	ds_read2_b32 v[78:79], v42 offset0:115 offset1:116
	s_waitcnt lgkmcnt(3)
	v_mov_b32_e32 v81, v56
	ds_read_b96 v[56:58], v42 offset:576
	v_mov_b32_e32 v51, s1
	ds_read_b96 v[60:62], v42 offset:672
	ds_read_b96 v[64:66], v51
	ds_read2_b32 v[82:83], v49 offset0:136 offset1:153
	ds_read_b128 v[26:29], v42 offset:528
	v_mul_f32_e32 v12, v12, v18
	v_fma_f32 v13, -v12, v70, v13
	s_waitcnt lgkmcnt(2)
	v_mov_b32_e32 v59, v66
	ds_read2_b32 v[86:87], v51 offset0:3 offset1:4
	ds_read2_b32 v[88:89], v51 offset0:5 offset1:6
	;; [unrolled: 1-line block ×6, first 2 shown]
	ds_read_b96 v[66:68], v42 offset:400
	ds_read_b128 v[30:33], v42 offset:384
	ds_read2_b32 v[98:99], v42 offset0:117 offset1:118
	ds_read_b128 v[34:37], v42 offset:512
	ds_read_b128 v[38:41], v42 offset:656
	;; [unrolled: 1-line block ×3, first 2 shown]
	v_mul_f32_e32 v13, v13, v71
	v_mov_b32_e32 v73, v16
	v_fma_f32 v16, -v12, v14, v3
	s_waitcnt lgkmcnt(2)
	v_pk_mul_f32 v[14:15], v[12:13], v[34:35]
	v_fma_f32 v34, -v12, v56, v11
	v_sub_f32_e32 v14, v10, v14
	s_waitcnt lgkmcnt(0)
	v_pk_mul_f32 v[10:11], v[12:13], v[42:43]
	v_fma_f32 v35, -v12, v64, v9
	v_sub_f32_e32 v10, v8, v10
	v_pk_mul_f32 v[8:9], v[12:13], v[30:31]
	v_fma_f32 v18, -v12, v50, v5
	v_fma_f32 v50, -v12, v54, v7
	v_sub_f32_e32 v8, v6, v8
	v_pk_mul_f32 v[6:7], v[12:13], v[22:23]
	v_sub_f32_e32 v30, v14, v15
	v_sub_f32_e32 v6, v4, v6
	v_pk_mul_f32 v[4:5], v[12:13], v[46:47]
	v_mov_b32_e32 v85, v58
	v_sub_f32_e32 v2, v2, v4
	v_sub_f32_e32 v2, v2, v5
	v_mul_f32_e32 v3, v2, v48
	v_mov_b32_e32 v2, v13
	v_pk_mul_f32 v[4:5], v[2:3], v[72:73]
	v_mov_b32_e32 v14, v3
	v_sub_f32_e32 v4, v16, v4
	v_sub_f32_e32 v4, v4, v5
	v_mul_f32_e32 v15, v4, v17
	v_mov_b32_e32 v58, v65
	v_sub_f32_e32 v16, v6, v7
	v_pk_mul_f32 v[6:7], v[2:3], v[76:77]
	v_pk_mul_f32 v[4:5], v[14:15], v[24:25]
	v_mov_b32_e32 v80, v55
	v_mov_b32_e32 v84, v57
	v_sub_f32_e32 v6, v18, v6
	v_sub_f32_e32 v4, v16, v4
	v_pk_mul_f32 v[16:17], v[2:3], v[58:59]
	v_sub_f32_e32 v18, v8, v9
	v_pk_mul_f32 v[8:9], v[2:3], v[80:81]
	v_pk_mul_f32 v[22:23], v[2:3], v[84:85]
	v_sub_f32_e32 v24, v6, v7
	v_pk_mul_f32 v[6:7], v[14:15], v[32:33]
	v_sub_f32_e32 v2, v35, v16
	v_sub_f32_e32 v6, v18, v6
	;; [unrolled: 1-line block ×4, first 2 shown]
	flat_store_dwordx4 v[0:1], v[12:15]
	v_sub_f32_e32 v8, v50, v8
	v_sub_f32_e32 v18, v8, v9
	v_sub_f32_e32 v12, v6, v7
	v_mul_f32_e32 v7, v2, v19
	v_mov_b32_e32 v6, v15
	v_pk_mul_f32 v[2:3], v[6:7], v[74:75]
	v_pk_mul_f32 v[8:9], v[14:15], v[36:37]
	v_sub_f32_e32 v2, v24, v2
	v_sub_f32_e32 v22, v34, v22
	;; [unrolled: 1-line block ×4, first 2 shown]
	v_pk_mul_f32 v[10:11], v[14:15], v[44:45]
	v_sub_f32_e32 v2, v2, v3
	v_sub_f32_e32 v22, v22, v23
	v_sub_f32_e32 v10, v31, v10
	v_sub_f32_e32 v13, v8, v9
	v_pk_mul_f32 v[8:9], v[6:7], v[96:97]
	v_mul_f32_e32 v3, v2, v52
	v_mov_b32_e32 v2, v7
	v_sub_f32_e32 v14, v10, v11
	v_pk_mul_f32 v[4:5], v[6:7], v[78:79]
	v_sub_f32_e32 v8, v22, v8
	v_pk_mul_f32 v[10:11], v[2:3], v[66:67]
	v_sub_f32_e32 v4, v18, v4
	v_sub_f32_e32 v10, v12, v10
	;; [unrolled: 1-line block ×3, first 2 shown]
	v_pk_mul_f32 v[8:9], v[2:3], v[38:39]
	v_sub_f32_e32 v15, v4, v5
	v_pk_mul_f32 v[4:5], v[2:3], v[26:27]
	v_sub_f32_e32 v2, v14, v8
	v_sub_f32_e32 v8, v10, v11
	;; [unrolled: 1-line block ×4, first 2 shown]
	v_mul_f32_e32 v9, v8, v68
	v_mov_b32_e32 v8, v3
	v_sub_f32_e32 v14, v4, v5
	v_pk_mul_f32 v[4:5], v[8:9], v[98:99]
	v_pk_mul_f32 v[12:13], v[6:7], v[86:87]
	v_sub_f32_e32 v4, v15, v4
	v_sub_f32_e32 v4, v4, v5
	;; [unrolled: 1-line block ×3, first 2 shown]
	v_pk_mul_f32 v[10:11], v[8:9], v[94:95]
	v_mul_f32_e32 v5, v4, v53
	v_mov_b32_e32 v4, v9
	v_sub_f32_e32 v6, v6, v13
	v_sub_f32_e32 v10, v17, v10
	v_pk_mul_f32 v[12:13], v[4:5], v[28:29]
	v_sub_f32_e32 v16, v10, v11
	v_sub_f32_e32 v12, v14, v12
	v_pk_mul_f32 v[10:11], v[4:5], v[40:41]
	v_pk_mul_f32 v[14:15], v[8:9], v[88:89]
	v_sub_f32_e32 v10, v2, v10
	v_sub_f32_e32 v2, v6, v14
	;; [unrolled: 1-line block ×3, first 2 shown]
	v_mov_b32_e32 v2, v7
	flat_store_dwordx4 v[0:1], v[2:5] offset:16
	v_sub_f32_e32 v9, v10, v11
	s_or_b32 s0, s0, 12
	v_sub_f32_e32 v2, v12, v13
	v_mul_f32_e32 v3, v2, v82
	v_mov_b32_e32 v2, v5
	v_pk_mul_f32 v[4:5], v[2:3], v[92:93]
	s_nop 0
	v_sub_f32_e32 v4, v16, v4
	v_sub_f32_e32 v4, v4, v5
	v_mul_f32_e32 v5, v4, v83
	v_mov_b32_e32 v4, v3
	v_pk_mul_f32 v[2:3], v[2:3], v[90:91]
	flat_store_dwordx2 v[0:1], v[4:5] offset:32
	v_sub_f32_e32 v2, v8, v2
	v_sub_f32_e32 v8, v2, v3
	ds_read2_b32 v[2:3], v51 offset0:9 offset1:10
	v_pk_mul_f32 v[6:7], v[4:5], v[60:61]
	s_nop 0
	v_sub_f32_e32 v6, v9, v6
	v_sub_f32_e32 v4, v6, v7
	ds_read_b32 v9, v49 offset:748
	v_mul_f32_e32 v7, v4, v62
	v_mov_b32_e32 v6, v5
	s_waitcnt lgkmcnt(0)
	v_pk_mul_f32 v[2:3], v[6:7], v[2:3]
	s_nop 0
	v_sub_f32_e32 v2, v8, v2
	v_sub_f32_e32 v2, v2, v3
	v_mul_f32_e32 v3, v2, v9
	v_mov_b32_e32 v2, v7
	flat_store_dwordx2 v[0:1], v[2:3] offset:40
.LBB17_24:
	s_cmp_ge_i32 s0, s17
	s_cbranch_scc1 .LBB17_29
; %bb.25:
	s_lshl_b32 s2, s0, 6
	s_mov_b32 s1, 0
	s_branch .LBB17_27
.LBB17_26:                              ;   in Loop: Header=BB17_27 Depth=1
	s_mul_i32 s3, s0, 0x44
	v_mov_b32_e32 v2, s3
	ds_read_b32 v2, v2
	s_add_i32 s0, s0, 1
	s_add_i32 s2, s2, 64
	s_cmp_ge_i32 s0, s17
	s_waitcnt lgkmcnt(0)
	v_mul_f32_e32 v2, v4, v2
	flat_store_dword v[0:1], v2
	s_cbranch_scc1 .LBB17_29
.LBB17_27:                              ; =>This Loop Header: Depth=1
                                        ;     Child Loop BB17_28 Depth 2
	v_lshl_add_u64 v[0:1], s[0:1], 2, v[20:21]
	flat_load_dword v4, v[0:1]
	s_cmp_eq_u32 s0, 0
	v_mov_b64_e32 v[2:3], v[20:21]
	s_mov_b32 s3, s0
	s_mov_b32 s4, s2
	s_waitcnt vmcnt(0) lgkmcnt(0)
	v_mul_f32_e32 v4, s16, v4
	s_cbranch_scc1 .LBB17_26
.LBB17_28:                              ;   Parent Loop BB17_27 Depth=1
                                        ; =>  This Inner Loop Header: Depth=2
	flat_load_dword v5, v[2:3]
	v_mov_b32_e32 v6, s4
	ds_read_b32 v6, v6
	s_add_i32 s4, s4, 4
	s_add_i32 s3, s3, -1
	v_lshl_add_u64 v[2:3], v[2:3], 0, 4
	s_cmp_lg_u32 s3, 0
	s_waitcnt vmcnt(0) lgkmcnt(0)
	v_fma_f32 v4, -v5, v6, v4
	s_cbranch_scc1 .LBB17_28
	s_branch .LBB17_26
.LBB17_29:
	s_mov_b64 s[0:1], 0
.LBB17_30:
	s_and_b64 vcc, exec, s[0:1]
	s_cbranch_vccz .LBB17_56
; %bb.31:
	s_add_i32 s14, s17, -1
	s_cmp_gt_i32 s6, 15
	s_mov_b32 s0, -1
	s_cbranch_scc0 .LBB17_33
; %bb.32:
	flat_load_dwordx4 v[4:7], v[20:21] offset:48
	flat_load_dwordx4 v[16:19], v[20:21]
	flat_load_dwordx4 v[0:3], v[20:21] offset:32
	flat_load_dwordx4 v[8:11], v[20:21] offset:16
	v_mov_b32_e32 v92, 0
	ds_read_b64 v[90:91], v92 offset:1016
	ds_read2_b64 v[12:15], v92 offset0:110 offset1:114
	ds_read_b96 v[116:118], v92 offset:1008
	ds_read2_b32 v[84:85], v92 offset0:251 offset1:252
	ds_read2_b32 v[124:125], v92 offset0:246 offset1:250
	ds_read2_b32 v[154:155], v92 offset0:214 offset1:218
	ds_read2_b32 v[74:75], v92 offset0:219 offset1:220
	ds_read_b96 v[132:134], v92 offset:864
	ds_read_b64 v[58:59], v92 offset:744
	s_waitcnt lgkmcnt(0)
	ds_read_b96 v[134:136], v92 offset:736
	ds_read2_b32 v[40:41], v92 offset0:153 offset1:163
	ds_read2_b32 v[80:81], v92 offset0:203 offset1:204
	ds_read_b64 v[48:49], v92 offset:808
	ds_read_b32 v77, v92 offset:804
	ds_read_b64 v[50:51], v92 offset:800
	ds_read2_b32 v[46:47], v92 offset0:169 offset1:170
	ds_read_b64 v[42:43], v92 offset:672
	ds_read2_b32 v[34:35], v92 offset0:134 offset1:136
	ds_read_b96 v[120:122], v92 offset:992
	ds_read2_b32 v[104:105], v92 offset0:247 offset1:248
	ds_read2_b32 v[26:27], v92 offset0:119 offset1:130
	;; [unrolled: 1-line block ×4, first 2 shown]
	s_waitcnt lgkmcnt(0)
	ds_read_b96 v[136:138], v92 offset:848
	ds_read2_b32 v[44:45], v92 offset0:183 offset1:184
	s_waitcnt lgkmcnt(0)
	ds_read_b96 v[138:140], v92 offset:720
	ds_read2_b32 v[38:39], v92 offset0:135 offset1:136
	s_waitcnt lgkmcnt(0)
	ds_read_b96 v[140:142], v92 offset:528
	ds_read_b64 v[28:29], v92 offset:472
	ds_read2_b32 v[36:37], v92 offset0:131 offset1:132
	s_waitcnt lgkmcnt(0)
	ds_read_b96 v[142:144], v92 offset:512
	ds_read_b32 v25, v92 offset:468
	ds_read2_b32 v[22:23], v92 offset0:85 offset1:98
	ds_read_b96 v[98:100], v92 offset:976
	ds_read_b128 v[86:89], v92 offset:960
	ds_read_b32 v107, v92 offset:916
	ds_read_b128 v[94:97], v92 offset:896
	ds_read_b32 v93, v92 offset:408
	ds_read_b64 v[30:31], v92 offset:448
	s_waitcnt lgkmcnt(0)
	ds_read_b96 v[144:146], v92 offset:400
	ds_read2_b32 v[32:33], v92 offset0:99 offset1:100
	ds_read2_b32 v[72:73], v92 offset0:211 offset1:212
	ds_read_b96 v[100:102], v92 offset:832
	ds_read_b64 v[60:61], v92 offset:792
	ds_read_b32 v63, v92 offset:796
	ds_read_b32 v79, v92 offset:788
	ds_read_b64 v[64:65], v92 offset:784
	ds_read_b64 v[52:53], v92 offset:664
	ds_read_b32 v45, v92 offset:668
	ds_read_b32 v57, v92 offset:660
	ds_read_b64 v[54:55], v92 offset:656
	ds_read2_b32 v[108:109], v92 offset0:237 offset1:238
	ds_read_b64 v[110:111], v92 offset:944
	ds_read_b64 v[66:67], v92 offset:936
	ds_read_b32 v85, v92 offset:940
	ds_read_b32 v113, v92 offset:932
	ds_read_b64 v[68:69], v92 offset:928
	ds_read_b64 v[70:71], v92 offset:920
	ds_read_b32 v105, v92 offset:924
	v_mov_b32_e32 v82, s16
	s_waitcnt lgkmcnt(0)
	v_mov_b32_e32 v115, v108
	v_mov_b32_e32 v106, v99
	;; [unrolled: 1-line block ×19, first 2 shown]
	s_waitcnt vmcnt(0)
	v_mul_f32_e32 v15, s16, v7
	v_mov_b32_e32 v7, v90
	v_mul_f32_e32 v83, v15, v91
	v_pk_mul_f32 v[6:7], v[82:83], v[6:7]
	v_mul_f32_e32 v15, v83, v89
	v_mul_f32_e32 v24, v83, v88
	;; [unrolled: 1-line block ×4, first 2 shown]
	v_sub_f32_e32 v6, v6, v7
	v_fma_f32 v15, s16, v19, -v15
	v_fma_f32 v18, s16, v18, -v24
	;; [unrolled: 1-line block ×4, first 2 shown]
	v_mul_f32_e32 v109, v6, v109
	v_mov_b32_e32 v108, v83
	v_mov_b32_e32 v118, v2
	;; [unrolled: 1-line block ×3, first 2 shown]
	v_fma_f32 v24, -v109, v97, v15
	v_fma_f32 v2, -v109, v96, v18
	;; [unrolled: 1-line block ×4, first 2 shown]
	v_mul_f32_e32 v0, v83, v98
	v_pk_mul_f32 v[94:95], v[108:109], v[106:107]
	v_pk_mul_f32 v[122:123], v[108:109], v[104:105]
	v_fma_f32 v8, s16, v8, -v0
	v_fma_f32 v29, s16, v9, -v94
	;; [unrolled: 1-line block ×3, first 2 shown]
	v_mov_b32_e32 v0, v10
	ds_read_b32 v122, v92 offset:272
	ds_read_b32 v9, v92 offset:324
	ds_read_b64 v[6:7], v92 offset:320
	ds_read2_b32 v[10:11], v92 offset0:67 offset1:68
	v_pk_mul_f32 v[16:17], v[108:109], v[114:115]
	v_pk_mul_f32 v[112:113], v[108:109], v[112:113]
	s_waitcnt lgkmcnt(1)
	v_fma_f32 v7, s16, v5, -v16
	v_sub_f32_e32 v7, v7, v17
	v_mul_f32_e32 v97, v7, v13
	v_mov_b32_e32 v116, v4
	ds_read2_b32 v[4:5], v92 offset0:51 offset1:66
	v_pk_mul_f32 v[114:115], v[108:109], v[84:85]
	v_fma_f32 v33, s16, v1, -v112
	v_fma_f32 v43, -v97, v100, v18
	ds_read_b64 v[18:19], v92 offset:336
	ds_read_b96 v[146:148], v92 offset:384
	ds_read_b32 v7, v92 offset:332
	ds_read_b64 v[84:85], v92 offset:328
	v_mov_b32_e32 v1, v124
	s_waitcnt lgkmcnt(5)
	v_fma_f32 v11, s16, v3, -v114
	v_fma_f32 v88, -v97, v102, v2
	v_pk_mul_f32 v[90:91], v[82:83], v[0:1]
	ds_read2_b32 v[0:1], v92 offset0:17 offset1:34
	ds_read_b32 v39, v92 offset:460
	ds_read_b64 v[124:125], v92 offset:464
	ds_read_b64 v[126:127], v92 offset:456
	ds_read_b32 v89, v92 offset:452
	s_waitcnt lgkmcnt(7)
	ds_read_b96 v[148:150], v92 offset:128
	ds_read_b64 v[2:3], v92 offset:64
	ds_read2_b32 v[158:159], v92 offset0:149 offset1:150
	ds_read2_b32 v[160:161], v92 offset0:147 offset1:148
	;; [unrolled: 1-line block ×3, first 2 shown]
	ds_read_b64 v[128:129], v92 offset:576
	v_fma_f32 v37, -v97, v101, v15
	v_pk_mul_f32 v[116:117], v[82:83], v[116:117]
	v_pk_mul_f32 v[118:119], v[82:83], v[118:119]
	;; [unrolled: 1-line block ×3, first 2 shown]
	v_mov_b32_e32 v82, v109
	s_waitcnt lgkmcnt(5)
	ds_read_b96 v[150:152], v92 offset:256
	ds_read_b64 v[86:87], v92 offset:200
	ds_read_b32 v13, v92 offset:196
	ds_read_b64 v[16:17], v92 offset:192
	ds_read2_b32 v[130:131], v92 offset0:179 offset1:180
	ds_read_b96 v[106:108], v92 offset:704
	ds_read_b32 v73, v92 offset:780
	ds_read_b128 v[98:101], v92 offset:768
	v_mov_b32_e32 v96, v109
	s_waitcnt lgkmcnt(7)
	ds_read2_b32 v[152:153], v92 offset0:151 offset1:152
	ds_read_b128 v[102:105], v92 offset:640
	flat_store_dwordx2 v[20:21], v[82:83] offset:56
	v_mov_b32_e32 v15, v136
	v_sub_f32_e32 v12, v116, v117
	v_pk_mul_f32 v[82:83], v[96:97], v[110:111]
	v_pk_mul_f32 v[14:15], v[96:97], v[14:15]
	v_sub_f32_e32 v12, v12, v82
	v_sub_f32_e32 v12, v12, v83
	;; [unrolled: 1-line block ×4, first 2 shown]
	v_mul_f32_e32 v15, v12, v81
	v_mov_b32_e32 v14, v97
	v_sub_f32_e32 v3, v11, v115
	v_pk_mul_f32 v[74:75], v[14:15], v[74:75]
	s_waitcnt lgkmcnt(0)
	v_sub_f32_e32 v17, v31, v123
	v_sub_f32_e32 v3, v3, v74
	;; [unrolled: 1-line block ×4, first 2 shown]
	v_mul_f32_e32 v95, v3, v59
	v_pk_mul_f32 v[58:59], v[14:15], v[62:63]
	v_sub_f32_e32 v11, v33, v113
	v_pk_mul_f32 v[74:75], v[14:15], v[76:77]
	v_sub_f32_e32 v3, v17, v58
	v_mov_b32_e32 v127, v27
	v_sub_f32_e32 v27, v118, v119
	v_pk_mul_f32 v[66:67], v[96:97], v[66:67]
	v_sub_f32_e32 v11, v11, v74
	v_sub_f32_e32 v3, v3, v59
	v_pk_mul_f32 v[58:59], v[14:15], v[78:79]
	v_mov_b32_e32 v94, v15
	v_sub_f32_e32 v27, v27, v66
	v_sub_f32_e32 v12, v11, v75
	;; [unrolled: 1-line block ×3, first 2 shown]
	v_pk_mul_f32 v[48:49], v[94:95], v[48:49]
	v_sub_f32_e32 v27, v27, v67
	v_sub_f32_e32 v76, v11, v59
	v_pk_mul_f32 v[58:59], v[14:15], v[72:73]
	v_sub_f32_e32 v27, v27, v48
	v_mov_b32_e32 v11, v7
	v_sub_f32_e32 v7, v24, v58
	v_sub_f32_e32 v27, v27, v49
	;; [unrolled: 1-line block ×3, first 2 shown]
	v_mov_b32_e32 v58, v135
	v_mov_b32_e32 v59, v46
	v_mul_f32_e32 v47, v27, v47
	v_mov_b32_e32 v46, v95
	v_mov_b32_e32 v101, v156
	v_pk_mul_f32 v[58:59], v[46:47], v[58:59]
	v_pk_mul_f32 v[62:63], v[94:95], v[100:101]
	v_sub_f32_e32 v12, v12, v58
	v_mov_b32_e32 v29, v34
	v_mov_b32_e32 v131, v41
	v_sub_f32_e32 v34, v88, v62
	v_pk_mul_f32 v[64:65], v[94:95], v[64:65]
	v_pk_mul_f32 v[44:45], v[46:47], v[44:45]
	v_sub_f32_e32 v12, v12, v59
	v_mov_b32_e32 v85, v23
	v_fma_f32 v23, -v15, v98, v43
	v_mov_b32_e32 v43, v153
	v_mov_b32_e32 v53, v159
	;; [unrolled: 1-line block ×4, first 2 shown]
	v_sub_f32_e32 v8, v8, v64
	v_sub_f32_e32 v34, v34, v63
	v_pk_mul_f32 v[62:63], v[46:47], v[130:131]
	v_sub_f32_e32 v3, v3, v44
	v_mul_f32_e32 v41, v12, v40
	v_mov_b32_e32 v40, v47
	v_mov_b32_e32 v87, v5
	v_fma_f32 v5, -v15, v99, v37
	v_pk_mul_f32 v[70:71], v[96:97], v[70:71]
	v_pk_mul_f32 v[68:69], v[96:97], v[68:69]
	v_sub_f32_e32 v8, v8, v65
	v_sub_f32_e32 v27, v14, v62
	v_mov_b32_e32 v96, v15
	v_pk_mul_f32 v[14:15], v[40:41], v[42:43]
	v_sub_f32_e32 v3, v3, v45
	v_pk_mul_f32 v[42:43], v[40:41], v[52:53]
	v_pk_mul_f32 v[44:45], v[40:41], v[54:55]
	;; [unrolled: 1-line block ×3, first 2 shown]
	v_sub_f32_e32 v8, v8, v44
	v_sub_f32_e32 v44, v34, v52
	;; [unrolled: 1-line block ×4, first 2 shown]
	v_pk_mul_f32 v[50:51], v[94:95], v[50:51]
	v_sub_f32_e32 v34, v34, v69
	v_sub_f32_e32 v34, v34, v50
	;; [unrolled: 1-line block ×5, first 2 shown]
	v_mov_b32_e32 v33, v39
	v_mov_b32_e32 v39, v152
	v_mul_f32_e32 v40, v14, v35
	v_mov_b32_e32 v37, v160
	v_pk_mul_f32 v[14:15], v[40:41], v[38:39]
	v_sub_f32_e32 v27, v27, v63
	v_sub_f32_e32 v3, v3, v15
	v_pk_mul_f32 v[36:37], v[40:41], v[36:37]
	v_sub_f32_e32 v3, v3, v14
	v_sub_f32_e32 v15, v27, v37
	v_mov_b32_e32 v125, v140
	v_sub_f32_e32 v36, v15, v36
	v_mul_f32_e32 v14, v3, v26
	v_mov_b32_e32 v15, v40
	v_sub_f32_e32 v8, v8, v45
	v_pk_mul_f32 v[26:27], v[14:15], v[28:29]
	v_pk_mul_f32 v[28:29], v[14:15], v[124:125]
	;; [unrolled: 1-line block ×3, first 2 shown]
	v_sub_f32_e32 v3, v8, v29
	v_sub_f32_e32 v29, v90, v91
	;; [unrolled: 1-line block ×5, first 2 shown]
	v_mov_b32_e32 v129, v102
	v_mov_b32_e32 v102, v107
	v_sub_f32_e32 v29, v29, v61
	v_pk_mul_f32 v[48:49], v[46:47], v[102:103]
	v_sub_f32_e32 v29, v29, v42
	v_mov_b32_e32 v74, v143
	v_mov_b32_e32 v75, v162
	v_sub_f32_e32 v5, v5, v48
	v_pk_mul_f32 v[56:57], v[46:47], v[56:57]
	v_sub_f32_e32 v29, v29, v43
	v_mov_b32_e32 v72, v141
	v_mov_b32_e32 v73, v158
	v_sub_f32_e32 v48, v76, v56
	v_sub_f32_e32 v5, v5, v49
	v_pk_mul_f32 v[38:39], v[40:41], v[74:75]
	v_sub_f32_e32 v27, v29, v27
	v_sub_f32_e32 v12, v48, v57
	v_pk_mul_f32 v[34:35], v[40:41], v[72:73]
	v_sub_f32_e32 v5, v5, v39
	v_sub_f32_e32 v26, v27, v26
	v_mov_b32_e32 v24, v145
	v_sub_f32_e32 v12, v12, v35
	v_sub_f32_e32 v5, v5, v38
	v_mul_f32_e32 v38, v26, v93
	v_mov_b32_e32 v39, v14
	v_sub_f32_e32 v12, v12, v34
	v_pk_mul_f32 v[24:25], v[38:39], v[24:25]
	v_mov_b32_e32 v31, v142
	v_sub_f32_e32 v12, v12, v25
	v_sub_f32_e32 v12, v12, v24
	v_mov_b32_e32 v19, v144
	v_mov_b32_e32 v46, v41
	v_pk_mul_f32 v[34:35], v[14:15], v[126:127]
	v_pk_mul_f32 v[30:31], v[14:15], v[30:31]
	v_mul_f32_e32 v14, v12, v22
	v_mov_b32_e32 v15, v38
	v_fma_f32 v23, -v95, v106, v23
	v_sub_f32_e32 v37, v44, v53
	v_pk_mul_f32 v[44:45], v[46:47], v[128:129]
	v_sub_f32_e32 v3, v3, v28
	v_pk_mul_f32 v[18:19], v[14:15], v[18:19]
	;; [unrolled: 2-line block ×3, first 2 shown]
	v_sub_f32_e32 v3, v3, v19
	v_sub_f32_e32 v23, v23, v44
	v_mov_b32_e32 v88, v147
	v_sub_f32_e32 v8, v37, v35
	v_sub_f32_e32 v25, v36, v27
	v_sub_f32_e32 v3, v3, v18
	v_sub_f32_e32 v27, v8, v34
	v_pk_mul_f32 v[28:29], v[38:39], v[88:89]
	v_sub_f32_e32 v8, v23, v31
	v_sub_f32_e32 v26, v25, v26
	v_mul_f32_e32 v24, v3, v122
	v_mov_b32_e32 v25, v14
	v_sub_f32_e32 v5, v5, v29
	v_sub_f32_e32 v29, v8, v30
	v_mov_b32_e32 v8, v151
	v_pk_mul_f32 v[10:11], v[24:25], v[10:11]
	v_mov_b32_e32 v7, v146
	v_sub_f32_e32 v5, v5, v28
	v_sub_f32_e32 v3, v26, v11
	v_pk_mul_f32 v[8:9], v[24:25], v[8:9]
	v_pk_mul_f32 v[22:23], v[14:15], v[84:85]
	v_sub_f32_e32 v5, v5, v9
	v_pk_mul_f32 v[6:7], v[14:15], v[6:7]
	v_sub_f32_e32 v3, v3, v10
	v_sub_f32_e32 v12, v27, v23
	;; [unrolled: 1-line block ×4, first 2 shown]
	v_mul_f32_e32 v4, v3, v4
	v_mov_b32_e32 v5, v24
	v_sub_f32_e32 v11, v12, v22
	v_sub_f32_e32 v15, v7, v6
	v_pk_mul_f32 v[6:7], v[4:5], v[86:87]
	v_mov_b32_e32 v12, v149
	v_sub_f32_e32 v3, v11, v7
	v_sub_f32_e32 v3, v3, v6
	v_mul_f32_e32 v22, v3, v1
	v_mov_b32_e32 v23, v4
	v_mov_b32_e32 v17, v150
	;; [unrolled: 1-line block ×3, first 2 shown]
	v_pk_mul_f32 v[6:7], v[22:23], v[12:13]
	flat_store_dwordx4 v[20:21], v[94:97] offset:40
	flat_store_dwordx4 v[20:21], v[38:41] offset:24
	v_sub_f32_e32 v1, v8, v7
	v_pk_mul_f32 v[8:9], v[4:5], v[16:17]
	flat_store_dwordx4 v[20:21], v[22:25] offset:8
	v_sub_f32_e32 v3, v15, v9
	v_sub_f32_e32 v1, v1, v6
	ds_read_b32 v4, v92
	v_sub_f32_e32 v5, v3, v8
	v_mov_b32_e32 v3, v148
	v_mul_f32_e32 v0, v1, v0
	v_mov_b32_e32 v1, v22
	v_pk_mul_f32 v[2:3], v[0:1], v[2:3]
	s_nop 0
	v_sub_f32_e32 v1, v5, v3
	v_sub_f32_e32 v1, v1, v2
	s_waitcnt lgkmcnt(0)
	v_mul_f32_e32 v2, v1, v4
	v_mov_b32_e32 v3, v0
	flat_store_dwordx2 v[20:21], v[2:3]
	s_cmp_gt_i32 s0, -1
	s_cbranch_scc1 .LBB17_34
	s_branch .LBB17_56
.LBB17_33:
	s_mov_b32 s0, s14
	s_cmp_gt_i32 s0, -1
	s_cbranch_scc0 .LBB17_56
.LBB17_34:
	s_cmp_lt_u32 s0, 11
	s_cbranch_scc1 .LBB17_39
; %bb.35:
	s_mov_b32 s3, 0
	s_mov_b32 s1, s3
	v_lshl_add_u64 v[8:9], s[0:1], 2, v[20:21]
	v_add_co_u32_e32 v0, vcc, -12, v8
	s_cmp_le_i32 s14, s0
	s_nop 0
	v_addc_co_u32_e32 v1, vcc, -1, v9, vcc
	v_add_co_u32_e32 v4, vcc, 0xffffffe4, v8
	flat_load_dwordx4 v[0:3], v[0:1]
	s_nop 0
	v_addc_co_u32_e32 v5, vcc, -1, v9, vcc
	v_add_co_u32_e32 v10, vcc, 0xffffffd4, v8
	flat_load_dwordx4 v[4:7], v[4:5]
	s_nop 0
	v_addc_co_u32_e32 v11, vcc, -1, v9, vcc
	flat_load_dwordx4 v[14:17], v[10:11]
	s_waitcnt vmcnt(0) lgkmcnt(0)
	v_pk_mul_f32 v[0:1], s[16:17], v[0:1] op_sel_hi:[0,1]
	v_pk_mul_f32 v[2:3], s[16:17], v[2:3] op_sel_hi:[0,1]
	v_mov_b32_e32 v10, v1
	v_mov_b32_e32 v11, v0
	;; [unrolled: 1-line block ×3, first 2 shown]
	v_pk_mul_f32 v[18:19], s[16:17], v[6:7] op_sel_hi:[0,1]
	v_pk_mul_f32 v[22:23], s[16:17], v[4:5] op_sel_hi:[0,1]
	v_mov_b32_e32 v13, v2
	v_pk_mul_f32 v[0:1], s[16:17], v[16:17] op_sel_hi:[0,1]
	v_pk_mul_f32 v[14:15], s[16:17], v[14:15] op_sel_hi:[0,1]
	v_mov_b32_e32 v6, v19
	v_mov_b32_e32 v7, v18
	;; [unrolled: 1-line block ×8, first 2 shown]
	s_cbranch_scc1 .LBB17_38
; %bb.36:
	s_lshl_b32 s1, s17, 6
	s_lshl_b32 s2, s0, 2
	s_add_i32 s1, s1, s2
	s_addk_i32 s1, 0xff94
	s_mov_b32 s2, s14
.LBB17_37:                              ; =>This Inner Loop Header: Depth=1
	v_lshl_add_u64 v[14:15], s[2:3], 2, v[20:21]
	flat_load_dword v14, v[14:15]
	v_mov_b32_e32 v15, s1
	ds_read2_b32 v[16:17], v15 offset0:10 offset1:11
	ds_read2_b32 v[18:19], v15 offset0:8 offset1:9
	;; [unrolled: 1-line block ×5, first 2 shown]
	ds_read2_b32 v[28:29], v15 offset1:1
	s_add_i32 s2, s2, -1
	s_sub_i32 s1, s1, 64
	s_cmp_gt_i32 s2, s0
	s_waitcnt vmcnt(0) lgkmcnt(0)
	v_pk_mul_f32 v[16:17], v[14:15], v[16:17] op_sel_hi:[0,1]
	v_pk_mul_f32 v[18:19], v[14:15], v[18:19] op_sel_hi:[0,1]
	v_pk_mul_f32 v[22:23], v[14:15], v[22:23] op_sel_hi:[0,1]
	v_pk_mul_f32 v[24:25], v[14:15], v[24:25] op_sel_hi:[0,1]
	v_pk_mul_f32 v[26:27], v[14:15], v[26:27] op_sel_hi:[0,1]
	v_pk_mul_f32 v[14:15], v[14:15], v[28:29] op_sel_hi:[0,1]
	v_pk_add_f32 v[12:13], v[12:13], v[16:17] op_sel:[0,1] op_sel_hi:[1,0] neg_lo:[0,1] neg_hi:[0,1]
	v_pk_add_f32 v[10:11], v[10:11], v[18:19] op_sel:[0,1] op_sel_hi:[1,0] neg_lo:[0,1] neg_hi:[0,1]
	;; [unrolled: 1-line block ×6, first 2 shown]
	s_cbranch_scc1 .LBB17_37
.LBB17_38:
	s_add_i32 s2, s0, -1
	s_lshl_b32 s1, s2, 2
	s_lshl_b32 s5, s0, 6
	;; [unrolled: 1-line block ×3, first 2 shown]
	s_add_i32 s3, s1, s5
	s_add_i32 s1, s1, s7
	s_add_i32 s4, s0, -3
	v_mov_b32_e32 v14, s3
	v_mov_b32_e32 v15, s1
	s_mov_b32 s3, 0
	s_lshl_b32 s1, s4, 2
	v_lshl_add_u64 v[36:37], s[2:3], 2, v[20:21]
	s_add_i32 s2, s0, -2
	s_add_i32 s6, s1, s5
	v_mov_b32_e32 v16, s6
	s_add_i32 s6, s1, s7
	s_lshl_b32 s11, s2, 6
	v_mov_b32_e32 v17, s6
	s_add_i32 s6, s1, s11
	s_lshl_b32 s9, s4, 6
	ds_read2_b32 v[48:49], v14 offset1:1
	ds_read_b32 v51, v15
	ds_read2_b32 v[38:39], v16 offset1:1
	ds_read2_b32 v[28:29], v17 offset1:1
	v_mov_b32_e32 v14, s6
	s_add_i32 s1, s1, s9
	s_add_i32 s6, s0, -5
	v_mov_b32_e32 v15, s1
	s_lshl_b32 s1, s6, 2
	s_add_i32 s8, s1, s5
	v_mov_b32_e32 v16, s8
	s_add_i32 s8, s1, s7
	v_lshl_add_u64 v[30:31], s[2:3], 2, v[20:21]
	s_add_i32 s2, s0, -4
	v_mov_b32_e32 v17, s8
	s_add_i32 s8, s1, s11
	ds_read2_b32 v[42:43], v14 offset1:1
	ds_read_b32 v76, v15
	ds_read2_b32 v[44:45], v16 offset1:1
	ds_read2_b32 v[34:35], v17 offset1:1
	v_mov_b32_e32 v14, s8
	s_add_i32 s8, s1, s9
	s_lshl_b32 s15, s2, 6
	v_mov_b32_e32 v15, s8
	s_add_i32 s8, s1, s15
	s_lshl_b32 s13, s6, 6
	v_mov_b32_e32 v18, s8
	s_add_i32 s1, s1, s13
	s_add_i32 s8, s0, -7
	v_mov_b32_e32 v19, s1
	s_lshl_b32 s1, s8, 2
	s_add_i32 s10, s1, s5
	ds_read2_b32 v[82:83], v14 offset1:1
	ds_read2_b32 v[26:27], v15 offset1:1
	;; [unrolled: 1-line block ×3, first 2 shown]
	ds_read_b32 v77, v19
	v_mov_b32_e32 v14, s10
	s_add_i32 s10, s1, s7
	v_mov_b32_e32 v15, s10
	s_add_i32 s10, s1, s11
	;; [unrolled: 2-line block ×3, first 2 shown]
	v_lshl_add_u64 v[16:17], s[2:3], 2, v[20:21]
	s_add_i32 s2, s0, -6
	v_mov_b32_e32 v19, s10
	s_add_i32 s10, s1, s15
	ds_read2_b32 v[46:47], v14 offset1:1
	ds_read2_b32 v[40:41], v15 offset1:1
	;; [unrolled: 1-line block ×4, first 2 shown]
	v_mov_b32_e32 v18, s10
	s_add_i32 s10, s1, s13
	s_lshl_b32 s18, s2, 6
	v_mov_b32_e32 v19, s10
	s_add_i32 s10, s1, s18
	s_lshl_b32 s19, s8, 6
	v_mov_b32_e32 v50, s10
	s_add_i32 s1, s1, s19
	s_add_i32 s10, s0, -9
	v_mov_b32_e32 v52, s1
	s_lshl_b32 s1, s10, 2
	s_add_i32 s12, s1, s5
	ds_read2_b32 v[86:87], v18 offset1:1
	ds_read2_b32 v[22:23], v19 offset1:1
	;; [unrolled: 1-line block ×3, first 2 shown]
	ds_read_b32 v78, v52
	v_mov_b32_e32 v52, s12
	s_add_i32 s12, s1, s7
	v_mov_b32_e32 v54, s12
	s_add_i32 s12, s1, s11
	;; [unrolled: 2-line block ×4, first 2 shown]
	v_lshl_add_u64 v[14:15], s[2:3], 2, v[20:21]
	s_add_i32 s2, s0, -8
	v_mov_b32_e32 v56, s12
	s_add_i32 s12, s1, s18
	v_mov_b32_e32 v57, s12
	s_lshl_b32 s22, s2, 6
	s_waitcnt lgkmcnt(14)
	v_mul_f32_e32 v50, v12, v49
	s_lshl_b32 s24, s10, 6
	s_add_i32 s12, s0, -11
	s_add_i32 s20, s1, s13
	s_add_i32 s21, s1, s19
	;; [unrolled: 1-line block ×3, first 2 shown]
	v_fma_f32 v79, -v50, v48, v13
	v_lshl_add_u64 v[12:13], s[2:3], 2, v[20:21]
	s_add_i32 s2, s1, s24
	s_lshl_b32 s1, s12, 2
	s_add_i32 s11, s1, s11
	v_mov_b32_e32 v66, s11
	s_add_i32 s11, s1, s15
	v_mov_b32_e32 v67, s11
	;; [unrolled: 2-line block ×3, first 2 shown]
	s_add_i32 s2, s0, -10
	v_mov_b32_e32 v70, s11
	s_add_i32 s11, s1, s22
	s_lshl_b32 s18, s2, 6
	v_mov_b32_e32 v71, s11
	s_add_i32 s5, s1, s5
	s_add_i32 s7, s1, s7
	s_add_i32 s9, s1, s9
	s_add_i32 s11, s1, s13
	s_add_i32 s13, s1, s19
	s_add_i32 s15, s1, s24
	s_add_i32 s18, s1, s18
	ds_read2_b32 v[88:89], v53 offset1:1
	ds_read2_b32 v[48:49], v52 offset1:1
	;; [unrolled: 1-line block ×4, first 2 shown]
	v_mov_b32_e32 v58, s20
	v_mov_b32_e32 v59, s21
	;; [unrolled: 1-line block ×10, first 2 shown]
	ds_read2_b32 v[90:91], v56 offset1:1
	ds_read2_b32 v[92:93], v57 offset1:1
	ds_read2_b32 v[56:57], v59 offset1:1
	ds_read2_b32 v[58:59], v58 offset1:1
	ds_read_b32 v80, v60
	ds_read2_b32 v[60:61], v61 offset1:1
	ds_read2_b32 v[62:63], v62 offset1:1
	;; [unrolled: 1-line block ×12, first 2 shown]
	flat_store_dword v[8:9], v50
	v_mul_f32_e32 v51, v79, v51
	v_mov_b32_e32 v8, v39
	v_mov_b32_e32 v9, v29
	v_pk_mul_f32 v[8:9], v[50:51], v[8:9]
	flat_store_dword v[36:37], v51
	v_sub_f32_e32 v8, v10, v8
	s_waitcnt lgkmcnt(0)
	v_mov_b32_e32 v36, v45
	v_mov_b32_e32 v37, v35
	v_fma_f32 v79, -v50, v38, v11
	v_sub_f32_e32 v9, v8, v9
	v_mov_b32_e32 v38, v47
	v_mov_b32_e32 v39, v41
	v_pk_mul_f32 v[36:37], v[50:51], v[36:37]
	v_mov_b32_e32 v8, v62
	v_mov_b32_e32 v62, v61
	v_fma_f32 v60, -v50, v60, v1
	v_mov_b32_e32 v29, v42
	v_mul_f32_e32 v11, v9, v43
	v_mov_b32_e32 v42, v49
	v_mov_b32_e32 v43, v55
	v_pk_mul_f32 v[38:39], v[50:51], v[38:39]
	v_sub_f32_e32 v1, v6, v36
	v_fma_f32 v7, -v50, v44, v7
	v_pk_mul_f32 v[44:45], v[50:51], v[62:63]
	v_pk_mul_f32 v[42:43], v[50:51], v[42:43]
	v_sub_f32_e32 v36, v1, v37
	v_sub_f32_e32 v1, v4, v38
	v_mov_b32_e32 v10, v51
	v_sub_f32_e32 v37, v1, v39
	v_sub_f32_e32 v1, v2, v42
	;; [unrolled: 1-line block ×5, first 2 shown]
	v_pk_mul_f32 v[0:1], v[10:11], v[28:29]
	v_mov_b32_e32 v35, v82
	v_sub_f32_e32 v0, v79, v0
	v_mov_b32_e32 v41, v84
	v_fma_f32 v5, -v50, v46, v5
	v_fma_f32 v9, -v50, v48, v3
	v_sub_f32_e32 v6, v0, v1
	v_pk_mul_f32 v[0:1], v[10:11], v[34:35]
	v_pk_mul_f32 v[2:3], v[10:11], v[40:41]
	v_mov_b32_e32 v55, v88
	s_mov_b32 s5, s3
	v_sub_f32_e32 v0, v7, v0
	v_sub_f32_e32 v2, v5, v2
	v_pk_mul_f32 v[4:5], v[10:11], v[54:55]
	v_sub_f32_e32 v34, v0, v1
	v_lshl_add_u64 v[0:1], s[4:5], 2, v[20:21]
	v_sub_f32_e32 v4, v9, v4
	v_mov_b32_e32 v9, v94
	v_mul_f32_e32 v7, v6, v76
	v_mov_b32_e32 v6, v11
	v_pk_mul_f32 v[8:9], v[10:11], v[8:9]
	flat_store_dword v[0:1], v7
	v_mov_b32_e32 v0, v26
	v_mov_b32_e32 v26, v83
	v_sub_f32_e32 v8, v60, v8
	v_pk_mul_f32 v[26:27], v[6:7], v[26:27]
	v_sub_f32_e32 v41, v8, v9
	v_sub_f32_e32 v9, v36, v26
	;; [unrolled: 1-line block ×3, first 2 shown]
	v_mov_b32_e32 v1, v24
	v_mul_f32_e32 v27, v9, v25
	v_mov_b32_e32 v26, v7
	v_mov_b32_e32 v24, v32
	;; [unrolled: 1-line block ×3, first 2 shown]
	v_pk_mul_f32 v[0:1], v[26:27], v[0:1]
	flat_store_dword v[30:31], v11
	v_mov_b32_e32 v28, v89
	v_mov_b32_e32 v29, v53
	v_pk_mul_f32 v[30:31], v[6:7], v[32:33]
	v_sub_f32_e32 v0, v34, v0
	v_mov_b32_e32 v8, v68
	v_pk_mul_f32 v[28:29], v[6:7], v[28:29]
	v_mov_b32_e32 v68, v95
	v_sub_f32_e32 v25, v37, v30
	flat_store_dword v[16:17], v27
	v_mov_b32_e32 v17, v18
	v_sub_f32_e32 v18, v0, v1
	v_pk_mul_f32 v[32:33], v[6:7], v[68:69]
	v_sub_f32_e32 v42, v25, v31
	v_sub_f32_e32 v25, v38, v28
	v_mov_b32_e32 v16, v22
	v_mov_b32_e32 v22, v87
	v_mul_f32_e32 v37, v18, v77
	v_mov_b32_e32 v36, v27
	s_mov_b32 s7, s3
	v_sub_f32_e32 v38, v25, v29
	v_sub_f32_e32 v25, v39, v32
	v_pk_mul_f32 v[22:23], v[36:37], v[22:23]
	v_sub_f32_e32 v35, v2, v3
	v_lshl_add_u64 v[2:3], s[6:7], 2, v[20:21]
	v_mov_b32_e32 v9, v96
	v_sub_f32_e32 v39, v25, v33
	v_mov_b32_e32 v25, v86
	v_sub_f32_e32 v18, v42, v22
	v_pk_mul_f32 v[24:25], v[26:27], v[24:25]
	v_pk_mul_f32 v[8:9], v[26:27], v[8:9]
	flat_store_dword v[2:3], v37
	v_sub_f32_e32 v2, v18, v23
	v_mov_b32_e32 v53, v90
	v_sub_f32_e32 v24, v35, v24
	v_sub_f32_e32 v8, v41, v8
	v_mul_f32_e32 v3, v2, v19
	v_mov_b32_e32 v2, v37
	v_pk_mul_f32 v[34:35], v[26:27], v[52:53]
	v_sub_f32_e32 v22, v24, v25
	v_sub_f32_e32 v26, v8, v9
	v_pk_mul_f32 v[8:9], v[2:3], v[16:17]
	v_mov_b32_e32 v0, v91
	v_mov_b32_e32 v1, v59
	v_sub_f32_e32 v8, v22, v8
	v_sub_f32_e32 v40, v4, v5
	v_pk_mul_f32 v[0:1], v[36:37], v[0:1]
	v_sub_f32_e32 v8, v8, v9
	v_mov_b32_e32 v30, v66
	v_mov_b32_e32 v31, v98
	;; [unrolled: 1-line block ×5, first 2 shown]
	v_sub_f32_e32 v34, v40, v34
	v_sub_f32_e32 v0, v38, v0
	v_mul_f32_e32 v9, v8, v78
	v_mov_b32_e32 v8, v3
	v_sub_f32_e32 v34, v34, v35
	v_sub_f32_e32 v16, v0, v1
	v_pk_mul_f32 v[0:1], v[2:3], v[58:59]
	flat_store_dword v[14:15], v3
	v_pk_mul_f32 v[14:15], v[8:9], v[32:33]
	v_pk_mul_f32 v[2:3], v[2:3], v[30:31]
	v_mov_b32_e32 v28, v72
	v_mov_b32_e32 v66, v97
	v_sub_f32_e32 v0, v34, v0
	v_sub_f32_e32 v14, v16, v14
	v_mov_b32_e32 v72, v99
	v_sub_f32_e32 v2, v26, v2
	s_mov_b32 s9, s3
	v_pk_mul_f32 v[24:25], v[36:37], v[66:67]
	v_sub_f32_e32 v16, v0, v1
	v_pk_mul_f32 v[0:1], v[8:9], v[72:73]
	v_sub_f32_e32 v8, v2, v3
	v_sub_f32_e32 v2, v14, v15
	v_lshl_add_u64 v[4:5], s[8:9], 2, v[20:21]
	v_mov_b32_e32 v57, v64
	v_sub_f32_e32 v24, v39, v24
	v_mul_f32_e32 v3, v2, v65
	v_mov_b32_e32 v2, v9
	v_sub_f32_e32 v17, v24, v25
	flat_store_dword v[4:5], v9
	v_pk_mul_f32 v[4:5], v[2:3], v[56:57]
	v_sub_f32_e32 v0, v17, v0
	v_sub_f32_e32 v4, v16, v4
	;; [unrolled: 1-line block ×4, first 2 shown]
	v_mul_f32_e32 v1, v0, v80
	v_mov_b32_e32 v0, v3
	v_mov_b32_e32 v4, v101
	;; [unrolled: 1-line block ×4, first 2 shown]
	v_pk_mul_f32 v[4:5], v[0:1], v[4:5]
	flat_store_dword v[12:13], v3
	v_sub_f32_e32 v0, v9, v4
	v_pk_mul_f32 v[2:3], v[2:3], v[28:29]
	s_mov_b32 s11, s3
	v_lshl_add_u64 v[6:7], s[2:3], 2, v[20:21]
	v_sub_f32_e32 v2, v8, v2
	v_sub_f32_e32 v0, v0, v5
	s_lshl_b32 s2, s12, 6
	v_lshl_add_u64 v[10:11], s[10:11], 2, v[20:21]
	v_sub_f32_e32 v4, v2, v3
	v_mul_f32_e32 v3, v0, v75
	s_add_i32 s1, s1, s2
	flat_store_dword v[10:11], v1
	flat_store_dword v[6:7], v3
	v_mov_b32_e32 v0, s1
	ds_read_b32 v5, v0
	v_mov_b32_e32 v2, v1
	v_mov_b32_e32 v71, v74
	v_pk_mul_f32 v[0:1], v[2:3], v[70:71]
	s_mov_b32 s13, s3
	v_sub_f32_e32 v0, v4, v0
	v_sub_f32_e32 v0, v0, v1
	s_waitcnt lgkmcnt(0)
	v_mul_f32_e32 v2, v0, v5
	v_lshl_add_u64 v[0:1], s[12:13], 2, v[20:21]
	s_add_i32 s0, s0, -12
	flat_store_dword v[0:1], v2
.LBB17_39:
	s_cmp_lt_i32 s0, 0
	s_cbranch_scc1 .LBB17_56
; %bb.40:
	s_and_b32 s1, s0, 3
	s_cmp_eq_u32 s1, 3
	s_mov_b32 s2, s0
	s_cbranch_scc1 .LBB17_45
; %bb.41:
	s_lshl_b32 s2, s17, 6
	s_lshl_b32 s3, s0, 2
	s_add_i32 s1, s0, 1
	s_add_i32 s2, s2, s3
	s_and_b32 s1, s1, 3
	s_sub_i32 s6, s2, 64
	s_mov_b32 s5, 0
	s_mov_b32 s2, s0
	;; [unrolled: 1-line block ×3, first 2 shown]
	s_branch .LBB17_43
.LBB17_42:                              ;   in Loop: Header=BB17_43 Depth=1
	s_mul_i32 s3, s2, 0x44
	v_mov_b32_e32 v1, s3
	ds_read_b32 v1, v1
	s_add_i32 s2, s2, -1
	s_add_i32 s7, s7, 1
	s_add_i32 s6, s6, -4
	s_cmp_lg_u32 s7, s1
	s_waitcnt lgkmcnt(0)
	v_mul_f32_e32 v0, v0, v1
	flat_store_dword v[2:3], v0
	s_cbranch_scc0 .LBB17_45
.LBB17_43:                              ; =>This Loop Header: Depth=1
                                        ;     Child Loop BB17_44 Depth 2
	s_mov_b32 s3, s5
	v_lshl_add_u64 v[2:3], s[2:3], 2, v[20:21]
	flat_load_dword v0, v[2:3]
	s_cmp_le_i32 s14, s2
	s_mov_b32 s3, s6
	s_mov_b32 s4, s14
	s_waitcnt vmcnt(0) lgkmcnt(0)
	v_mul_f32_e32 v0, s16, v0
	s_cbranch_scc1 .LBB17_42
.LBB17_44:                              ;   Parent Loop BB17_43 Depth=1
                                        ; =>  This Inner Loop Header: Depth=2
	v_lshl_add_u64 v[4:5], s[4:5], 2, v[20:21]
	flat_load_dword v1, v[4:5]
	v_mov_b32_e32 v4, s3
	ds_read_b32 v4, v4
	s_add_i32 s4, s4, -1
	s_sub_i32 s3, s3, 64
	s_cmp_gt_i32 s4, s2
	s_waitcnt vmcnt(0) lgkmcnt(0)
	v_fma_f32 v0, -v1, v4, v0
	s_cbranch_scc1 .LBB17_44
	s_branch .LBB17_42
.LBB17_45:
	s_cmp_lt_u32 s0, 3
	s_cbranch_scc1 .LBB17_56
; %bb.46:
	s_lshl_b32 s0, s17, 6
	s_lshl_b32 s1, s2, 2
	s_add_i32 s0, s0, s1
	s_sub_i32 s6, s0, 64
	s_add_i32 s7, s0, 0xffffffbc
	s_add_i32 s8, s0, 0xffffffb8
	;; [unrolled: 1-line block ×3, first 2 shown]
	s_mov_b32 s1, 0
	s_branch .LBB17_48
.LBB17_47:                              ;   in Loop: Header=BB17_48 Depth=1
	s_add_i32 s0, s3, 0xffffffbc
	v_mov_b32_e32 v1, s0
	ds_read_b32 v1, v1
	s_add_i32 s0, s2, -4
	s_add_i32 s6, s6, -16
	;; [unrolled: 1-line block ×5, first 2 shown]
	s_waitcnt lgkmcnt(0)
	v_mul_f32_e32 v0, v0, v1
	s_cmp_lt_i32 s2, 4
	s_mov_b32 s2, s0
	flat_store_dword v[2:3], v0
	s_cbranch_scc1 .LBB17_56
.LBB17_48:                              ; =>This Loop Header: Depth=1
                                        ;     Child Loop BB17_49 Depth 2
                                        ;     Child Loop BB17_51 Depth 2
	;; [unrolled: 1-line block ×4, first 2 shown]
	s_mov_b32 s3, s1
	v_lshl_add_u64 v[4:5], s[2:3], 2, v[20:21]
	flat_load_dword v0, v[4:5]
	s_cmp_le_i32 s14, s2
	s_mov_b32 s3, s6
	s_mov_b32 s0, s14
	s_waitcnt vmcnt(0) lgkmcnt(0)
	v_mul_f32_e32 v0, s16, v0
	s_cbranch_scc1 .LBB17_50
.LBB17_49:                              ;   Parent Loop BB17_48 Depth=1
                                        ; =>  This Inner Loop Header: Depth=2
	v_lshl_add_u64 v[2:3], s[0:1], 2, v[20:21]
	flat_load_dword v1, v[2:3]
	v_mov_b32_e32 v2, s3
	ds_read_b32 v2, v2
	s_add_i32 s0, s0, -1
	s_sub_i32 s3, s3, 64
	s_cmp_gt_i32 s0, s2
	s_waitcnt vmcnt(0) lgkmcnt(0)
	v_fma_f32 v0, -v1, v2, v0
	s_cbranch_scc1 .LBB17_49
.LBB17_50:                              ;   in Loop: Header=BB17_48 Depth=1
	s_add_i32 s0, s2, -1
	v_lshl_add_u64 v[2:3], s[0:1], 2, v[20:21]
	flat_load_dword v1, v[2:3]
	s_mul_i32 s3, s2, 0x44
	v_mov_b32_e32 v6, s3
	ds_read_b32 v6, v6
	s_mov_b32 s4, s7
	s_cmp_le_i32 s17, s2
	s_mov_b32 s0, s17
	s_waitcnt lgkmcnt(0)
	v_mul_f32_e32 v0, v0, v6
	flat_store_dword v[4:5], v0
	s_waitcnt vmcnt(0)
	v_mul_f32_e32 v0, s16, v1
	s_cbranch_scc1 .LBB17_52
.LBB17_51:                              ;   Parent Loop BB17_48 Depth=1
                                        ; =>  This Inner Loop Header: Depth=2
	s_add_i32 s0, s0, -1
	v_lshl_add_u64 v[4:5], s[0:1], 2, v[20:21]
	flat_load_dword v1, v[4:5]
	v_mov_b32_e32 v4, s4
	ds_read_b32 v4, v4
	s_sub_i32 s4, s4, 64
	s_cmp_gt_i32 s0, s2
	s_waitcnt vmcnt(0) lgkmcnt(0)
	v_fma_f32 v0, -v1, v4, v0
	s_cbranch_scc1 .LBB17_51
.LBB17_52:                              ;   in Loop: Header=BB17_48 Depth=1
	s_add_i32 s4, s2, -2
	s_mov_b32 s5, s1
	v_lshl_add_u64 v[4:5], s[4:5], 2, v[20:21]
	flat_load_dword v1, v[4:5]
	s_addk_i32 s3, 0xffbc
	v_mov_b32_e32 v6, s3
	ds_read_b32 v6, v6
	s_mov_b32 s5, s8
	s_cmp_le_i32 s14, s4
	s_mov_b32 s0, s14
	s_waitcnt lgkmcnt(0)
	v_mul_f32_e32 v0, v0, v6
	flat_store_dword v[2:3], v0
	s_waitcnt vmcnt(0)
	v_mul_f32_e32 v0, s16, v1
	s_cbranch_scc1 .LBB17_54
.LBB17_53:                              ;   Parent Loop BB17_48 Depth=1
                                        ; =>  This Inner Loop Header: Depth=2
	v_lshl_add_u64 v[2:3], s[0:1], 2, v[20:21]
	flat_load_dword v1, v[2:3]
	v_mov_b32_e32 v2, s5
	ds_read_b32 v2, v2
	s_add_i32 s0, s0, -1
	s_sub_i32 s5, s5, 64
	s_cmp_gt_i32 s0, s4
	s_waitcnt vmcnt(0) lgkmcnt(0)
	v_fma_f32 v0, -v1, v2, v0
	s_cbranch_scc1 .LBB17_53
.LBB17_54:                              ;   in Loop: Header=BB17_48 Depth=1
	s_add_i32 s4, s2, -3
	s_mov_b32 s5, s1
	v_lshl_add_u64 v[2:3], s[4:5], 2, v[20:21]
	flat_load_dword v1, v[2:3]
	s_addk_i32 s3, 0xffbc
	v_mov_b32_e32 v6, s3
	ds_read_b32 v6, v6
	s_mov_b32 s5, s9
	s_cmp_le_i32 s14, s4
	s_mov_b32 s0, s14
	s_waitcnt lgkmcnt(0)
	v_mul_f32_e32 v0, v0, v6
	flat_store_dword v[4:5], v0
	s_waitcnt vmcnt(0)
	v_mul_f32_e32 v0, s16, v1
	s_cbranch_scc1 .LBB17_47
.LBB17_55:                              ;   Parent Loop BB17_48 Depth=1
                                        ; =>  This Inner Loop Header: Depth=2
	v_lshl_add_u64 v[4:5], s[0:1], 2, v[20:21]
	flat_load_dword v1, v[4:5]
	v_mov_b32_e32 v4, s5
	ds_read_b32 v4, v4
	s_add_i32 s0, s0, -1
	s_sub_i32 s5, s5, 64
	s_cmp_gt_i32 s0, s4
	s_waitcnt vmcnt(0) lgkmcnt(0)
	v_fma_f32 v0, -v1, v4, v0
	s_cbranch_scc1 .LBB17_55
	s_branch .LBB17_47
.LBB17_56:
	s_endpgm
	.section	.rodata,"a",@progbits
	.p2align	6, 0x0
	.amdhsa_kernel _ZL30rocblas_trsm_small_left_deviceILi16ELi16ELb0EffPKPKfPKPfEv13rocblas_fill_18rocblas_operation_17rocblas_diagonal_iiT3_T4_lilT5_lili
		.amdhsa_group_segment_fixed_size 1024
		.amdhsa_private_segment_fixed_size 0
		.amdhsa_kernarg_size 352
		.amdhsa_user_sgpr_count 2
		.amdhsa_user_sgpr_dispatch_ptr 0
		.amdhsa_user_sgpr_queue_ptr 0
		.amdhsa_user_sgpr_kernarg_segment_ptr 1
		.amdhsa_user_sgpr_dispatch_id 0
		.amdhsa_user_sgpr_kernarg_preload_length 0
		.amdhsa_user_sgpr_kernarg_preload_offset 0
		.amdhsa_user_sgpr_private_segment_size 0
		.amdhsa_uses_dynamic_stack 0
		.amdhsa_enable_private_segment 0
		.amdhsa_system_sgpr_workgroup_id_x 1
		.amdhsa_system_sgpr_workgroup_id_y 0
		.amdhsa_system_sgpr_workgroup_id_z 1
		.amdhsa_system_sgpr_workgroup_info 0
		.amdhsa_system_vgpr_workitem_id 0
		.amdhsa_next_free_vgpr 164
		.amdhsa_next_free_sgpr 30
		.amdhsa_accum_offset 164
		.amdhsa_reserve_vcc 1
		.amdhsa_float_round_mode_32 0
		.amdhsa_float_round_mode_16_64 0
		.amdhsa_float_denorm_mode_32 3
		.amdhsa_float_denorm_mode_16_64 3
		.amdhsa_dx10_clamp 1
		.amdhsa_ieee_mode 1
		.amdhsa_fp16_overflow 0
		.amdhsa_tg_split 0
		.amdhsa_exception_fp_ieee_invalid_op 0
		.amdhsa_exception_fp_denorm_src 0
		.amdhsa_exception_fp_ieee_div_zero 0
		.amdhsa_exception_fp_ieee_overflow 0
		.amdhsa_exception_fp_ieee_underflow 0
		.amdhsa_exception_fp_ieee_inexact 0
		.amdhsa_exception_int_div_zero 0
	.end_amdhsa_kernel
	.section	.text._ZL30rocblas_trsm_small_left_deviceILi16ELi16ELb0EffPKPKfPKPfEv13rocblas_fill_18rocblas_operation_17rocblas_diagonal_iiT3_T4_lilT5_lili,"axG",@progbits,_ZL30rocblas_trsm_small_left_deviceILi16ELi16ELb0EffPKPKfPKPfEv13rocblas_fill_18rocblas_operation_17rocblas_diagonal_iiT3_T4_lilT5_lili,comdat
.Lfunc_end17:
	.size	_ZL30rocblas_trsm_small_left_deviceILi16ELi16ELb0EffPKPKfPKPfEv13rocblas_fill_18rocblas_operation_17rocblas_diagonal_iiT3_T4_lilT5_lili, .Lfunc_end17-_ZL30rocblas_trsm_small_left_deviceILi16ELi16ELb0EffPKPKfPKPfEv13rocblas_fill_18rocblas_operation_17rocblas_diagonal_iiT3_T4_lilT5_lili
                                        ; -- End function
	.set _ZL30rocblas_trsm_small_left_deviceILi16ELi16ELb0EffPKPKfPKPfEv13rocblas_fill_18rocblas_operation_17rocblas_diagonal_iiT3_T4_lilT5_lili.num_vgpr, 164
	.set _ZL30rocblas_trsm_small_left_deviceILi16ELi16ELb0EffPKPKfPKPfEv13rocblas_fill_18rocblas_operation_17rocblas_diagonal_iiT3_T4_lilT5_lili.num_agpr, 0
	.set _ZL30rocblas_trsm_small_left_deviceILi16ELi16ELb0EffPKPKfPKPfEv13rocblas_fill_18rocblas_operation_17rocblas_diagonal_iiT3_T4_lilT5_lili.numbered_sgpr, 30
	.set _ZL30rocblas_trsm_small_left_deviceILi16ELi16ELb0EffPKPKfPKPfEv13rocblas_fill_18rocblas_operation_17rocblas_diagonal_iiT3_T4_lilT5_lili.num_named_barrier, 0
	.set _ZL30rocblas_trsm_small_left_deviceILi16ELi16ELb0EffPKPKfPKPfEv13rocblas_fill_18rocblas_operation_17rocblas_diagonal_iiT3_T4_lilT5_lili.private_seg_size, 0
	.set _ZL30rocblas_trsm_small_left_deviceILi16ELi16ELb0EffPKPKfPKPfEv13rocblas_fill_18rocblas_operation_17rocblas_diagonal_iiT3_T4_lilT5_lili.uses_vcc, 1
	.set _ZL30rocblas_trsm_small_left_deviceILi16ELi16ELb0EffPKPKfPKPfEv13rocblas_fill_18rocblas_operation_17rocblas_diagonal_iiT3_T4_lilT5_lili.uses_flat_scratch, 0
	.set _ZL30rocblas_trsm_small_left_deviceILi16ELi16ELb0EffPKPKfPKPfEv13rocblas_fill_18rocblas_operation_17rocblas_diagonal_iiT3_T4_lilT5_lili.has_dyn_sized_stack, 0
	.set _ZL30rocblas_trsm_small_left_deviceILi16ELi16ELb0EffPKPKfPKPfEv13rocblas_fill_18rocblas_operation_17rocblas_diagonal_iiT3_T4_lilT5_lili.has_recursion, 0
	.set _ZL30rocblas_trsm_small_left_deviceILi16ELi16ELb0EffPKPKfPKPfEv13rocblas_fill_18rocblas_operation_17rocblas_diagonal_iiT3_T4_lilT5_lili.has_indirect_call, 0
	.section	.AMDGPU.csdata,"",@progbits
; Kernel info:
; codeLenInByte = 9648
; TotalNumSgprs: 36
; NumVgprs: 164
; NumAgprs: 0
; TotalNumVgprs: 164
; ScratchSize: 0
; MemoryBound: 0
; FloatMode: 240
; IeeeMode: 1
; LDSByteSize: 1024 bytes/workgroup (compile time only)
; SGPRBlocks: 4
; VGPRBlocks: 20
; NumSGPRsForWavesPerEU: 36
; NumVGPRsForWavesPerEU: 164
; AccumOffset: 164
; Occupancy: 3
; WaveLimiterHint : 1
; COMPUTE_PGM_RSRC2:SCRATCH_EN: 0
; COMPUTE_PGM_RSRC2:USER_SGPR: 2
; COMPUTE_PGM_RSRC2:TRAP_HANDLER: 0
; COMPUTE_PGM_RSRC2:TGID_X_EN: 1
; COMPUTE_PGM_RSRC2:TGID_Y_EN: 0
; COMPUTE_PGM_RSRC2:TGID_Z_EN: 1
; COMPUTE_PGM_RSRC2:TIDIG_COMP_CNT: 0
; COMPUTE_PGM_RSRC3_GFX90A:ACCUM_OFFSET: 40
; COMPUTE_PGM_RSRC3_GFX90A:TG_SPLIT: 0
	.section	.text._ZL38rocblas_trsm_small_left_device_sharedBILi16ELi16ELb1EffPKPKfPKPfEv13rocblas_fill_18rocblas_operation_17rocblas_diagonal_iiT3_T4_lilT5_lili,"axG",@progbits,_ZL38rocblas_trsm_small_left_device_sharedBILi16ELi16ELb1EffPKPKfPKPfEv13rocblas_fill_18rocblas_operation_17rocblas_diagonal_iiT3_T4_lilT5_lili,comdat
	.globl	_ZL38rocblas_trsm_small_left_device_sharedBILi16ELi16ELb1EffPKPKfPKPfEv13rocblas_fill_18rocblas_operation_17rocblas_diagonal_iiT3_T4_lilT5_lili ; -- Begin function _ZL38rocblas_trsm_small_left_device_sharedBILi16ELi16ELb1EffPKPKfPKPfEv13rocblas_fill_18rocblas_operation_17rocblas_diagonal_iiT3_T4_lilT5_lili
	.p2align	8
	.type	_ZL38rocblas_trsm_small_left_device_sharedBILi16ELi16ELb1EffPKPKfPKPfEv13rocblas_fill_18rocblas_operation_17rocblas_diagonal_iiT3_T4_lilT5_lili,@function
_ZL38rocblas_trsm_small_left_device_sharedBILi16ELi16ELb1EffPKPKfPKPfEv13rocblas_fill_18rocblas_operation_17rocblas_diagonal_iiT3_T4_lilT5_lili: ; @_ZL38rocblas_trsm_small_left_device_sharedBILi16ELi16ELb1EffPKPKfPKPfEv13rocblas_fill_18rocblas_operation_17rocblas_diagonal_iiT3_T4_lilT5_lili
; %bb.0:
	s_load_dwordx4 s[8:11], s[0:1], 0x38
	s_load_dwordx4 s[4:7], s[0:1], 0x4
	s_load_dword s16, s[0:1], 0x14
	s_mov_b32 s20, s3
	s_mov_b32 s21, 0
	s_lshl_b64 s[24:25], s[20:21], 3
	s_waitcnt lgkmcnt(0)
	s_add_u32 s8, s8, s24
	s_addc_u32 s9, s9, s25
	s_load_dwordx2 s[8:9], s[8:9], 0x0
	s_min_i32 s26, s6, 16
	v_cmp_gt_i32_e32 vcc, s26, v0
	s_and_saveexec_b64 s[18:19], vcc
	s_cbranch_execz .LBB18_11
; %bb.1:
	s_load_dwordx4 s[12:15], s[0:1], 0x18
	s_load_dword s22, s[0:1], 0x28
	v_lshlrev_b32_e32 v2, 2, v0
	v_mov_b32_e32 v3, 0
	s_mov_b32 s3, 1
	s_waitcnt lgkmcnt(0)
	s_add_u32 s12, s12, s24
	s_addc_u32 s13, s13, s25
	s_load_dwordx2 s[12:13], s[12:13], 0x0
	s_cmp_lt_u32 s26, 2
	s_cselect_b64 s[28:29], -1, 0
	s_cmp_lg_u32 s22, 1
	s_cselect_b64 s[30:31], -1, 0
	s_or_b64 s[28:29], s[28:29], s[30:31]
	s_mov_b64 s[24:25], -1
	s_and_b64 vcc, exec, s[28:29]
	s_cbranch_vccnz .LBB18_5
; %bb.2:
	s_lshl_b64 s[20:21], s[14:15], 2
	s_waitcnt lgkmcnt(0)
	s_add_u32 s20, s12, s20
	s_addc_u32 s21, s13, s21
	v_lshl_add_u64 v[4:5], s[20:21], 0, v[2:3]
	s_and_b32 s21, s26, -2
	s_mov_b32 s17, 0
	s_mov_b32 s20, s21
.LBB18_3:                               ; =>This Inner Loop Header: Depth=1
	flat_load_dwordx2 v[6:7], v[4:5]
	v_lshl_or_b32 v1, s17, 6, v2
	v_lshl_or_b32 v3, s3, 6, v2
	s_add_i32 s17, s17, 2
	s_add_i32 s3, s3, 2
	s_add_i32 s20, s20, -2
	v_lshl_add_u64 v[4:5], v[4:5], 0, 8
	s_cmp_lg_u32 s20, 0
	s_waitcnt vmcnt(0) lgkmcnt(0)
	ds_write_b32 v1, v6
	ds_write_b32 v3, v7
	s_cbranch_scc1 .LBB18_3
; %bb.4:
	s_cmp_lg_u32 s26, s21
	s_cselect_b64 s[24:25], -1, 0
.LBB18_5:
	s_and_b64 vcc, exec, s[24:25]
	s_cbranch_vccz .LBB18_8
; %bb.6:
	s_ashr_i32 s23, s22, 31
	s_mul_hi_u32 s3, s22, s21
	s_mul_i32 s17, s23, s21
	s_add_i32 s25, s3, s17
	s_mul_i32 s24, s22, s21
	s_lshl_b64 s[24:25], s[24:25], 2
	s_lshl_b64 s[14:15], s[14:15], 2
	s_add_u32 s3, s24, s14
	s_addc_u32 s14, s25, s15
	s_waitcnt lgkmcnt(0)
	s_add_u32 s12, s12, s3
	v_mov_b32_e32 v3, 0
	s_addc_u32 s13, s13, s14
	v_lshl_add_u64 v[4:5], s[12:13], 0, v[2:3]
	s_lshl_b64 s[12:13], s[22:23], 2
	s_sub_i32 s3, s26, s21
	v_lshl_or_b32 v1, s21, 6, v2
.LBB18_7:                               ; =>This Inner Loop Header: Depth=1
	flat_load_dword v3, v[4:5]
	s_add_i32 s3, s3, -1
	v_lshl_add_u64 v[4:5], v[4:5], 0, s[12:13]
	s_cmp_eq_u32 s3, 0
	s_waitcnt vmcnt(0) lgkmcnt(0)
	ds_write_b32 v1, v3
	v_add_u32_e32 v1, 64, v1
	s_cbranch_scc0 .LBB18_7
.LBB18_8:
	v_lshlrev_b32_e32 v1, 6, v0
	s_cmpk_lg_i32 s5, 0x84
	v_mov_b32_e32 v3, 1.0
	v_add_u32_e32 v1, v2, v1
	s_cbranch_scc0 .LBB18_10
; %bb.9:
	ds_read_b32 v2, v1
	s_waitcnt lgkmcnt(0)
	v_div_scale_f32 v3, s[12:13], v2, v2, 1.0
	v_rcp_f32_e32 v4, v3
	v_div_scale_f32 v5, vcc, 1.0, v2, 1.0
	v_fma_f32 v6, -v3, v4, 1.0
	v_fmac_f32_e32 v4, v6, v4
	v_mul_f32_e32 v6, v5, v4
	v_fma_f32 v7, -v3, v6, v5
	v_fmac_f32_e32 v6, v7, v4
	v_fma_f32 v3, -v3, v6, v5
	v_div_fmas_f32 v3, v3, v4, v6
	v_div_fixup_f32 v3, v3, v2, 1.0
.LBB18_10:
	ds_write_b32 v1, v3
.LBB18_11:
	s_or_b64 exec, exec, s[18:19]
	s_load_dword s3, s[0:1], 0x60
	s_load_dword s22, s[0:1], 0x48
	s_lshl_b64 s[10:11], s[10:11], 2
	s_waitcnt lgkmcnt(0)
	s_ashr_i32 s23, s22, 31
	s_add_u32 s5, s8, s10
	s_addc_u32 s14, s9, s11
	s_lshl_b32 s12, s2, 4
	s_add_i32 s3, s3, -1
	s_sub_i32 s0, s7, s12
	s_cmp_ge_u32 s2, s3
	s_cselect_b32 s7, s0, 16
	s_mul_hi_i32 s1, s22, s12
	s_mul_i32 s0, s22, s12
	s_ashr_i32 s13, s12, 31
	s_lshl_b64 s[0:1], s[0:1], 2
	s_add_u32 s2, s5, s0
	s_addc_u32 s3, s14, s1
	s_cmp_gt_i32 s6, 0
	v_cmp_gt_i32_e64 s[0:1], s7, v0
	s_cselect_b64 s[14:15], -1, 0
	s_mov_b32 s5, 0
	s_and_b64 s[20:21], s[0:1], s[14:15]
	s_and_saveexec_b64 s[18:19], s[20:21]
	s_cbranch_execz .LBB18_19
; %bb.12:
	s_cmp_lt_i32 s6, 2
	s_mov_b64 s[20:21], -1
	s_cbranch_scc1 .LBB18_16
; %bb.13:
	v_mad_i64_i32 v[2:3], s[20:21], s22, v0, 0
	v_mov_b32_e32 v1, 0x400
	s_and_b32 s5, s26, 30
	v_lshl_add_u64 v[2:3], v[2:3], 2, s[2:3]
	v_lshl_or_b32 v1, v0, 2, v1
	s_mov_b32 s17, s16
	s_mov_b32 s7, 1
	;; [unrolled: 1-line block ×4, first 2 shown]
.LBB18_14:                              ; =>This Inner Loop Header: Depth=1
	flat_load_dwordx2 v[4:5], v[2:3]
	v_lshl_add_u32 v6, s20, 6, v1
	v_lshl_add_u32 v7, s7, 6, v1
	s_add_i32 s20, s20, 2
	s_add_i32 s7, s7, 2
	s_add_i32 s21, s21, -2
	v_lshl_add_u64 v[2:3], v[2:3], 0, 8
	s_cmp_lg_u32 s21, 0
	s_waitcnt vmcnt(0) lgkmcnt(0)
	v_pk_mul_f32 v[4:5], s[16:17], v[4:5]
	ds_write_b32 v6, v4
	ds_write_b32 v7, v5
	s_cbranch_scc1 .LBB18_14
; %bb.15:
	s_cmp_lg_u32 s26, s5
	s_cselect_b64 s[20:21], -1, 0
.LBB18_16:
	s_and_b64 vcc, exec, s[20:21]
	s_cbranch_vccz .LBB18_19
; %bb.17:
	s_sub_i32 s7, s26, s5
	s_lshl_b32 s17, s5, 2
	s_add_u32 s17, s8, s17
	s_addc_u32 s21, s9, 0
	s_add_u32 s20, s17, s10
	v_lshlrev_b32_e32 v4, 2, v0
	v_mov_b32_e32 v5, 0
	s_addc_u32 s21, s21, s11
	v_lshl_add_u64 v[6:7], s[12:13], 2, v[4:5]
	v_mov_b64_e32 v[2:3], s[20:21]
	v_mad_u64_u32 v[2:3], s[20:21], v6, s22, v[2:3]
	v_mul_lo_u32 v1, v6, s23
	v_mul_lo_u32 v5, v7, s22
	v_add3_u32 v3, v5, v3, v1
	v_lshl_or_b32 v1, s5, 6, v4
	v_add_u32_e32 v1, 0x400, v1
.LBB18_18:                              ; =>This Inner Loop Header: Depth=1
	flat_load_dword v4, v[2:3]
	s_add_i32 s7, s7, -1
	v_lshl_add_u64 v[2:3], v[2:3], 0, 4
	s_cmp_lg_u32 s7, 0
	s_waitcnt vmcnt(0) lgkmcnt(0)
	v_mul_f32_e32 v4, s16, v4
	ds_write_b32 v1, v4
	v_add_u32_e32 v1, 64, v1
	s_cbranch_scc1 .LBB18_18
.LBB18_19:
	s_or_b64 exec, exec, s[18:19]
	v_mov_b32_e32 v1, 0x400
	s_cmpk_eq_i32 s4, 0x6f
	v_lshl_or_b32 v1, v0, 2, v1
	s_mov_b64 s[4:5], -1
	s_waitcnt lgkmcnt(0)
	; wave barrier
	s_cbranch_scc1 .LBB18_46
; %bb.20:
	s_add_i32 s4, s26, -1
	s_cmp_gt_i32 s6, 15
	s_mov_b32 s5, -1
	s_cbranch_scc0 .LBB18_22
; %bb.21:
	v_mov_b32_e32 v54, 0
	ds_read2_b32 v[10:11], v1 offset0:224 offset1:240
	ds_read2_b32 v[30:31], v1 offset0:192 offset1:208
	;; [unrolled: 1-line block ×7, first 2 shown]
	ds_read2_b32 v[42:43], v1 offset1:16
	ds_read_b128 v[14:17], v54 offset:816
	ds_read_b32 v50, v54 offset:1020
	ds_read2_b64 v[18:21], v54 offset0:111 offset1:119
	ds_read2_b32 v[44:45], v54 offset0:187 offset1:221
	ds_read_b128 v[22:25], v54 offset:752
	s_waitcnt lgkmcnt(4)
	v_mov_b32_e32 v46, v15
	s_waitcnt lgkmcnt(3)
	v_mul_f32_e32 v51, v11, v50
	s_waitcnt lgkmcnt(2)
	v_fma_f32 v10, -v51, v21, v10
	v_mul_f32_e32 v50, v10, v20
	v_mov_b32_e32 v47, v16
	v_fma_f32 v15, -v51, v17, v30
	s_waitcnt lgkmcnt(0)
	v_pk_mul_f32 v[16:17], v[50:51], v[24:25]
	ds_read2_b32 v[12:13], v54 offset0:170 offset1:175
	ds_read_b64 v[48:49], v54 offset:632
	ds_read2_b32 v[8:9], v54 offset0:119 offset1:143
	ds_read2_b32 v[6:7], v54 offset0:102 offset1:111
	ds_read_b128 v[26:29], v54 offset:240
	ds_read2_b32 v[4:5], v54 offset0:34 offset1:47
	ds_read2_b32 v[2:3], v54 offset0:15 offset1:17
	v_sub_f32_e32 v17, v33, v17
	v_pk_mul_f32 v[10:11], v[50:51], v[18:19]
	v_sub_f32_e32 v55, v17, v16
	ds_read_b128 v[16:19], v54 offset:496
	v_sub_f32_e32 v11, v31, v11
	v_sub_f32_e32 v20, v11, v10
	s_waitcnt lgkmcnt(6)
	v_pk_mul_f32 v[10:11], v[50:51], v[48:49]
	ds_read_b64 v[52:53], v54 offset:120
	v_sub_f32_e32 v11, v35, v11
	v_sub_f32_e32 v48, v11, v10
	s_waitcnt lgkmcnt(1)
	v_pk_mul_f32 v[10:11], v[50:51], v[18:19]
	ds_read_b64 v[18:19], v54 offset:376
	ds_read2_b32 v[30:31], v54 offset0:13 offset1:14
	v_sub_f32_e32 v11, v37, v11
	v_mul_f32_e32 v24, v20, v45
	v_mov_b32_e32 v25, v50
	v_sub_f32_e32 v49, v11, v10
	v_pk_mul_f32 v[10:11], v[24:25], v[46:47]
	v_fma_f32 v13, -v51, v13, v32
	v_sub_f32_e32 v11, v15, v11
	v_sub_f32_e32 v15, v11, v10
	v_mul_f32_e32 v32, v15, v14
	s_waitcnt lgkmcnt(1)
	v_pk_mul_f32 v[14:15], v[50:51], v[18:19]
	ds_read2_b32 v[18:19], v54 offset0:173 offset1:174
	v_fma_f32 v21, -v51, v29, v41
	v_fma_f32 v20, -v51, v53, v43
	;; [unrolled: 1-line block ×3, first 2 shown]
	v_sub_f32_e32 v15, v39, v15
	v_fma_f32 v39, -v50, v28, v21
	v_fma_f32 v40, -v50, v52, v20
	ds_read2_b32 v[20:21], v54 offset0:141 offset1:142
	ds_read2_b32 v[10:11], v54 offset0:51 offset1:79
	s_waitcnt lgkmcnt(2)
	v_pk_mul_f32 v[18:19], v[24:25], v[18:19]
	v_fma_f32 v9, -v51, v9, v34
	v_sub_f32_e32 v13, v13, v19
	v_fma_f32 v2, -v51, v2, v42
	v_sub_f32_e32 v13, v13, v18
	s_waitcnt lgkmcnt(1)
	v_pk_mul_f32 v[18:19], v[24:25], v[20:21]
	v_fma_f32 v2, -v50, v31, v2
	v_sub_f32_e32 v9, v9, v19
	s_waitcnt lgkmcnt(0)
	v_fma_f32 v11, -v51, v11, v38
	v_sub_f32_e32 v38, v15, v14
	ds_read2_b32 v[14:15], v54 offset0:45 offset1:46
	ds_read2_b32 v[20:21], v54 offset0:109 offset1:110
	v_sub_f32_e32 v9, v9, v18
	ds_read2_b32 v[18:19], v54 offset0:77 offset1:78
	v_fma_f32 v2, -v24, v30, v2
	ds_read2_b64 v[28:31], v54 offset0:13 offset1:14
	v_mov_b32_e32 v33, v24
	v_fma_f32 v7, -v51, v7, v36
	v_pk_mul_f32 v[36:37], v[32:33], v[22:23]
	s_waitcnt lgkmcnt(2)
	v_pk_mul_f32 v[20:21], v[24:25], v[20:21]
	v_sub_f32_e32 v37, v55, v37
	s_waitcnt lgkmcnt(0)
	v_fma_f32 v31, -v24, v31, v40
	v_sub_f32_e32 v40, v37, v36
	ds_read2_b32 v[36:37], v54 offset0:35 offset1:36
	v_pk_mul_f32 v[18:19], v[24:25], v[18:19]
	v_sub_f32_e32 v7, v7, v21
	v_sub_f32_e32 v11, v11, v19
	;; [unrolled: 1-line block ×4, first 2 shown]
	ds_read2_b64 v[18:21], v54 offset0:77 offset1:78
	v_fma_f32 v5, -v50, v15, v5
	v_fma_f32 v5, -v24, v14, v5
	v_pk_mul_f32 v[34:35], v[32:33], v[16:17]
	ds_read_b128 v[14:17], v54 offset:480
	ds_write2_b32 v1, v32, v24 offset0:192 offset1:208
	ds_read2_b64 v[22:25], v54 offset0:45 offset1:46
	s_waitcnt lgkmcnt(3)
	v_pk_mul_f32 v[20:21], v[32:33], v[20:21]
	v_pk_mul_f32 v[26:27], v[32:33], v[26:27]
	v_sub_f32_e32 v21, v48, v21
	v_sub_f32_e32 v45, v21, v20
	;; [unrolled: 1-line block ×4, first 2 shown]
	s_waitcnt lgkmcnt(0)
	v_pk_mul_f32 v[20:21], v[32:33], v[24:25]
	ds_write2_b32 v1, v50, v51 offset0:224 offset1:240
	v_sub_f32_e32 v21, v38, v21
	v_sub_f32_e32 v47, v21, v20
	;; [unrolled: 1-line block ×4, first 2 shown]
	ds_read2_b32 v[20:21], v54 offset0:11 offset1:12
	ds_read2_b32 v[34:35], v54 offset0:37 offset1:38
	;; [unrolled: 1-line block ×3, first 2 shown]
	v_mul_f32_e32 v38, v40, v44
	v_mov_b32_e32 v39, v32
	ds_read2_b32 v[26:27], v54 offset0:139 offset1:140
	s_waitcnt lgkmcnt(3)
	v_fma_f32 v2, -v32, v21, v2
	s_waitcnt lgkmcnt(1)
	v_pk_mul_f32 v[24:25], v[38:39], v[24:25]
	v_fma_f32 v44, -v32, v30, v31
	v_sub_f32_e32 v13, v13, v25
	v_sub_f32_e32 v13, v13, v24
	ds_read2_b32 v[24:25], v54 offset0:107 offset1:108
	s_waitcnt lgkmcnt(1)
	v_pk_mul_f32 v[26:27], v[38:39], v[26:27]
	v_mul_f32_e32 v12, v13, v12
	v_sub_f32_e32 v9, v9, v27
	v_sub_f32_e32 v9, v9, v26
	ds_read2_b32 v[26:27], v54 offset0:75 offset1:76
	s_waitcnt lgkmcnt(1)
	v_pk_mul_f32 v[24:25], v[38:39], v[24:25]
	v_mov_b32_e32 v13, v38
	v_sub_f32_e32 v7, v7, v25
	v_sub_f32_e32 v7, v7, v24
	ds_read2_b32 v[24:25], v54 offset0:43 offset1:44
	s_waitcnt lgkmcnt(1)
	v_pk_mul_f32 v[26:27], v[38:39], v[26:27]
	ds_read2_b32 v[40:41], v54 offset0:39 offset1:40
	v_sub_f32_e32 v11, v11, v27
	v_sub_f32_e32 v11, v11, v26
	s_waitcnt lgkmcnt(1)
	v_pk_mul_f32 v[24:25], v[38:39], v[24:25]
	v_pk_mul_f32 v[32:33], v[12:13], v[28:29]
	v_sub_f32_e32 v5, v5, v25
	v_sub_f32_e32 v5, v5, v24
	ds_read2_b64 v[24:27], v54 offset0:9 offset1:10
	v_fma_f32 v2, -v38, v20, v2
	v_pk_mul_f32 v[42:43], v[12:13], v[22:23]
	ds_read2_b64 v[20:23], v54 offset0:11 offset1:12
	ds_read_b32 v39, v54 offset:612
	ds_read_b128 v[28:31], v54 offset:224
	v_pk_mul_f32 v[18:19], v[12:13], v[18:19]
	v_pk_mul_f32 v[16:17], v[12:13], v[16:17]
	v_sub_f32_e32 v19, v45, v19
	v_sub_f32_e32 v17, v46, v17
	;; [unrolled: 1-line block ×4, first 2 shown]
	ds_read_b96 v[16:18], v54 offset:544
	ds_write2_b32 v1, v12, v38 offset0:160 offset1:176
	v_sub_f32_e32 v38, v47, v43
	v_sub_f32_e32 v50, v38, v42
	s_waitcnt lgkmcnt(3)
	v_mul_f32_e32 v38, v19, v39
	v_mov_b32_e32 v39, v12
	s_waitcnt lgkmcnt(2)
	v_pk_mul_f32 v[12:13], v[12:13], v[30:31]
	ds_read2_b32 v[42:43], v54 offset0:9 offset1:10
	v_sub_f32_e32 v13, v48, v13
	v_sub_f32_e32 v48, v13, v12
	;; [unrolled: 1-line block ×4, first 2 shown]
	s_waitcnt lgkmcnt(2)
	v_mov_b32_e32 v12, v17
	v_mov_b32_e32 v13, v18
	v_pk_mul_f32 v[12:13], v[38:39], v[12:13]
	ds_read2_b32 v[18:19], v54 offset0:41 offset1:42
	v_sub_f32_e32 v9, v9, v13
	v_sub_f32_e32 v9, v9, v12
	ds_read2_b32 v[12:13], v54 offset0:105 offset1:106
	v_mul_f32_e32 v44, v9, v16
	ds_read2_b32 v[16:17], v54 offset0:73 offset1:74
	v_mov_b32_e32 v45, v38
	ds_read_b96 v[30:32], v54 offset:272
	s_waitcnt lgkmcnt(2)
	v_pk_mul_f32 v[12:13], v[38:39], v[12:13]
	ds_write2_b32 v1, v44, v38 offset0:128 offset1:144
	v_sub_f32_e32 v7, v7, v13
	v_sub_f32_e32 v7, v7, v12
	s_waitcnt lgkmcnt(2)
	v_pk_mul_f32 v[12:13], v[38:39], v[16:17]
	v_pk_mul_f32 v[16:17], v[38:39], v[18:19]
	;; [unrolled: 1-line block ×3, first 2 shown]
	v_sub_f32_e32 v5, v5, v17
	v_sub_f32_e32 v5, v5, v16
	v_pk_mul_f32 v[16:17], v[38:39], v[42:43]
	ds_read2_b32 v[38:39], v54 offset0:103 offset1:104
	v_sub_f32_e32 v2, v2, v17
	v_sub_f32_e32 v2, v2, v16
	ds_read2_b64 v[16:19], v54 offset0:43 offset1:44
	v_sub_f32_e32 v9, v11, v13
	v_sub_f32_e32 v11, v9, v12
	;; [unrolled: 1-line block ×3, first 2 shown]
	v_pk_mul_f32 v[28:29], v[44:45], v[28:29]
	s_waitcnt lgkmcnt(0)
	v_pk_mul_f32 v[18:19], v[44:45], v[18:19]
	v_sub_f32_e32 v9, v9, v46
	v_sub_f32_e32 v19, v50, v19
	;; [unrolled: 1-line block ×3, first 2 shown]
	ds_read2_b32 v[18:19], v54 offset0:71 offset1:72
	v_sub_f32_e32 v29, v48, v29
	v_mul_f32_e32 v8, v9, v8
	v_mov_b32_e32 v9, v44
	v_pk_mul_f32 v[22:23], v[44:45], v[22:23]
	ds_read_b128 v[12:15], v54 offset:208
	v_sub_f32_e32 v43, v29, v28
	v_mov_b32_e32 v29, v32
	v_sub_f32_e32 v23, v33, v23
	ds_read_b32 v44, v54 offset:340
	v_pk_mul_f32 v[32:33], v[8:9], v[38:39]
	v_mov_b32_e32 v28, v31
	v_sub_f32_e32 v7, v7, v33
	v_sub_f32_e32 v31, v23, v22
	ds_read2_b32 v[22:23], v54 offset0:7 offset1:8
	v_sub_f32_e32 v7, v7, v32
	v_mul_f32_e32 v6, v7, v6
	v_mov_b32_e32 v7, v8
	v_pk_mul_f32 v[16:17], v[6:7], v[16:17]
	s_waitcnt lgkmcnt(3)
	v_pk_mul_f32 v[18:19], v[8:9], v[18:19]
	v_sub_f32_e32 v17, v42, v17
	v_sub_f32_e32 v11, v11, v19
	v_sub_f32_e32 v11, v11, v18
	s_waitcnt lgkmcnt(2)
	v_pk_mul_f32 v[14:15], v[6:7], v[14:15]
	v_pk_mul_f32 v[18:19], v[6:7], v[20:21]
	v_sub_f32_e32 v7, v17, v16
	ds_read2_b32 v[32:33], v54 offset0:5 offset1:6
	v_pk_mul_f32 v[40:41], v[8:9], v[40:41]
	s_waitcnt lgkmcnt(1)
	v_pk_mul_f32 v[20:21], v[8:9], v[22:23]
	ds_write2_b32 v1, v6, v8 offset0:96 offset1:112
	v_mul_f32_e32 v8, v7, v44
	v_mov_b32_e32 v9, v6
	v_pk_mul_f32 v[6:7], v[8:9], v[28:29]
	v_sub_f32_e32 v5, v5, v41
	v_sub_f32_e32 v7, v11, v7
	v_sub_f32_e32 v6, v7, v6
	v_sub_f32_e32 v15, v43, v15
	v_mul_f32_e32 v6, v6, v30
	v_mov_b32_e32 v7, v8
	v_sub_f32_e32 v5, v5, v40
	v_sub_f32_e32 v11, v15, v14
	v_pk_mul_f32 v[14:15], v[8:9], v[34:35]
	v_pk_mul_f32 v[12:13], v[6:7], v[12:13]
	v_sub_f32_e32 v19, v31, v19
	v_sub_f32_e32 v5, v5, v15
	;; [unrolled: 1-line block ×5, first 2 shown]
	v_pk_mul_f32 v[14:15], v[6:7], v[26:27]
	v_sub_f32_e32 v7, v11, v12
	v_sub_f32_e32 v13, v16, v15
	s_waitcnt lgkmcnt(1)
	v_pk_mul_f32 v[16:17], v[8:9], v[32:33]
	ds_write2_b32 v1, v6, v8 offset0:64 offset1:80
	v_mul_f32_e32 v8, v7, v10
	v_mov_b32_e32 v9, v6
	ds_read2_b32 v[38:39], v54 offset0:3 offset1:4
	v_pk_mul_f32 v[6:7], v[8:9], v[36:37]
	v_sub_f32_e32 v2, v2, v21
	v_sub_f32_e32 v5, v5, v7
	;; [unrolled: 1-line block ×4, first 2 shown]
	v_mul_f32_e32 v10, v5, v4
	ds_read_b96 v[4:6], v54
	v_sub_f32_e32 v2, v2, v17
	v_mov_b32_e32 v11, v8
	v_sub_f32_e32 v2, v2, v16
	v_sub_f32_e32 v7, v13, v14
	v_pk_mul_f32 v[12:13], v[10:11], v[24:25]
	s_waitcnt lgkmcnt(1)
	v_pk_mul_f32 v[14:15], v[8:9], v[38:39]
	v_sub_f32_e32 v7, v7, v13
	v_sub_f32_e32 v2, v2, v15
	;; [unrolled: 1-line block ×4, first 2 shown]
	ds_write2_b32 v1, v10, v8 offset0:32 offset1:48
	v_mul_f32_e32 v2, v2, v3
	s_waitcnt lgkmcnt(1)
	v_mov_b32_e32 v8, v5
	v_mov_b32_e32 v9, v6
	;; [unrolled: 1-line block ×3, first 2 shown]
	v_pk_mul_f32 v[6:7], v[2:3], v[8:9]
	s_nop 0
	v_sub_f32_e32 v3, v11, v7
	v_sub_f32_e32 v3, v3, v6
	v_mul_f32_e32 v3, v3, v4
	ds_write2_b32 v1, v3, v2 offset1:16
	s_cmp_gt_i32 s5, -1
	s_cbranch_scc1 .LBB18_23
	s_branch .LBB18_45
.LBB18_22:
	s_mov_b32 s5, s4
	s_cmp_gt_i32 s5, -1
	s_cbranch_scc0 .LBB18_45
.LBB18_23:
	s_cmp_lt_u32 s5, 11
	s_cbranch_scc1 .LBB18_28
; %bb.24:
	s_lshl_b32 s7, s5, 6
	v_add_u32_e32 v20, s7, v1
	v_add_u32_e32 v4, 0xffffff40, v20
	;; [unrolled: 1-line block ×3, first 2 shown]
	v_subrev_u32_e32 v2, 64, v20
	v_add_u32_e32 v3, 0xffffff80, v20
	v_add_u32_e32 v6, 0xfffffec0, v20
	;; [unrolled: 1-line block ×4, first 2 shown]
	ds_read_b32 v12, v20
	ds_read_b32 v13, v2
	;; [unrolled: 1-line block ×8, first 2 shown]
	v_add_u32_e32 v2, 0xfffffe00, v20
	v_add_u32_e32 v3, 0xfffffdc0, v20
	;; [unrolled: 1-line block ×4, first 2 shown]
	ds_read_b32 v6, v2
	ds_read_b32 v7, v3
	;; [unrolled: 1-line block ×4, first 2 shown]
	s_cmp_le_i32 s4, s5
	s_cbranch_scc1 .LBB18_27
; %bb.25:
	v_lshlrev_b32_e32 v14, 2, v0
	s_lshl_b32 s16, s26, 2
	v_lshl_or_b32 v14, s26, 6, v14
	s_add_i32 s7, s7, s16
	v_add_u32_e32 v14, 0x3c0, v14
	s_addk_i32 s7, 0xfd3c
	s_mov_b32 s16, s4
.LBB18_26:                              ; =>This Inner Loop Header: Depth=1
	v_mov_b32_e32 v15, s7
	ds_read_b32 v16, v14
	ds_read2_b32 v[22:23], v15 offset0:160 offset1:176
	ds_read2_b32 v[24:25], v15 offset0:128 offset1:144
	;; [unrolled: 1-line block ×5, first 2 shown]
	ds_read2_b32 v[32:33], v15 offset1:16
	s_add_i32 s16, s16, -1
	s_add_i32 s7, s7, -4
	s_waitcnt lgkmcnt(5)
	v_mov_b32_e32 v18, v23
	v_mov_b32_e32 v19, v22
	s_waitcnt lgkmcnt(4)
	v_mov_b32_e32 v22, v25
	v_mov_b32_e32 v23, v24
	;; [unrolled: 3-line block ×6, first 2 shown]
	v_subrev_u32_e32 v14, 64, v14
	s_cmp_gt_i32 s16, s5
	v_pk_fma_f32 v[12:13], v[16:17], v[18:19], v[12:13] op_sel_hi:[0,1,1] neg_lo:[1,0,0] neg_hi:[1,0,0]
	v_pk_fma_f32 v[10:11], v[16:17], v[22:23], v[10:11] op_sel_hi:[0,1,1] neg_lo:[1,0,0] neg_hi:[1,0,0]
	v_pk_fma_f32 v[8:9], v[16:17], v[24:25], v[8:9] op_sel_hi:[0,1,1] neg_lo:[1,0,0] neg_hi:[1,0,0]
	v_pk_fma_f32 v[4:5], v[16:17], v[26:27], v[4:5] op_sel_hi:[0,1,1] neg_lo:[1,0,0] neg_hi:[1,0,0]
	v_pk_fma_f32 v[6:7], v[16:17], v[28:29], v[6:7] op_sel_hi:[0,1,1] neg_lo:[1,0,0] neg_hi:[1,0,0]
	v_pk_fma_f32 v[2:3], v[16:17], v[30:31], v[2:3] op_sel_hi:[0,1,1] neg_lo:[1,0,0] neg_hi:[1,0,0]
	s_cbranch_scc1 .LBB18_26
.LBB18_27:
	s_mul_i32 s7, s5, 0x44
	v_mov_b32_e32 v14, s7
	s_add_i32 s7, s5, -1
	s_lshl_b32 s16, s7, 6
	s_lshl_b32 s7, s7, 2
	s_add_i32 s17, s16, s7
	v_add_u32_e32 v28, s16, v1
	s_add_i32 s16, s5, -2
	v_mov_b32_e32 v15, s17
	s_lshl_b32 s17, s16, 6
	s_lshl_b32 s16, s16, 2
	s_add_i32 s16, s17, s16
	v_mov_b32_e32 v16, s16
	s_add_i32 s16, s5, -3
	s_add_i32 s38, s17, s7
	v_add_u32_e32 v29, s17, v1
	s_lshl_b32 s17, s16, 6
	s_lshl_b32 s25, s16, 2
	s_add_i32 s16, s17, s25
	s_lshl_b32 s40, s5, 2
	v_mov_b32_e32 v18, s16
	s_add_i32 s16, s5, -4
	s_add_i32 s18, s17, s40
	v_add_u32_e32 v30, s17, v1
	s_lshl_b32 s17, s16, 6
	s_lshl_b32 s16, s16, 2
	v_mov_b32_e32 v17, s18
	s_add_i32 s29, s18, -8
	s_add_i32 s41, s17, s7
	s_add_i32 s18, s17, s25
	;; [unrolled: 1-line block ×3, first 2 shown]
	v_add_u32_e32 v32, s17, v1
	s_add_i32 s17, s5, -5
	s_lshl_b32 s19, s17, 6
	s_lshl_b32 s34, s17, 2
	s_add_i32 s17, s19, s34
	v_mov_b32_e32 v24, s17
	s_add_i32 s17, s5, -6
	v_mov_b32_e32 v19, s16
	s_add_i32 s16, s19, s40
	v_add_u32_e32 v38, s19, v1
	s_lshl_b32 s19, s17, 6
	s_lshl_b32 s17, s17, 2
	s_add_i32 s42, s19, s7
	s_add_i32 s21, s19, s25
	;; [unrolled: 1-line block ×4, first 2 shown]
	v_add_u32_e32 v39, s19, v1
	s_add_i32 s19, s5, -7
	s_lshl_b32 s20, s19, 6
	s_lshl_b32 s36, s19, 2
	s_add_i32 s19, s20, s36
	v_mov_b32_e32 v21, s16
	ds_read_b32 v26, v14
	ds_read2_b32 v[22:23], v15 offset1:1
	ds_read_b32 v31, v16
	ds_read_b32 v33, v17
	;; [unrolled: 1-line block ×6, first 2 shown]
	v_mov_b32_e32 v16, s19
	s_add_i32 s19, s5, -8
	s_add_i32 s37, s5, -9
	;; [unrolled: 1-line block ×3, first 2 shown]
	s_lshl_b32 s31, s19, 6
	s_lshl_b32 s39, s37, 6
	;; [unrolled: 1-line block ×4, first 2 shown]
	s_add_i32 s27, s20, s40
	s_add_i32 s43, s31, s7
	;; [unrolled: 1-line block ×4, first 2 shown]
	v_add_u32_e32 v42, s39, v1
	s_add_i32 s39, s48, s7
	s_lshl_b32 s7, s47, 2
	v_mov_b32_e32 v14, s17
	v_mov_b32_e32 v15, s27
	s_add_i32 s33, s27, -8
	s_add_i32 s17, s27, -16
	s_sub_i32 s28, s27, 24
	v_add_u32_e32 v40, s20, v1
	s_add_i32 s27, s31, s25
	s_add_i32 s20, s31, s34
	;; [unrolled: 1-line block ×3, first 2 shown]
	v_mov_b32_e32 v19, s37
	s_add_i32 s37, s48, s25
	s_add_i32 s25, s48, s34
	;; [unrolled: 1-line block ×4, first 2 shown]
	s_add_i32 s36, s5, -11
	s_lshl_b32 s19, s19, 2
	v_mov_b32_e32 v21, s7
	s_lshl_b32 s7, s36, 6
	s_add_i32 s19, s31, s19
	s_add_i32 s40, s7, s40
	v_mov_b32_e32 v17, s19
	v_mov_b32_e32 v18, s45
	;; [unrolled: 1-line block ×3, first 2 shown]
	ds_read_b32 v44, v14
	ds_read_b32 v45, v15
	;; [unrolled: 1-line block ×8, first 2 shown]
	s_add_i32 s47, s40, -8
	v_mov_b32_e32 v14, s38
	s_add_i32 s38, s40, -16
	v_mov_b32_e32 v15, s47
	v_mov_b32_e32 v16, s38
	s_sub_i32 s38, s40, 24
	s_waitcnt lgkmcnt(14)
	v_mul_f32_e32 v27, v12, v26
	v_mov_b32_e32 v21, s38
	ds_read2_b32 v[24:25], v14 offset1:1
	ds_read2_b32 v[18:19], v15 offset1:1
	;; [unrolled: 1-line block ×4, first 2 shown]
	v_fma_f32 v12, -v27, v23, v13
	v_mul_f32_e32 v26, v12, v22
	v_mov_b32_e32 v12, s41
	s_waitcnt lgkmcnt(3)
	v_pk_mul_f32 v[22:23], v[26:27], v[24:25]
	ds_read2_b32 v[12:13], v12 offset1:1
	v_mov_b32_e32 v21, s42
	v_sub_f32_e32 v10, v10, v23
	v_mov_b32_e32 v23, s43
	v_fma_f32 v33, -v27, v33, v11
	v_sub_f32_e32 v24, v10, v22
	ds_read2_b32 v[10:11], v21 offset1:1
	ds_read2_b32 v[22:23], v23 offset1:1
	v_mov_b32_e32 v21, s39
	ds_write_b32 v20, v27
	ds_read2_b32 v[20:21], v21 offset1:1
	s_waitcnt lgkmcnt(4)
	v_pk_mul_f32 v[12:13], v[26:27], v[12:13]
	ds_write_b32 v28, v26
	v_fma_f32 v28, -v27, v36, v9
	v_fma_f32 v36, -v27, v45, v5
	;; [unrolled: 1-line block ×4, first 2 shown]
	s_waitcnt lgkmcnt(4)
	v_pk_mul_f32 v[10:11], v[26:27], v[10:11]
	v_mov_b32_e32 v3, s37
	v_sub_f32_e32 v7, v8, v13
	s_waitcnt lgkmcnt(1)
	v_pk_mul_f32 v[20:21], v[26:27], v[20:21]
	v_pk_mul_f32 v[22:23], v[26:27], v[22:23]
	v_mov_b32_e32 v5, s29
	v_sub_f32_e32 v27, v7, v12
	ds_read2_b32 v[8:9], v3 offset1:1
	ds_read2_b32 v[12:13], v5 offset1:1
	v_sub_f32_e32 v3, v4, v11
	v_sub_f32_e32 v51, v3, v10
	v_mov_b32_e32 v3, s33
	s_add_i32 s30, s16, -8
	s_add_i32 s35, s45, -8
	v_sub_f32_e32 v11, v6, v23
	ds_read2_b32 v[6:7], v3 offset1:1
	v_mov_b32_e32 v25, v26
	v_mov_b32_e32 v26, s30
	;; [unrolled: 1-line block ×3, first 2 shown]
	ds_read2_b32 v[4:5], v26 offset1:1
	v_sub_f32_e32 v56, v11, v22
	ds_read2_b32 v[10:11], v10 offset1:1
	v_mul_f32_e32 v24, v24, v31
	s_waitcnt lgkmcnt(3)
	v_pk_mul_f32 v[12:13], v[24:25], v[12:13]
	s_waitcnt lgkmcnt(2)
	v_pk_mul_f32 v[6:7], v[24:25], v[6:7]
	s_sub_i32 s38, s40, 32
	s_lshl_b32 s29, s36, 2
	v_sub_f32_e32 v13, v33, v13
	v_sub_f32_e32 v7, v36, v7
	s_add_i32 s46, s48, s46
	v_mov_b32_e32 v52, s38
	s_sub_i32 s38, s40, 40
	s_add_i32 s29, s7, s29
	v_sub_f32_e32 v26, v13, v12
	s_waitcnt lgkmcnt(1)
	v_pk_mul_f32 v[4:5], v[24:25], v[4:5]
	v_sub_f32_e32 v36, v7, v6
	s_waitcnt lgkmcnt(0)
	v_pk_mul_f32 v[6:7], v[24:25], v[10:11]
	v_pk_mul_f32 v[18:19], v[24:25], v[18:19]
	v_add_u32_e32 v41, s31, v1
	s_add_i32 s19, s45, -16
	s_sub_i32 s31, s45, 24
	s_sub_i32 s45, s45, 32
	v_mov_b32_e32 v53, s46
	v_mov_b32_e32 v55, s44
	;; [unrolled: 1-line block ×3, first 2 shown]
	v_sub_f32_e32 v2, v2, v21
	v_mov_b32_e32 v21, s29
	v_sub_f32_e32 v5, v28, v5
	v_mov_b32_e32 v28, s34
	v_sub_f32_e32 v7, v45, v7
	v_mul_f32_e32 v10, v26, v34
	v_mov_b32_e32 v26, s21
	v_sub_f32_e32 v19, v48, v19
	v_mov_b32_e32 v54, s45
	v_sub_f32_e32 v57, v2, v20
	ds_read2_b32 v[2:3], v3 offset1:1
	ds_read_b32 v58, v21
	ds_read2_b32 v[20:21], v52 offset1:1
	ds_read2_b32 v[12:13], v53 offset1:1
	;; [unrolled: 1-line block ×3, first 2 shown]
	v_sub_f32_e32 v33, v5, v4
	ds_read2_b32 v[4:5], v55 offset1:1
	v_sub_f32_e32 v45, v7, v6
	ds_read2_b32 v[6:7], v28 offset1:1
	;; [unrolled: 2-line block ×3, first 2 shown]
	v_mov_b32_e32 v28, s18
	ds_write_b32 v29, v24
	v_mov_b32_e32 v11, v24
	ds_read2_b32 v[24:25], v28 offset1:1
	v_mov_b32_e32 v28, s27
	v_mov_b32_e32 v31, s28
	s_waitcnt lgkmcnt(2)
	v_pk_mul_f32 v[18:19], v[10:11], v[18:19]
	s_add_i32 s16, s16, -16
	s_waitcnt lgkmcnt(0)
	v_pk_mul_f32 v[24:25], v[10:11], v[24:25]
	v_sub_f32_e32 v19, v51, v19
	v_sub_f32_e32 v25, v27, v25
	;; [unrolled: 1-line block ×3, first 2 shown]
	ds_read2_b32 v[24:25], v28 offset1:1
	ds_read2_b32 v[26:27], v31 offset1:1
	v_mov_b32_e32 v52, s31
	v_mov_b32_e32 v53, s24
	v_sub_f32_e32 v51, v19, v18
	s_waitcnt lgkmcnt(1)
	v_pk_mul_f32 v[24:25], v[10:11], v[24:25]
	v_mov_b32_e32 v18, s16
	v_sub_f32_e32 v19, v56, v25
	ds_write_b32 v30, v10
	ds_read2_b32 v[28:29], v52 offset1:1
	v_pk_mul_f32 v[8:9], v[10:11], v[8:9]
	v_mov_b32_e32 v31, v10
	ds_read2_b32 v[10:11], v53 offset1:1
	v_sub_f32_e32 v52, v19, v24
	ds_read2_b32 v[18:19], v18 offset1:1
	v_mul_f32_e32 v30, v34, v35
	v_mov_b32_e32 v34, s20
	v_mov_b32_e32 v24, s17
	v_sub_f32_e32 v9, v57, v9
	s_waitcnt lgkmcnt(0)
	v_pk_mul_f32 v[18:19], v[30:31], v[18:19]
	v_sub_f32_e32 v53, v9, v8
	ds_read2_b32 v[8:9], v34 offset1:1
	ds_read2_b32 v[24:25], v24 offset1:1
	v_sub_f32_e32 v19, v33, v19
	v_mov_b32_e32 v35, s25
	v_sub_f32_e32 v34, v19, v18
	v_mov_b32_e32 v18, s19
	ds_read2_b32 v[18:19], v18 offset1:1
	ds_write_b32 v32, v30
	ds_read2_b32 v[32:33], v35 offset1:1
	v_mul_f32_e32 v34, v34, v37
	v_mov_b32_e32 v35, v30
	v_pk_mul_f32 v[10:11], v[34:35], v[10:11]
	s_waitcnt lgkmcnt(3)
	v_pk_mul_f32 v[24:25], v[30:31], v[24:25]
	v_sub_f32_e32 v11, v51, v11
	v_pk_mul_f32 v[16:17], v[30:31], v[16:17]
	v_sub_f32_e32 v10, v11, v10
	v_sub_f32_e32 v25, v36, v25
	;; [unrolled: 1-line block ×3, first 2 shown]
	v_mul_f32_e32 v10, v10, v44
	v_mov_b32_e32 v11, v34
	s_waitcnt lgkmcnt(2)
	v_pk_mul_f32 v[18:19], v[30:31], v[18:19]
	v_sub_f32_e32 v24, v25, v24
	v_sub_f32_e32 v30, v17, v16
	v_pk_mul_f32 v[16:17], v[10:11], v[26:27]
	v_pk_mul_f32 v[8:9], v[34:35], v[8:9]
	v_sub_f32_e32 v17, v24, v17
	v_sub_f32_e32 v16, v17, v16
	v_sub_f32_e32 v19, v45, v19
	v_sub_f32_e32 v9, v52, v9
	v_mul_f32_e32 v16, v16, v46
	v_mov_b32_e32 v17, v10
	v_sub_f32_e32 v25, v19, v18
	s_waitcnt lgkmcnt(0)
	v_pk_mul_f32 v[18:19], v[34:35], v[32:33]
	v_sub_f32_e32 v24, v9, v8
	v_pk_mul_f32 v[8:9], v[10:11], v[28:29]
	v_pk_mul_f32 v[4:5], v[16:17], v[4:5]
	v_sub_f32_e32 v19, v53, v19
	v_sub_f32_e32 v9, v25, v9
	;; [unrolled: 1-line block ×5, first 2 shown]
	v_pk_mul_f32 v[8:9], v[10:11], v[14:15]
	v_sub_f32_e32 v4, v5, v4
	v_sub_f32_e32 v9, v30, v9
	v_mul_f32_e32 v4, v4, v47
	v_mov_b32_e32 v5, v16
	ds_write_b32 v39, v10
	v_pk_mul_f32 v[6:7], v[16:17], v[6:7]
	v_sub_f32_e32 v10, v9, v8
	v_pk_mul_f32 v[8:9], v[4:5], v[22:23]
	v_sub_f32_e32 v7, v18, v7
	v_sub_f32_e32 v9, v19, v9
	;; [unrolled: 1-line block ×4, first 2 shown]
	v_mul_f32_e32 v6, v6, v49
	v_mov_b32_e32 v7, v4
	ds_write_b32 v41, v4
	v_pk_mul_f32 v[8:9], v[6:7], v[12:13]
	v_pk_mul_f32 v[4:5], v[4:5], v[20:21]
	v_sub_f32_e32 v7, v11, v9
	v_sub_f32_e32 v5, v10, v5
	;; [unrolled: 1-line block ×4, first 2 shown]
	v_mul_f32_e32 v4, v4, v50
	v_mov_b32_e32 v5, v6
	v_pk_mul_f32 v[2:3], v[4:5], v[2:3]
	v_add_u32_e32 v43, s48, v1
	v_sub_f32_e32 v3, v9, v3
	v_sub_f32_e32 v2, v3, v2
	v_mul_f32_e32 v2, v2, v58
	v_add_u32_e32 v3, s7, v1
	s_add_i32 s5, s5, -12
	ds_write_b32 v38, v34
	ds_write_b32 v40, v16
	;; [unrolled: 1-line block ×5, first 2 shown]
.LBB18_28:
	s_cmp_lt_i32 s5, 0
	s_cbranch_scc1 .LBB18_45
; %bb.29:
	s_and_b32 s7, s5, 3
	s_cmp_eq_u32 s7, 3
	s_mov_b32 s7, s5
	s_cbranch_scc1 .LBB18_34
; %bb.30:
	s_add_i32 s7, s5, 1
	s_and_b32 s16, s7, 3
	s_lshl_b32 s7, s5, 6
	s_lshl_b32 s17, s26, 2
	v_lshlrev_b32_e32 v2, 2, v0
	s_add_i32 s7, s7, s17
	v_lshl_or_b32 v2, s26, 6, v2
	s_add_i32 s17, s7, -4
	v_add_u32_e32 v3, 0x3c0, v2
	s_mov_b32 s18, 0
	s_mov_b32 s7, s5
	s_branch .LBB18_32
.LBB18_31:                              ;   in Loop: Header=BB18_32 Depth=1
	s_mul_i32 s19, s7, 0x44
	v_mov_b32_e32 v5, s19
	ds_read_b32 v5, v5
	s_add_i32 s7, s7, -1
	s_add_i32 s18, s18, 1
	s_sub_i32 s17, s17, 64
	s_cmp_lg_u32 s18, s16
	s_waitcnt lgkmcnt(0)
	v_mul_f32_e32 v2, v2, v5
	ds_write_b32 v4, v2
	s_cbranch_scc0 .LBB18_34
.LBB18_32:                              ; =>This Loop Header: Depth=1
                                        ;     Child Loop BB18_33 Depth 2
	s_lshl_b32 s19, s7, 6
	v_add_u32_e32 v4, s19, v1
	ds_read_b32 v2, v4
	s_cmp_le_i32 s4, s7
	v_mov_b32_e32 v5, v3
	s_mov_b32 s19, s17
	s_mov_b32 s20, s4
	s_cbranch_scc1 .LBB18_31
.LBB18_33:                              ;   Parent Loop BB18_32 Depth=1
                                        ; =>  This Inner Loop Header: Depth=2
	v_mov_b32_e32 v7, s19
	ds_read_b32 v6, v5
	ds_read_b32 v7, v7
	s_add_i32 s20, s20, -1
	s_add_i32 s19, s19, -4
	v_subrev_u32_e32 v5, 64, v5
	s_cmp_gt_i32 s20, s7
	s_waitcnt lgkmcnt(0)
	v_fma_f32 v2, -v6, v7, v2
	s_cbranch_scc1 .LBB18_33
	s_branch .LBB18_31
.LBB18_34:
	s_cmp_lt_u32 s5, 3
	s_cbranch_scc1 .LBB18_45
; %bb.35:
	s_lshl_b32 s5, s7, 6
	s_lshl_b32 s16, s26, 2
	v_lshlrev_b32_e32 v2, 2, v0
	s_add_i32 s18, s5, s16
	v_lshl_or_b32 v2, s26, 6, v2
	s_add_i32 s5, s18, -4
	v_add_u32_e32 v3, 0x3c0, v2
	s_add_i32 s16, s18, 0xffffffbc
	s_add_i32 s17, s18, 0xffffff7c
	s_addk_i32 s18, 0xff3c
	s_branch .LBB18_37
.LBB18_36:                              ;   in Loop: Header=BB18_37 Depth=1
	s_addk_i32 s19, 0xffbc
	v_mov_b32_e32 v2, s19
	ds_read_b32 v2, v2
	s_add_i32 s19, s7, -4
	s_addk_i32 s5, 0xff00
	s_addk_i32 s16, 0xff00
	;; [unrolled: 1-line block ×4, first 2 shown]
	s_waitcnt lgkmcnt(0)
	v_mul_f32_e32 v2, v4, v2
	s_cmp_lt_i32 s7, 4
	s_mov_b32 s7, s19
	ds_write_b32 v5, v2
	s_cbranch_scc1 .LBB18_45
.LBB18_37:                              ; =>This Loop Header: Depth=1
                                        ;     Child Loop BB18_38 Depth 2
                                        ;     Child Loop BB18_40 Depth 2
	;; [unrolled: 1-line block ×4, first 2 shown]
	s_lshl_b32 s20, s7, 6
	v_add_u32_e32 v6, s20, v1
	ds_read_b32 v2, v6
	s_cmp_le_i32 s4, s7
	v_mov_b32_e32 v4, v3
	s_mov_b32 s19, s5
	s_mov_b32 s21, s4
	s_cbranch_scc1 .LBB18_39
.LBB18_38:                              ;   Parent Loop BB18_37 Depth=1
                                        ; =>  This Inner Loop Header: Depth=2
	v_mov_b32_e32 v7, s19
	ds_read_b32 v5, v4
	ds_read_b32 v7, v7
	s_add_i32 s21, s21, -1
	s_add_i32 s19, s19, -4
	v_subrev_u32_e32 v4, 64, v4
	s_cmp_gt_i32 s21, s7
	s_waitcnt lgkmcnt(0)
	v_fma_f32 v2, -v5, v7, v2
	s_cbranch_scc1 .LBB18_38
.LBB18_39:                              ;   in Loop: Header=BB18_37 Depth=1
	s_mul_i32 s19, s7, 0x44
	v_mov_b32_e32 v4, s19
	ds_read_b32 v7, v4
	s_sub_i32 s20, s20, 64
	v_add_u32_e32 v5, s20, v1
	ds_read_b32 v4, v5
	s_cmp_le_i32 s26, s7
	s_waitcnt lgkmcnt(1)
	v_mul_f32_e32 v2, v2, v7
	ds_write_b32 v6, v2
	v_mov_b32_e32 v2, v3
	s_mov_b32 s20, s16
	s_mov_b32 s21, s26
	s_cbranch_scc1 .LBB18_41
.LBB18_40:                              ;   Parent Loop BB18_37 Depth=1
                                        ; =>  This Inner Loop Header: Depth=2
	v_mov_b32_e32 v7, s20
	ds_read_b32 v6, v2
	ds_read_b32 v7, v7
	s_add_i32 s21, s21, -1
	s_add_i32 s20, s20, -4
	v_subrev_u32_e32 v2, 64, v2
	s_cmp_gt_i32 s21, s7
	s_waitcnt lgkmcnt(0)
	v_fma_f32 v4, -v6, v7, v4
	s_cbranch_scc1 .LBB18_40
.LBB18_41:                              ;   in Loop: Header=BB18_37 Depth=1
	s_addk_i32 s19, 0xffbc
	v_mov_b32_e32 v2, s19
	s_add_i32 s20, s7, -2
	ds_read_b32 v7, v2
	s_lshl_b32 s21, s20, 6
	v_add_u32_e32 v6, s21, v1
	ds_read_b32 v2, v6
	s_cmp_le_i32 s4, s20
	s_waitcnt lgkmcnt(1)
	v_mul_f32_e32 v4, v4, v7
	ds_write_b32 v5, v4
	v_mov_b32_e32 v4, v3
	s_mov_b32 s21, s17
	s_mov_b32 s24, s4
	s_cbranch_scc1 .LBB18_43
.LBB18_42:                              ;   Parent Loop BB18_37 Depth=1
                                        ; =>  This Inner Loop Header: Depth=2
	v_mov_b32_e32 v7, s21
	ds_read_b32 v5, v4
	ds_read_b32 v7, v7
	s_add_i32 s24, s24, -1
	s_add_i32 s21, s21, -4
	v_subrev_u32_e32 v4, 64, v4
	s_cmp_gt_i32 s24, s20
	s_waitcnt lgkmcnt(0)
	v_fma_f32 v2, -v5, v7, v2
	s_cbranch_scc1 .LBB18_42
.LBB18_43:                              ;   in Loop: Header=BB18_37 Depth=1
	s_addk_i32 s19, 0xffbc
	v_mov_b32_e32 v4, s19
	s_add_i32 s20, s7, -3
	ds_read_b32 v7, v4
	s_lshl_b32 s21, s20, 6
	v_add_u32_e32 v5, s21, v1
	ds_read_b32 v4, v5
	s_cmp_le_i32 s4, s20
	s_waitcnt lgkmcnt(1)
	v_mul_f32_e32 v2, v2, v7
	ds_write_b32 v6, v2
	v_mov_b32_e32 v2, v3
	s_mov_b32 s21, s18
	s_mov_b32 s24, s4
	s_cbranch_scc1 .LBB18_36
.LBB18_44:                              ;   Parent Loop BB18_37 Depth=1
                                        ; =>  This Inner Loop Header: Depth=2
	v_mov_b32_e32 v7, s21
	ds_read_b32 v6, v2
	ds_read_b32 v7, v7
	s_add_i32 s24, s24, -1
	s_add_i32 s21, s21, -4
	v_subrev_u32_e32 v2, 64, v2
	s_cmp_gt_i32 s24, s20
	s_waitcnt lgkmcnt(0)
	v_fma_f32 v4, -v6, v7, v4
	s_cbranch_scc1 .LBB18_44
	s_branch .LBB18_36
.LBB18_45:
	s_mov_b64 s[4:5], 0
.LBB18_46:
	s_and_b64 vcc, exec, s[4:5]
	s_cbranch_vccz .LBB18_60
; %bb.47:
	s_cmp_gt_i32 s6, 15
	s_cselect_b64 s[4:5], -1, 0
	s_mov_b32 s7, 0
	s_and_b64 vcc, exec, s[4:5]
	s_cbranch_vccz .LBB18_49
; %bb.48:
	ds_read2_b32 v[12:13], v1 offset1:16
	ds_read2_b32 v[30:31], v1 offset0:64 offset1:80
	ds_read2_b32 v[32:33], v1 offset0:96 offset1:112
	ds_read2_b32 v[34:35], v1 offset0:192 offset1:208
	ds_read2_b32 v[36:37], v1 offset0:224 offset1:240
	v_mov_b32_e32 v16, 0
	ds_read2_b32 v[38:39], v16 offset0:19 offset1:20
	ds_read2_b32 v[40:41], v16 offset0:21 offset1:22
	ds_read_b128 v[18:21], v16
	ds_read_b128 v[6:9], v16 offset:16
	ds_read_b128 v[22:25], v16 offset:32
	;; [unrolled: 1-line block ×3, first 2 shown]
	ds_read2_b32 v[42:43], v16 offset0:23 offset1:24
	s_waitcnt lgkmcnt(4)
	v_mul_f32_e32 v12, v12, v18
	ds_read2_b32 v[10:11], v16 offset0:53 offset1:54
	ds_read2_b32 v[14:15], v16 offset0:55 offset1:56
	ds_read2_b64 v[26:29], v16 offset0:19 offset1:20
	s_waitcnt lgkmcnt(4)
	v_fma_f32 v47, -v12, v4, v36
	v_fma_f32 v50, -v12, v5, v37
	ds_read2_b32 v[36:37], v1 offset0:128 offset1:144
	v_mov_b32_e32 v46, v38
	v_mov_b32_e32 v38, v6
	s_waitcnt lgkmcnt(3)
	v_mov_b32_e32 v6, v10
	v_fma_f32 v17, -v12, v2, v34
	v_fma_f32 v45, -v12, v3, v35
	ds_read_b128 v[2:5], v16 offset:272
	ds_read2_b32 v[34:35], v16 offset0:25 offset1:26
	s_waitcnt lgkmcnt(3)
	v_mov_b32_e32 v10, v26
	v_mov_b32_e32 v26, v42
	;; [unrolled: 1-line block ×3, first 2 shown]
	s_waitcnt lgkmcnt(2)
	v_fma_f32 v54, -v12, v23, v37
	ds_read2_b32 v[22:23], v1 offset0:160 offset1:176
	v_mov_b32_e32 v44, v40
	v_mov_b32_e32 v40, v8
	s_waitcnt lgkmcnt(2)
	v_mov_b32_e32 v8, v4
	v_mov_b32_e32 v4, v14
	;; [unrolled: 1-line block ×3, first 2 shown]
	s_waitcnt lgkmcnt(1)
	v_mov_b32_e32 v28, v34
	v_mov_b32_e32 v34, v24
	s_waitcnt lgkmcnt(0)
	v_fma_f32 v55, -v12, v25, v23
	v_fma_f32 v13, -v12, v19, v13
	ds_read2_b32 v[18:19], v1 offset0:32 offset1:48
	ds_read2_b32 v[24:25], v16 offset0:17 offset1:18
	;; [unrolled: 1-line block ×3, first 2 shown]
	v_fma_f32 v7, -v12, v7, v31
	v_fma_f32 v9, -v12, v9, v33
	s_waitcnt lgkmcnt(2)
	v_fma_f32 v56, -v12, v21, v19
	s_waitcnt lgkmcnt(1)
	v_mul_f32_e32 v13, v13, v24
	v_mov_b32_e32 v21, v25
	v_pk_mul_f32 v[20:21], v[12:13], v[20:21]
	v_pk_mul_f32 v[24:25], v[12:13], v[40:41]
	v_sub_f32_e32 v18, v18, v20
	v_sub_f32_e32 v37, v18, v21
	v_pk_mul_f32 v[18:19], v[12:13], v[38:39]
	v_sub_f32_e32 v23, v32, v24
	v_sub_f32_e32 v18, v30, v18
	;; [unrolled: 1-line block ×3, first 2 shown]
	v_pk_mul_f32 v[24:25], v[12:13], v[42:43]
	v_pk_mul_f32 v[30:31], v[12:13], v[34:35]
	v_sub_f32_e32 v23, v36, v24
	v_sub_f32_e32 v30, v22, v30
	;; [unrolled: 1-line block ×3, first 2 shown]
	ds_read_b128 v[18:21], v16 offset:288
	ds_read2_b32 v[38:39], v16 offset0:87 offset1:88
	v_sub_f32_e32 v58, v23, v25
	ds_read2_b64 v[22:25], v16 offset0:21 offset1:22
	v_sub_f32_e32 v59, v30, v31
	ds_read2_b32 v[30:31], v16 offset0:27 offset1:28
	s_waitcnt lgkmcnt(2)
	v_mov_b32_e32 v40, v38
	v_mov_b32_e32 v38, v18
	;; [unrolled: 1-line block ×3, first 2 shown]
	s_waitcnt lgkmcnt(1)
	v_mov_b32_e32 v48, v22
	s_waitcnt lgkmcnt(0)
	v_mov_b32_e32 v22, v30
	v_fma_f32 v17, -v13, v31, v17
	ds_read2_b32 v[30:31], v16 offset0:29 offset1:30
	ds_write2_b32 v1, v12, v13 offset1:16
	v_mov_b32_e32 v42, v13
	s_mov_b32 s7, 16
	s_waitcnt lgkmcnt(1)
	v_fma_f32 v45, -v13, v30, v45
	ds_read_b32 v30, v16 offset:124
	v_fma_f32 v60, -v13, v31, v47
	s_waitcnt lgkmcnt(0)
	v_fma_f32 v61, -v13, v30, v50
	ds_read2_b64 v[30:33], v16 offset0:17 offset1:18
	s_waitcnt lgkmcnt(0)
	v_mul_f32_e32 v43, v37, v30
	ds_read2_b32 v[50:51], v16 offset0:89 offset1:90
	ds_read2_b64 v[34:37], v16 offset0:51 offset1:52
	ds_read2_b32 v[52:53], v16 offset0:59 offset1:60
	v_mov_b32_e32 v47, v31
	v_fma_f32 v13, -v43, v25, v45
	v_mov_b32_e32 v45, v33
	s_waitcnt lgkmcnt(1)
	v_mov_b32_e32 v12, v36
	v_mov_b32_e32 v36, v50
	v_mov_b32_e32 v50, v20
	s_waitcnt lgkmcnt(0)
	v_mov_b32_e32 v20, v52
	v_mov_b32_e32 v52, v24
	v_pk_mul_f32 v[24:25], v[42:43], v[46:47]
	v_pk_mul_f32 v[26:27], v[42:43], v[26:27]
	v_sub_f32_e32 v24, v56, v24
	v_sub_f32_e32 v30, v24, v25
	v_pk_mul_f32 v[24:25], v[42:43], v[44:45]
	v_pk_mul_f32 v[22:23], v[42:43], v[22:23]
	v_sub_f32_e32 v7, v7, v24
	v_sub_f32_e32 v56, v7, v25
	v_pk_mul_f32 v[24:25], v[42:43], v[28:29]
	v_sub_f32_e32 v7, v9, v26
	v_sub_f32_e32 v9, v7, v27
	;; [unrolled: 1-line block ×6, first 2 shown]
	ds_read_b64 v[22:23], v16 offset:184
	s_waitcnt lgkmcnt(0)
	v_fma_f32 v7, -v43, v22, v60
	v_fma_f32 v44, -v43, v23, v61
	ds_read2_b32 v[22:23], v16 offset0:51 offset1:52
	s_waitcnt lgkmcnt(0)
	v_mov_b32_e32 v33, v23
	v_mul_f32_e32 v31, v30, v22
	v_mov_b32_e32 v30, v43
	v_pk_mul_f32 v[22:23], v[30:31], v[32:33]
	v_pk_mul_f32 v[24:25], v[30:31], v[48:49]
	;; [unrolled: 1-line block ×3, first 2 shown]
	ds_write2_b32 v1, v43, v31 offset0:32 offset1:48
	v_sub_f32_e32 v24, v59, v24
	v_sub_f32_e32 v14, v58, v14
	;; [unrolled: 1-line block ×3, first 2 shown]
	ds_read2_b32 v[42:43], v16 offset0:91 offset1:92
	v_sub_f32_e32 v45, v22, v23
	v_sub_f32_e32 v57, v14, v15
	;; [unrolled: 1-line block ×3, first 2 shown]
	ds_read2_b32 v[14:15], v16 offset0:121 offset1:122
	ds_read2_b64 v[22:25], v16 offset0:53 offset1:54
	ds_read_b128 v[26:29], v16 offset:304
	ds_read2_b32 v[32:33], v16 offset0:61 offset1:62
	v_pk_mul_f32 v[10:11], v[30:31], v[10:11]
	v_mul_f32_e32 v45, v45, v2
	v_sub_f32_e32 v10, v41, v10
	v_sub_f32_e32 v41, v10, v11
	v_pk_mul_f32 v[10:11], v[30:31], v[52:53]
	s_nop 0
	v_sub_f32_e32 v10, v17, v10
	s_waitcnt lgkmcnt(0)
	v_fma_f32 v17, -v31, v33, v7
	ds_read_b32 v7, v16 offset:252
	v_sub_f32_e32 v11, v10, v11
	v_mov_b32_e32 v10, v14
	v_mov_b32_e32 v14, v22
	v_mov_b32_e32 v22, v42
	s_waitcnt lgkmcnt(0)
	v_fma_f32 v7, -v31, v7, v44
	v_mov_b32_e32 v44, v31
	v_pk_mul_f32 v[4:5], v[44:45], v[4:5]
	v_mov_b32_e32 v42, v26
	v_mov_b32_e32 v26, v32
	v_fma_f32 v52, -v45, v29, v7
	v_pk_mul_f32 v[18:19], v[44:45], v[18:19]
	v_mov_b32_e32 v7, v3
	v_sub_f32_e32 v4, v9, v4
	v_pk_mul_f32 v[26:27], v[44:45], v[26:27]
	v_pk_mul_f32 v[20:21], v[44:45], v[20:21]
	;; [unrolled: 1-line block ×3, first 2 shown]
	v_sub_f32_e32 v53, v4, v5
	v_sub_f32_e32 v4, v54, v18
	;; [unrolled: 1-line block ×6, first 2 shown]
	ds_read2_b32 v[46:47], v16 offset0:123 offset1:124
	ds_read_b128 v[30:33], v16 offset:544
	ds_read2_b32 v[48:49], v16 offset0:93 offset1:94
	v_sub_f32_e32 v55, v4, v21
	v_sub_f32_e32 v56, v6, v27
	ds_read2_b32 v[26:27], v16 offset0:95 offset1:96
	ds_read2_b32 v[4:5], v16 offset0:85 offset1:86
	v_sub_f32_e32 v3, v3, v7
	s_waitcnt lgkmcnt(3)
	v_mov_b32_e32 v2, v32
	v_mov_b32_e32 v32, v46
	;; [unrolled: 1-line block ×3, first 2 shown]
	s_waitcnt lgkmcnt(0)
	v_mov_b32_e32 v9, v5
	v_mul_f32_e32 v5, v3, v4
	v_mov_b32_e32 v4, v45
	v_pk_mul_f32 v[6:7], v[4:5], v[8:9]
	v_mov_b32_e32 v24, v48
	v_mov_b32_e32 v48, v28
	v_sub_f32_e32 v3, v41, v6
	v_sub_f32_e32 v3, v3, v7
	v_pk_mul_f32 v[6:7], v[4:5], v[38:39]
	v_pk_mul_f32 v[38:39], v[4:5], v[48:49]
	;; [unrolled: 1-line block ×3, first 2 shown]
	v_mov_b32_e32 v42, v5
	v_mul_f32_e32 v43, v3, v34
	v_mov_b32_e32 v41, v35
	v_sub_f32_e32 v13, v17, v38
	ds_write2_b32 v1, v45, v5 offset0:64 offset1:80
	ds_read2_b32 v[28:29], v16 offset0:125 offset1:126
	ds_read2_b32 v[8:9], v16 offset0:127 offset1:128
	v_pk_mul_f32 v[34:35], v[42:43], v[36:37]
	v_pk_mul_f32 v[44:45], v[42:43], v[22:23]
	;; [unrolled: 1-line block ×3, first 2 shown]
	v_sub_f32_e32 v41, v13, v39
	ds_read2_b32 v[38:39], v16 offset0:155 offset1:156
	ds_read2_b32 v[36:37], v16 offset0:119 offset1:120
	v_pk_mul_f32 v[20:21], v[4:5], v[50:51]
	v_sub_f32_e32 v3, v11, v18
	v_sub_f32_e32 v11, v58, v20
	;; [unrolled: 1-line block ×6, first 2 shown]
	ds_read2_b64 v[18:21], v16 offset0:55 offset1:87
	v_sub_f32_e32 v17, v17, v23
	v_sub_f32_e32 v50, v13, v35
	v_sub_f32_e32 v13, v55, v44
	v_sub_f32_e32 v6, v57, v6
	v_sub_f32_e32 v51, v13, v45
	s_waitcnt lgkmcnt(1)
	v_mov_b32_e32 v13, v37
	v_mul_f32_e32 v37, v17, v36
	v_mov_b32_e32 v36, v43
	v_sub_f32_e32 v9, v6, v7
	v_pk_mul_f32 v[12:13], v[36:37], v[12:13]
	ds_read_b128 v[4:7], v16 offset:560
	v_sub_f32_e32 v9, v9, v12
	v_pk_mul_f32 v[48:49], v[42:43], v[24:25]
	v_sub_f32_e32 v9, v9, v13
	v_pk_mul_f32 v[12:13], v[36:37], v[14:15]
	s_waitcnt lgkmcnt(1)
	v_mov_b32_e32 v27, v19
	v_sub_f32_e32 v17, v56, v48
	v_sub_f32_e32 v11, v11, v12
	v_sub_f32_e32 v17, v17, v49
	v_pk_mul_f32 v[26:27], v[42:43], v[26:27]
	v_sub_f32_e32 v49, v11, v13
	ds_read_b128 v[12:15], v16 offset:816
	ds_read2_b32 v[44:45], v16 offset0:221 offset1:222
	v_mov_b32_e32 v19, v29
	v_sub_f32_e32 v26, v52, v26
	v_pk_mul_f32 v[46:47], v[36:37], v[46:47]
	ds_read2_b64 v[22:25], v16 offset0:85 offset1:86
	ds_read2_b32 v[34:35], v16 offset0:187 offset1:188
	v_mov_b32_e32 v40, v38
	v_sub_f32_e32 v48, v26, v27
	ds_read2_b32 v[26:27], v16 offset0:157 offset1:158
	s_waitcnt lgkmcnt(5)
	v_mov_b32_e32 v38, v4
	v_mov_b32_e32 v4, v28
	ds_read2_b32 v[28:29], v16 offset0:153 offset1:154
	ds_write2_b32 v1, v43, v37 offset0:96 offset1:112
	ds_read2_b32 v[42:43], v16 offset0:159 offset1:160
	v_mov_b32_e32 v11, v31
	v_mul_f32_e32 v31, v9, v30
	v_mov_b32_e32 v30, v37
	v_sub_f32_e32 v3, v3, v46
	v_pk_mul_f32 v[18:19], v[36:37], v[18:19]
	s_waitcnt lgkmcnt(0)
	v_mov_b32_e32 v43, v21
	v_sub_f32_e32 v21, v3, v47
	v_sub_f32_e32 v3, v41, v18
	v_pk_mul_f32 v[10:11], v[30:31], v[10:11]
	v_pk_mul_f32 v[32:33], v[30:31], v[32:33]
	ds_read2_b32 v[46:47], v16 offset0:189 offset1:190
	v_sub_f32_e32 v36, v3, v19
	ds_read2_b32 v[18:19], v16 offset0:191 offset1:192
	v_sub_f32_e32 v3, v50, v10
	s_waitcnt lgkmcnt(0)
	v_mov_b32_e32 v19, v15
	v_sub_f32_e32 v15, v3, v11
	v_sub_f32_e32 v3, v51, v32
	v_pk_mul_f32 v[4:5], v[30:31], v[4:5]
	v_sub_f32_e32 v37, v3, v33
	v_sub_f32_e32 v3, v17, v4
	v_mov_b32_e32 v9, v7
	v_sub_f32_e32 v50, v3, v5
	v_mov_b32_e32 v4, v24
	v_mov_b32_e32 v24, v26
	;; [unrolled: 1-line block ×4, first 2 shown]
	v_mul_f32_e32 v27, v15, v28
	v_mov_b32_e32 v26, v31
	v_pk_mul_f32 v[2:3], v[26:27], v[2:3]
	v_pk_mul_f32 v[8:9], v[30:31], v[8:9]
	v_sub_f32_e32 v2, v49, v2
	v_sub_f32_e32 v2, v2, v3
	v_mov_b32_e32 v41, v23
	v_sub_f32_e32 v8, v48, v8
	v_mul_f32_e32 v3, v2, v22
	v_mov_b32_e32 v2, v27
	v_pk_mul_f32 v[6:7], v[26:27], v[6:7]
	v_sub_f32_e32 v15, v8, v9
	v_pk_mul_f32 v[8:9], v[2:3], v[40:41]
	ds_read_b64 v[10:11], v16 offset:952
	ds_read_b32 v51, v16 offset:1020
	ds_read2_b32 v[16:17], v16 offset0:223 offset1:224
	v_sub_f32_e32 v6, v36, v6
	v_sub_f32_e32 v8, v37, v8
	v_pk_mul_f32 v[22:23], v[2:3], v[24:25]
	v_pk_mul_f32 v[32:33], v[26:27], v[38:39]
	s_waitcnt lgkmcnt(0)
	v_sub_f32_e32 v17, v50, v22
	v_sub_f32_e32 v22, v6, v7
	;; [unrolled: 1-line block ×3, first 2 shown]
	v_mov_b32_e32 v5, v35
	v_mov_b32_e32 v29, v13
	v_sub_f32_e32 v13, v21, v32
	v_mul_f32_e32 v7, v6, v34
	v_mov_b32_e32 v6, v3
	v_mov_b32_e32 v21, v47
	v_sub_f32_e32 v13, v13, v33
	v_pk_mul_f32 v[4:5], v[6:7], v[4:5]
	v_pk_mul_f32 v[8:9], v[6:7], v[20:21]
	;; [unrolled: 1-line block ×3, first 2 shown]
	v_sub_f32_e32 v4, v13, v4
	v_sub_f32_e32 v2, v15, v20
	v_sub_f32_e32 v13, v17, v23
	v_sub_f32_e32 v17, v2, v21
	v_sub_f32_e32 v2, v4, v5
	v_mov_b32_e32 v28, v46
	ds_write2_b32 v1, v3, v7 offset0:160 offset1:176
	v_mul_f32_e32 v3, v2, v12
	v_mov_b32_e32 v2, v7
	v_pk_mul_f32 v[4:5], v[2:3], v[28:29]
	v_sub_f32_e32 v6, v22, v8
	v_sub_f32_e32 v4, v13, v4
	;; [unrolled: 1-line block ×3, first 2 shown]
	v_mul_f32_e32 v5, v4, v44
	v_mov_b32_e32 v4, v3
	v_mov_b32_e32 v15, v45
	v_sub_f32_e32 v8, v6, v9
	v_pk_mul_f32 v[6:7], v[4:5], v[14:15]
	ds_write2_b32 v1, v3, v5 offset0:192 offset1:208
	v_sub_f32_e32 v4, v8, v6
	v_pk_mul_f32 v[8:9], v[2:3], v[18:19]
	ds_write2_b32 v1, v31, v27 offset0:128 offset1:144
	v_sub_f32_e32 v2, v17, v8
	v_sub_f32_e32 v6, v2, v9
	;; [unrolled: 1-line block ×3, first 2 shown]
	v_mul_f32_e32 v3, v2, v10
	v_mov_b32_e32 v2, v5
	v_mov_b32_e32 v17, v11
	v_pk_mul_f32 v[4:5], v[2:3], v[16:17]
	s_nop 0
	v_sub_f32_e32 v2, v6, v4
	v_sub_f32_e32 v2, v2, v5
	v_mul_f32_e32 v2, v2, v51
	ds_write2_b32 v1, v3, v2 offset0:224 offset1:240
.LBB18_49:
	s_cmp_lt_i32 s7, s26
	s_cbranch_scc0 .LBB18_60
; %bb.50:
	s_or_b32 s17, s7, 11
	s_cmp_ge_u32 s17, s26
	s_cbranch_scc1 .LBB18_55
; %bb.51:
	s_lshl_b32 s16, s7, 6
	v_add_u32_e32 v16, s16, v1
	ds_read2_b32 v[12:13], v16 offset1:16
	ds_read2_b32 v[10:11], v16 offset0:32 offset1:48
	ds_read2_b32 v[8:9], v16 offset0:64 offset1:80
	;; [unrolled: 1-line block ×4, first 2 shown]
	s_lshl_b32 s17, s17, 6
	v_add_u32_e32 v17, s17, v1
	ds_read_b32 v4, v16 offset:640
	ds_read_b32 v5, v17
	s_andn2_b64 vcc, exec, s[4:5]
	s_lshl_b32 s4, s7, 2
	s_cbranch_vccnz .LBB18_54
; %bb.52:
	v_mov_b32_e32 v14, 0x400
	v_lshl_or_b32 v14, v0, 2, v14
	s_mov_b32 s5, s4
	s_mov_b32 s17, s7
.LBB18_53:                              ; =>This Inner Loop Header: Depth=1
	v_mov_b32_e32 v15, s5
	ds_read_b32 v30, v14
	ds_read_b128 v[18:21], v15
	ds_read_b128 v[22:25], v15 offset:16
	ds_read_b128 v[26:29], v15 offset:32
	s_add_i32 s17, s17, -1
	s_add_i32 s5, s5, 64
	v_add_u32_e32 v14, 64, v14
	s_cmp_lg_u32 s17, 0
	s_waitcnt lgkmcnt(2)
	v_pk_fma_f32 v[12:13], v[30:31], v[18:19], v[12:13] op_sel_hi:[0,1,1] neg_lo:[1,0,0] neg_hi:[1,0,0]
	v_pk_fma_f32 v[10:11], v[30:31], v[20:21], v[10:11] op_sel_hi:[0,1,1] neg_lo:[1,0,0] neg_hi:[1,0,0]
	s_waitcnt lgkmcnt(1)
	v_pk_fma_f32 v[8:9], v[30:31], v[22:23], v[8:9] op_sel_hi:[0,1,1] neg_lo:[1,0,0] neg_hi:[1,0,0]
	v_pk_fma_f32 v[6:7], v[30:31], v[24:25], v[6:7] op_sel_hi:[0,1,1] neg_lo:[1,0,0] neg_hi:[1,0,0]
	;; [unrolled: 3-line block ×3, first 2 shown]
	s_cbranch_scc1 .LBB18_53
.LBB18_54:
	s_add_i32 s5, s4, s16
	v_mov_b32_e32 v66, s5
	s_or_b32 s5, s16, 64
	ds_read_b128 v[18:21], v66
	ds_read_b128 v[22:25], v66 offset:16
	s_add_i32 s17, s4, s5
	v_mov_b32_e32 v34, s17
	ds_read2_b64 v[26:29], v66 offset0:17 offset1:18
	ds_read2_b32 v[38:39], v66 offset0:51 offset1:52
	s_or_b32 s18, s16, 0x80
	s_or_b32 s19, s16, 0xc0
	ds_read_b128 v[30:33], v66 offset:272
	ds_read2_b32 v[14:15], v66 offset0:85 offset1:86
	ds_read2_b32 v[40:41], v34 offset0:3 offset1:4
	;; [unrolled: 1-line block ×5, first 2 shown]
	s_add_i32 s17, s4, s18
	s_add_i32 s20, s4, s19
	v_mov_b32_e32 v35, s20
	v_mov_b32_e32 v49, s17
	s_waitcnt lgkmcnt(9)
	v_mul_f32_e32 v12, v12, v18
	s_waitcnt lgkmcnt(7)
	v_mov_b32_e32 v48, v28
	s_waitcnt lgkmcnt(3)
	v_mov_b32_e32 v50, v40
	v_mov_b32_e32 v40, v22
	s_waitcnt lgkmcnt(2)
	v_mov_b32_e32 v28, v42
	v_mov_b32_e32 v42, v24
	v_fma_f32 v59, -v12, v23, v9
	v_fma_f32 v61, -v12, v25, v7
	ds_read2_b32 v[52:53], v35 offset0:7 offset1:8
	ds_read2_b32 v[54:55], v35 offset0:5 offset1:6
	;; [unrolled: 1-line block ×3, first 2 shown]
	ds_read_b32 v18, v34 offset:44
	ds_read_b32 v60, v35 offset:44
	ds_read2_b64 v[22:25], v49 offset0:3 offset1:4
	ds_read2_b32 v[64:65], v66 offset0:17 offset1:18
	ds_read_b128 v[34:37], v66 offset:32
	s_waitcnt lgkmcnt(6)
	v_mov_b32_e32 v62, v54
	v_mov_b32_e32 v58, v32
	;; [unrolled: 1-line block ×3, first 2 shown]
	s_waitcnt lgkmcnt(2)
	v_mov_b32_e32 v54, v22
	v_mov_b32_e32 v22, v44
	s_waitcnt lgkmcnt(0)
	v_mov_b32_e32 v44, v34
	v_fma_f32 v34, -v12, v35, v3
	v_fma_f32 v3, -v12, v19, v13
	v_mov_b32_e32 v52, v24
	v_mov_b32_e32 v24, v46
	;; [unrolled: 1-line block ×3, first 2 shown]
	v_fma_f32 v36, -v12, v37, v5
	v_fma_f32 v5, -v12, v21, v11
	v_mul_f32_e32 v13, v3, v64
	v_mov_b32_e32 v21, v65
	v_pk_mul_f32 v[20:21], v[12:13], v[20:21]
	s_or_b32 s17, s16, 0x140
	v_sub_f32_e32 v3, v10, v20
	v_pk_mul_f32 v[10:11], v[12:13], v[40:41]
	v_sub_f32_e32 v3, v3, v21
	v_sub_f32_e32 v7, v8, v10
	;; [unrolled: 1-line block ×3, first 2 shown]
	v_add_u32_e32 v7, s5, v1
	v_pk_mul_f32 v[20:21], v[12:13], v[42:43]
	ds_write_b32 v7, v13
	ds_write_b32 v16, v12
	v_pk_mul_f32 v[8:9], v[12:13], v[46:47]
	v_pk_mul_f32 v[10:11], v[12:13], v[44:45]
	v_mov_b32_e32 v12, v13
	v_mul_f32_e32 v13, v3, v26
	v_mov_b32_e32 v51, v27
	v_sub_f32_e32 v3, v6, v20
	v_add_u32_e32 v46, s17, v1
	s_add_i32 s17, s4, s17
	v_pk_mul_f32 v[26:27], v[12:13], v[28:29]
	v_sub_f32_e32 v40, v3, v21
	v_mov_b32_e32 v28, s17
	v_sub_f32_e32 v8, v4, v8
	v_sub_f32_e32 v4, v2, v10
	v_pk_mul_f32 v[2:3], v[12:13], v[50:51]
	v_sub_f32_e32 v50, v4, v11
	v_sub_f32_e32 v2, v5, v2
	v_pk_mul_f32 v[4:5], v[12:13], v[22:23]
	v_pk_mul_f32 v[6:7], v[12:13], v[24:25]
	ds_read2_b32 v[20:21], v28 offset0:7 offset1:8
	ds_read2_b32 v[22:23], v28 offset0:9 offset1:10
	ds_read_b32 v24, v28 offset:44
	ds_read_b64 v[10:11], v49 offset:40
	v_add_u32_e32 v19, s18, v1
	s_or_b32 s5, s16, 0x100
	s_or_b32 s18, s16, 0x180
	v_add_u32_e32 v44, s5, v1
	s_add_i32 s5, s4, s5
	v_add_u32_e32 v47, s18, v1
	s_add_i32 s17, s4, s18
	s_or_b32 s18, s16, 0x1c0
	v_mov_b32_e32 v35, s5
	s_add_i32 s5, s4, s18
	v_sub_f32_e32 v25, v8, v9
	v_sub_f32_e32 v8, v2, v3
	;; [unrolled: 1-line block ×4, first 2 shown]
	ds_write_b32 v19, v13
	v_mov_b32_e32 v45, s5
	v_sub_f32_e32 v51, v2, v27
	v_sub_f32_e32 v64, v3, v5
	ds_read_b128 v[2:5], v35 offset:32
	ds_read2_b32 v[26:27], v45 offset0:9 offset1:10
	s_waitcnt lgkmcnt(3)
	v_mov_b32_e32 v19, v11
	v_sub_f32_e32 v6, v34, v6
	v_mov_b32_e32 v49, v39
	v_mul_f32_e32 v35, v8, v38
	v_mov_b32_e32 v34, v13
	v_sub_f32_e32 v65, v6, v7
	v_pk_mul_f32 v[6:7], v[12:13], v[18:19]
	v_pk_mul_f32 v[12:13], v[34:35], v[48:49]
	v_mov_b32_e32 v11, v57
	v_sub_f32_e32 v6, v36, v6
	v_sub_f32_e32 v12, v37, v12
	v_pk_mul_f32 v[36:37], v[34:35], v[54:55]
	v_add_u32_e32 v29, s19, v1
	v_sub_f32_e32 v36, v40, v36
	v_pk_mul_f32 v[40:41], v[34:35], v[10:11]
	v_sub_f32_e32 v10, v12, v13
	v_pk_mul_f32 v[38:39], v[34:35], v[52:53]
	v_mul_f32_e32 v43, v10, v30
	v_mov_b32_e32 v42, v35
	v_mov_b32_e32 v28, v20
	s_waitcnt lgkmcnt(1)
	v_mov_b32_e32 v20, v2
	v_mov_b32_e32 v2, v56
	v_sub_f32_e32 v56, v6, v7
	ds_read2_b64 v[6:9], v66 offset0:51 offset1:52
	ds_read2_b32 v[18:19], v66 offset0:119 offset1:120
	ds_write_b32 v29, v35
	v_mov_b32_e32 v63, v31
	v_pk_mul_f32 v[30:31], v[42:43], v[32:33]
	v_sub_f32_e32 v32, v50, v38
	ds_read_b128 v[10:13], v66 offset:544
	ds_read2_b32 v[34:35], v66 offset0:153 offset1:154
	s_or_b32 s5, s16, 0x240
	v_sub_f32_e32 v50, v32, v39
	v_sub_f32_e32 v25, v25, v40
	v_pk_mul_f32 v[38:39], v[42:43], v[62:63]
	v_mov_b32_e32 v29, s17
	s_add_i32 s4, s4, s5
	v_sub_f32_e32 v52, v25, v41
	v_sub_f32_e32 v25, v51, v38
	ds_read_b64 v[32:33], v29 offset:40
	v_mov_b32_e32 v61, v5
	v_mov_b32_e32 v5, s4
	v_sub_f32_e32 v29, v25, v39
	v_sub_f32_e32 v48, v36, v37
	ds_read_b64 v[36:37], v66 offset:680
	ds_read_b32 v38, v5 offset:44
	ds_read_b32 v40, v45 offset:44
	v_mov_b32_e32 v59, v15
	v_mul_f32_e32 v15, v29, v14
	v_sub_f32_e32 v5, v64, v30
	v_mov_b32_e32 v14, v43
	s_waitcnt lgkmcnt(5)
	v_mov_b32_e32 v41, v13
	v_sub_f32_e32 v13, v5, v31
	v_pk_mul_f32 v[30:31], v[14:15], v[58:59]
	v_mov_b32_e32 v29, v7
	v_sub_f32_e32 v7, v48, v30
	ds_write_b32 v44, v43
	v_mov_b32_e32 v44, v8
	v_pk_mul_f32 v[2:3], v[42:43], v[2:3]
	v_mov_b32_e32 v8, v22
	v_mov_b32_e32 v5, v23
	v_pk_mul_f32 v[22:23], v[42:43], v[60:61]
	v_sub_f32_e32 v7, v7, v31
	v_sub_f32_e32 v2, v65, v2
	v_pk_mul_f32 v[20:21], v[14:15], v[20:21]
	v_pk_mul_f32 v[4:5], v[14:15], v[4:5]
	v_sub_f32_e32 v14, v56, v22
	v_mul_f32_e32 v7, v7, v6
	v_mov_b32_e32 v6, v15
	v_mov_b32_e32 v45, v19
	v_sub_f32_e32 v19, v2, v3
	v_mov_b32_e32 v3, v11
	v_sub_f32_e32 v11, v50, v20
	v_sub_f32_e32 v20, v14, v23
	ds_write_b32 v46, v15
	v_pk_mul_f32 v[14:15], v[6:7], v[28:29]
	v_sub_f32_e32 v4, v52, v4
	v_sub_f32_e32 v13, v13, v14
	v_pk_mul_f32 v[8:9], v[6:7], v[8:9]
	s_waitcnt lgkmcnt(5)
	v_mov_b32_e32 v25, v33
	v_sub_f32_e32 v8, v19, v8
	v_sub_f32_e32 v19, v4, v5
	;; [unrolled: 1-line block ×3, first 2 shown]
	v_mul_f32_e32 v5, v4, v18
	v_mov_b32_e32 v4, v7
	v_sub_f32_e32 v11, v11, v21
	ds_write_b32 v47, v7
	v_pk_mul_f32 v[14:15], v[4:5], v[44:45]
	v_pk_mul_f32 v[6:7], v[6:7], v[24:25]
	v_sub_f32_e32 v11, v11, v14
	v_sub_f32_e32 v6, v20, v6
	;; [unrolled: 1-line block ×4, first 2 shown]
	v_mov_b32_e32 v2, v26
	v_mul_f32_e32 v7, v6, v10
	v_mov_b32_e32 v6, v5
	v_sub_f32_e32 v13, v8, v9
	v_pk_mul_f32 v[2:3], v[6:7], v[2:3]
	v_mov_b32_e32 v33, v27
	v_sub_f32_e32 v2, v13, v2
	v_pk_mul_f32 v[8:9], v[4:5], v[32:33]
	v_sub_f32_e32 v2, v2, v3
	v_add_u32_e32 v57, s18, v1
	v_sub_f32_e32 v4, v19, v8
	v_mul_f32_e32 v3, v2, v34
	v_mov_b32_e32 v2, v7
	v_mov_b32_e32 v13, v35
	ds_write_b32 v57, v5
	v_sub_f32_e32 v8, v4, v9
	v_pk_mul_f32 v[4:5], v[2:3], v[12:13]
	v_add_u32_e32 v49, s5, v1
	v_sub_f32_e32 v2, v8, v4
	s_waitcnt lgkmcnt(4)
	v_pk_mul_f32 v[8:9], v[6:7], v[40:41]
	v_sub_f32_e32 v2, v2, v5
	v_sub_f32_e32 v4, v14, v8
	ds_read_b32 v8, v66 offset:748
	v_sub_f32_e32 v6, v4, v9
	v_mul_f32_e32 v5, v2, v36
	v_mov_b32_e32 v4, v3
	v_mov_b32_e32 v39, v37
	ds_write_b32 v49, v3
	v_pk_mul_f32 v[2:3], v[4:5], v[38:39]
	s_or_b32 s7, s7, 12
	v_sub_f32_e32 v2, v6, v2
	v_sub_f32_e32 v2, v2, v3
	s_waitcnt lgkmcnt(1)
	v_mul_f32_e32 v2, v2, v8
	ds_write2_b32 v16, v7, v5 offset0:128 offset1:160
	ds_write_b32 v17, v2
.LBB18_55:
	s_cmp_ge_i32 s7, s26
	s_cbranch_scc1 .LBB18_60
; %bb.56:
	v_mov_b32_e32 v2, 0x400
	s_lshl_b32 s4, s7, 2
	v_lshl_or_b32 v2, v0, 2, v2
	s_branch .LBB18_58
.LBB18_57:                              ;   in Loop: Header=BB18_58 Depth=1
	s_lshl_b32 s16, s7, 2
	s_add_i32 s5, s16, s5
	v_mov_b32_e32 v5, s5
	ds_read_b32 v5, v5
	s_add_i32 s7, s7, 1
	s_add_i32 s4, s4, 4
	s_cmp_ge_i32 s7, s26
	s_waitcnt lgkmcnt(0)
	v_mul_f32_e32 v4, v4, v5
	ds_write_b32 v3, v4
	s_cbranch_scc1 .LBB18_60
.LBB18_58:                              ; =>This Loop Header: Depth=1
                                        ;     Child Loop BB18_59 Depth 2
	s_lshl_b32 s5, s7, 6
	v_add_u32_e32 v3, s5, v1
	ds_read_b32 v4, v3
	s_cmp_eq_u32 s7, 0
	v_mov_b32_e32 v5, v2
	s_mov_b32 s16, s4
	s_mov_b32 s17, s7
	s_cbranch_scc1 .LBB18_57
.LBB18_59:                              ;   Parent Loop BB18_58 Depth=1
                                        ; =>  This Inner Loop Header: Depth=2
	v_mov_b32_e32 v7, s16
	ds_read_b32 v6, v5
	ds_read_b32 v7, v7
	s_add_i32 s17, s17, -1
	s_add_i32 s16, s16, 64
	v_add_u32_e32 v5, 64, v5
	s_cmp_lg_u32 s17, 0
	s_waitcnt lgkmcnt(0)
	v_fma_f32 v4, -v6, v7, v4
	s_cbranch_scc1 .LBB18_59
	s_branch .LBB18_57
.LBB18_60:
	s_waitcnt lgkmcnt(0)
	; wave barrier
	s_and_saveexec_b64 s[4:5], s[0:1]
	s_cbranch_execz .LBB18_69
; %bb.61:
	s_andn2_b64 vcc, exec, s[14:15]
	s_cbranch_vccnz .LBB18_69
; %bb.62:
	s_cmp_eq_u32 s6, 1
	s_cbranch_scc1 .LBB18_66
; %bb.63:
	v_mad_i64_i32 v[2:3], s[0:1], s22, v0, 0
	v_lshl_add_u64 v[2:3], v[2:3], 2, s[2:3]
	s_and_b32 s2, s26, 30
	s_mov_b32 s0, 1
	s_mov_b32 s1, 0
	s_mov_b32 s3, s2
.LBB18_64:                              ; =>This Inner Loop Header: Depth=1
	v_lshl_add_u32 v4, s1, 6, v1
	v_lshl_add_u32 v5, s0, 6, v1
	ds_read_b32 v4, v4
	ds_read_b32 v5, v5
	s_add_i32 s1, s1, 2
	s_add_i32 s0, s0, 2
	s_add_i32 s3, s3, -2
	s_cmp_lg_u32 s3, 0
	s_waitcnt lgkmcnt(0)
	flat_store_dwordx2 v[2:3], v[4:5]
	v_lshl_add_u64 v[2:3], v[2:3], 0, 8
	s_cbranch_scc1 .LBB18_64
; %bb.65:
	s_cmp_lg_u32 s26, s2
	s_cselect_b64 s[0:1], -1, 0
	s_and_b64 vcc, exec, s[0:1]
	s_cbranch_vccnz .LBB18_67
	s_branch .LBB18_69
.LBB18_66:
	s_mov_b32 s2, 0
	s_cbranch_execz .LBB18_69
.LBB18_67:
	s_sub_i32 s0, s26, s2
	s_lshl_b32 s1, s2, 2
	s_add_u32 s1, s8, s1
	s_addc_u32 s3, s9, 0
	s_add_u32 s4, s1, s10
	v_lshlrev_b32_e32 v2, 2, v0
	v_mov_b32_e32 v3, 0
	s_addc_u32 s5, s3, s11
	v_lshl_add_u64 v[4:5], s[12:13], 2, v[2:3]
	v_mov_b64_e32 v[0:1], s[4:5]
	v_mad_u64_u32 v[0:1], s[4:5], v4, s22, v[0:1]
	v_mul_lo_u32 v3, v4, s23
	v_mul_lo_u32 v4, v5, s22
	v_lshl_or_b32 v2, s2, 6, v2
	v_add3_u32 v1, v4, v1, v3
	v_add_u32_e32 v2, 0x400, v2
.LBB18_68:                              ; =>This Inner Loop Header: Depth=1
	ds_read_b32 v3, v2
	s_add_i32 s0, s0, -1
	v_add_u32_e32 v2, 64, v2
	s_cmp_lg_u32 s0, 0
	s_waitcnt lgkmcnt(0)
	flat_store_dword v[0:1], v3
	v_lshl_add_u64 v[0:1], v[0:1], 0, 4
	s_cbranch_scc1 .LBB18_68
.LBB18_69:
	s_endpgm
	.section	.rodata,"a",@progbits
	.p2align	6, 0x0
	.amdhsa_kernel _ZL38rocblas_trsm_small_left_device_sharedBILi16ELi16ELb1EffPKPKfPKPfEv13rocblas_fill_18rocblas_operation_17rocblas_diagonal_iiT3_T4_lilT5_lili
		.amdhsa_group_segment_fixed_size 2048
		.amdhsa_private_segment_fixed_size 0
		.amdhsa_kernarg_size 352
		.amdhsa_user_sgpr_count 2
		.amdhsa_user_sgpr_dispatch_ptr 0
		.amdhsa_user_sgpr_queue_ptr 0
		.amdhsa_user_sgpr_kernarg_segment_ptr 1
		.amdhsa_user_sgpr_dispatch_id 0
		.amdhsa_user_sgpr_kernarg_preload_length 0
		.amdhsa_user_sgpr_kernarg_preload_offset 0
		.amdhsa_user_sgpr_private_segment_size 0
		.amdhsa_uses_dynamic_stack 0
		.amdhsa_enable_private_segment 0
		.amdhsa_system_sgpr_workgroup_id_x 1
		.amdhsa_system_sgpr_workgroup_id_y 0
		.amdhsa_system_sgpr_workgroup_id_z 1
		.amdhsa_system_sgpr_workgroup_info 0
		.amdhsa_system_vgpr_workitem_id 0
		.amdhsa_next_free_vgpr 67
		.amdhsa_next_free_sgpr 49
		.amdhsa_accum_offset 68
		.amdhsa_reserve_vcc 1
		.amdhsa_float_round_mode_32 0
		.amdhsa_float_round_mode_16_64 0
		.amdhsa_float_denorm_mode_32 3
		.amdhsa_float_denorm_mode_16_64 3
		.amdhsa_dx10_clamp 1
		.amdhsa_ieee_mode 1
		.amdhsa_fp16_overflow 0
		.amdhsa_tg_split 0
		.amdhsa_exception_fp_ieee_invalid_op 0
		.amdhsa_exception_fp_denorm_src 0
		.amdhsa_exception_fp_ieee_div_zero 0
		.amdhsa_exception_fp_ieee_overflow 0
		.amdhsa_exception_fp_ieee_underflow 0
		.amdhsa_exception_fp_ieee_inexact 0
		.amdhsa_exception_int_div_zero 0
	.end_amdhsa_kernel
	.section	.text._ZL38rocblas_trsm_small_left_device_sharedBILi16ELi16ELb1EffPKPKfPKPfEv13rocblas_fill_18rocblas_operation_17rocblas_diagonal_iiT3_T4_lilT5_lili,"axG",@progbits,_ZL38rocblas_trsm_small_left_device_sharedBILi16ELi16ELb1EffPKPKfPKPfEv13rocblas_fill_18rocblas_operation_17rocblas_diagonal_iiT3_T4_lilT5_lili,comdat
.Lfunc_end18:
	.size	_ZL38rocblas_trsm_small_left_device_sharedBILi16ELi16ELb1EffPKPKfPKPfEv13rocblas_fill_18rocblas_operation_17rocblas_diagonal_iiT3_T4_lilT5_lili, .Lfunc_end18-_ZL38rocblas_trsm_small_left_device_sharedBILi16ELi16ELb1EffPKPKfPKPfEv13rocblas_fill_18rocblas_operation_17rocblas_diagonal_iiT3_T4_lilT5_lili
                                        ; -- End function
	.set _ZL38rocblas_trsm_small_left_device_sharedBILi16ELi16ELb1EffPKPKfPKPfEv13rocblas_fill_18rocblas_operation_17rocblas_diagonal_iiT3_T4_lilT5_lili.num_vgpr, 67
	.set _ZL38rocblas_trsm_small_left_device_sharedBILi16ELi16ELb1EffPKPKfPKPfEv13rocblas_fill_18rocblas_operation_17rocblas_diagonal_iiT3_T4_lilT5_lili.num_agpr, 0
	.set _ZL38rocblas_trsm_small_left_device_sharedBILi16ELi16ELb1EffPKPKfPKPfEv13rocblas_fill_18rocblas_operation_17rocblas_diagonal_iiT3_T4_lilT5_lili.numbered_sgpr, 49
	.set _ZL38rocblas_trsm_small_left_device_sharedBILi16ELi16ELb1EffPKPKfPKPfEv13rocblas_fill_18rocblas_operation_17rocblas_diagonal_iiT3_T4_lilT5_lili.num_named_barrier, 0
	.set _ZL38rocblas_trsm_small_left_device_sharedBILi16ELi16ELb1EffPKPKfPKPfEv13rocblas_fill_18rocblas_operation_17rocblas_diagonal_iiT3_T4_lilT5_lili.private_seg_size, 0
	.set _ZL38rocblas_trsm_small_left_device_sharedBILi16ELi16ELb1EffPKPKfPKPfEv13rocblas_fill_18rocblas_operation_17rocblas_diagonal_iiT3_T4_lilT5_lili.uses_vcc, 1
	.set _ZL38rocblas_trsm_small_left_device_sharedBILi16ELi16ELb1EffPKPKfPKPfEv13rocblas_fill_18rocblas_operation_17rocblas_diagonal_iiT3_T4_lilT5_lili.uses_flat_scratch, 0
	.set _ZL38rocblas_trsm_small_left_device_sharedBILi16ELi16ELb1EffPKPKfPKPfEv13rocblas_fill_18rocblas_operation_17rocblas_diagonal_iiT3_T4_lilT5_lili.has_dyn_sized_stack, 0
	.set _ZL38rocblas_trsm_small_left_device_sharedBILi16ELi16ELb1EffPKPKfPKPfEv13rocblas_fill_18rocblas_operation_17rocblas_diagonal_iiT3_T4_lilT5_lili.has_recursion, 0
	.set _ZL38rocblas_trsm_small_left_device_sharedBILi16ELi16ELb1EffPKPKfPKPfEv13rocblas_fill_18rocblas_operation_17rocblas_diagonal_iiT3_T4_lilT5_lili.has_indirect_call, 0
	.section	.AMDGPU.csdata,"",@progbits
; Kernel info:
; codeLenInByte = 9888
; TotalNumSgprs: 55
; NumVgprs: 67
; NumAgprs: 0
; TotalNumVgprs: 67
; ScratchSize: 0
; MemoryBound: 0
; FloatMode: 240
; IeeeMode: 1
; LDSByteSize: 2048 bytes/workgroup (compile time only)
; SGPRBlocks: 6
; VGPRBlocks: 8
; NumSGPRsForWavesPerEU: 55
; NumVGPRsForWavesPerEU: 67
; AccumOffset: 68
; Occupancy: 7
; WaveLimiterHint : 0
; COMPUTE_PGM_RSRC2:SCRATCH_EN: 0
; COMPUTE_PGM_RSRC2:USER_SGPR: 2
; COMPUTE_PGM_RSRC2:TRAP_HANDLER: 0
; COMPUTE_PGM_RSRC2:TGID_X_EN: 1
; COMPUTE_PGM_RSRC2:TGID_Y_EN: 0
; COMPUTE_PGM_RSRC2:TGID_Z_EN: 1
; COMPUTE_PGM_RSRC2:TIDIG_COMP_CNT: 0
; COMPUTE_PGM_RSRC3_GFX90A:ACCUM_OFFSET: 16
; COMPUTE_PGM_RSRC3_GFX90A:TG_SPLIT: 0
	.section	.text._ZL30rocblas_trsm_small_left_deviceILi16ELi16ELb1EffPKPKfPKPfEv13rocblas_fill_18rocblas_operation_17rocblas_diagonal_iiT3_T4_lilT5_lili,"axG",@progbits,_ZL30rocblas_trsm_small_left_deviceILi16ELi16ELb1EffPKPKfPKPfEv13rocblas_fill_18rocblas_operation_17rocblas_diagonal_iiT3_T4_lilT5_lili,comdat
	.globl	_ZL30rocblas_trsm_small_left_deviceILi16ELi16ELb1EffPKPKfPKPfEv13rocblas_fill_18rocblas_operation_17rocblas_diagonal_iiT3_T4_lilT5_lili ; -- Begin function _ZL30rocblas_trsm_small_left_deviceILi16ELi16ELb1EffPKPKfPKPfEv13rocblas_fill_18rocblas_operation_17rocblas_diagonal_iiT3_T4_lilT5_lili
	.p2align	8
	.type	_ZL30rocblas_trsm_small_left_deviceILi16ELi16ELb1EffPKPKfPKPfEv13rocblas_fill_18rocblas_operation_17rocblas_diagonal_iiT3_T4_lilT5_lili,@function
_ZL30rocblas_trsm_small_left_deviceILi16ELi16ELb1EffPKPKfPKPfEv13rocblas_fill_18rocblas_operation_17rocblas_diagonal_iiT3_T4_lilT5_lili: ; @_ZL30rocblas_trsm_small_left_deviceILi16ELi16ELb1EffPKPKfPKPfEv13rocblas_fill_18rocblas_operation_17rocblas_diagonal_iiT3_T4_lilT5_lili
; %bb.0:
	s_load_dwordx4 s[8:11], s[0:1], 0x38
	s_load_dwordx4 s[4:7], s[0:1], 0x4
	s_load_dword s16, s[0:1], 0x14
	s_mov_b32 s20, s3
	s_mov_b32 s21, 0
	s_lshl_b64 s[24:25], s[20:21], 3
	s_waitcnt lgkmcnt(0)
	s_add_u32 s8, s8, s24
	s_addc_u32 s9, s9, s25
	s_load_dwordx2 s[8:9], s[8:9], 0x0
	s_min_i32 s17, s6, 16
	v_cmp_gt_i32_e32 vcc, s17, v0
	s_and_saveexec_b64 s[18:19], vcc
	s_cbranch_execz .LBB19_11
; %bb.1:
	s_load_dwordx4 s[12:15], s[0:1], 0x18
	s_load_dword s22, s[0:1], 0x28
	v_lshlrev_b32_e32 v2, 2, v0
	v_mov_b32_e32 v3, 0
	s_mov_b32 s3, 1
	s_waitcnt lgkmcnt(0)
	s_add_u32 s12, s12, s24
	s_addc_u32 s13, s13, s25
	s_load_dwordx2 s[12:13], s[12:13], 0x0
	s_cmp_lt_u32 s17, 2
	s_cselect_b64 s[26:27], -1, 0
	s_cmp_lg_u32 s22, 1
	s_cselect_b64 s[28:29], -1, 0
	s_or_b64 s[26:27], s[26:27], s[28:29]
	s_mov_b64 s[24:25], -1
	s_and_b64 vcc, exec, s[26:27]
	s_cbranch_vccnz .LBB19_5
; %bb.2:
	s_lshl_b64 s[20:21], s[14:15], 2
	s_waitcnt lgkmcnt(0)
	s_add_u32 s20, s12, s20
	s_addc_u32 s21, s13, s21
	v_lshl_add_u64 v[4:5], s[20:21], 0, v[2:3]
	s_and_b32 s21, s17, -2
	s_mov_b32 s20, 0
	s_mov_b32 s23, s21
.LBB19_3:                               ; =>This Inner Loop Header: Depth=1
	flat_load_dwordx2 v[6:7], v[4:5]
	v_lshl_or_b32 v1, s20, 6, v2
	v_lshl_or_b32 v3, s3, 6, v2
	s_add_i32 s20, s20, 2
	s_add_i32 s3, s3, 2
	s_add_i32 s23, s23, -2
	v_lshl_add_u64 v[4:5], v[4:5], 0, 8
	s_cmp_lg_u32 s23, 0
	s_waitcnt vmcnt(0) lgkmcnt(0)
	ds_write_b32 v1, v6
	ds_write_b32 v3, v7
	s_cbranch_scc1 .LBB19_3
; %bb.4:
	s_cmp_lg_u32 s17, s21
	s_cselect_b64 s[24:25], -1, 0
.LBB19_5:
	s_and_b64 vcc, exec, s[24:25]
	s_cbranch_vccz .LBB19_8
; %bb.6:
	s_ashr_i32 s23, s22, 31
	s_mul_hi_u32 s3, s22, s21
	s_mul_i32 s20, s23, s21
	s_add_i32 s25, s3, s20
	s_mul_i32 s24, s22, s21
	s_lshl_b64 s[24:25], s[24:25], 2
	s_lshl_b64 s[14:15], s[14:15], 2
	s_add_u32 s3, s24, s14
	s_addc_u32 s14, s25, s15
	s_waitcnt lgkmcnt(0)
	s_add_u32 s12, s12, s3
	v_mov_b32_e32 v3, 0
	s_addc_u32 s13, s13, s14
	v_lshl_add_u64 v[4:5], s[12:13], 0, v[2:3]
	s_lshl_b64 s[12:13], s[22:23], 2
	s_sub_i32 s3, s17, s21
	v_lshl_or_b32 v1, s21, 6, v2
.LBB19_7:                               ; =>This Inner Loop Header: Depth=1
	flat_load_dword v3, v[4:5]
	s_add_i32 s3, s3, -1
	v_lshl_add_u64 v[4:5], v[4:5], 0, s[12:13]
	s_cmp_eq_u32 s3, 0
	s_waitcnt vmcnt(0) lgkmcnt(0)
	ds_write_b32 v1, v3
	v_add_u32_e32 v1, 64, v1
	s_cbranch_scc0 .LBB19_7
.LBB19_8:
	v_lshlrev_b32_e32 v1, 6, v0
	s_cmpk_lg_i32 s5, 0x84
	v_mov_b32_e32 v3, 1.0
	v_add_u32_e32 v1, v2, v1
	s_cbranch_scc0 .LBB19_10
; %bb.9:
	ds_read_b32 v2, v1
	s_waitcnt lgkmcnt(0)
	v_div_scale_f32 v3, s[12:13], v2, v2, 1.0
	v_rcp_f32_e32 v4, v3
	v_div_scale_f32 v5, vcc, 1.0, v2, 1.0
	v_fma_f32 v6, -v3, v4, 1.0
	v_fmac_f32_e32 v4, v6, v4
	v_mul_f32_e32 v6, v5, v4
	v_fma_f32 v7, -v3, v6, v5
	v_fmac_f32_e32 v6, v7, v4
	v_fma_f32 v3, -v3, v6, v5
	v_div_fmas_f32 v3, v3, v4, v6
	v_div_fixup_f32 v3, v3, v2, 1.0
.LBB19_10:
	ds_write_b32 v1, v3
.LBB19_11:
	s_or_b64 exec, exec, s[18:19]
	s_load_dword s3, s[0:1], 0x60
	s_waitcnt lgkmcnt(0)
	; wave barrier
	s_add_i32 s5, s3, -1
	s_lshl_b32 s3, s2, 4
	s_sub_i32 s7, s7, s3
	s_cmp_ge_u32 s2, s5
	s_cselect_b32 s2, s7, 16
	v_cmp_gt_i32_e32 vcc, s2, v0
	s_and_saveexec_b64 s[12:13], vcc
	s_cbranch_execz .LBB19_53
; %bb.12:
	s_load_dword s2, s[0:1], 0x48
	s_lshl_b64 s[0:1], s[10:11], 2
	s_add_u32 s0, s8, s0
	v_add_u32_e32 v0, s3, v0
	s_addc_u32 s1, s9, s1
	s_waitcnt lgkmcnt(0)
	v_mad_i64_i32 v[0:1], s[2:3], s2, v0, 0
	v_lshl_add_u64 v[52:53], v[0:1], 2, s[0:1]
	s_cmpk_eq_i32 s4, 0x6f
	s_mov_b64 s[0:1], -1
	s_cbranch_scc1 .LBB19_39
; %bb.13:
	s_add_i32 s7, s17, -1
	s_cmp_gt_i32 s6, 15
	s_mov_b32 s0, -1
	s_cbranch_scc0 .LBB19_15
; %bb.14:
	flat_load_dwordx4 v[34:37], v[52:53] offset:48
	flat_load_dwordx4 v[38:41], v[52:53] offset:32
	;; [unrolled: 1-line block ×3, first 2 shown]
	flat_load_dwordx4 v[46:49], v[52:53]
	v_mov_b32_e32 v118, 0
	ds_read_b32 v15, v118 offset:1020
	ds_read2_b64 v[54:57], v118 offset0:111 offset1:119
	ds_read2_b32 v[90:91], v118 offset0:187 offset1:221
	ds_read_b128 v[58:61], v118 offset:816
	ds_read_b128 v[62:65], v118 offset:752
	ds_read2_b32 v[92:93], v118 offset0:170 offset1:175
	ds_read2_b32 v[30:31], v118 offset0:119 offset1:143
	;; [unrolled: 1-line block ×4, first 2 shown]
	ds_read2_b64 v[4:7], v118 offset0:28 offset1:31
	ds_read2_b32 v[18:19], v118 offset0:34 offset1:47
	ds_read2_b32 v[16:17], v118 offset0:15 offset1:17
	;; [unrolled: 1-line block ×6, first 2 shown]
	ds_read_b64 v[102:103], v118 offset:632
	ds_read2_b64 v[66:69], v118 offset0:77 offset1:78
	ds_read_b32 v119, v118 offset:612
	ds_read2_b32 v[104:105], v118 offset0:141 offset1:142
	ds_read_b96 v[86:88], v118 offset:544
	ds_read2_b32 v[106:107], v118 offset0:139 offset1:140
	ds_read2_b32 v[108:109], v118 offset0:9 offset1:10
	;; [unrolled: 1-line block ×5, first 2 shown]
	ds_read_b128 v[70:73], v118 offset:112
	ds_read2_b32 v[24:25], v118 offset0:35 offset1:36
	ds_read_b96 v[12:14], v118 offset:272
	ds_read_b128 v[0:3], v118 offset:208
	ds_read_b128 v[74:77], v118 offset:368
	ds_read2_b64 v[8:11], v118 offset0:43 offset1:44
	ds_read_b128 v[78:81], v118 offset:496
	ds_read_b128 v[82:85], v118 offset:480
	s_waitcnt lgkmcnt(0)
	v_mov_b32_e32 v117, v29
	v_mov_b32_e32 v50, s16
	;; [unrolled: 1-line block ×6, first 2 shown]
	s_waitcnt vmcnt(0)
	v_mul_f32_e32 v29, s16, v37
	v_mov_b32_e32 v37, v57
	v_mul_f32_e32 v51, v29, v15
	v_pk_mul_f32 v[36:37], v[50:51], v[36:37]
	v_mov_b32_e32 v60, v34
	v_mov_b32_e32 v112, v40
	;; [unrolled: 1-line block ×4, first 2 shown]
	v_mul_f32_e32 v7, v51, v7
	v_mul_f32_e32 v15, v51, v19
	;; [unrolled: 1-line block ×4, first 2 shown]
	v_sub_f32_e32 v29, v36, v37
	v_fma_f32 v7, s16, v49, -v7
	v_fma_f32 v15, s16, v48, -v15
	;; [unrolled: 1-line block ×4, first 2 shown]
	v_pk_mul_f32 v[46:47], v[50:51], v[60:61]
	v_pk_mul_f32 v[48:49], v[50:51], v[112:113]
	v_pk_mul_f32 v[60:61], v[50:51], v[114:115]
	v_pk_mul_f32 v[112:113], v[50:51], v[116:117]
	v_mul_f32_e32 v50, v29, v56
	v_mul_f32_e32 v22, v51, v22
	v_pk_mul_f32 v[36:37], v[50:51], v[76:77]
	v_fma_f32 v22, s16, v42, -v22
	v_pk_mul_f32 v[54:55], v[50:51], v[54:55]
	v_pk_mul_f32 v[56:57], v[50:51], v[80:81]
	v_fma_f32 v29, s16, v43, -v37
	v_pk_mul_f32 v[42:43], v[50:51], v[64:65]
	v_fma_f32 v31, s16, v45, -v57
	v_fma_f32 v34, s16, v35, -v55
	;; [unrolled: 1-line block ×3, first 2 shown]
	v_pk_mul_f32 v[44:45], v[50:51], v[102:103]
	v_sub_f32_e32 v34, v34, v54
	ds_read_b32 v93, v118 offset:204
	ds_read2_b32 v[54:55], v118 offset0:45 offset1:46
	ds_read2_b32 v[64:65], v118 offset0:37 offset1:38
	ds_read2_b32 v[76:77], v118 offset0:39 offset1:40
	v_sub_f32_e32 v114, v35, v42
	v_sub_f32_e32 v31, v31, v56
	ds_read2_b32 v[42:43], v118 offset0:109 offset1:110
	ds_read2_b32 v[56:57], v118 offset0:103 offset1:104
	;; [unrolled: 1-line block ×3, first 2 shown]
	v_sub_f32_e32 v29, v29, v36
	v_sub_f32_e32 v36, v46, v47
	ds_read2_b32 v[46:47], v118 offset0:71 offset1:72
	ds_read2_b32 v[102:103], v118 offset0:77 offset1:78
	v_fma_f32 v37, s16, v39, -v45
	v_sub_f32_e32 v115, v37, v44
	v_mul_f32_e32 v44, v34, v91
	v_mov_b32_e32 v45, v50
	v_pk_mul_f32 v[34:35], v[44:45], v[110:111]
	v_fma_f32 v91, -v50, v6, v7
	v_sub_f32_e32 v35, v36, v35
	v_sub_f32_e32 v34, v35, v34
	s_waitcnt lgkmcnt(0)
	v_pk_mul_f32 v[6:7], v[44:45], v[102:103]
	v_mul_f32_e32 v58, v34, v58
	ds_read2_b64 v[34:37], v118 offset0:9 offset1:10
	ds_read2_b64 v[38:41], v118 offset0:11 offset1:12
	flat_store_dwordx2 v[52:53], v[50:51] offset:56
	v_fma_f32 v15, -v50, v55, v15
	v_fma_f32 v19, -v50, v72, v19
	;; [unrolled: 1-line block ×3, first 2 shown]
	v_sub_f32_e32 v7, v22, v7
	v_sub_f32_e32 v22, v7, v6
	v_fma_f32 v95, -v44, v54, v15
	v_mov_b32_e32 v7, v88
	v_fma_f32 v16, -v44, v94, v16
	v_mov_b32_e32 v50, v13
	v_pk_mul_f32 v[54:55], v[44:45], v[42:43]
	v_pk_mul_f32 v[72:73], v[44:45], v[104:105]
	v_pk_mul_f32 v[88:89], v[44:45], v[98:99]
	v_fma_f32 v13, -v44, v71, v19
	v_mov_b32_e32 v59, v44
	ds_read2_b64 v[42:45], v118 offset0:29 offset1:30
	v_mov_b32_e32 v51, v14
	v_pk_mul_f32 v[14:15], v[58:59], v[78:79]
	ds_read2_b32 v[78:79], v118 offset0:43 offset1:44
	v_pk_mul_f32 v[62:63], v[58:59], v[62:63]
	v_sub_f32_e32 v15, v31, v15
	v_sub_f32_e32 v31, v114, v63
	s_waitcnt lgkmcnt(0)
	v_pk_mul_f32 v[44:45], v[58:59], v[44:45]
	v_sub_f32_e32 v31, v31, v62
	v_pk_mul_f32 v[62:63], v[58:59], v[68:69]
	v_sub_f32_e32 v19, v91, v45
	v_sub_f32_e32 v45, v115, v63
	v_mul_f32_e32 v90, v31, v90
	v_mov_b32_e32 v91, v58
	v_sub_f32_e32 v48, v48, v49
	v_mov_b32_e32 v6, v87
	v_pk_mul_f32 v[74:75], v[58:59], v[74:75]
	v_sub_f32_e32 v87, v45, v62
	v_sub_f32_e32 v98, v15, v14
	;; [unrolled: 1-line block ×3, first 2 shown]
	ds_read2_b32 v[14:15], v118 offset0:105 offset1:106
	ds_read_b64 v[44:45], v118 offset:360
	ds_read2_b32 v[62:63], v118 offset0:75 offset1:76
	ds_read2_b32 v[68:69], v118 offset0:73 offset1:74
	flat_store_dwordx2 v[52:53], v[58:59] offset:48
	v_fma_f32 v13, -v58, v70, v13
	v_fma_f32 v16, -v58, v97, v16
	v_pk_mul_f32 v[58:59], v[90:91], v[78:79]
	v_sub_f32_e32 v48, v48, v89
	v_sub_f32_e32 v31, v95, v59
	v_pk_mul_f32 v[94:95], v[90:91], v[100:101]
	v_sub_f32_e32 v48, v48, v88
	v_sub_f32_e32 v29, v29, v75
	;; [unrolled: 1-line block ×4, first 2 shown]
	ds_read2_b32 v[70:71], v118 offset0:41 offset1:42
	ds_read_b64 v[74:75], v118 offset:104
	v_sub_f32_e32 v48, v48, v94
	v_mul_f32_e32 v48, v48, v92
	v_mov_b32_e32 v49, v90
	s_waitcnt lgkmcnt(0)
	v_pk_mul_f32 v[62:63], v[90:91], v[62:63]
	v_pk_mul_f32 v[44:45], v[48:49], v[44:45]
	;; [unrolled: 1-line block ×3, first 2 shown]
	v_sub_f32_e32 v22, v22, v63
	v_sub_f32_e32 v29, v29, v45
	v_sub_f32_e32 v45, v87, v67
	v_sub_f32_e32 v22, v22, v62
	v_pk_mul_f32 v[42:43], v[48:49], v[42:43]
	v_pk_mul_f32 v[62:63], v[48:49], v[84:85]
	v_sub_f32_e32 v45, v45, v66
	v_sub_f32_e32 v31, v31, v58
	v_pk_mul_f32 v[58:59], v[48:49], v[74:75]
	v_sub_f32_e32 v19, v19, v43
	v_sub_f32_e32 v43, v98, v63
	v_mul_f32_e32 v66, v45, v119
	v_mov_b32_e32 v67, v48
	v_sub_f32_e32 v13, v13, v59
	v_sub_f32_e32 v59, v43, v62
	;; [unrolled: 1-line block ×3, first 2 shown]
	v_pk_mul_f32 v[42:43], v[66:67], v[70:71]
	v_pk_mul_f32 v[78:79], v[90:91], v[80:81]
	v_sub_f32_e32 v31, v31, v43
	v_sub_f32_e32 v43, v60, v61
	;; [unrolled: 1-line block ×3, first 2 shown]
	v_pk_mul_f32 v[80:81], v[90:91], v[106:107]
	v_sub_f32_e32 v43, v43, v72
	v_sub_f32_e32 v43, v43, v81
	v_pk_mul_f32 v[6:7], v[66:67], v[6:7]
	v_sub_f32_e32 v43, v43, v80
	v_sub_f32_e32 v7, v43, v7
	;; [unrolled: 1-line block ×3, first 2 shown]
	v_mul_f32_e32 v6, v6, v86
	v_mov_b32_e32 v7, v66
	flat_store_dwordx2 v[52:53], v[48:49] offset:40
	v_sub_f32_e32 v29, v29, v44
	v_pk_mul_f32 v[44:45], v[66:67], v[68:69]
	v_pk_mul_f32 v[48:49], v[6:7], v[82:83]
	v_pk_mul_f32 v[4:5], v[6:7], v[4:5]
	v_fma_f32 v16, -v90, v96, v16
	v_sub_f32_e32 v22, v22, v45
	v_sub_f32_e32 v13, v13, v58
	;; [unrolled: 1-line block ×3, first 2 shown]
	v_pk_mul_f32 v[10:11], v[6:7], v[10:11]
	v_sub_f32_e32 v5, v19, v5
	v_sub_f32_e32 v19, v31, v42
	v_pk_mul_f32 v[40:41], v[6:7], v[40:41]
	v_pk_mul_f32 v[42:43], v[66:67], v[108:109]
	v_sub_f32_e32 v11, v29, v11
	v_sub_f32_e32 v7, v13, v41
	;; [unrolled: 1-line block ×5, first 2 shown]
	v_mul_f32_e32 v10, v16, v30
	v_mov_b32_e32 v11, v6
	v_sub_f32_e32 v22, v22, v44
	v_pk_mul_f32 v[30:31], v[10:11], v[46:47]
	v_pk_mul_f32 v[14:15], v[66:67], v[14:15]
	v_sub_f32_e32 v16, v22, v31
	v_sub_f32_e32 v22, v112, v113
	;; [unrolled: 1-line block ×9, first 2 shown]
	v_pk_mul_f32 v[4:5], v[10:11], v[56:57]
	v_sub_f32_e32 v14, v15, v14
	v_sub_f32_e32 v5, v14, v5
	v_sub_f32_e32 v4, v5, v4
	v_mul_f32_e32 v4, v4, v28
	v_mov_b32_e32 v5, v10
	v_pk_mul_f32 v[8:9], v[4:5], v[8:9]
	v_sub_f32_e32 v7, v7, v40
	v_sub_f32_e32 v9, v29, v9
	v_pk_mul_f32 v[28:29], v[10:11], v[32:33]
	v_pk_mul_f32 v[2:3], v[4:5], v[2:3]
	;; [unrolled: 1-line block ×3, first 2 shown]
	v_sub_f32_e32 v5, v13, v29
	v_pk_mul_f32 v[40:41], v[10:11], v[76:77]
	v_sub_f32_e32 v15, v7, v15
	v_sub_f32_e32 v11, v5, v28
	v_mov_b32_e32 v5, v10
	v_mov_b32_e32 v7, v66
	flat_store_dwordx4 v[52:53], v[4:7] offset:24
	v_sub_f32_e32 v3, v42, v3
	v_sub_f32_e32 v16, v16, v30
	;; [unrolled: 1-line block ×3, first 2 shown]
	v_mul_f32_e32 v6, v5, v23
	v_mov_b32_e32 v7, v4
	v_sub_f32_e32 v8, v3, v2
	v_pk_mul_f32 v[2:3], v[6:7], v[50:51]
	v_sub_f32_e32 v19, v19, v41
	v_sub_f32_e32 v3, v16, v3
	;; [unrolled: 1-line block ×3, first 2 shown]
	v_pk_mul_f32 v[4:5], v[6:7], v[64:65]
	v_sub_f32_e32 v2, v3, v2
	v_sub_f32_e32 v5, v19, v5
	v_mul_f32_e32 v2, v2, v12
	v_mov_b32_e32 v3, v6
	v_sub_f32_e32 v9, v15, v14
	v_pk_mul_f32 v[0:1], v[2:3], v[0:1]
	v_sub_f32_e32 v10, v5, v4
	v_pk_mul_f32 v[4:5], v[2:3], v[36:37]
	v_sub_f32_e32 v1, v8, v1
	v_sub_f32_e32 v3, v9, v5
	v_pk_mul_f32 v[8:9], v[6:7], v[26:27]
	v_sub_f32_e32 v0, v1, v0
	v_sub_f32_e32 v5, v11, v9
	;; [unrolled: 1-line block ×3, first 2 shown]
	v_mul_f32_e32 v8, v0, v93
	v_mov_b32_e32 v9, v2
	v_pk_mul_f32 v[0:1], v[8:9], v[24:25]
	v_sub_f32_e32 v3, v3, v4
	v_sub_f32_e32 v1, v10, v1
	;; [unrolled: 1-line block ×3, first 2 shown]
	v_mul_f32_e32 v0, v0, v18
	v_mov_b32_e32 v1, v8
	v_pk_mul_f32 v[10:11], v[0:1], v[34:35]
	s_nop 0
	v_sub_f32_e32 v11, v3, v11
	v_mov_b32_e32 v3, v6
	flat_store_dwordx4 v[52:53], v[0:3] offset:8
	ds_read_b96 v[2:4], v118
	v_pk_mul_f32 v[6:7], v[8:9], v[20:21]
	s_nop 0
	v_sub_f32_e32 v1, v5, v7
	v_sub_f32_e32 v8, v1, v6
	v_sub_f32_e32 v1, v11, v10
	s_waitcnt lgkmcnt(0)
	v_mov_b32_e32 v6, v3
	v_mov_b32_e32 v7, v4
	v_mul_f32_e32 v4, v1, v17
	v_mov_b32_e32 v5, v0
	v_pk_mul_f32 v[0:1], v[4:5], v[6:7]
	s_nop 0
	v_sub_f32_e32 v1, v8, v1
	v_sub_f32_e32 v0, v1, v0
	v_mul_f32_e32 v0, v0, v2
	v_mov_b32_e32 v1, v4
	flat_store_dwordx2 v[52:53], v[0:1]
	s_cmp_gt_i32 s0, -1
	s_cbranch_scc1 .LBB19_16
	s_branch .LBB19_38
.LBB19_15:
	s_mov_b32 s0, s7
	s_cmp_gt_i32 s0, -1
	s_cbranch_scc0 .LBB19_38
.LBB19_16:
	s_cmp_lt_u32 s0, 11
	s_cbranch_scc1 .LBB19_21
; %bb.17:
	s_mov_b32 s3, 0
	s_mov_b32 s1, s3
	v_lshl_add_u64 v[0:1], s[0:1], 2, v[52:53]
	v_add_co_u32_e32 v2, vcc, -12, v0
	s_cmp_le_i32 s7, s0
	s_nop 0
	v_addc_co_u32_e32 v3, vcc, -1, v1, vcc
	v_add_co_u32_e32 v6, vcc, 0xffffffe4, v0
	flat_load_dwordx4 v[2:5], v[2:3]
	s_nop 0
	v_addc_co_u32_e32 v7, vcc, -1, v1, vcc
	v_add_co_u32_e32 v10, vcc, 0xffffffd4, v0
	flat_load_dwordx4 v[6:9], v[6:7]
	s_nop 0
	v_addc_co_u32_e32 v11, vcc, -1, v1, vcc
	flat_load_dwordx4 v[12:15], v[10:11]
	s_waitcnt vmcnt(0) lgkmcnt(0)
	v_pk_mul_f32 v[16:17], s[16:17], v[2:3] op_sel_hi:[0,1]
	v_pk_mul_f32 v[4:5], s[16:17], v[4:5] op_sel_hi:[0,1]
	v_mov_b32_e32 v2, v17
	v_mov_b32_e32 v3, v16
	;; [unrolled: 1-line block ×3, first 2 shown]
	v_pk_mul_f32 v[8:9], s[16:17], v[8:9] op_sel_hi:[0,1]
	v_pk_mul_f32 v[18:19], s[16:17], v[6:7] op_sel_hi:[0,1]
	v_mov_b32_e32 v11, v4
	v_pk_mul_f32 v[14:15], s[16:17], v[14:15] op_sel_hi:[0,1]
	v_pk_mul_f32 v[16:17], s[16:17], v[12:13] op_sel_hi:[0,1]
	v_mov_b32_e32 v4, v9
	v_mov_b32_e32 v5, v8
	;; [unrolled: 1-line block ×8, first 2 shown]
	s_cbranch_scc1 .LBB19_20
; %bb.18:
	s_lshl_b32 s1, s0, 6
	s_lshl_b32 s2, s17, 2
	s_add_i32 s1, s1, s2
	s_addk_i32 s1, 0xfd3c
	s_mov_b32 s2, s7
.LBB19_19:                              ; =>This Inner Loop Header: Depth=1
	v_lshl_add_u64 v[14:15], s[2:3], 2, v[52:53]
	flat_load_dword v14, v[14:15]
	v_mov_b32_e32 v15, s1
	ds_read2_b32 v[18:19], v15 offset0:160 offset1:176
	ds_read2_b32 v[20:21], v15 offset0:128 offset1:144
	;; [unrolled: 1-line block ×5, first 2 shown]
	ds_read2_b32 v[28:29], v15 offset1:16
	s_add_i32 s2, s2, -1
	s_add_i32 s1, s1, -4
	s_waitcnt lgkmcnt(0)
	v_mov_b32_e32 v16, v19
	v_mov_b32_e32 v17, v18
	;; [unrolled: 1-line block ×12, first 2 shown]
	s_cmp_gt_i32 s2, s0
	s_waitcnt vmcnt(0)
	v_pk_fma_f32 v[10:11], v[14:15], v[16:17], v[10:11] op_sel_hi:[0,1,1] neg_lo:[1,0,0] neg_hi:[1,0,0]
	v_pk_fma_f32 v[2:3], v[14:15], v[18:19], v[2:3] op_sel_hi:[0,1,1] neg_lo:[1,0,0] neg_hi:[1,0,0]
	;; [unrolled: 1-line block ×6, first 2 shown]
	s_cbranch_scc1 .LBB19_19
.LBB19_20:
	s_mul_i32 s1, s0, 0x44
	s_add_i32 s2, s0, -1
	v_mov_b32_e32 v22, s1
	s_lshl_b32 s1, s2, 6
	s_lshl_b32 s4, s2, 2
	s_mov_b32 s3, 0
	s_add_i32 s1, s1, s4
	v_lshl_add_u64 v[16:17], s[2:3], 2, v[52:53]
	s_add_i32 s2, s0, -2
	v_mov_b32_e32 v23, s1
	s_lshl_b32 s1, s2, 6
	s_lshl_b32 s8, s2, 2
	s_add_i32 s5, s1, s4
	s_add_i32 s1, s1, s8
	v_lshl_add_u64 v[18:19], s[2:3], 2, v[52:53]
	s_add_i32 s2, s0, -3
	v_mov_b32_e32 v24, s1
	s_lshl_b32 s1, s2, 6
	s_lshl_b32 s8, s0, 2
	s_lshl_b32 s10, s2, 2
	s_add_i32 s9, s1, s8
	s_add_i32 s1, s1, s10
	v_lshl_add_u64 v[20:21], s[2:3], 2, v[52:53]
	s_add_i32 s2, s0, -4
	v_mov_b32_e32 v26, s1
	s_lshl_b32 s1, s2, 6
	s_lshl_b32 s13, s2, 2
	s_add_i32 s11, s1, s4
	s_add_i32 s12, s1, s10
	;; [unrolled: 1-line block ×3, first 2 shown]
	v_lshl_add_u64 v[14:15], s[2:3], 2, v[52:53]
	s_add_i32 s2, s0, -5
	v_mov_b32_e32 v27, s1
	s_lshl_b32 s1, s2, 6
	s_lshl_b32 s15, s2, 2
	v_mov_b32_e32 v25, s9
	s_add_i32 s13, s1, s8
	s_add_i32 s1, s1, s15
	v_mov_b32_e32 v28, s13
	v_mov_b32_e32 v29, s1
	ds_read_b32 v96, v22
	ds_read2_b32 v[22:23], v23 offset1:1
	ds_read_b32 v98, v24
	ds_read_b32 v99, v25
	;; [unrolled: 1-line block ×6, first 2 shown]
	v_lshl_add_u64 v[24:25], s[2:3], 2, v[52:53]
	s_add_i32 s2, s0, -6
	s_lshl_b32 s1, s2, 6
	s_lshl_b32 s21, s2, 2
	s_add_i32 s18, s1, s4
	s_add_i32 s19, s1, s10
	;; [unrolled: 1-line block ×4, first 2 shown]
	v_lshl_add_u64 v[26:27], s[2:3], 2, v[52:53]
	s_add_i32 s2, s0, -7
	v_mov_b32_e32 v36, s1
	s_lshl_b32 s1, s2, 6
	s_lshl_b32 s24, s2, 2
	s_add_i32 s21, s1, s8
	s_add_i32 s1, s1, s24
	v_lshl_add_u64 v[28:29], s[2:3], 2, v[52:53]
	s_add_i32 s2, s0, -8
	v_mov_b32_e32 v38, s1
	s_lshl_b32 s1, s2, 6
	s_lshl_b32 s29, s2, 2
	s_add_i32 s25, s1, s4
	s_add_i32 s26, s1, s10
	;; [unrolled: 1-line block ×5, first 2 shown]
	v_lshl_add_u64 v[30:31], s[2:3], 2, v[52:53]
	s_add_i32 s2, s0, -9
	v_mov_b32_e32 v39, s1
	s_lshl_b32 s1, s2, 6
	s_lshl_b32 s34, s2, 2
	s_add_i32 s29, s1, s8
	s_add_i32 s1, s1, s34
	v_lshl_add_u64 v[32:33], s[2:3], 2, v[52:53]
	s_add_i32 s2, s0, -10
	v_mov_b32_e32 v41, s1
	s_lshl_b32 s1, s2, 6
	s_lshl_b32 s35, s2, 2
	s_add_i32 s4, s1, s4
	s_add_i32 s10, s1, s10
	;; [unrolled: 1-line block ×6, first 2 shown]
	v_lshl_add_u64 v[34:35], s[2:3], 2, v[52:53]
	s_add_i32 s2, s0, -11
	v_mov_b32_e32 v42, s1
	s_lshl_b32 s1, s2, 6
	s_add_i32 s8, s1, s8
	v_mov_b32_e32 v37, s21
	v_mov_b32_e32 v40, s29
	;; [unrolled: 1-line block ×3, first 2 shown]
	ds_read_b32 v104, v36
	ds_read_b32 v105, v37
	;; [unrolled: 1-line block ×8, first 2 shown]
	v_mov_b32_e32 v36, s5
	s_add_i32 s5, s8, -16
	v_mov_b32_e32 v40, s5
	s_sub_i32 s5, s8, 24
	s_add_i32 s9, s9, -8
	s_add_i32 s14, s13, -8
	;; [unrolled: 1-line block ×5, first 2 shown]
	s_sub_i32 s21, s21, 24
	s_add_i32 s30, s29, -8
	s_add_i32 s31, s29, -16
	s_sub_i32 s33, s29, 24
	s_sub_i32 s29, s29, 32
	s_add_i32 s35, s8, -8
	v_mov_b32_e32 v42, s5
	s_sub_i32 s5, s8, 32
	v_mov_b32_e32 v38, s35
	v_mov_b32_e32 v44, s5
	;; [unrolled: 1-line block ×25, first 2 shown]
	ds_read2_b32 v[36:37], v36 offset1:1
	ds_read2_b32 v[38:39], v38 offset1:1
	;; [unrolled: 1-line block ×28, first 2 shown]
	v_mov_b32_e32 v94, s4
	s_waitcnt lgkmcnt(14)
	v_mul_f32_e32 v97, v10, v96
	ds_read2_b32 v[94:95], v94 offset1:1
	flat_store_dword v[0:1], v97
	v_fma_f32 v0, -v97, v23, v11
	v_mul_f32_e32 v96, v0, v22
	s_waitcnt lgkmcnt(0)
	v_pk_mul_f32 v[10:11], v[96:97], v[90:91]
	v_fma_f32 v23, -v97, v99, v3
	v_fma_f32 v99, -v97, v102, v5
	;; [unrolled: 1-line block ×4, first 2 shown]
	v_sub_f32_e32 v11, v8, v11
	v_pk_mul_f32 v[8:9], v[96:97], v[86:87]
	v_mov_b32_e32 v3, v96
	v_sub_f32_e32 v9, v6, v9
	v_pk_mul_f32 v[6:7], v[96:97], v[82:83]
	v_pk_mul_f32 v[0:1], v[96:97], v[94:95]
	v_sub_f32_e32 v7, v4, v7
	v_pk_mul_f32 v[4:5], v[96:97], v[36:37]
	v_sub_f32_e32 v1, v12, v1
	v_sub_f32_e32 v2, v2, v5
	;; [unrolled: 1-line block ×3, first 2 shown]
	v_mul_f32_e32 v2, v2, v98
	v_pk_mul_f32 v[4:5], v[2:3], v[80:81]
	v_sub_f32_e32 v22, v1, v0
	v_sub_f32_e32 v5, v23, v5
	;; [unrolled: 1-line block ×3, first 2 shown]
	v_fma_f32 v12, -v97, v111, v13
	v_sub_f32_e32 v13, v7, v6
	v_pk_mul_f32 v[6:7], v[2:3], v[84:85]
	v_mul_f32_e32 v0, v0, v100
	v_mov_b32_e32 v1, v2
	flat_store_dword v[16:17], v96
	v_sub_f32_e32 v7, v99, v7
	v_sub_f32_e32 v16, v9, v8
	v_pk_mul_f32 v[8:9], v[2:3], v[88:89]
	v_pk_mul_f32 v[4:5], v[0:1], v[72:73]
	v_sub_f32_e32 v9, v102, v9
	v_sub_f32_e32 v17, v11, v10
	v_pk_mul_f32 v[10:11], v[2:3], v[92:93]
	v_sub_f32_e32 v5, v13, v5
	v_sub_f32_e32 v13, v7, v6
	v_pk_mul_f32 v[6:7], v[0:1], v[74:75]
	v_sub_f32_e32 v11, v105, v11
	flat_store_dword v[18:19], v2
	v_sub_f32_e32 v7, v16, v7
	v_sub_f32_e32 v16, v9, v8
	v_pk_mul_f32 v[8:9], v[0:1], v[76:77]
	v_pk_mul_f32 v[2:3], v[2:3], v[38:39]
	v_sub_f32_e32 v9, v17, v9
	v_sub_f32_e32 v17, v11, v10
	v_pk_mul_f32 v[10:11], v[0:1], v[78:79]
	v_sub_f32_e32 v1, v12, v3
	v_sub_f32_e32 v12, v1, v2
	v_sub_f32_e32 v1, v5, v4
	v_mul_f32_e32 v2, v1, v101
	v_mov_b32_e32 v3, v0
	flat_store_dword v[20:21], v0
	v_pk_mul_f32 v[0:1], v[2:3], v[66:67]
	v_pk_mul_f32 v[4:5], v[2:3], v[68:69]
	v_sub_f32_e32 v1, v13, v1
	v_sub_f32_e32 v0, v1, v0
	;; [unrolled: 1-line block ×3, first 2 shown]
	v_pk_mul_f32 v[6:7], v[2:3], v[70:71]
	v_mul_f32_e32 v0, v0, v103
	v_mov_b32_e32 v1, v2
	v_sub_f32_e32 v11, v22, v11
	v_sub_f32_e32 v5, v16, v5
	;; [unrolled: 1-line block ×4, first 2 shown]
	flat_store_dword v[14:15], v2
	v_pk_mul_f32 v[8:9], v[0:1], v[60:61]
	v_pk_mul_f32 v[2:3], v[2:3], v[40:41]
	v_sub_f32_e32 v10, v11, v10
	v_sub_f32_e32 v9, v13, v9
	;; [unrolled: 1-line block ×3, first 2 shown]
	v_pk_mul_f32 v[4:5], v[0:1], v[62:63]
	v_sub_f32_e32 v13, v7, v6
	v_pk_mul_f32 v[6:7], v[0:1], v[64:65]
	v_sub_f32_e32 v1, v12, v3
	v_sub_f32_e32 v7, v10, v7
	;; [unrolled: 1-line block ×4, first 2 shown]
	v_mul_f32_e32 v2, v1, v104
	v_mov_b32_e32 v3, v0
	flat_store_dword v[24:25], v0
	v_pk_mul_f32 v[0:1], v[2:3], v[56:57]
	v_sub_f32_e32 v5, v16, v5
	v_sub_f32_e32 v1, v11, v1
	;; [unrolled: 1-line block ×4, first 2 shown]
	v_pk_mul_f32 v[4:5], v[2:3], v[58:59]
	v_mul_f32_e32 v0, v0, v106
	v_mov_b32_e32 v1, v2
	v_sub_f32_e32 v5, v13, v5
	v_sub_f32_e32 v9, v7, v6
	flat_store_dword v[26:27], v2
	v_pk_mul_f32 v[6:7], v[0:1], v[50:51]
	v_pk_mul_f32 v[2:3], v[2:3], v[42:43]
	v_sub_f32_e32 v7, v8, v7
	v_sub_f32_e32 v8, v5, v4
	v_pk_mul_f32 v[4:5], v[0:1], v[54:55]
	v_sub_f32_e32 v1, v10, v3
	v_sub_f32_e32 v5, v9, v5
	;; [unrolled: 1-line block ×4, first 2 shown]
	v_mul_f32_e32 v2, v1, v107
	v_mov_b32_e32 v3, v0
	flat_store_dword v[28:29], v0
	v_pk_mul_f32 v[0:1], v[2:3], v[48:49]
	v_sub_f32_e32 v6, v5, v4
	v_sub_f32_e32 v1, v8, v1
	;; [unrolled: 1-line block ×3, first 2 shown]
	v_mul_f32_e32 v0, v0, v109
	v_mov_b32_e32 v1, v2
	v_pk_mul_f32 v[4:5], v[0:1], v[46:47]
	flat_store_dword v[30:31], v2
	v_sub_f32_e32 v1, v6, v5
	v_pk_mul_f32 v[2:3], v[2:3], v[44:45]
	v_sub_f32_e32 v1, v1, v4
	v_sub_f32_e32 v3, v9, v3
	s_sub_i32 s5, s8, 40
	v_sub_f32_e32 v6, v3, v2
	v_mul_f32_e32 v2, v1, v110
	flat_store_dword v[32:33], v0
	flat_store_dword v[34:35], v2
	v_mov_b32_e32 v1, s5
	ds_read2_b32 v[4:5], v1 offset1:1
	s_lshl_b32 s4, s2, 2
	s_add_i32 s1, s1, s4
	v_mov_b32_e32 v1, s1
	ds_read_b32 v7, v1
	v_mov_b32_e32 v3, v0
	s_waitcnt lgkmcnt(0)
	v_pk_mul_f32 v[0:1], v[2:3], v[4:5]
	s_add_i32 s0, s0, -12
	v_sub_f32_e32 v1, v6, v1
	v_sub_f32_e32 v0, v1, v0
	v_mul_f32_e32 v2, v0, v7
	v_lshl_add_u64 v[0:1], s[2:3], 2, v[52:53]
	flat_store_dword v[0:1], v2
.LBB19_21:
	s_cmp_lt_i32 s0, 0
	s_cbranch_scc1 .LBB19_38
; %bb.22:
	s_and_b32 s1, s0, 3
	s_cmp_eq_u32 s1, 3
	s_mov_b32 s2, s0
	s_cbranch_scc1 .LBB19_27
; %bb.23:
	s_lshl_b32 s2, s0, 6
	s_lshl_b32 s3, s17, 2
	s_add_i32 s1, s0, 1
	s_add_i32 s2, s2, s3
	s_and_b32 s1, s1, 3
	s_add_i32 s8, s2, -4
	s_mov_b32 s5, 0
	s_mov_b32 s2, s0
	;; [unrolled: 1-line block ×3, first 2 shown]
	s_branch .LBB19_25
.LBB19_24:                              ;   in Loop: Header=BB19_25 Depth=1
	s_mul_i32 s3, s2, 0x44
	v_mov_b32_e32 v1, s3
	ds_read_b32 v1, v1
	s_add_i32 s2, s2, -1
	s_add_i32 s9, s9, 1
	s_sub_i32 s8, s8, 64
	s_cmp_lg_u32 s9, s1
	s_waitcnt lgkmcnt(0)
	v_mul_f32_e32 v0, v0, v1
	flat_store_dword v[2:3], v0
	s_cbranch_scc0 .LBB19_27
.LBB19_25:                              ; =>This Loop Header: Depth=1
                                        ;     Child Loop BB19_26 Depth 2
	s_mov_b32 s3, s5
	v_lshl_add_u64 v[2:3], s[2:3], 2, v[52:53]
	flat_load_dword v0, v[2:3]
	s_cmp_le_i32 s7, s2
	s_mov_b32 s3, s8
	s_mov_b32 s4, s7
	s_waitcnt vmcnt(0) lgkmcnt(0)
	v_mul_f32_e32 v0, s16, v0
	s_cbranch_scc1 .LBB19_24
.LBB19_26:                              ;   Parent Loop BB19_25 Depth=1
                                        ; =>  This Inner Loop Header: Depth=2
	v_lshl_add_u64 v[4:5], s[4:5], 2, v[52:53]
	flat_load_dword v1, v[4:5]
	v_mov_b32_e32 v4, s3
	ds_read_b32 v4, v4
	s_add_i32 s4, s4, -1
	s_add_i32 s3, s3, -4
	s_cmp_gt_i32 s4, s2
	s_waitcnt vmcnt(0) lgkmcnt(0)
	v_fma_f32 v0, -v1, v4, v0
	s_cbranch_scc1 .LBB19_26
	s_branch .LBB19_24
.LBB19_27:
	s_cmp_lt_u32 s0, 3
	s_cbranch_scc1 .LBB19_38
; %bb.28:
	s_lshl_b32 s0, s2, 6
	s_lshl_b32 s1, s17, 2
	s_add_i32 s0, s0, s1
	s_add_i32 s8, s0, -4
	s_add_i32 s9, s0, 0xffffffbc
	s_add_i32 s10, s0, 0xffffff7c
	;; [unrolled: 1-line block ×3, first 2 shown]
	s_mov_b32 s1, 0
	s_branch .LBB19_30
.LBB19_29:                              ;   in Loop: Header=BB19_30 Depth=1
	s_add_i32 s0, s3, 0xffffffbc
	v_mov_b32_e32 v1, s0
	ds_read_b32 v1, v1
	s_add_i32 s0, s2, -4
	s_addk_i32 s8, 0xff00
	s_addk_i32 s9, 0xff00
	;; [unrolled: 1-line block ×4, first 2 shown]
	s_waitcnt lgkmcnt(0)
	v_mul_f32_e32 v0, v0, v1
	s_cmp_lt_i32 s2, 4
	s_mov_b32 s2, s0
	flat_store_dword v[2:3], v0
	s_cbranch_scc1 .LBB19_38
.LBB19_30:                              ; =>This Loop Header: Depth=1
                                        ;     Child Loop BB19_31 Depth 2
                                        ;     Child Loop BB19_33 Depth 2
	;; [unrolled: 1-line block ×4, first 2 shown]
	s_mov_b32 s3, s1
	v_lshl_add_u64 v[4:5], s[2:3], 2, v[52:53]
	flat_load_dword v0, v[4:5]
	s_cmp_le_i32 s7, s2
	s_mov_b32 s3, s8
	s_mov_b32 s0, s7
	s_waitcnt vmcnt(0) lgkmcnt(0)
	v_mul_f32_e32 v0, s16, v0
	s_cbranch_scc1 .LBB19_32
.LBB19_31:                              ;   Parent Loop BB19_30 Depth=1
                                        ; =>  This Inner Loop Header: Depth=2
	v_lshl_add_u64 v[2:3], s[0:1], 2, v[52:53]
	flat_load_dword v1, v[2:3]
	v_mov_b32_e32 v2, s3
	ds_read_b32 v2, v2
	s_add_i32 s0, s0, -1
	s_add_i32 s3, s3, -4
	s_cmp_gt_i32 s0, s2
	s_waitcnt vmcnt(0) lgkmcnt(0)
	v_fma_f32 v0, -v1, v2, v0
	s_cbranch_scc1 .LBB19_31
.LBB19_32:                              ;   in Loop: Header=BB19_30 Depth=1
	s_add_i32 s0, s2, -1
	v_lshl_add_u64 v[2:3], s[0:1], 2, v[52:53]
	flat_load_dword v1, v[2:3]
	s_mul_i32 s3, s2, 0x44
	v_mov_b32_e32 v6, s3
	ds_read_b32 v6, v6
	s_mov_b32 s4, s9
	s_cmp_le_i32 s17, s2
	s_mov_b32 s0, s17
	s_waitcnt lgkmcnt(0)
	v_mul_f32_e32 v0, v0, v6
	flat_store_dword v[4:5], v0
	s_waitcnt vmcnt(0)
	v_mul_f32_e32 v0, s16, v1
	s_cbranch_scc1 .LBB19_34
.LBB19_33:                              ;   Parent Loop BB19_30 Depth=1
                                        ; =>  This Inner Loop Header: Depth=2
	s_add_i32 s0, s0, -1
	v_lshl_add_u64 v[4:5], s[0:1], 2, v[52:53]
	flat_load_dword v1, v[4:5]
	v_mov_b32_e32 v4, s4
	ds_read_b32 v4, v4
	s_add_i32 s4, s4, -4
	s_cmp_gt_i32 s0, s2
	s_waitcnt vmcnt(0) lgkmcnt(0)
	v_fma_f32 v0, -v1, v4, v0
	s_cbranch_scc1 .LBB19_33
.LBB19_34:                              ;   in Loop: Header=BB19_30 Depth=1
	s_add_i32 s4, s2, -2
	s_mov_b32 s5, s1
	v_lshl_add_u64 v[4:5], s[4:5], 2, v[52:53]
	flat_load_dword v1, v[4:5]
	s_addk_i32 s3, 0xffbc
	v_mov_b32_e32 v6, s3
	ds_read_b32 v6, v6
	s_mov_b32 s5, s10
	s_cmp_le_i32 s7, s4
	s_mov_b32 s0, s7
	s_waitcnt lgkmcnt(0)
	v_mul_f32_e32 v0, v0, v6
	flat_store_dword v[2:3], v0
	s_waitcnt vmcnt(0)
	v_mul_f32_e32 v0, s16, v1
	s_cbranch_scc1 .LBB19_36
.LBB19_35:                              ;   Parent Loop BB19_30 Depth=1
                                        ; =>  This Inner Loop Header: Depth=2
	v_lshl_add_u64 v[2:3], s[0:1], 2, v[52:53]
	flat_load_dword v1, v[2:3]
	v_mov_b32_e32 v2, s5
	ds_read_b32 v2, v2
	s_add_i32 s0, s0, -1
	s_add_i32 s5, s5, -4
	s_cmp_gt_i32 s0, s4
	s_waitcnt vmcnt(0) lgkmcnt(0)
	v_fma_f32 v0, -v1, v2, v0
	s_cbranch_scc1 .LBB19_35
.LBB19_36:                              ;   in Loop: Header=BB19_30 Depth=1
	s_add_i32 s4, s2, -3
	s_mov_b32 s5, s1
	v_lshl_add_u64 v[2:3], s[4:5], 2, v[52:53]
	flat_load_dword v1, v[2:3]
	s_addk_i32 s3, 0xffbc
	v_mov_b32_e32 v6, s3
	ds_read_b32 v6, v6
	s_mov_b32 s5, s11
	s_cmp_le_i32 s7, s4
	s_mov_b32 s0, s7
	s_waitcnt lgkmcnt(0)
	v_mul_f32_e32 v0, v0, v6
	flat_store_dword v[4:5], v0
	s_waitcnt vmcnt(0)
	v_mul_f32_e32 v0, s16, v1
	s_cbranch_scc1 .LBB19_29
.LBB19_37:                              ;   Parent Loop BB19_30 Depth=1
                                        ; =>  This Inner Loop Header: Depth=2
	v_lshl_add_u64 v[4:5], s[0:1], 2, v[52:53]
	flat_load_dword v1, v[4:5]
	v_mov_b32_e32 v4, s5
	ds_read_b32 v4, v4
	s_add_i32 s0, s0, -1
	s_add_i32 s5, s5, -4
	s_cmp_gt_i32 s0, s4
	s_waitcnt vmcnt(0) lgkmcnt(0)
	v_fma_f32 v0, -v1, v4, v0
	s_cbranch_scc1 .LBB19_37
	s_branch .LBB19_29
.LBB19_38:
	s_mov_b64 s[0:1], 0
.LBB19_39:
	s_and_b64 vcc, exec, s[0:1]
	s_cbranch_vccz .LBB19_53
; %bb.40:
	s_cmp_gt_i32 s6, 15
	s_cselect_b64 s[0:1], -1, 0
	s_mov_b32 s2, 0
	s_and_b64 vcc, exec, s[0:1]
	s_cbranch_vccz .LBB19_42
; %bb.41:
	flat_load_dwordx4 v[4:7], v[52:53]
	flat_load_dwordx4 v[12:15], v[52:53] offset:32
	flat_load_dwordx4 v[8:11], v[52:53] offset:16
	;; [unrolled: 1-line block ×3, first 2 shown]
	v_mov_b32_e32 v92, 0
	v_mov_b32_e32 v60, s16
	ds_read_b128 v[20:23], v92
	ds_read_b128 v[24:27], v92 offset:16
	ds_read_b128 v[28:31], v92 offset:32
	;; [unrolled: 1-line block ×3, first 2 shown]
	ds_read2_b32 v[74:75], v92 offset0:17 offset1:18
	ds_read2_b32 v[82:83], v92 offset0:19 offset1:20
	;; [unrolled: 1-line block ×7, first 2 shown]
	ds_read_b32 v93, v92 offset:124
	ds_read2_b64 v[32:35], v92 offset0:17 offset1:18
	ds_read2_b64 v[40:43], v92 offset0:19 offset1:20
	;; [unrolled: 1-line block ×3, first 2 shown]
	ds_read2_b32 v[98:99], v92 offset0:51 offset1:52
	ds_read2_b32 v[80:81], v92 offset0:53 offset1:54
	;; [unrolled: 1-line block ×13, first 2 shown]
	ds_read2_b64 v[94:97], v92 offset0:51 offset1:52
	ds_read_b128 v[36:39], v92 offset:560
	ds_read_b128 v[48:51], v92 offset:544
	s_waitcnt lgkmcnt(0)
	v_mov_b32_e32 v103, v21
	v_mov_b32_e32 v111, v23
	;; [unrolled: 1-line block ×24, first 2 shown]
	s_mov_b32 s2, 16
	s_waitcnt vmcnt(0)
	v_mul_f32_e32 v4, s16, v4
	v_mov_b32_e32 v102, v5
	v_mul_f32_e32 v61, v4, v20
	v_pk_mul_f32 v[4:5], v[60:61], v[102:103]
	v_mul_f32_e32 v21, v61, v31
	v_sub_f32_e32 v4, v4, v5
	v_mov_b32_e32 v20, v61
	v_fma_f32 v55, s16, v15, -v21
	v_mul_f32_e32 v21, v4, v74
	v_pk_mul_f32 v[22:23], v[20:21], v[22:23]
	v_mov_b32_e32 v110, v7
	v_fma_f32 v6, s16, v6, -v22
	v_sub_f32_e32 v6, v6, v23
	v_mov_b32_e32 v104, v9
	v_mul_f32_e32 v7, v61, v44
	v_mul_f32_e32 v9, v61, v45
	v_pk_mul_f32 v[44:45], v[60:61], v[110:111]
	v_pk_mul_f32 v[4:5], v[20:21], v[28:29]
	;; [unrolled: 1-line block ×3, first 2 shown]
	v_mov_b32_e32 v28, v21
	v_mul_f32_e32 v29, v6, v32
	v_mov_b32_e32 v108, v11
	v_mul_f32_e32 v11, v61, v46
	v_fma_f32 v31, s16, v16, -v7
	v_fma_f32 v46, s16, v17, -v9
	v_sub_f32_e32 v9, v44, v45
	v_fma_f32 v8, s16, v8, -v24
	v_pk_mul_f32 v[6:7], v[28:29], v[100:101]
	v_fma_f32 v4, s16, v12, -v4
	v_sub_f32_e32 v6, v9, v6
	v_sub_f32_e32 v12, v8, v25
	ds_read_b64 v[8:9], v92 offset:184
	v_mov_b32_e32 v82, v13
	v_mul_f32_e32 v13, v61, v47
	v_fma_f32 v11, s16, v18, -v11
	v_fma_f32 v13, s16, v19, -v13
	v_sub_f32_e32 v6, v6, v7
	v_mul_f32_e32 v23, v6, v98
	v_sub_f32_e32 v69, v4, v5
	v_fma_f32 v11, -v21, v67, v11
	v_fma_f32 v13, -v21, v93, v13
	ds_read2_b64 v[4:7], v92 offset0:21 offset1:22
	s_waitcnt lgkmcnt(1)
	v_fma_f32 v75, -v29, v8, v11
	v_fma_f32 v11, -v29, v9, v13
	ds_read2_b32 v[8:9], v92 offset0:59 offset1:60
	v_pk_mul_f32 v[16:17], v[20:21], v[76:77]
	v_pk_mul_f32 v[18:19], v[20:21], v[26:27]
	v_fma_f32 v14, s16, v14, -v16
	v_sub_f32_e32 v124, v14, v17
	v_fma_f32 v14, -v21, v66, v46
	ds_read_b32 v13, v92 offset:252
	ds_read2_b32 v[66:67], v92 offset0:61 offset1:62
	v_fma_f32 v10, s16, v10, -v18
	v_fma_f32 v31, -v21, v65, v31
	s_waitcnt lgkmcnt(3)
	v_mov_b32_e32 v65, v5
	v_mov_b32_e32 v5, v85
	;; [unrolled: 1-line block ×3, first 2 shown]
	v_sub_f32_e32 v10, v10, v19
	s_waitcnt lgkmcnt(2)
	v_mov_b32_e32 v74, v8
	v_mov_b32_e32 v8, v6
	v_fma_f32 v93, -v29, v7, v14
	v_pk_mul_f32 v[76:77], v[22:23], v[4:5]
	v_pk_mul_f32 v[4:5], v[22:23], v[40:41]
	;; [unrolled: 1-line block ×3, first 2 shown]
	v_sub_f32_e32 v4, v10, v4
	v_sub_f32_e32 v6, v12, v6
	v_pk_mul_f32 v[98:99], v[22:23], v[42:43]
	v_pk_mul_f32 v[100:101], v[60:61], v[104:105]
	;; [unrolled: 1-line block ×4, first 2 shown]
	v_sub_f32_e32 v79, v6, v7
	v_sub_f32_e32 v85, v4, v5
	s_waitcnt lgkmcnt(1)
	v_fma_f32 v125, -v23, v13, v11
	v_pk_mul_f32 v[60:61], v[22:23], v[8:9]
	ds_read2_b32 v[104:105], v92 offset0:87 offset1:88
	ds_read2_b32 v[108:109], v92 offset0:89 offset1:90
	;; [unrolled: 1-line block ×6, first 2 shown]
	ds_read_b64 v[10:11], v92 offset:952
	ds_read2_b32 v[8:9], v92 offset0:223 offset1:224
	ds_read2_b32 v[116:117], v92 offset0:187 offset1:188
	ds_read2_b64 v[16:19], v92 offset0:85 offset1:86
	ds_read2_b32 v[14:15], v92 offset0:221 offset1:222
	ds_read_b128 v[4:7], v92 offset:816
	ds_read_b128 v[24:27], v92 offset:272
	;; [unrolled: 1-line block ×3, first 2 shown]
	ds_read2_b32 v[118:119], v92 offset0:119 offset1:120
	ds_read2_b64 v[40:43], v92 offset0:53 offset1:54
	ds_read2_b32 v[120:121], v92 offset0:85 offset1:86
	ds_read_b128 v[44:47], v92 offset:304
	flat_store_dwordx4 v[52:53], v[20:23]
	s_waitcnt lgkmcnt(0)
	v_sub_f32_e32 v13, v100, v101
	v_mov_b32_e32 v122, v23
	v_pk_mul_f32 v[20:21], v[28:29], v[70:71]
	v_mul_f32_e32 v123, v79, v24
	v_sub_f32_e32 v13, v13, v20
	v_mov_b32_e32 v81, v25
	v_sub_f32_e32 v13, v13, v21
	v_pk_mul_f32 v[20:21], v[122:123], v[80:81]
	v_mov_b32_e32 v79, v27
	v_sub_f32_e32 v13, v13, v20
	v_sub_f32_e32 v13, v13, v21
	v_mov_b32_e32 v27, v121
	v_mul_f32_e32 v21, v13, v120
	v_mov_b32_e32 v20, v123
	v_fma_f32 v9, -v23, v67, v75
	v_pk_mul_f32 v[22:23], v[20:21], v[26:27]
	v_sub_f32_e32 v24, v102, v103
	v_sub_f32_e32 v13, v85, v22
	;; [unrolled: 1-line block ×3, first 2 shown]
	v_pk_mul_f32 v[22:23], v[28:29], v[62:63]
	v_mov_b32_e32 v85, v33
	v_sub_f32_e32 v22, v24, v22
	v_sub_f32_e32 v24, v22, v23
	v_pk_mul_f32 v[22:23], v[122:123], v[78:79]
	v_mov_b32_e32 v33, v105
	v_sub_f32_e32 v22, v24, v22
	v_mov_b32_e32 v105, v95
	v_mul_f32_e32 v25, v13, v94
	v_mov_b32_e32 v24, v21
	v_sub_f32_e32 v26, v22, v23
	v_pk_mul_f32 v[22:23], v[24:25], v[104:105]
	v_mov_b32_e32 v75, v35
	v_sub_f32_e32 v13, v26, v22
	v_sub_f32_e32 v13, v13, v23
	v_pk_mul_f32 v[26:27], v[28:29], v[64:65]
	v_mul_f32_e32 v23, v13, v118
	v_sub_f32_e32 v13, v55, v26
	v_sub_f32_e32 v26, v124, v76
	;; [unrolled: 1-line block ×7, first 2 shown]
	v_mov_b32_e32 v67, v45
	v_pk_mul_f32 v[60:61], v[122:123], v[74:75]
	v_mov_b32_e32 v35, v109
	v_sub_f32_e32 v22, v22, v99
	v_sub_f32_e32 v13, v13, v60
	v_mov_b32_e32 v60, v50
	v_mov_b32_e32 v50, v86
	;; [unrolled: 1-line block ×5, first 2 shown]
	v_fma_f32 v55, -v123, v47, v125
	v_pk_mul_f32 v[46:47], v[122:123], v[66:67]
	v_pk_mul_f32 v[32:33], v[20:21], v[32:33]
	v_sub_f32_e32 v46, v93, v46
	v_pk_mul_f32 v[34:35], v[20:21], v[34:35]
	v_sub_f32_e32 v22, v22, v32
	v_mov_b32_e32 v26, v88
	v_mov_b32_e32 v88, v40
	;; [unrolled: 1-line block ×4, first 2 shown]
	v_sub_f32_e32 v46, v46, v47
	v_sub_f32_e32 v47, v22, v33
	;; [unrolled: 1-line block ×4, first 2 shown]
	v_pk_mul_f32 v[44:45], v[20:21], v[44:45]
	v_sub_f32_e32 v27, v22, v35
	v_pk_mul_f32 v[34:35], v[24:25], v[40:41]
	v_sub_f32_e32 v22, v31, v44
	;; [unrolled: 2-line block ×3, first 2 shown]
	v_mov_b32_e32 v118, v96
	v_sub_f32_e32 v31, v22, v45
	v_sub_f32_e32 v62, v13, v35
	;; [unrolled: 1-line block ×3, first 2 shown]
	v_pk_mul_f32 v[34:35], v[24:25], v[90:91]
	v_mov_b32_e32 v22, v25
	v_sub_f32_e32 v46, v13, v41
	v_sub_f32_e32 v13, v55, v34
	v_pk_mul_f32 v[40:41], v[22:23], v[118:119]
	v_mov_b32_e32 v96, v108
	v_sub_f32_e32 v63, v13, v35
	v_sub_f32_e32 v13, v47, v40
	v_pk_mul_f32 v[28:29], v[28:29], v[106:107]
	v_pk_mul_f32 v[32:33], v[24:25], v[96:97]
	v_sub_f32_e32 v25, v13, v41
	v_mov_b32_e32 v41, v5
	v_sub_f32_e32 v5, v82, v83
	v_sub_f32_e32 v5, v5, v28
	v_pk_mul_f32 v[42:43], v[20:21], v[112:113]
	v_pk_mul_f32 v[34:35], v[122:123], v[84:85]
	v_sub_f32_e32 v5, v5, v29
	v_sub_f32_e32 v9, v9, v42
	;; [unrolled: 1-line block ×4, first 2 shown]
	v_pk_mul_f32 v[42:43], v[22:23], v[88:89]
	v_sub_f32_e32 v5, v5, v35
	v_sub_f32_e32 v13, v27, v42
	v_mov_b32_e32 v24, v23
	v_mov_b32_e32 v27, v49
	v_mul_f32_e32 v25, v25, v48
	v_sub_f32_e32 v5, v5, v32
	flat_store_dwordx4 v[52:53], v[20:23] offset:16
	v_sub_f32_e32 v5, v5, v33
	v_mov_b32_e32 v61, v73
	v_pk_mul_f32 v[20:21], v[24:25], v[26:27]
	v_pk_mul_f32 v[44:45], v[22:23], v[86:87]
	v_sub_f32_e32 v5, v5, v20
	v_sub_f32_e32 v5, v5, v21
	v_mul_f32_e32 v21, v5, v72
	v_mov_b32_e32 v20, v25
	v_pk_mul_f32 v[0:1], v[22:23], v[0:1]
	v_sub_f32_e32 v42, v13, v43
	v_mov_b32_e32 v69, v39
	v_pk_mul_f32 v[22:23], v[24:25], v[50:51]
	v_pk_mul_f32 v[28:29], v[20:21], v[60:61]
	v_sub_f32_e32 v13, v31, v44
	v_mov_b32_e32 v55, v3
	v_sub_f32_e32 v3, v62, v22
	v_pk_mul_f32 v[26:27], v[24:25], v[36:37]
	v_sub_f32_e32 v5, v42, v28
	v_pk_mul_f32 v[32:33], v[24:25], v[68:69]
	v_sub_f32_e32 v43, v13, v45
	v_mov_b32_e32 v39, v59
	v_mov_b32_e32 v13, v7
	;; [unrolled: 1-line block ×3, first 2 shown]
	v_sub_f32_e32 v7, v46, v26
	v_sub_f32_e32 v28, v3, v23
	v_pk_mul_f32 v[22:23], v[20:21], v[56:57]
	v_sub_f32_e32 v17, v63, v32
	v_sub_f32_e32 v5, v5, v29
	v_sub_f32_e32 v3, v43, v22
	v_sub_f32_e32 v7, v7, v27
	v_pk_mul_f32 v[26:27], v[20:21], v[38:39]
	v_sub_f32_e32 v20, v17, v33
	v_mul_f32_e32 v17, v5, v16
	v_mov_b32_e32 v16, v21
	v_sub_f32_e32 v24, v3, v23
	v_pk_mul_f32 v[22:23], v[16:17], v[30:31]
	v_sub_f32_e32 v0, v9, v0
	v_sub_f32_e32 v5, v28, v22
	;; [unrolled: 1-line block ×4, first 2 shown]
	v_mov_b32_e32 v0, v18
	v_mov_b32_e32 v1, v117
	v_mul_f32_e32 v23, v5, v116
	v_mov_b32_e32 v22, v17
	v_pk_mul_f32 v[0:1], v[22:23], v[0:1]
	v_mov_b32_e32 v18, v58
	v_sub_f32_e32 v9, v9, v26
	v_mov_b32_e32 v3, v115
	v_sub_f32_e32 v0, v24, v0
	v_sub_f32_e32 v9, v9, v27
	v_pk_mul_f32 v[18:19], v[16:17], v[18:19]
	v_pk_mul_f32 v[2:3], v[22:23], v[2:3]
	v_sub_f32_e32 v0, v0, v1
	v_mov_b32_e32 v40, v114
	v_sub_f32_e32 v7, v7, v18
	v_sub_f32_e32 v2, v9, v2
	v_mul_f32_e32 v1, v0, v4
	v_mov_b32_e32 v0, v23
	v_sub_f32_e32 v5, v7, v19
	v_pk_mul_f32 v[18:19], v[16:17], v[54:55]
	v_sub_f32_e32 v16, v2, v3
	v_pk_mul_f32 v[2:3], v[0:1], v[40:41]
	v_sub_f32_e32 v7, v20, v18
	v_sub_f32_e32 v2, v5, v2
	;; [unrolled: 1-line block ×4, first 2 shown]
	v_mov_b32_e32 v7, v15
	v_mul_f32_e32 v3, v2, v14
	v_mov_b32_e32 v2, v1
	v_mov_b32_e32 v20, v25
	v_pk_mul_f32 v[4:5], v[2:3], v[6:7]
	v_pk_mul_f32 v[0:1], v[0:1], v[12:13]
	flat_store_dwordx4 v[52:53], v[20:23] offset:32
	v_sub_f32_e32 v4, v16, v4
	v_sub_f32_e32 v0, v9, v0
	flat_store_dwordx2 v[52:53], v[2:3] offset:48
	v_sub_f32_e32 v6, v0, v1
	v_sub_f32_e32 v0, v4, v5
	ds_read_b32 v4, v92 offset:1020
	v_mov_b32_e32 v9, v11
	v_mul_f32_e32 v1, v0, v10
	v_mov_b32_e32 v0, v3
	v_pk_mul_f32 v[2:3], v[0:1], v[8:9]
	s_nop 0
	v_sub_f32_e32 v0, v6, v2
	v_sub_f32_e32 v0, v0, v3
	s_waitcnt lgkmcnt(0)
	v_mul_f32_e32 v3, v0, v4
	v_mov_b32_e32 v2, v1
	flat_store_dwordx2 v[52:53], v[2:3] offset:56
.LBB19_42:
	s_cmp_lt_i32 s2, s17
	s_cbranch_scc0 .LBB19_53
; %bb.43:
	s_or_b32 s3, s2, 11
	s_cmp_ge_u32 s3, s17
	s_cbranch_scc1 .LBB19_48
; %bb.44:
	s_lshl_b32 s4, s2, 2
	s_mov_b32 s5, 0
	v_lshl_add_u64 v[8:9], v[52:53], 0, s[4:5]
	flat_load_dwordx4 v[0:3], v[8:9]
	flat_load_dwordx4 v[4:7], v[8:9] offset:16
	flat_load_dwordx4 v[22:25], v[8:9] offset:32
	s_andn2_b64 vcc, exec, s[0:1]
	s_waitcnt vmcnt(0) lgkmcnt(0)
	v_pk_mul_f32 v[20:21], s[16:17], v[0:1] op_sel_hi:[0,1]
	v_pk_mul_f32 v[18:19], s[16:17], v[2:3] op_sel_hi:[0,1]
	;; [unrolled: 1-line block ×6, first 2 shown]
	s_cbranch_vccnz .LBB19_47
; %bb.45:
	v_mov_b64_e32 v[0:1], v[52:53]
	s_mov_b32 s0, s2
.LBB19_46:                              ; =>This Inner Loop Header: Depth=1
	flat_load_dword v6, v[0:1]
	v_mov_b32_e32 v7, s4
	ds_read_b128 v[2:5], v7
	ds_read_b128 v[22:25], v7 offset:16
	ds_read_b128 v[26:29], v7 offset:32
	s_add_i32 s0, s0, -1
	s_add_i32 s4, s4, 64
	v_lshl_add_u64 v[0:1], v[0:1], 0, 4
	s_cmp_lg_u32 s0, 0
	s_waitcnt vmcnt(0) lgkmcnt(0)
	v_pk_fma_f32 v[20:21], v[6:7], v[2:3], v[20:21] op_sel_hi:[0,1,1] neg_lo:[1,0,0] neg_hi:[1,0,0]
	v_pk_fma_f32 v[18:19], v[6:7], v[4:5], v[18:19] op_sel_hi:[0,1,1] neg_lo:[1,0,0] neg_hi:[1,0,0]
	;; [unrolled: 1-line block ×6, first 2 shown]
	s_cbranch_scc1 .LBB19_46
.LBB19_47:
	s_lshl_b32 s0, s2, 2
	s_lshl_b32 s1, s2, 6
	s_add_i32 s0, s0, s1
	v_mov_b32_e32 v74, s0
	ds_read_b128 v[22:25], v74
	ds_read_b128 v[26:29], v74 offset:16
	ds_read2_b64 v[30:33], v74 offset0:17 offset1:18
	ds_read_b128 v[4:7], v74 offset:272
	ds_read_b128 v[0:3], v74 offset:288
	ds_read2_b32 v[38:39], v74 offset0:19 offset1:20
	ds_read2_b32 v[40:41], v74 offset0:21 offset1:22
	;; [unrolled: 1-line block ×7, first 2 shown]
	ds_read_b32 v54, v74 offset:108
	s_waitcnt lgkmcnt(12)
	v_mul_f32_e32 v20, v20, v22
	s_waitcnt lgkmcnt(10)
	v_mov_b32_e32 v56, v32
	s_waitcnt lgkmcnt(7)
	v_mov_b32_e32 v58, v38
	v_mov_b32_e32 v38, v26
	s_waitcnt lgkmcnt(6)
	v_mov_b32_e32 v32, v40
	v_mov_b32_e32 v40, v28
	v_fma_f32 v61, -v20, v27, v17
	v_fma_f32 v69, -v20, v29, v11
	ds_read_b64 v[62:63], v74 offset:168
	ds_read2_b64 v[26:29], v74 offset0:19 offset1:20
	ds_read2_b32 v[64:65], v74 offset0:17 offset1:18
	ds_read_b128 v[34:37], v74 offset:32
	ds_read2_b32 v[66:67], v74 offset0:51 offset1:52
	s_waitcnt lgkmcnt(8)
	v_mov_b32_e32 v68, v46
	s_waitcnt lgkmcnt(3)
	v_mov_b32_e32 v46, v26
	v_mov_b32_e32 v26, v42
	s_waitcnt lgkmcnt(1)
	v_mov_b32_e32 v42, v34
	v_fma_f32 v73, -v20, v35, v15
	ds_read2_b32 v[34:35], v74 offset0:87 offset1:88
	v_fma_f32 v11, -v20, v23, v21
	v_mov_b32_e32 v22, v24
	v_mul_f32_e32 v21, v11, v64
	v_mov_b32_e32 v23, v65
	v_pk_mul_f32 v[22:23], v[20:21], v[22:23]
	v_mov_b32_e32 v60, v6
	v_sub_f32_e32 v11, v18, v22
	v_mov_b32_e32 v6, v48
	v_mov_b32_e32 v48, v28
	;; [unrolled: 1-line block ×4, first 2 shown]
	s_waitcnt lgkmcnt(0)
	v_mov_b32_e32 v72, v34
	v_mov_b32_e32 v34, v0
	;; [unrolled: 1-line block ×3, first 2 shown]
	v_fma_f32 v50, -v20, v25, v19
	v_sub_f32_e32 v11, v11, v23
	v_pk_mul_f32 v[18:19], v[20:21], v[38:39]
	v_pk_mul_f32 v[22:23], v[20:21], v[42:43]
	v_fma_f32 v75, -v20, v37, v13
	v_sub_f32_e32 v13, v16, v18
	v_mul_f32_e32 v17, v11, v30
	v_sub_f32_e32 v11, v14, v22
	v_pk_mul_f32 v[14:15], v[20:21], v[44:45]
	v_mov_b32_e32 v55, v63
	v_mov_b32_e32 v63, v51
	v_sub_f32_e32 v51, v13, v19
	v_sub_f32_e32 v14, v12, v14
	v_pk_mul_f32 v[12:13], v[20:21], v[40:41]
	v_mov_b32_e32 v59, v31
	v_mov_b32_e32 v16, v21
	v_sub_f32_e32 v10, v10, v12
	v_sub_f32_e32 v42, v10, v13
	v_pk_mul_f32 v[12:13], v[16:17], v[58:59]
	v_pk_mul_f32 v[24:25], v[16:17], v[28:29]
	v_sub_f32_e32 v12, v50, v12
	v_sub_f32_e32 v12, v12, v13
	;; [unrolled: 1-line block ×4, first 2 shown]
	v_mul_f32_e32 v23, v12, v66
	v_sub_f32_e32 v14, v73, v24
	v_mov_b32_e32 v22, v17
	v_pk_mul_f32 v[18:19], v[16:17], v[32:33]
	v_pk_mul_f32 v[10:11], v[16:17], v[26:27]
	;; [unrolled: 1-line block ×3, first 2 shown]
	v_sub_f32_e32 v46, v14, v25
	v_pk_mul_f32 v[14:15], v[16:17], v[54:55]
	v_sub_f32_e32 v13, v61, v18
	v_sub_f32_e32 v10, v69, v10
	v_sub_f32_e32 v14, v75, v14
	ds_read2_b32 v[36:37], v74 offset0:89 offset1:90
	ds_read2_b32 v[70:71], v74 offset0:85 offset1:86
	;; [unrolled: 1-line block ×4, first 2 shown]
	v_sub_f32_e32 v45, v13, v19
	v_sub_f32_e32 v50, v10, v11
	ds_read_b128 v[10:13], v74 offset:544
	ds_read2_b32 v[18:19], v74 offset0:153 offset1:154
	v_sub_f32_e32 v47, v14, v15
	ds_read2_b64 v[14:17], v74 offset0:51 offset1:52
	ds_read_b64 v[40:41], v74 offset:424
	ds_read2_b32 v[54:55], v74 offset0:59 offset1:91
	v_mov_b32_e32 v57, v67
	v_pk_mul_f32 v[30:31], v[22:23], v[56:57]
	v_pk_mul_f32 v[38:39], v[22:23], v[48:49]
	v_sub_f32_e32 v30, v51, v30
	v_sub_f32_e32 v48, v30, v31
	v_sub_f32_e32 v32, v42, v32
	ds_read_b64 v[30:31], v74 offset:680
	v_sub_f32_e32 v49, v32, v33
	s_waitcnt lgkmcnt(1)
	v_mov_b32_e32 v32, v54
	v_mov_b32_e32 v33, v3
	v_sub_f32_e32 v3, v43, v38
	v_mov_b32_e32 v38, v55
	ds_read2_b32 v[54:55], v74 offset0:123 offset1:155
	flat_store_dwordx4 v[8:9], v[20:23]
	v_mov_b32_e32 v69, v5
	v_pk_mul_f32 v[24:25], v[22:23], v[62:63]
	v_mov_b32_e32 v20, v23
	v_mul_f32_e32 v21, v48, v4
	v_pk_mul_f32 v[4:5], v[20:21], v[68:69]
	v_sub_f32_e32 v51, v3, v39
	v_sub_f32_e32 v4, v45, v4
	;; [unrolled: 1-line block ×3, first 2 shown]
	v_pk_mul_f32 v[42:43], v[20:21], v[0:1]
	v_sub_f32_e32 v0, v4, v5
	v_mov_b32_e32 v39, v41
	v_sub_f32_e32 v41, v3, v25
	v_mov_b32_e32 v3, v37
	v_mov_b32_e32 v61, v71
	v_pk_mul_f32 v[6:7], v[20:21], v[6:7]
	v_mul_f32_e32 v1, v0, v70
	v_mov_b32_e32 v0, v21
	v_sub_f32_e32 v6, v50, v6
	v_pk_mul_f32 v[4:5], v[0:1], v[60:61]
	v_pk_mul_f32 v[2:3], v[0:1], v[2:3]
	;; [unrolled: 1-line block ×3, first 2 shown]
	v_mov_b32_e32 v37, v13
	v_sub_f32_e32 v4, v49, v4
	v_sub_f32_e32 v13, v6, v7
	v_pk_mul_f32 v[6:7], v[0:1], v[34:35]
	v_sub_f32_e32 v0, v41, v2
	v_sub_f32_e32 v2, v47, v32
	;; [unrolled: 1-line block ×4, first 2 shown]
	v_mov_b32_e32 v73, v15
	v_mul_f32_e32 v5, v2, v14
	v_mov_b32_e32 v4, v1
	v_sub_f32_e32 v0, v0, v3
	v_pk_mul_f32 v[2:3], v[4:5], v[72:73]
	v_mov_b32_e32 v24, v16
	v_sub_f32_e32 v2, v13, v2
	v_mov_b32_e32 v16, v36
	v_mov_b32_e32 v23, v11
	v_sub_f32_e32 v11, v46, v42
	v_sub_f32_e32 v6, v51, v6
	;; [unrolled: 1-line block ×3, first 2 shown]
	v_mov_b32_e32 v25, v27
	v_sub_f32_e32 v11, v11, v43
	v_sub_f32_e32 v27, v6, v7
	v_pk_mul_f32 v[6:7], v[4:5], v[16:17]
	v_mul_f32_e32 v3, v2, v26
	v_mov_b32_e32 v2, v5
	v_mov_b32_e32 v41, v29
	v_sub_f32_e32 v6, v11, v6
	v_pk_mul_f32 v[14:15], v[2:3], v[24:25]
	v_pk_mul_f32 v[16:17], v[4:5], v[38:39]
	v_sub_f32_e32 v11, v27, v14
	v_sub_f32_e32 v14, v6, v7
	v_pk_mul_f32 v[6:7], v[2:3], v[40:41]
	v_mov_b32_e32 v22, v28
	v_sub_f32_e32 v6, v0, v6
	v_sub_f32_e32 v0, v20, v16
	;; [unrolled: 1-line block ×3, first 2 shown]
	v_mov_b32_e32 v0, v21
	flat_store_dwordx4 v[8:9], v[0:3] offset:16
	v_mov_b32_e32 v13, v19
	s_waitcnt lgkmcnt(0)
	v_mov_b32_e32 v36, v54
	v_sub_f32_e32 v0, v11, v15
	v_mul_f32_e32 v1, v0, v10
	v_mov_b32_e32 v0, v3
	v_pk_mul_f32 v[2:3], v[0:1], v[22:23]
	v_sub_f32_e32 v6, v6, v7
	v_sub_f32_e32 v2, v14, v2
	;; [unrolled: 1-line block ×3, first 2 shown]
	v_mul_f32_e32 v3, v2, v18
	v_mov_b32_e32 v2, v1
	v_pk_mul_f32 v[4:5], v[2:3], v[12:13]
	v_pk_mul_f32 v[0:1], v[0:1], v[36:37]
	v_sub_f32_e32 v4, v6, v4
	flat_store_dwordx2 v[8:9], v[2:3] offset:32
	v_sub_f32_e32 v0, v16, v0
	v_sub_f32_e32 v2, v4, v5
	ds_read_b32 v7, v74 offset:748
	v_sub_f32_e32 v6, v0, v1
	v_mov_b32_e32 v0, v55
	v_mov_b32_e32 v1, v31
	v_mul_f32_e32 v5, v2, v30
	v_mov_b32_e32 v4, v3
	v_pk_mul_f32 v[0:1], v[4:5], v[0:1]
	s_or_b32 s2, s2, 12
	v_sub_f32_e32 v0, v6, v0
	v_sub_f32_e32 v0, v0, v1
	s_waitcnt lgkmcnt(0)
	v_mul_f32_e32 v1, v0, v7
	v_mov_b32_e32 v0, v5
	flat_store_dwordx2 v[8:9], v[0:1] offset:40
.LBB19_48:
	s_cmp_ge_i32 s2, s17
	s_cbranch_scc1 .LBB19_53
; %bb.49:
	s_lshl_b32 s0, s2, 2
	s_mov_b32 s3, 0
	s_branch .LBB19_51
.LBB19_50:                              ;   in Loop: Header=BB19_51 Depth=1
	s_mul_i32 s1, s2, 0x44
	v_mov_b32_e32 v2, s1
	ds_read_b32 v2, v2
	s_add_i32 s2, s2, 1
	s_add_i32 s0, s0, 4
	s_cmp_ge_i32 s2, s17
	s_waitcnt lgkmcnt(0)
	v_mul_f32_e32 v2, v4, v2
	flat_store_dword v[0:1], v2
	s_cbranch_scc1 .LBB19_53
.LBB19_51:                              ; =>This Loop Header: Depth=1
                                        ;     Child Loop BB19_52 Depth 2
	v_lshl_add_u64 v[0:1], s[2:3], 2, v[52:53]
	flat_load_dword v4, v[0:1]
	s_cmp_eq_u32 s2, 0
	v_mov_b64_e32 v[2:3], v[52:53]
	s_mov_b32 s1, s0
	s_mov_b32 s4, s2
	s_waitcnt vmcnt(0) lgkmcnt(0)
	v_mul_f32_e32 v4, s16, v4
	s_cbranch_scc1 .LBB19_50
.LBB19_52:                              ;   Parent Loop BB19_51 Depth=1
                                        ; =>  This Inner Loop Header: Depth=2
	flat_load_dword v5, v[2:3]
	v_mov_b32_e32 v6, s1
	ds_read_b32 v6, v6
	s_add_i32 s4, s4, -1
	s_add_i32 s1, s1, 64
	v_lshl_add_u64 v[2:3], v[2:3], 0, 4
	s_cmp_lg_u32 s4, 0
	s_waitcnt vmcnt(0) lgkmcnt(0)
	v_fma_f32 v4, -v5, v6, v4
	s_cbranch_scc1 .LBB19_52
	s_branch .LBB19_50
.LBB19_53:
	s_endpgm
	.section	.rodata,"a",@progbits
	.p2align	6, 0x0
	.amdhsa_kernel _ZL30rocblas_trsm_small_left_deviceILi16ELi16ELb1EffPKPKfPKPfEv13rocblas_fill_18rocblas_operation_17rocblas_diagonal_iiT3_T4_lilT5_lili
		.amdhsa_group_segment_fixed_size 1024
		.amdhsa_private_segment_fixed_size 0
		.amdhsa_kernarg_size 352
		.amdhsa_user_sgpr_count 2
		.amdhsa_user_sgpr_dispatch_ptr 0
		.amdhsa_user_sgpr_queue_ptr 0
		.amdhsa_user_sgpr_kernarg_segment_ptr 1
		.amdhsa_user_sgpr_dispatch_id 0
		.amdhsa_user_sgpr_kernarg_preload_length 0
		.amdhsa_user_sgpr_kernarg_preload_offset 0
		.amdhsa_user_sgpr_private_segment_size 0
		.amdhsa_uses_dynamic_stack 0
		.amdhsa_enable_private_segment 0
		.amdhsa_system_sgpr_workgroup_id_x 1
		.amdhsa_system_sgpr_workgroup_id_y 0
		.amdhsa_system_sgpr_workgroup_id_z 1
		.amdhsa_system_sgpr_workgroup_info 0
		.amdhsa_system_vgpr_workitem_id 0
		.amdhsa_next_free_vgpr 126
		.amdhsa_next_free_sgpr 36
		.amdhsa_accum_offset 128
		.amdhsa_reserve_vcc 1
		.amdhsa_float_round_mode_32 0
		.amdhsa_float_round_mode_16_64 0
		.amdhsa_float_denorm_mode_32 3
		.amdhsa_float_denorm_mode_16_64 3
		.amdhsa_dx10_clamp 1
		.amdhsa_ieee_mode 1
		.amdhsa_fp16_overflow 0
		.amdhsa_tg_split 0
		.amdhsa_exception_fp_ieee_invalid_op 0
		.amdhsa_exception_fp_denorm_src 0
		.amdhsa_exception_fp_ieee_div_zero 0
		.amdhsa_exception_fp_ieee_overflow 0
		.amdhsa_exception_fp_ieee_underflow 0
		.amdhsa_exception_fp_ieee_inexact 0
		.amdhsa_exception_int_div_zero 0
	.end_amdhsa_kernel
	.section	.text._ZL30rocblas_trsm_small_left_deviceILi16ELi16ELb1EffPKPKfPKPfEv13rocblas_fill_18rocblas_operation_17rocblas_diagonal_iiT3_T4_lilT5_lili,"axG",@progbits,_ZL30rocblas_trsm_small_left_deviceILi16ELi16ELb1EffPKPKfPKPfEv13rocblas_fill_18rocblas_operation_17rocblas_diagonal_iiT3_T4_lilT5_lili,comdat
.Lfunc_end19:
	.size	_ZL30rocblas_trsm_small_left_deviceILi16ELi16ELb1EffPKPKfPKPfEv13rocblas_fill_18rocblas_operation_17rocblas_diagonal_iiT3_T4_lilT5_lili, .Lfunc_end19-_ZL30rocblas_trsm_small_left_deviceILi16ELi16ELb1EffPKPKfPKPfEv13rocblas_fill_18rocblas_operation_17rocblas_diagonal_iiT3_T4_lilT5_lili
                                        ; -- End function
	.set _ZL30rocblas_trsm_small_left_deviceILi16ELi16ELb1EffPKPKfPKPfEv13rocblas_fill_18rocblas_operation_17rocblas_diagonal_iiT3_T4_lilT5_lili.num_vgpr, 126
	.set _ZL30rocblas_trsm_small_left_deviceILi16ELi16ELb1EffPKPKfPKPfEv13rocblas_fill_18rocblas_operation_17rocblas_diagonal_iiT3_T4_lilT5_lili.num_agpr, 0
	.set _ZL30rocblas_trsm_small_left_deviceILi16ELi16ELb1EffPKPKfPKPfEv13rocblas_fill_18rocblas_operation_17rocblas_diagonal_iiT3_T4_lilT5_lili.numbered_sgpr, 36
	.set _ZL30rocblas_trsm_small_left_deviceILi16ELi16ELb1EffPKPKfPKPfEv13rocblas_fill_18rocblas_operation_17rocblas_diagonal_iiT3_T4_lilT5_lili.num_named_barrier, 0
	.set _ZL30rocblas_trsm_small_left_deviceILi16ELi16ELb1EffPKPKfPKPfEv13rocblas_fill_18rocblas_operation_17rocblas_diagonal_iiT3_T4_lilT5_lili.private_seg_size, 0
	.set _ZL30rocblas_trsm_small_left_deviceILi16ELi16ELb1EffPKPKfPKPfEv13rocblas_fill_18rocblas_operation_17rocblas_diagonal_iiT3_T4_lilT5_lili.uses_vcc, 1
	.set _ZL30rocblas_trsm_small_left_deviceILi16ELi16ELb1EffPKPKfPKPfEv13rocblas_fill_18rocblas_operation_17rocblas_diagonal_iiT3_T4_lilT5_lili.uses_flat_scratch, 0
	.set _ZL30rocblas_trsm_small_left_deviceILi16ELi16ELb1EffPKPKfPKPfEv13rocblas_fill_18rocblas_operation_17rocblas_diagonal_iiT3_T4_lilT5_lili.has_dyn_sized_stack, 0
	.set _ZL30rocblas_trsm_small_left_deviceILi16ELi16ELb1EffPKPKfPKPfEv13rocblas_fill_18rocblas_operation_17rocblas_diagonal_iiT3_T4_lilT5_lili.has_recursion, 0
	.set _ZL30rocblas_trsm_small_left_deviceILi16ELi16ELb1EffPKPKfPKPfEv13rocblas_fill_18rocblas_operation_17rocblas_diagonal_iiT3_T4_lilT5_lili.has_indirect_call, 0
	.section	.AMDGPU.csdata,"",@progbits
; Kernel info:
; codeLenInByte = 8972
; TotalNumSgprs: 42
; NumVgprs: 126
; NumAgprs: 0
; TotalNumVgprs: 126
; ScratchSize: 0
; MemoryBound: 0
; FloatMode: 240
; IeeeMode: 1
; LDSByteSize: 1024 bytes/workgroup (compile time only)
; SGPRBlocks: 5
; VGPRBlocks: 15
; NumSGPRsForWavesPerEU: 42
; NumVGPRsForWavesPerEU: 126
; AccumOffset: 128
; Occupancy: 4
; WaveLimiterHint : 1
; COMPUTE_PGM_RSRC2:SCRATCH_EN: 0
; COMPUTE_PGM_RSRC2:USER_SGPR: 2
; COMPUTE_PGM_RSRC2:TRAP_HANDLER: 0
; COMPUTE_PGM_RSRC2:TGID_X_EN: 1
; COMPUTE_PGM_RSRC2:TGID_Y_EN: 0
; COMPUTE_PGM_RSRC2:TGID_Z_EN: 1
; COMPUTE_PGM_RSRC2:TIDIG_COMP_CNT: 0
; COMPUTE_PGM_RSRC3_GFX90A:ACCUM_OFFSET: 31
; COMPUTE_PGM_RSRC3_GFX90A:TG_SPLIT: 0
	.section	.text._ZL31rocblas_trsm_small_right_deviceIffPKPKfPKPfLi16EEv13rocblas_fill_18rocblas_operation_17rocblas_diagonal_iiT0_T1_lilT2_lili,"axG",@progbits,_ZL31rocblas_trsm_small_right_deviceIffPKPKfPKPfLi16EEv13rocblas_fill_18rocblas_operation_17rocblas_diagonal_iiT0_T1_lilT2_lili,comdat
	.globl	_ZL31rocblas_trsm_small_right_deviceIffPKPKfPKPfLi16EEv13rocblas_fill_18rocblas_operation_17rocblas_diagonal_iiT0_T1_lilT2_lili ; -- Begin function _ZL31rocblas_trsm_small_right_deviceIffPKPKfPKPfLi16EEv13rocblas_fill_18rocblas_operation_17rocblas_diagonal_iiT0_T1_lilT2_lili
	.p2align	8
	.type	_ZL31rocblas_trsm_small_right_deviceIffPKPKfPKPfLi16EEv13rocblas_fill_18rocblas_operation_17rocblas_diagonal_iiT0_T1_lilT2_lili,@function
_ZL31rocblas_trsm_small_right_deviceIffPKPKfPKPfLi16EEv13rocblas_fill_18rocblas_operation_17rocblas_diagonal_iiT0_T1_lilT2_lili: ; @_ZL31rocblas_trsm_small_right_deviceIffPKPKfPKPfLi16EEv13rocblas_fill_18rocblas_operation_17rocblas_diagonal_iiT0_T1_lilT2_lili
; %bb.0:
	s_load_dwordx4 s[8:11], s[0:1], 0x38
	s_load_dwordx4 s[4:7], s[0:1], 0x0
	s_load_dwordx2 s[16:17], s[0:1], 0x10
	s_mov_b32 s20, s3
	s_mov_b32 s21, 0
	s_lshl_b64 s[24:25], s[20:21], 3
	s_waitcnt lgkmcnt(0)
	s_add_u32 s8, s8, s24
	s_addc_u32 s9, s9, s25
	s_load_dwordx2 s[8:9], s[8:9], 0x0
	s_min_i32 s26, s16, 16
	v_cmp_gt_i32_e32 vcc, s26, v0
	s_and_saveexec_b64 s[18:19], vcc
	s_cbranch_execz .LBB20_10
; %bb.1:
	s_load_dwordx4 s[12:15], s[0:1], 0x18
	s_load_dword s22, s[0:1], 0x28
	v_lshlrev_b32_e32 v2, 2, v0
	v_mov_b32_e32 v3, 0
	s_mov_b32 s3, 1
	s_waitcnt lgkmcnt(0)
	s_add_u32 s12, s12, s24
	s_addc_u32 s13, s13, s25
	s_load_dwordx2 s[12:13], s[12:13], 0x0
	s_cmp_lt_u32 s26, 2
	s_cselect_b64 s[28:29], -1, 0
	s_cmp_lg_u32 s22, 1
	s_cselect_b64 s[30:31], -1, 0
	s_or_b64 s[28:29], s[28:29], s[30:31]
	s_mov_b64 s[24:25], -1
	s_and_b64 vcc, exec, s[28:29]
	s_cbranch_vccnz .LBB20_5
; %bb.2:
	s_lshl_b64 s[20:21], s[14:15], 2
	s_waitcnt lgkmcnt(0)
	s_add_u32 s20, s12, s20
	s_addc_u32 s21, s13, s21
	v_lshl_add_u64 v[4:5], s[20:21], 0, v[2:3]
	s_and_b32 s21, s26, -2
	s_mov_b32 s20, 0
	s_mov_b32 s23, s21
.LBB20_3:                               ; =>This Inner Loop Header: Depth=1
	flat_load_dwordx2 v[6:7], v[4:5]
	v_lshl_or_b32 v1, s20, 6, v2
	v_lshl_or_b32 v3, s3, 6, v2
	s_add_i32 s20, s20, 2
	s_add_i32 s3, s3, 2
	s_add_i32 s23, s23, -2
	v_lshl_add_u64 v[4:5], v[4:5], 0, 8
	s_cmp_lg_u32 s23, 0
	s_waitcnt vmcnt(0) lgkmcnt(0)
	ds_write_b32 v1, v6
	ds_write_b32 v3, v7
	s_cbranch_scc1 .LBB20_3
; %bb.4:
	s_cmp_lg_u32 s26, s21
	s_cselect_b64 s[24:25], -1, 0
.LBB20_5:
	s_and_b64 vcc, exec, s[24:25]
	s_cbranch_vccz .LBB20_8
; %bb.6:
	s_ashr_i32 s23, s22, 31
	s_mul_hi_u32 s3, s22, s21
	s_mul_i32 s20, s23, s21
	s_add_i32 s25, s3, s20
	s_mul_i32 s24, s22, s21
	s_lshl_b64 s[24:25], s[24:25], 2
	s_lshl_b64 s[14:15], s[14:15], 2
	s_add_u32 s3, s24, s14
	s_addc_u32 s14, s25, s15
	s_waitcnt lgkmcnt(0)
	s_add_u32 s12, s12, s3
	v_mov_b32_e32 v3, 0
	s_addc_u32 s13, s13, s14
	v_lshl_add_u64 v[4:5], s[12:13], 0, v[2:3]
	s_lshl_b64 s[12:13], s[22:23], 2
	s_sub_i32 s3, s26, s21
	v_lshl_or_b32 v1, s21, 6, v2
.LBB20_7:                               ; =>This Inner Loop Header: Depth=1
	flat_load_dword v3, v[4:5]
	s_add_i32 s3, s3, -1
	v_lshl_add_u64 v[4:5], v[4:5], 0, s[12:13]
	s_cmp_eq_u32 s3, 0
	s_waitcnt vmcnt(0) lgkmcnt(0)
	ds_write_b32 v1, v3
	v_add_u32_e32 v1, 64, v1
	s_cbranch_scc0 .LBB20_7
.LBB20_8:
	s_cmpk_eq_i32 s6, 0x84
	s_cbranch_scc0 .LBB20_10
; %bb.9:
	v_lshl_or_b32 v1, v0, 6, v2
	v_mov_b32_e32 v2, 1.0
	ds_write_b32 v1, v2
.LBB20_10:
	s_or_b64 exec, exec, s[18:19]
	s_load_dword s3, s[0:1], 0x60
	s_load_dword s6, s[0:1], 0x48
	s_lshl_b64 s[10:11], s[10:11], 2
	s_waitcnt lgkmcnt(0)
	s_add_u32 s0, s8, s10
	s_addc_u32 s1, s9, s11
	s_lshl_b32 s12, s2, 4
	s_add_i32 s3, s3, -1
	s_sub_i32 s7, s7, s12
	s_cmp_ge_u32 s2, s3
	s_cselect_b32 s7, s7, 16
	s_ashr_i32 s3, s2, 31
	s_lshl_b64 s[2:3], s[2:3], 6
	s_add_u32 s12, s0, s2
	s_addc_u32 s13, s1, s3
	v_cmp_gt_i32_e64 s[0:1], s7, v0
	s_and_saveexec_b64 s[14:15], s[0:1]
	s_cbranch_execz .LBB20_19
; %bb.11:
	s_cmp_lt_i32 s16, 1
	s_cbranch_scc1 .LBB20_19
; %bb.12:
	s_cmp_eq_u32 s16, 1
	s_cselect_b64 s[18:19], -1, 0
	s_cmp_lg_u32 s6, 1
	s_cselect_b64 s[20:21], -1, 0
	s_or_b64 s[18:19], s[18:19], s[20:21]
	v_mov_b32_e32 v3, 0
	s_and_b64 vcc, exec, s[18:19]
	s_cbranch_vccnz .LBB20_16
; %bb.13:
	v_lshlrev_b32_e32 v2, 2, v0
	v_mov_b32_e32 v1, 0x400
	s_and_b32 s20, s16, 0x7ffffffe
	v_lshl_add_u64 v[2:3], s[12:13], 0, v[2:3]
	v_lshl_or_b32 v1, v0, 2, v1
	s_mov_b32 s18, s17
	s_mov_b32 s19, s17
	;; [unrolled: 1-line block ×5, first 2 shown]
.LBB20_14:                              ; =>This Inner Loop Header: Depth=1
	flat_load_dwordx2 v[4:5], v[2:3]
	v_lshl_add_u32 v6, s21, 6, v1
	v_lshl_add_u32 v7, s7, 6, v1
	s_add_i32 s21, s21, 2
	s_add_i32 s7, s7, 2
	s_add_i32 s22, s22, -2
	v_lshl_add_u64 v[2:3], v[2:3], 0, 8
	s_cmp_lg_u32 s22, 0
	s_waitcnt vmcnt(0) lgkmcnt(0)
	v_pk_mul_f32 v[4:5], s[18:19], v[4:5]
	ds_write_b32 v6, v4
	ds_write_b32 v7, v5
	s_cbranch_scc1 .LBB20_14
; %bb.15:
	s_cmp_lg_u32 s16, s20
	s_cselect_b64 s[18:19], -1, 0
	s_and_b64 vcc, exec, s[18:19]
	s_cbranch_vccnz .LBB20_17
	s_branch .LBB20_19
.LBB20_16:
	s_mov_b32 s20, 0
	s_cbranch_execz .LBB20_19
.LBB20_17:
	s_mul_hi_i32 s19, s6, s20
	s_mul_i32 s18, s6, s20
	s_ashr_i32 s7, s6, 31
	s_sub_i32 s21, s16, s20
	s_lshl_b64 s[18:19], s[18:19], 2
	s_add_u32 s18, s18, s2
	s_addc_u32 s19, s19, s3
	s_add_u32 s18, s18, s10
	s_addc_u32 s19, s19, s11
	v_lshlrev_b32_e32 v4, 2, v0
	s_add_u32 s18, s8, s18
	v_mov_b32_e32 v5, 0
	s_addc_u32 s19, s9, s19
	v_lshl_or_b32 v1, s20, 6, v4
	v_lshl_add_u64 v[2:3], s[18:19], 0, v[4:5]
	s_lshl_b64 s[18:19], s[6:7], 2
	v_add_u32_e32 v1, 0x400, v1
.LBB20_18:                              ; =>This Inner Loop Header: Depth=1
	flat_load_dword v4, v[2:3]
	s_add_i32 s21, s21, -1
	v_lshl_add_u64 v[2:3], v[2:3], 0, s[18:19]
	s_cmp_lg_u32 s21, 0
	s_waitcnt vmcnt(0) lgkmcnt(0)
	v_mul_f32_e32 v4, s17, v4
	ds_write_b32 v1, v4
	v_add_u32_e32 v1, 64, v1
	s_cbranch_scc1 .LBB20_18
.LBB20_19:
	s_or_b64 exec, exec, s[14:15]
	s_cmpk_eq_i32 s5, 0x6f
	s_cselect_b64 s[18:19], -1, 0
	s_cmpk_lg_i32 s4, 0x79
	s_cselect_b64 s[14:15], -1, 0
	s_cmpk_eq_i32 s4, 0x79
	s_cselect_b64 s[20:21], -1, 0
	s_and_b64 s[20:21], s[20:21], s[18:19]
	s_andn2_b64 vcc, exec, s[20:21]
	s_mov_b64 s[20:21], -1
	s_waitcnt lgkmcnt(0)
	; wave barrier
	s_cbranch_vccz .LBB20_77
; %bb.20:
	s_cmpk_lg_i32 s4, 0x7a
	s_cselect_b64 s[4:5], -1, 0
	s_xor_b64 s[18:19], s[18:19], -1
	s_add_i32 s7, s26, -1
	s_or_b64 s[18:19], s[4:5], s[18:19]
	v_mov_b32_e32 v1, 0x400
	s_cmp_gt_i32 s16, 3
	v_lshl_or_b32 v1, v0, 2, v1
	s_cselect_b64 s[4:5], -1, 0
	s_and_b64 vcc, exec, s[18:19]
	s_cbranch_vccz .LBB20_56
; %bb.21:
	s_andn2_b64 vcc, exec, s[14:15]
	s_mov_b64 s[14:15], -1
	s_cbranch_vccnz .LBB20_35
; %bb.22:
	s_andn2_b64 vcc, exec, s[4:5]
	s_mov_b32 s17, 0
	s_cbranch_vccnz .LBB20_29
; %bb.23:
	v_mov_b32_e32 v2, 0x400
	v_lshl_or_b32 v8, v0, 2, v2
	s_mov_b32 s14, 0
	s_mov_b32 s15, 0
.LBB20_24:                              ; =>This Loop Header: Depth=1
                                        ;     Child Loop BB20_25 Depth 2
	s_lshl_b32 s18, s15, 6
	v_add_u32_e32 v10, s18, v1
	s_or_b32 s17, s15, 1
	ds_read2_b32 v[6:7], v10 offset1:32
	v_lshl_add_u32 v11, s17, 6, v1
	s_or_b32 s19, s18, 0xc0
	v_add_u32_e32 v9, s19, v1
	ds_read_b32 v5, v11
	ds_read_b32 v3, v9
	s_cmp_eq_u32 s15, 0
	v_mov_b32_e32 v12, v8
	s_mov_b32 s19, s14
	s_mov_b32 s20, s15
	s_waitcnt lgkmcnt(2)
	v_mov_b32_e32 v4, v6
	v_mov_b32_e32 v2, v7
	s_cbranch_scc1 .LBB20_27
.LBB20_25:                              ;   Parent Loop BB20_24 Depth=1
                                        ; =>  This Inner Loop Header: Depth=2
	v_mov_b32_e32 v7, s19
	ds_read_b32 v6, v12
	ds_read_b128 v[14:17], v7
	s_add_i32 s20, s20, -1
	s_add_i32 s19, s19, 64
	v_add_u32_e32 v12, 64, v12
	s_cmp_eq_u32 s20, 0
	s_waitcnt lgkmcnt(0)
	v_pk_fma_f32 v[4:5], v[6:7], v[14:15], v[4:5] op_sel_hi:[0,1,1] neg_lo:[1,0,0] neg_hi:[1,0,0]
	v_pk_fma_f32 v[2:3], v[6:7], v[16:17], v[2:3] op_sel_hi:[0,1,1] neg_lo:[1,0,0] neg_hi:[1,0,0]
	s_cbranch_scc0 .LBB20_25
; %bb.26:                               ;   in Loop: Header=BB20_24 Depth=1
	v_mov_b32_e32 v7, v2
	v_mov_b32_e32 v6, v4
.LBB20_27:                              ;   in Loop: Header=BB20_24 Depth=1
	s_lshl_b32 s20, s15, 2
	s_add_i32 s21, s20, s18
	v_mov_b32_e32 v18, s21
	ds_read_b128 v[12:15], v18
	ds_read2_b32 v[16:17], v18 offset0:17 offset1:18
	s_addk_i32 s21, 0x44
	s_lshl_b32 s17, s17, 2
	s_sub_i32 s17, s21, s17
	s_waitcnt lgkmcnt(1)
	v_div_scale_f32 v4, s[18:19], v12, v12, v6
	v_rcp_f32_e32 v19, v4
	v_div_scale_f32 v20, vcc, v6, v12, v6
	s_add_i32 s17, s17, s20
	v_fma_f32 v21, -v4, v19, 1.0
	v_fmac_f32_e32 v19, v21, v19
	v_mul_f32_e32 v21, v20, v19
	v_fma_f32 v22, -v4, v21, v20
	v_fmac_f32_e32 v21, v22, v19
	v_fma_f32 v4, -v4, v21, v20
	v_div_fmas_f32 v4, v4, v19, v21
	v_div_fixup_f32 v6, v4, v12, v6
	v_fma_f32 v4, -v6, v13, v5
	s_waitcnt lgkmcnt(0)
	v_div_scale_f32 v5, s[18:19], v16, v16, v4
	v_rcp_f32_e32 v12, v5
	v_div_scale_f32 v13, vcc, v4, v16, v4
	v_fma_f32 v7, -v6, v14, v7
	v_fma_f32 v19, -v5, v12, 1.0
	v_fmac_f32_e32 v12, v19, v12
	v_mul_f32_e32 v19, v13, v12
	v_fma_f32 v20, -v5, v19, v13
	v_fmac_f32_e32 v19, v20, v12
	v_fma_f32 v5, -v5, v19, v13
	v_div_fmas_f32 v5, v5, v12, v19
	v_div_fixup_f32 v12, v5, v16, v4
	ds_read_b64 v[4:5], v18 offset:136
	ds_read_b32 v13, v18 offset:204
	v_fma_f32 v7, -v12, v17, v7
	v_mov_b32_e32 v17, s17
	ds_read_b32 v17, v17 offset:12
	s_waitcnt lgkmcnt(2)
	v_div_scale_f32 v14, s[18:19], v4, v4, v7
	v_rcp_f32_e32 v16, v14
	v_fma_f32 v3, -v6, v15, v3
	s_waitcnt lgkmcnt(0)
	v_fma_f32 v3, -v12, v17, v3
	v_add_u32_e32 v2, 0x80, v10
	v_fma_f32 v18, -v14, v16, 1.0
	v_fmac_f32_e32 v16, v18, v16
	v_div_scale_f32 v18, vcc, v7, v4, v7
	v_mul_f32_e32 v19, v18, v16
	v_fma_f32 v20, -v14, v19, v18
	v_fmac_f32_e32 v19, v20, v16
	v_fma_f32 v14, -v14, v19, v18
	v_div_fmas_f32 v14, v14, v16, v19
	v_div_fixup_f32 v4, v14, v4, v7
	v_fma_f32 v3, -v4, v5, v3
	v_div_scale_f32 v5, s[18:19], v13, v13, v3
	v_rcp_f32_e32 v7, v5
	ds_write_b32 v10, v6
	ds_write_b32 v11, v12
	;; [unrolled: 1-line block ×3, first 2 shown]
	s_add_i32 s17, s15, 4
	s_add_i32 s15, s15, 7
	v_fma_f32 v2, -v5, v7, 1.0
	v_fmac_f32_e32 v7, v2, v7
	v_div_scale_f32 v2, vcc, v3, v13, v3
	v_mul_f32_e32 v4, v2, v7
	v_fma_f32 v6, -v5, v4, v2
	v_fmac_f32_e32 v4, v6, v7
	v_fma_f32 v2, -v5, v4, v2
	v_div_fmas_f32 v2, v2, v7, v4
	s_add_i32 s14, s14, 16
	v_div_fixup_f32 v2, v2, v13, v3
	s_cmp_ge_i32 s15, s26
	ds_write_b32 v9, v2
	s_cbranch_scc1 .LBB20_29
; %bb.28:                               ;   in Loop: Header=BB20_24 Depth=1
	s_mov_b32 s15, s17
	s_branch .LBB20_24
.LBB20_29:
	s_cmp_ge_i32 s17, s26
	s_cbranch_scc1 .LBB20_34
; %bb.30:
	v_mov_b32_e32 v2, 0x400
	s_lshl_b32 s14, s17, 2
	v_lshl_or_b32 v2, v0, 2, v2
	s_branch .LBB20_32
.LBB20_31:                              ;   in Loop: Header=BB20_32 Depth=1
	s_lshl_b32 s18, s17, 2
	s_add_i32 s15, s18, s15
	v_mov_b32_e32 v5, s15
	ds_read_b32 v5, v5
	s_add_i32 s17, s17, 1
	s_add_i32 s14, s14, 4
	s_cmp_ge_i32 s17, s26
	s_waitcnt lgkmcnt(0)
	v_div_scale_f32 v6, s[18:19], v5, v5, v4
	v_rcp_f32_e32 v7, v6
	v_div_scale_f32 v8, vcc, v4, v5, v4
	v_fma_f32 v9, -v6, v7, 1.0
	v_fmac_f32_e32 v7, v9, v7
	v_mul_f32_e32 v9, v8, v7
	v_fma_f32 v10, -v6, v9, v8
	v_fmac_f32_e32 v9, v10, v7
	v_fma_f32 v6, -v6, v9, v8
	v_div_fmas_f32 v6, v6, v7, v9
	v_div_fixup_f32 v4, v6, v5, v4
	ds_write_b32 v3, v4
	s_cbranch_scc1 .LBB20_34
.LBB20_32:                              ; =>This Loop Header: Depth=1
                                        ;     Child Loop BB20_33 Depth 2
	s_lshl_b32 s15, s17, 6
	v_add_u32_e32 v3, s15, v1
	ds_read_b32 v4, v3
	s_cmp_eq_u32 s17, 0
	v_mov_b32_e32 v5, v2
	s_mov_b32 s18, s14
	s_mov_b32 s19, s17
	s_cbranch_scc1 .LBB20_31
.LBB20_33:                              ;   Parent Loop BB20_32 Depth=1
                                        ; =>  This Inner Loop Header: Depth=2
	v_mov_b32_e32 v7, s18
	ds_read_b32 v6, v5
	ds_read_b32 v7, v7
	s_add_i32 s19, s19, -1
	s_add_i32 s18, s18, 64
	v_add_u32_e32 v5, 64, v5
	s_cmp_eq_u32 s19, 0
	s_waitcnt lgkmcnt(0)
	v_fma_f32 v4, -v6, v7, v4
	s_cbranch_scc0 .LBB20_33
	s_branch .LBB20_31
.LBB20_34:
	s_mov_b64 s[14:15], 0
.LBB20_35:
	s_and_b64 vcc, exec, s[14:15]
	s_cbranch_vccz .LBB20_55
; %bb.36:
	s_andn2_b64 vcc, exec, s[4:5]
	s_mov_b32 s17, s7
	s_cbranch_vccnz .LBB20_42
; %bb.37:
	v_lshlrev_b32_e32 v2, 2, v0
	s_mul_i32 s14, s26, 0x44
	v_lshl_or_b32 v2, s26, 6, v2
	s_addk_i32 s14, 0xffb0
	v_add_u32_e32 v6, 0x3c0, v2
	s_mov_b32 s15, s7
.LBB20_38:                              ; =>This Loop Header: Depth=1
                                        ;     Child Loop BB20_39 Depth 2
	s_add_i32 s20, s15, -3
	v_lshl_add_u32 v8, s15, 6, v1
	s_add_i32 s19, s15, -1
	s_add_i32 s18, s15, -2
	s_lshl_b32 s17, s20, 6
	v_lshl_add_u32 v9, s19, 6, v1
	v_lshl_add_u32 v10, s18, 6, v1
	v_add_u32_e32 v7, s17, v1
	ds_read_b32 v5, v8
	ds_read_b32 v4, v9
	;; [unrolled: 1-line block ×4, first 2 shown]
	s_cmp_le_i32 s7, s15
	v_mov_b32_e32 v11, v6
	s_mov_b32 s21, s14
	s_mov_b32 s22, s7
	s_cbranch_scc1 .LBB20_40
.LBB20_39:                              ;   Parent Loop BB20_38 Depth=1
                                        ; =>  This Inner Loop Header: Depth=2
	v_mov_b32_e32 v13, s21
	ds_read_b32 v12, v11
	ds_read2_b32 v[14:15], v13 offset0:2 offset1:3
	ds_read2_b32 v[16:17], v13 offset1:1
	s_add_i32 s22, s22, -1
	s_sub_i32 s21, s21, 64
	v_subrev_u32_e32 v11, 64, v11
	s_cmp_le_i32 s22, s15
	s_waitcnt lgkmcnt(1)
	v_pk_fma_f32 v[4:5], v[12:13], v[14:15], v[4:5] op_sel_hi:[0,1,1] neg_lo:[1,0,0] neg_hi:[1,0,0]
	s_waitcnt lgkmcnt(0)
	v_pk_fma_f32 v[2:3], v[12:13], v[16:17], v[2:3] op_sel_hi:[0,1,1] neg_lo:[1,0,0] neg_hi:[1,0,0]
	s_cbranch_scc0 .LBB20_39
.LBB20_40:                              ;   in Loop: Header=BB20_38 Depth=1
	s_lshl_b32 s22, s20, 2
	s_mul_i32 s20, s15, 0x44
	s_lshl_b32 s21, s19, 2
	s_add_i32 s23, s20, -4
	s_lshl_b32 s19, s19, 6
	v_mov_b32_e32 v11, s23
	s_add_i32 s23, s21, s19
	s_add_i32 s20, s20, -12
	s_add_i32 s19, s22, s19
	v_mov_b32_e32 v14, s23
	v_mov_b32_e32 v15, s20
	v_mov_b32_e32 v16, s19
	ds_read2_b32 v[12:13], v11 offset1:1
	ds_read_b32 v11, v14
	ds_read2_b32 v[14:15], v15 offset1:1
	ds_read2_b32 v[16:17], v16 offset1:1
	s_lshl_b32 s18, s18, 2
	s_waitcnt lgkmcnt(3)
	v_div_scale_f32 v18, s[20:21], v13, v13, v5
	v_rcp_f32_e32 v19, v18
	s_sub_i32 s18, s23, s18
	s_add_i32 s18, s18, s22
	s_addk_i32 s18, 0xffbc
	v_fma_f32 v20, -v18, v19, 1.0
	v_fmac_f32_e32 v19, v20, v19
	v_div_scale_f32 v20, vcc, v5, v13, v5
	v_mul_f32_e32 v21, v20, v19
	v_fma_f32 v22, -v18, v21, v20
	v_fmac_f32_e32 v21, v22, v19
	v_fma_f32 v18, -v18, v21, v20
	v_div_fmas_f32 v18, v18, v19, v21
	v_div_fixup_f32 v13, v18, v13, v5
	v_fma_f32 v4, -v13, v12, v4
	s_waitcnt lgkmcnt(2)
	v_div_scale_f32 v5, s[20:21], v11, v11, v4
	v_rcp_f32_e32 v12, v5
	s_waitcnt lgkmcnt(1)
	v_fma_f32 v3, -v13, v15, v3
	s_add_i32 s17, s22, s17
	v_fma_f32 v2, -v13, v14, v2
	v_fma_f32 v18, -v5, v12, 1.0
	v_fmac_f32_e32 v12, v18, v12
	v_div_scale_f32 v18, vcc, v4, v11, v4
	v_mul_f32_e32 v19, v18, v12
	v_fma_f32 v20, -v5, v19, v18
	v_fmac_f32_e32 v19, v20, v12
	v_fma_f32 v5, -v5, v19, v18
	v_div_fmas_f32 v5, v5, v12, v19
	v_div_fixup_f32 v11, v5, v11, v4
	v_mov_b32_e32 v4, s18
	ds_read2_b32 v[4:5], v4 offset1:1
	s_waitcnt lgkmcnt(1)
	v_fma_f32 v3, -v11, v17, v3
	v_mov_b32_e32 v12, s17
	ds_read_b32 v12, v12
	v_fma_f32 v2, -v11, v16, v2
	s_waitcnt lgkmcnt(1)
	v_div_scale_f32 v15, s[18:19], v5, v5, v3
	v_rcp_f32_e32 v17, v15
	s_add_i32 s17, s15, -4
	s_add_i32 s14, s14, -16
	s_cmp_lt_i32 s15, 7
	v_fma_f32 v18, -v15, v17, 1.0
	v_fmac_f32_e32 v17, v18, v17
	v_div_scale_f32 v18, vcc, v3, v5, v3
	v_mul_f32_e32 v19, v18, v17
	v_fma_f32 v20, -v15, v19, v18
	v_fmac_f32_e32 v19, v20, v17
	v_fma_f32 v15, -v15, v19, v18
	v_div_fmas_f32 v15, v15, v17, v19
	v_div_fixup_f32 v3, v15, v5, v3
	v_fma_f32 v2, -v3, v4, v2
	s_waitcnt lgkmcnt(0)
	v_div_scale_f32 v4, s[18:19], v12, v12, v2
	v_rcp_f32_e32 v5, v4
	ds_write_b32 v8, v13
	ds_write_b32 v9, v11
	;; [unrolled: 1-line block ×3, first 2 shown]
	v_fma_f32 v3, -v4, v5, 1.0
	v_fmac_f32_e32 v5, v3, v5
	v_div_scale_f32 v3, vcc, v2, v12, v2
	v_mul_f32_e32 v8, v3, v5
	v_fma_f32 v9, -v4, v8, v3
	v_fmac_f32_e32 v8, v9, v5
	v_fma_f32 v3, -v4, v8, v3
	v_div_fmas_f32 v3, v3, v5, v8
	v_div_fixup_f32 v2, v3, v12, v2
	ds_write_b32 v7, v2
	s_cbranch_scc1 .LBB20_42
; %bb.41:                               ;   in Loop: Header=BB20_38 Depth=1
	s_mov_b32 s15, s17
	s_branch .LBB20_38
.LBB20_42:
	s_cmp_lt_i32 s17, 0
	s_cbranch_scc1 .LBB20_55
; %bb.43:
	s_bitcmp1_b32 s17, 0
	s_cselect_b64 s[14:15], -1, 0
	s_and_b64 vcc, exec, s[14:15]
	s_mov_b32 s14, s17
	s_cbranch_vccnz .LBB20_48
; %bb.44:
	s_lshl_b32 s14, s17, 6
	v_add_u32_e32 v2, s14, v1
	ds_read_b32 v3, v2
	s_cmp_le_i32 s7, s17
	s_cbranch_scc1 .LBB20_47
; %bb.45:
	s_lshl_b32 s18, s26, 6
	s_lshl_b32 s15, s17, 2
	s_add_i32 s15, s18, s15
	v_lshl_or_b32 v4, v0, 2, s18
	s_sub_i32 s15, s15, 64
	v_add_u32_e32 v4, 0x3c0, v4
	s_mov_b32 s18, s7
.LBB20_46:                              ; =>This Inner Loop Header: Depth=1
	v_mov_b32_e32 v6, s15
	ds_read_b32 v5, v4
	ds_read_b32 v6, v6
	s_add_i32 s18, s18, -1
	s_sub_i32 s15, s15, 64
	v_subrev_u32_e32 v4, 64, v4
	s_cmp_gt_u32 s18, s17
	s_waitcnt lgkmcnt(0)
	v_fma_f32 v3, -v5, v6, v3
	s_cbranch_scc1 .LBB20_46
.LBB20_47:
	s_lshl_b32 s15, s17, 2
	s_add_i32 s14, s15, s14
	v_mov_b32_e32 v4, s14
	ds_read_b32 v4, v4
	s_waitcnt lgkmcnt(0)
	v_div_scale_f32 v5, s[14:15], v4, v4, v3
	v_rcp_f32_e32 v6, v5
	v_div_scale_f32 v7, vcc, v3, v4, v3
	s_add_i32 s14, s17, -1
	v_fma_f32 v8, -v5, v6, 1.0
	v_fmac_f32_e32 v6, v8, v6
	v_mul_f32_e32 v8, v7, v6
	v_fma_f32 v9, -v5, v8, v7
	v_fmac_f32_e32 v8, v9, v6
	v_fma_f32 v5, -v5, v8, v7
	v_div_fmas_f32 v5, v5, v6, v8
	v_div_fixup_f32 v3, v5, v4, v3
	ds_write_b32 v2, v3
.LBB20_48:
	s_cmp_eq_u32 s17, 0
	s_cbranch_scc1 .LBB20_55
; %bb.49:
	s_lshl_b32 s17, s26, 6
	s_lshl_b32 s15, s14, 2
	s_add_i32 s18, s17, s15
	v_lshl_or_b32 v2, v0, 2, s17
	s_sub_i32 s15, s18, 64
	v_add_u32_e32 v2, 0x3c0, v2
	s_add_i32 s17, s18, 0xffffffbc
	s_branch .LBB20_51
.LBB20_50:                              ;   in Loop: Header=BB20_51 Depth=1
	s_add_i32 s19, s19, s20
	s_add_i32 s19, s19, -4
	v_mov_b32_e32 v5, s19
	ds_read_b32 v5, v5
	s_add_i32 s14, s14, -2
	s_add_i32 s15, s15, -8
	;; [unrolled: 1-line block ×3, first 2 shown]
	s_cmp_eq_u32 s18, 0
	s_waitcnt lgkmcnt(0)
	v_div_scale_f32 v6, s[20:21], v5, v5, v4
	v_rcp_f32_e32 v7, v6
	v_div_scale_f32 v8, vcc, v4, v5, v4
	v_fma_f32 v9, -v6, v7, 1.0
	v_fmac_f32_e32 v7, v9, v7
	v_mul_f32_e32 v9, v8, v7
	v_fma_f32 v10, -v6, v9, v8
	v_fmac_f32_e32 v9, v10, v7
	v_fma_f32 v6, -v6, v9, v8
	v_div_fmas_f32 v6, v6, v7, v9
	v_div_fixup_f32 v4, v6, v5, v4
	ds_write_b32 v3, v4
	s_cbranch_scc1 .LBB20_55
.LBB20_51:                              ; =>This Loop Header: Depth=1
                                        ;     Child Loop BB20_52 Depth 2
                                        ;     Child Loop BB20_54 Depth 2
	s_lshl_b32 s18, s14, 6
	v_add_u32_e32 v5, s18, v1
	ds_read_b32 v6, v5
	s_cmp_le_i32 s7, s14
	v_mov_b32_e32 v3, v2
	s_mov_b32 s19, s15
	s_mov_b32 s20, s7
	s_cbranch_scc1 .LBB20_53
.LBB20_52:                              ;   Parent Loop BB20_51 Depth=1
                                        ; =>  This Inner Loop Header: Depth=2
	v_mov_b32_e32 v7, s19
	ds_read_b32 v4, v3
	ds_read_b32 v7, v7
	s_add_i32 s20, s20, -1
	s_sub_i32 s19, s19, 64
	v_subrev_u32_e32 v3, 64, v3
	s_cmp_le_u32 s20, s14
	s_waitcnt lgkmcnt(0)
	v_fma_f32 v6, -v4, v7, v6
	s_cbranch_scc0 .LBB20_52
.LBB20_53:                              ;   in Loop: Header=BB20_51 Depth=1
	s_lshl_b32 s19, s14, 2
	s_add_i32 s18, s19, s18
	v_mov_b32_e32 v3, s18
	ds_read_b32 v7, v3
	s_add_i32 s18, s14, -1
	s_lshl_b32 s20, s18, 6
	v_add_u32_e32 v3, s20, v1
	ds_read_b32 v4, v3
	s_waitcnt lgkmcnt(1)
	v_div_scale_f32 v8, s[22:23], v7, v7, v6
	v_rcp_f32_e32 v9, v8
	v_div_scale_f32 v10, vcc, v6, v7, v6
	s_cmp_le_i32 s26, s14
	v_fma_f32 v11, -v8, v9, 1.0
	v_fmac_f32_e32 v9, v11, v9
	v_mul_f32_e32 v11, v10, v9
	v_fma_f32 v12, -v8, v11, v10
	v_fmac_f32_e32 v11, v12, v9
	v_fma_f32 v8, -v8, v11, v10
	v_div_fmas_f32 v8, v8, v9, v11
	v_div_fixup_f32 v6, v8, v7, v6
	ds_write_b32 v5, v6
	v_mov_b32_e32 v5, v2
	s_mov_b32 s21, s17
	s_mov_b32 s22, s7
	s_cbranch_scc1 .LBB20_50
.LBB20_54:                              ;   Parent Loop BB20_51 Depth=1
                                        ; =>  This Inner Loop Header: Depth=2
	v_mov_b32_e32 v7, s21
	ds_read_b32 v6, v5
	ds_read_b32 v7, v7
	s_add_i32 s22, s22, -1
	s_sub_i32 s21, s21, 64
	v_subrev_u32_e32 v5, 64, v5
	s_cmp_gt_u32 s22, s18
	s_waitcnt lgkmcnt(0)
	v_fma_f32 v4, -v6, v7, v4
	s_cbranch_scc1 .LBB20_54
	s_branch .LBB20_50
.LBB20_55:
	s_mov_b64 s[20:21], 0
.LBB20_56:
	s_andn2_b64 vcc, exec, s[20:21]
	s_cbranch_vccnz .LBB20_76
; %bb.57:
	s_andn2_b64 vcc, exec, s[4:5]
	s_mov_b32 s14, s7
	s_cbranch_vccnz .LBB20_63
; %bb.58:
	v_lshlrev_b32_e32 v2, 2, v0
	v_lshl_or_b32 v2, s26, 6, v2
	s_mul_i32 s4, s26, 0x44
	v_add_u32_e32 v6, 0x3c0, v2
	s_addk_i32 s4, 0xfefc
	s_mov_b32 s5, s7
.LBB20_59:                              ; =>This Loop Header: Depth=1
                                        ;     Child Loop BB20_60 Depth 2
	v_lshl_add_u32 v8, s5, 6, v1
	s_add_i32 s17, s5, -1
	s_add_i32 s15, s5, -2
	;; [unrolled: 1-line block ×3, first 2 shown]
	v_lshl_add_u32 v9, s17, 6, v1
	v_lshl_add_u32 v10, s15, 6, v1
	;; [unrolled: 1-line block ×3, first 2 shown]
	ds_read_b32 v4, v8
	ds_read_b32 v5, v9
	;; [unrolled: 1-line block ×4, first 2 shown]
	s_cmp_le_i32 s7, s5
	s_mov_b32 s18, s4
	v_mov_b32_e32 v11, v6
	s_mov_b32 s19, s7
	s_cbranch_scc1 .LBB20_61
.LBB20_60:                              ;   Parent Loop BB20_59 Depth=1
                                        ; =>  This Inner Loop Header: Depth=2
	v_mov_b32_e32 v13, s18
	ds_read_b32 v12, v11
	ds_read2_b32 v[16:17], v13 offset0:32 offset1:48
	ds_read2_b32 v[18:19], v13 offset1:16
	s_add_i32 s19, s19, -1
	s_add_i32 s18, s18, -4
	v_subrev_u32_e32 v11, 64, v11
	s_waitcnt lgkmcnt(1)
	v_mov_b32_e32 v14, v17
	v_mov_b32_e32 v15, v16
	s_waitcnt lgkmcnt(0)
	v_mov_b32_e32 v16, v19
	v_mov_b32_e32 v17, v18
	s_cmp_le_i32 s19, s5
	v_pk_fma_f32 v[4:5], v[12:13], v[14:15], v[4:5] op_sel_hi:[0,1,1] neg_lo:[1,0,0] neg_hi:[1,0,0]
	v_pk_fma_f32 v[2:3], v[12:13], v[16:17], v[2:3] op_sel_hi:[0,1,1] neg_lo:[1,0,0] neg_hi:[1,0,0]
	s_cbranch_scc0 .LBB20_60
.LBB20_61:                              ;   in Loop: Header=BB20_59 Depth=1
	s_lshl_b32 s20, s17, 4
	s_lshl_b32 s20, s20, 2
	;; [unrolled: 1-line block ×4, first 2 shown]
	s_add_i32 s17, s20, s17
	v_mov_b32_e32 v12, s17
	s_lshl_b32 s17, s19, 2
	s_lshl_b32 s19, s5, 2
	;; [unrolled: 1-line block ×3, first 2 shown]
	s_mul_i32 s21, s5, 0x44
	s_add_i32 s20, s17, s19
	s_add_i32 s15, s17, s15
	v_mov_b32_e32 v11, s21
	v_mov_b32_e32 v14, s20
	;; [unrolled: 1-line block ×3, first 2 shown]
	ds_read_b32 v11, v11
	ds_read2_b32 v[12:13], v12 offset1:1
	ds_read_b32 v16, v14
	ds_read2_b32 v[14:15], v15 offset1:1
	s_lshl_b32 s18, s14, 4
	s_waitcnt lgkmcnt(3)
	v_div_scale_f32 v17, s[20:21], v11, v11, v4
	v_rcp_f32_e32 v18, v17
	s_lshl_b32 s15, s18, 2
	s_add_i32 s17, s15, s19
	s_lshl_b32 s14, s14, 2
	v_fma_f32 v19, -v17, v18, 1.0
	v_fmac_f32_e32 v18, v19, v18
	v_div_scale_f32 v19, vcc, v4, v11, v4
	v_mul_f32_e32 v20, v19, v18
	v_fma_f32 v21, -v17, v20, v19
	v_fmac_f32_e32 v20, v21, v18
	v_fma_f32 v17, -v17, v20, v19
	v_div_fmas_f32 v17, v17, v18, v20
	v_div_fixup_f32 v11, v17, v11, v4
	s_waitcnt lgkmcnt(2)
	v_fma_f32 v4, -v11, v13, v5
	v_div_scale_f32 v5, s[20:21], v12, v12, v4
	v_rcp_f32_e32 v13, v5
	s_waitcnt lgkmcnt(1)
	v_fma_f32 v2, -v11, v16, v2
	s_add_i32 s17, s17, -4
	s_add_i32 s14, s15, s14
	v_fma_f32 v17, -v5, v13, 1.0
	v_fmac_f32_e32 v13, v17, v13
	v_div_scale_f32 v17, vcc, v4, v12, v4
	v_mul_f32_e32 v18, v17, v13
	v_fma_f32 v19, -v5, v18, v17
	v_fmac_f32_e32 v18, v19, v13
	v_fma_f32 v5, -v5, v18, v17
	v_div_fmas_f32 v5, v5, v13, v18
	v_div_fixup_f32 v17, v5, v12, v4
	s_waitcnt lgkmcnt(0)
	v_fma_f32 v2, -v17, v15, v2
	v_div_scale_f32 v4, s[20:21], v14, v14, v2
	v_rcp_f32_e32 v15, v4
	s_addk_i32 s4, 0xff00
	v_fma_f32 v5, -v4, v15, 1.0
	v_fmac_f32_e32 v15, v5, v15
	v_div_scale_f32 v5, vcc, v2, v14, v2
	v_mul_f32_e32 v16, v5, v15
	v_fma_f32 v12, -v4, v16, v5
	v_fmac_f32_e32 v16, v12, v15
	v_fma_f32 v18, -v4, v16, v5
	v_mov_b32_e32 v4, s17
	v_mov_b32_e32 v12, s14
	ds_read2_b32 v[4:5], v4 offset1:1
	ds_read2_b32 v[12:13], v12 offset1:1
	v_div_fmas_f32 v15, v18, v15, v16
	v_div_fixup_f32 v2, v15, v14, v2
	ds_write_b32 v8, v11
	ds_write_b32 v9, v17
	;; [unrolled: 1-line block ×3, first 2 shown]
	s_waitcnt lgkmcnt(4)
	v_fma_f32 v3, -v11, v5, v3
	v_fma_f32 v3, -v17, v4, v3
	s_waitcnt lgkmcnt(3)
	v_fma_f32 v3, -v2, v13, v3
	v_div_scale_f32 v4, s[14:15], v12, v12, v3
	v_rcp_f32_e32 v5, v4
	s_add_i32 s14, s5, -4
	s_cmp_lt_i32 s5, 7
	v_fma_f32 v2, -v4, v5, 1.0
	v_fmac_f32_e32 v5, v2, v5
	v_div_scale_f32 v2, vcc, v3, v12, v3
	v_mul_f32_e32 v8, v2, v5
	v_fma_f32 v9, -v4, v8, v2
	v_fmac_f32_e32 v8, v9, v5
	v_fma_f32 v2, -v4, v8, v2
	v_div_fmas_f32 v2, v2, v5, v8
	v_div_fixup_f32 v2, v2, v12, v3
	ds_write_b32 v7, v2
	s_cbranch_scc1 .LBB20_63
; %bb.62:                               ;   in Loop: Header=BB20_59 Depth=1
	s_mov_b32 s5, s14
	s_branch .LBB20_59
.LBB20_63:
	s_cmp_lt_i32 s14, 0
	s_cbranch_scc1 .LBB20_76
; %bb.64:
	s_bitcmp1_b32 s14, 0
	s_cselect_b64 s[4:5], -1, 0
	s_and_b64 vcc, exec, s[4:5]
	s_mov_b32 s4, s14
	s_cbranch_vccnz .LBB20_69
; %bb.65:
	v_lshl_add_u32 v2, s14, 6, v1
	ds_read_b32 v3, v2
	s_cmp_le_i32 s7, s14
	s_cbranch_scc1 .LBB20_68
; %bb.66:
	s_lshl_b32 s4, s14, 6
	s_lshl_b32 s5, s26, 2
	v_lshlrev_b32_e32 v4, 2, v0
	s_add_i32 s4, s4, s5
	v_lshl_or_b32 v4, s26, 6, v4
	s_add_i32 s4, s4, -4
	v_add_u32_e32 v4, 0x3c0, v4
	s_mov_b32 s5, s7
.LBB20_67:                              ; =>This Inner Loop Header: Depth=1
	v_mov_b32_e32 v6, s4
	ds_read_b32 v5, v4
	ds_read_b32 v6, v6
	s_add_i32 s5, s5, -1
	s_add_i32 s4, s4, -4
	v_subrev_u32_e32 v4, 64, v4
	s_cmp_gt_u32 s5, s14
	s_waitcnt lgkmcnt(0)
	v_fma_f32 v3, -v5, v6, v3
	s_cbranch_scc1 .LBB20_67
.LBB20_68:
	s_mul_i32 s4, s14, 0x44
	v_mov_b32_e32 v4, s4
	ds_read_b32 v4, v4
	s_waitcnt lgkmcnt(0)
	v_div_scale_f32 v5, s[4:5], v4, v4, v3
	v_rcp_f32_e32 v6, v5
	v_div_scale_f32 v7, vcc, v3, v4, v3
	s_add_i32 s4, s14, -1
	v_fma_f32 v8, -v5, v6, 1.0
	v_fmac_f32_e32 v6, v8, v6
	v_mul_f32_e32 v8, v7, v6
	v_fma_f32 v9, -v5, v8, v7
	v_fmac_f32_e32 v8, v9, v6
	v_fma_f32 v5, -v5, v8, v7
	v_div_fmas_f32 v5, v5, v6, v8
	v_div_fixup_f32 v3, v5, v4, v3
	ds_write_b32 v2, v3
.LBB20_69:
	s_cmp_eq_u32 s14, 0
	s_cbranch_scc1 .LBB20_76
; %bb.70:
	v_lshlrev_b32_e32 v2, 2, v0
	s_lshl_b32 s5, s4, 6
	s_lshl_b32 s14, s26, 2
	v_lshl_or_b32 v2, s26, 6, v2
	s_add_i32 s14, s5, s14
	v_add_u32_e32 v2, 0x3c0, v2
	s_add_i32 s5, s14, -4
	s_addk_i32 s14, 0xffbc
	s_branch .LBB20_72
.LBB20_71:                              ;   in Loop: Header=BB20_72 Depth=1
	s_addk_i32 s17, 0xffbc
	v_mov_b32_e32 v5, s17
	ds_read_b32 v5, v5
	s_add_i32 s4, s4, -2
	s_addk_i32 s5, 0xff80
	s_addk_i32 s14, 0xff80
	s_cmp_eq_u32 s15, 0
	s_waitcnt lgkmcnt(0)
	v_div_scale_f32 v6, s[18:19], v5, v5, v4
	v_rcp_f32_e32 v7, v6
	v_div_scale_f32 v8, vcc, v4, v5, v4
	v_fma_f32 v9, -v6, v7, 1.0
	v_fmac_f32_e32 v7, v9, v7
	v_mul_f32_e32 v9, v8, v7
	v_fma_f32 v10, -v6, v9, v8
	v_fmac_f32_e32 v9, v10, v7
	v_fma_f32 v6, -v6, v9, v8
	v_div_fmas_f32 v6, v6, v7, v9
	v_div_fixup_f32 v4, v6, v5, v4
	ds_write_b32 v3, v4
	s_cbranch_scc1 .LBB20_76
.LBB20_72:                              ; =>This Loop Header: Depth=1
                                        ;     Child Loop BB20_73 Depth 2
                                        ;     Child Loop BB20_75 Depth 2
	v_lshl_add_u32 v5, s4, 6, v1
	ds_read_b32 v6, v5
	s_cmp_le_i32 s7, s4
	s_mov_b32 s15, s5
	v_mov_b32_e32 v3, v2
	s_mov_b32 s17, s7
	s_cbranch_scc1 .LBB20_74
.LBB20_73:                              ;   Parent Loop BB20_72 Depth=1
                                        ; =>  This Inner Loop Header: Depth=2
	v_mov_b32_e32 v7, s15
	ds_read_b32 v4, v3
	ds_read_b32 v7, v7
	s_add_i32 s17, s17, -1
	s_add_i32 s15, s15, -4
	v_subrev_u32_e32 v3, 64, v3
	s_cmp_le_u32 s17, s4
	s_waitcnt lgkmcnt(0)
	v_fma_f32 v6, -v4, v7, v6
	s_cbranch_scc0 .LBB20_73
.LBB20_74:                              ;   in Loop: Header=BB20_72 Depth=1
	s_mul_i32 s17, s4, 0x44
	v_mov_b32_e32 v3, s17
	ds_read_b32 v7, v3
	s_add_i32 s15, s4, -1
	v_lshl_add_u32 v3, s15, 6, v1
	ds_read_b32 v4, v3
	s_cmp_le_i32 s26, s4
	s_waitcnt lgkmcnt(1)
	v_div_scale_f32 v8, s[18:19], v7, v7, v6
	v_rcp_f32_e32 v9, v8
	v_div_scale_f32 v10, vcc, v6, v7, v6
	s_mov_b32 s18, s14
	v_fma_f32 v11, -v8, v9, 1.0
	v_fmac_f32_e32 v9, v11, v9
	v_mul_f32_e32 v11, v10, v9
	v_fma_f32 v12, -v8, v11, v10
	v_fmac_f32_e32 v11, v12, v9
	v_fma_f32 v8, -v8, v11, v10
	v_div_fmas_f32 v8, v8, v9, v11
	v_div_fixup_f32 v6, v8, v7, v6
	ds_write_b32 v5, v6
	v_mov_b32_e32 v5, v2
	s_mov_b32 s19, s7
	s_cbranch_scc1 .LBB20_71
.LBB20_75:                              ;   Parent Loop BB20_72 Depth=1
                                        ; =>  This Inner Loop Header: Depth=2
	v_mov_b32_e32 v7, s18
	ds_read_b32 v6, v5
	ds_read_b32 v7, v7
	s_add_i32 s19, s19, -1
	s_add_i32 s18, s18, -4
	v_subrev_u32_e32 v5, 64, v5
	s_cmp_gt_u32 s19, s15
	s_waitcnt lgkmcnt(0)
	v_fma_f32 v4, -v6, v7, v4
	s_cbranch_scc1 .LBB20_75
	s_branch .LBB20_71
.LBB20_76:
	s_mov_b64 s[20:21], 0
.LBB20_77:
	s_andn2_b64 vcc, exec, s[20:21]
	s_cbranch_vccnz .LBB20_89
; %bb.78:
	v_mov_b32_e32 v1, 0x400
	v_lshl_or_b32 v1, v0, 2, v1
	s_cmp_lt_i32 s16, 4
	s_mov_b32 s7, 0
	s_cbranch_scc1 .LBB20_84
; %bb.79:
	s_mov_b32 s4, 0
	s_mov_b32 s5, 0
.LBB20_80:                              ; =>This Loop Header: Depth=1
                                        ;     Child Loop BB20_81 Depth 2
	s_or_b32 s7, s5, 3
	v_lshl_add_u32 v7, s5, 6, v1
	s_or_b32 s14, s5, 1
	s_or_b32 s15, s5, 2
	v_lshl_add_u32 v8, s14, 6, v1
	v_lshl_add_u32 v9, s15, 6, v1
	;; [unrolled: 1-line block ×3, first 2 shown]
	ds_read_b32 v4, v7
	ds_read_b32 v5, v8
	;; [unrolled: 1-line block ×4, first 2 shown]
	s_cmp_eq_u32 s5, 0
	s_mov_b32 s17, s4
	v_mov_b32_e32 v10, v1
	s_mov_b32 s18, s5
	s_cbranch_scc1 .LBB20_82
.LBB20_81:                              ;   Parent Loop BB20_80 Depth=1
                                        ; =>  This Inner Loop Header: Depth=2
	v_mov_b32_e32 v11, s17
	ds_read_b32 v12, v10
	ds_read2_b32 v[14:15], v11 offset1:16
	ds_read2_b32 v[16:17], v11 offset0:32 offset1:48
	s_add_i32 s18, s18, -1
	s_add_i32 s17, s17, 4
	v_add_u32_e32 v10, 64, v10
	s_cmp_eq_u32 s18, 0
	s_waitcnt lgkmcnt(1)
	v_pk_fma_f32 v[4:5], v[12:13], v[14:15], v[4:5] op_sel_hi:[0,1,1] neg_lo:[1,0,0] neg_hi:[1,0,0]
	s_waitcnt lgkmcnt(0)
	v_pk_fma_f32 v[2:3], v[12:13], v[16:17], v[2:3] op_sel_hi:[0,1,1] neg_lo:[1,0,0] neg_hi:[1,0,0]
	s_cbranch_scc0 .LBB20_81
.LBB20_82:                              ;   in Loop: Header=BB20_80 Depth=1
	s_lshl_b32 s17, s14, 4
	s_lshl_b32 s14, s15, 4
	s_mul_i32 s15, s5, 0x44
	v_mov_b32_e32 v10, s15
	ds_read_b32 v15, v10
	s_lshl_b32 s15, s17, 2
	s_lshl_b32 s17, s5, 2
	s_lshl_b32 s14, s14, 2
	s_add_i32 s15, s15, s17
	s_add_i32 s14, s14, s17
	v_mov_b32_e32 v10, s15
	v_mov_b32_e32 v12, s14
	s_waitcnt lgkmcnt(0)
	v_div_scale_f32 v16, s[14:15], v15, v15, v4
	v_rcp_f32_e32 v17, v16
	ds_read_b64 v[10:11], v10
	ds_read_b96 v[12:14], v12
	s_lshl_b32 s7, s7, 4
	s_lshl_b32 s7, s7, 2
	v_fma_f32 v18, -v16, v17, 1.0
	v_fmac_f32_e32 v17, v18, v17
	v_div_scale_f32 v18, vcc, v4, v15, v4
	v_mul_f32_e32 v19, v18, v17
	v_fma_f32 v20, -v16, v19, v18
	v_fmac_f32_e32 v19, v20, v17
	v_fma_f32 v16, -v16, v19, v18
	v_div_fmas_f32 v16, v16, v17, v19
	v_div_fixup_f32 v4, v16, v15, v4
	s_waitcnt lgkmcnt(1)
	v_fma_f32 v5, -v4, v10, v5
	v_div_scale_f32 v10, s[14:15], v11, v11, v5
	v_rcp_f32_e32 v15, v10
	s_waitcnt lgkmcnt(0)
	v_fma_f32 v2, -v4, v12, v2
	s_add_i32 s7, s7, s17
	s_addk_i32 s4, 0x100
	v_fma_f32 v16, -v10, v15, 1.0
	v_fmac_f32_e32 v15, v16, v15
	v_div_scale_f32 v16, vcc, v5, v11, v5
	v_mul_f32_e32 v17, v16, v15
	v_fma_f32 v18, -v10, v17, v16
	v_fmac_f32_e32 v17, v18, v15
	v_fma_f32 v10, -v10, v17, v16
	v_div_fmas_f32 v10, v10, v15, v17
	v_div_fixup_f32 v5, v10, v11, v5
	v_fma_f32 v2, -v5, v13, v2
	v_div_scale_f32 v15, s[14:15], v14, v14, v2
	v_rcp_f32_e32 v16, v15
	v_div_scale_f32 v17, vcc, v2, v14, v2
	v_fma_f32 v10, -v15, v16, 1.0
	v_fmac_f32_e32 v16, v10, v16
	v_mul_f32_e32 v18, v17, v16
	v_fma_f32 v10, -v15, v18, v17
	v_fmac_f32_e32 v18, v10, v16
	v_mov_b32_e32 v10, s7
	ds_read_b128 v[10:13], v10
	v_fma_f32 v15, -v15, v18, v17
	v_div_fmas_f32 v15, v15, v16, v18
	v_div_fixup_f32 v2, v15, v14, v2
	ds_write_b32 v7, v4
	ds_write_b32 v8, v5
	;; [unrolled: 1-line block ×3, first 2 shown]
	s_waitcnt lgkmcnt(3)
	v_fma_f32 v3, -v4, v10, v3
	v_fma_f32 v3, -v5, v11, v3
	;; [unrolled: 1-line block ×3, first 2 shown]
	v_div_scale_f32 v10, s[14:15], v13, v13, v3
	v_rcp_f32_e32 v11, v10
	s_add_i32 s7, s5, 4
	s_add_i32 s5, s5, 7
	s_cmp_ge_i32 s5, s26
	v_fma_f32 v2, -v10, v11, 1.0
	v_fmac_f32_e32 v11, v2, v11
	v_div_scale_f32 v2, vcc, v3, v13, v3
	v_mul_f32_e32 v4, v2, v11
	v_fma_f32 v5, -v10, v4, v2
	v_fmac_f32_e32 v4, v5, v11
	v_fma_f32 v2, -v10, v4, v2
	v_div_fmas_f32 v2, v2, v11, v4
	v_div_fixup_f32 v2, v2, v13, v3
	ds_write_b32 v6, v2
	s_cbranch_scc1 .LBB20_84
; %bb.83:                               ;   in Loop: Header=BB20_80 Depth=1
	s_mov_b32 s5, s7
	s_branch .LBB20_80
.LBB20_84:
	s_cmp_ge_i32 s7, s26
	s_cbranch_scc1 .LBB20_89
; %bb.85:
	v_mov_b32_e32 v2, 0x400
	v_lshl_or_b32 v2, v0, 2, v2
	s_lshl_b32 s4, s7, 6
	s_branch .LBB20_87
.LBB20_86:                              ;   in Loop: Header=BB20_87 Depth=1
	s_mul_i32 s5, s7, 0x44
	v_mov_b32_e32 v5, s5
	ds_read_b32 v5, v5
	s_add_i32 s7, s7, 1
	s_add_i32 s4, s4, 64
	s_cmp_ge_i32 s7, s26
	s_waitcnt lgkmcnt(0)
	v_div_scale_f32 v6, s[14:15], v5, v5, v4
	v_rcp_f32_e32 v7, v6
	v_div_scale_f32 v8, vcc, v4, v5, v4
	v_fma_f32 v9, -v6, v7, 1.0
	v_fmac_f32_e32 v7, v9, v7
	v_mul_f32_e32 v9, v8, v7
	v_fma_f32 v10, -v6, v9, v8
	v_fmac_f32_e32 v9, v10, v7
	v_fma_f32 v6, -v6, v9, v8
	v_div_fmas_f32 v6, v6, v7, v9
	v_div_fixup_f32 v4, v6, v5, v4
	ds_write_b32 v3, v4
	s_cbranch_scc1 .LBB20_89
.LBB20_87:                              ; =>This Loop Header: Depth=1
                                        ;     Child Loop BB20_88 Depth 2
	v_lshl_add_u32 v3, s7, 6, v1
	ds_read_b32 v4, v3
	s_cmp_eq_u32 s7, 0
	s_mov_b32 s5, s4
	v_mov_b32_e32 v5, v2
	s_mov_b32 s14, s7
	s_cbranch_scc1 .LBB20_86
.LBB20_88:                              ;   Parent Loop BB20_87 Depth=1
                                        ; =>  This Inner Loop Header: Depth=2
	v_mov_b32_e32 v7, s5
	ds_read_b32 v6, v5
	ds_read_b32 v7, v7
	s_add_i32 s14, s14, -1
	s_add_i32 s5, s5, 4
	v_add_u32_e32 v5, 64, v5
	s_cmp_eq_u32 s14, 0
	s_waitcnt lgkmcnt(0)
	v_fma_f32 v4, -v6, v7, v4
	s_cbranch_scc0 .LBB20_88
	s_branch .LBB20_86
.LBB20_89:
	s_and_saveexec_b64 s[4:5], s[0:1]
	s_cbranch_execz .LBB20_98
; %bb.90:
	s_cmp_lt_i32 s16, 1
	s_cbranch_scc1 .LBB20_98
; %bb.91:
	s_cmp_eq_u32 s16, 1
	s_cselect_b64 s[0:1], -1, 0
	s_cmp_lg_u32 s6, 1
	s_cselect_b64 s[4:5], -1, 0
	s_or_b64 s[0:1], s[0:1], s[4:5]
	v_mov_b32_e32 v3, 0
	s_and_b64 vcc, exec, s[0:1]
	v_lshlrev_b32_e32 v2, 2, v0
	s_cbranch_vccnz .LBB20_95
; %bb.92:
	v_mov_b32_e32 v1, 0x400
	s_and_b32 s4, s16, 0x7ffffffe
	v_lshl_add_u64 v[4:5], s[12:13], 0, v[2:3]
	v_lshl_or_b32 v0, v0, 2, v1
	s_mov_b32 s0, 1
	s_mov_b32 s1, 0
	;; [unrolled: 1-line block ×3, first 2 shown]
.LBB20_93:                              ; =>This Inner Loop Header: Depth=1
	v_lshl_add_u32 v1, s1, 6, v0
	v_lshl_add_u32 v3, s0, 6, v0
	ds_read_b32 v6, v1
	ds_read_b32 v7, v3
	s_add_i32 s1, s1, 2
	s_add_i32 s0, s0, 2
	s_add_i32 s5, s5, -2
	s_cmp_lg_u32 s5, 0
	s_waitcnt lgkmcnt(0)
	flat_store_dwordx2 v[4:5], v[6:7]
	v_lshl_add_u64 v[4:5], v[4:5], 0, 8
	s_cbranch_scc1 .LBB20_93
; %bb.94:
	s_cmp_lg_u32 s16, s4
	s_cselect_b64 s[0:1], -1, 0
	s_and_b64 vcc, exec, s[0:1]
	s_cbranch_vccnz .LBB20_96
	s_branch .LBB20_98
.LBB20_95:
	s_mov_b32 s4, 0
	s_cbranch_execz .LBB20_98
.LBB20_96:
	s_mul_hi_i32 s1, s6, s4
	s_mul_i32 s0, s6, s4
	s_ashr_i32 s7, s6, 31
	s_sub_i32 s5, s16, s4
	s_lshl_b64 s[0:1], s[0:1], 2
	s_add_u32 s0, s0, s2
	s_addc_u32 s1, s1, s3
	s_add_u32 s0, s0, s10
	s_addc_u32 s1, s1, s11
	s_add_u32 s0, s8, s0
	v_mov_b32_e32 v3, 0
	s_addc_u32 s1, s9, s1
	v_lshl_add_u64 v[0:1], s[0:1], 0, v[2:3]
	v_lshl_or_b32 v2, s4, 6, v2
	s_lshl_b64 s[0:1], s[6:7], 2
	v_add_u32_e32 v2, 0x400, v2
.LBB20_97:                              ; =>This Inner Loop Header: Depth=1
	ds_read_b32 v3, v2
	s_add_i32 s5, s5, -1
	v_add_u32_e32 v2, 64, v2
	s_cmp_lg_u32 s5, 0
	s_waitcnt lgkmcnt(0)
	flat_store_dword v[0:1], v3
	v_lshl_add_u64 v[0:1], v[0:1], 0, s[0:1]
	s_cbranch_scc1 .LBB20_97
.LBB20_98:
	s_endpgm
	.section	.rodata,"a",@progbits
	.p2align	6, 0x0
	.amdhsa_kernel _ZL31rocblas_trsm_small_right_deviceIffPKPKfPKPfLi16EEv13rocblas_fill_18rocblas_operation_17rocblas_diagonal_iiT0_T1_lilT2_lili
		.amdhsa_group_segment_fixed_size 2048
		.amdhsa_private_segment_fixed_size 0
		.amdhsa_kernarg_size 352
		.amdhsa_user_sgpr_count 2
		.amdhsa_user_sgpr_dispatch_ptr 0
		.amdhsa_user_sgpr_queue_ptr 0
		.amdhsa_user_sgpr_kernarg_segment_ptr 1
		.amdhsa_user_sgpr_dispatch_id 0
		.amdhsa_user_sgpr_kernarg_preload_length 0
		.amdhsa_user_sgpr_kernarg_preload_offset 0
		.amdhsa_user_sgpr_private_segment_size 0
		.amdhsa_uses_dynamic_stack 0
		.amdhsa_enable_private_segment 0
		.amdhsa_system_sgpr_workgroup_id_x 1
		.amdhsa_system_sgpr_workgroup_id_y 0
		.amdhsa_system_sgpr_workgroup_id_z 1
		.amdhsa_system_sgpr_workgroup_info 0
		.amdhsa_system_vgpr_workitem_id 0
		.amdhsa_next_free_vgpr 23
		.amdhsa_next_free_sgpr 32
		.amdhsa_accum_offset 24
		.amdhsa_reserve_vcc 1
		.amdhsa_float_round_mode_32 0
		.amdhsa_float_round_mode_16_64 0
		.amdhsa_float_denorm_mode_32 3
		.amdhsa_float_denorm_mode_16_64 3
		.amdhsa_dx10_clamp 1
		.amdhsa_ieee_mode 1
		.amdhsa_fp16_overflow 0
		.amdhsa_tg_split 0
		.amdhsa_exception_fp_ieee_invalid_op 0
		.amdhsa_exception_fp_denorm_src 0
		.amdhsa_exception_fp_ieee_div_zero 0
		.amdhsa_exception_fp_ieee_overflow 0
		.amdhsa_exception_fp_ieee_underflow 0
		.amdhsa_exception_fp_ieee_inexact 0
		.amdhsa_exception_int_div_zero 0
	.end_amdhsa_kernel
	.section	.text._ZL31rocblas_trsm_small_right_deviceIffPKPKfPKPfLi16EEv13rocblas_fill_18rocblas_operation_17rocblas_diagonal_iiT0_T1_lilT2_lili,"axG",@progbits,_ZL31rocblas_trsm_small_right_deviceIffPKPKfPKPfLi16EEv13rocblas_fill_18rocblas_operation_17rocblas_diagonal_iiT0_T1_lilT2_lili,comdat
.Lfunc_end20:
	.size	_ZL31rocblas_trsm_small_right_deviceIffPKPKfPKPfLi16EEv13rocblas_fill_18rocblas_operation_17rocblas_diagonal_iiT0_T1_lilT2_lili, .Lfunc_end20-_ZL31rocblas_trsm_small_right_deviceIffPKPKfPKPfLi16EEv13rocblas_fill_18rocblas_operation_17rocblas_diagonal_iiT0_T1_lilT2_lili
                                        ; -- End function
	.set _ZL31rocblas_trsm_small_right_deviceIffPKPKfPKPfLi16EEv13rocblas_fill_18rocblas_operation_17rocblas_diagonal_iiT0_T1_lilT2_lili.num_vgpr, 23
	.set _ZL31rocblas_trsm_small_right_deviceIffPKPKfPKPfLi16EEv13rocblas_fill_18rocblas_operation_17rocblas_diagonal_iiT0_T1_lilT2_lili.num_agpr, 0
	.set _ZL31rocblas_trsm_small_right_deviceIffPKPKfPKPfLi16EEv13rocblas_fill_18rocblas_operation_17rocblas_diagonal_iiT0_T1_lilT2_lili.numbered_sgpr, 32
	.set _ZL31rocblas_trsm_small_right_deviceIffPKPKfPKPfLi16EEv13rocblas_fill_18rocblas_operation_17rocblas_diagonal_iiT0_T1_lilT2_lili.num_named_barrier, 0
	.set _ZL31rocblas_trsm_small_right_deviceIffPKPKfPKPfLi16EEv13rocblas_fill_18rocblas_operation_17rocblas_diagonal_iiT0_T1_lilT2_lili.private_seg_size, 0
	.set _ZL31rocblas_trsm_small_right_deviceIffPKPKfPKPfLi16EEv13rocblas_fill_18rocblas_operation_17rocblas_diagonal_iiT0_T1_lilT2_lili.uses_vcc, 1
	.set _ZL31rocblas_trsm_small_right_deviceIffPKPKfPKPfLi16EEv13rocblas_fill_18rocblas_operation_17rocblas_diagonal_iiT0_T1_lilT2_lili.uses_flat_scratch, 0
	.set _ZL31rocblas_trsm_small_right_deviceIffPKPKfPKPfLi16EEv13rocblas_fill_18rocblas_operation_17rocblas_diagonal_iiT0_T1_lilT2_lili.has_dyn_sized_stack, 0
	.set _ZL31rocblas_trsm_small_right_deviceIffPKPKfPKPfLi16EEv13rocblas_fill_18rocblas_operation_17rocblas_diagonal_iiT0_T1_lilT2_lili.has_recursion, 0
	.set _ZL31rocblas_trsm_small_right_deviceIffPKPKfPKPfLi16EEv13rocblas_fill_18rocblas_operation_17rocblas_diagonal_iiT0_T1_lilT2_lili.has_indirect_call, 0
	.section	.AMDGPU.csdata,"",@progbits
; Kernel info:
; codeLenInByte = 6172
; TotalNumSgprs: 38
; NumVgprs: 23
; NumAgprs: 0
; TotalNumVgprs: 23
; ScratchSize: 0
; MemoryBound: 0
; FloatMode: 240
; IeeeMode: 1
; LDSByteSize: 2048 bytes/workgroup (compile time only)
; SGPRBlocks: 4
; VGPRBlocks: 2
; NumSGPRsForWavesPerEU: 38
; NumVGPRsForWavesPerEU: 23
; AccumOffset: 24
; Occupancy: 8
; WaveLimiterHint : 0
; COMPUTE_PGM_RSRC2:SCRATCH_EN: 0
; COMPUTE_PGM_RSRC2:USER_SGPR: 2
; COMPUTE_PGM_RSRC2:TRAP_HANDLER: 0
; COMPUTE_PGM_RSRC2:TGID_X_EN: 1
; COMPUTE_PGM_RSRC2:TGID_Y_EN: 0
; COMPUTE_PGM_RSRC2:TGID_Z_EN: 1
; COMPUTE_PGM_RSRC2:TIDIG_COMP_CNT: 0
; COMPUTE_PGM_RSRC3_GFX90A:ACCUM_OFFSET: 5
; COMPUTE_PGM_RSRC3_GFX90A:TG_SPLIT: 0
	.section	.text._ZL38rocblas_trsm_small_left_device_sharedBILi20ELi20ELb0EffPKPKfPKPfEv13rocblas_fill_18rocblas_operation_17rocblas_diagonal_iiT3_T4_lilT5_lili,"axG",@progbits,_ZL38rocblas_trsm_small_left_device_sharedBILi20ELi20ELb0EffPKPKfPKPfEv13rocblas_fill_18rocblas_operation_17rocblas_diagonal_iiT3_T4_lilT5_lili,comdat
	.globl	_ZL38rocblas_trsm_small_left_device_sharedBILi20ELi20ELb0EffPKPKfPKPfEv13rocblas_fill_18rocblas_operation_17rocblas_diagonal_iiT3_T4_lilT5_lili ; -- Begin function _ZL38rocblas_trsm_small_left_device_sharedBILi20ELi20ELb0EffPKPKfPKPfEv13rocblas_fill_18rocblas_operation_17rocblas_diagonal_iiT3_T4_lilT5_lili
	.p2align	8
	.type	_ZL38rocblas_trsm_small_left_device_sharedBILi20ELi20ELb0EffPKPKfPKPfEv13rocblas_fill_18rocblas_operation_17rocblas_diagonal_iiT3_T4_lilT5_lili,@function
_ZL38rocblas_trsm_small_left_device_sharedBILi20ELi20ELb0EffPKPKfPKPfEv13rocblas_fill_18rocblas_operation_17rocblas_diagonal_iiT3_T4_lilT5_lili: ; @_ZL38rocblas_trsm_small_left_device_sharedBILi20ELi20ELb0EffPKPKfPKPfEv13rocblas_fill_18rocblas_operation_17rocblas_diagonal_iiT3_T4_lilT5_lili
; %bb.0:
	s_load_dwordx4 s[8:11], s[0:1], 0x38
	s_load_dwordx4 s[4:7], s[0:1], 0x4
	s_load_dword s16, s[0:1], 0x14
	s_mov_b32 s20, s3
	s_mov_b32 s21, 0
	s_lshl_b64 s[24:25], s[20:21], 3
	s_waitcnt lgkmcnt(0)
	s_add_u32 s8, s8, s24
	s_addc_u32 s9, s9, s25
	s_load_dwordx2 s[8:9], s[8:9], 0x0
	s_min_i32 s26, s6, 20
	v_cmp_gt_i32_e32 vcc, s26, v0
	s_and_saveexec_b64 s[18:19], vcc
	s_cbranch_execz .LBB21_11
; %bb.1:
	s_load_dwordx4 s[12:15], s[0:1], 0x18
	s_load_dword s22, s[0:1], 0x28
	v_lshlrev_b32_e32 v2, 2, v0
	v_mov_b32_e32 v3, 0
	s_mov_b32 s3, 1
	s_waitcnt lgkmcnt(0)
	s_add_u32 s12, s12, s24
	s_addc_u32 s13, s13, s25
	s_load_dwordx2 s[12:13], s[12:13], 0x0
	s_cmp_lt_u32 s26, 2
	s_cselect_b64 s[28:29], -1, 0
	s_cmp_lg_u32 s22, 1
	s_cselect_b64 s[30:31], -1, 0
	s_or_b64 s[28:29], s[28:29], s[30:31]
	s_mov_b64 s[24:25], -1
	s_and_b64 vcc, exec, s[28:29]
	s_cbranch_vccnz .LBB21_5
; %bb.2:
	s_lshl_b64 s[20:21], s[14:15], 2
	s_waitcnt lgkmcnt(0)
	s_add_u32 s20, s12, s20
	s_addc_u32 s21, s13, s21
	v_lshl_add_u64 v[4:5], s[20:21], 0, v[2:3]
	s_and_b32 s21, s26, -2
	s_mov_b32 s17, 0
	s_mov_b32 s20, s21
.LBB21_3:                               ; =>This Inner Loop Header: Depth=1
	flat_load_dwordx2 v[6:7], v[4:5]
	s_mul_i32 s23, s3, 0x50
	s_mul_i32 s24, s17, 0x50
	s_add_i32 s17, s17, 2
	s_add_i32 s3, s3, 2
	s_add_i32 s20, s20, -2
	v_lshl_add_u64 v[4:5], v[4:5], 0, 8
	v_add_u32_e32 v1, s24, v2
	s_cmp_lg_u32 s20, 0
	v_add_u32_e32 v3, s23, v2
	s_waitcnt vmcnt(0) lgkmcnt(0)
	ds_write_b32 v1, v6
	ds_write_b32 v3, v7
	s_cbranch_scc1 .LBB21_3
; %bb.4:
	s_cmp_lg_u32 s26, s21
	s_cselect_b64 s[24:25], -1, 0
.LBB21_5:
	s_and_b64 vcc, exec, s[24:25]
	s_cbranch_vccz .LBB21_8
; %bb.6:
	s_ashr_i32 s23, s22, 31
	s_mul_hi_u32 s3, s22, s21
	s_mul_i32 s17, s23, s21
	s_add_i32 s25, s3, s17
	s_mul_i32 s24, s22, s21
	s_lshl_b64 s[24:25], s[24:25], 2
	s_lshl_b64 s[14:15], s[14:15], 2
	s_add_u32 s3, s24, s14
	s_addc_u32 s14, s25, s15
	s_waitcnt lgkmcnt(0)
	s_add_u32 s12, s12, s3
	v_mov_b32_e32 v3, 0
	s_addc_u32 s13, s13, s14
	s_mul_i32 s14, s21, 0x50
	v_lshl_add_u64 v[4:5], s[12:13], 0, v[2:3]
	s_lshl_b64 s[12:13], s[22:23], 2
	s_sub_i32 s3, s26, s21
	v_lshl_add_u32 v1, v0, 2, s14
.LBB21_7:                               ; =>This Inner Loop Header: Depth=1
	flat_load_dword v3, v[4:5]
	s_add_i32 s3, s3, -1
	v_lshl_add_u64 v[4:5], v[4:5], 0, s[12:13]
	s_cmp_eq_u32 s3, 0
	s_waitcnt vmcnt(0) lgkmcnt(0)
	ds_write_b32 v1, v3
	v_add_u32_e32 v1, 0x50, v1
	s_cbranch_scc0 .LBB21_7
.LBB21_8:
	v_mul_u32_u24_e32 v1, 0x50, v0
	s_cmpk_lg_i32 s5, 0x84
	v_mov_b32_e32 v3, 1.0
	v_add_u32_e32 v1, v2, v1
	s_cbranch_scc0 .LBB21_10
; %bb.9:
	ds_read_b32 v2, v1
	s_waitcnt lgkmcnt(0)
	v_div_scale_f32 v3, s[12:13], v2, v2, 1.0
	v_rcp_f32_e32 v4, v3
	v_div_scale_f32 v5, vcc, 1.0, v2, 1.0
	v_fma_f32 v6, -v3, v4, 1.0
	v_fmac_f32_e32 v4, v6, v4
	v_mul_f32_e32 v6, v5, v4
	v_fma_f32 v7, -v3, v6, v5
	v_fmac_f32_e32 v6, v7, v4
	v_fma_f32 v3, -v3, v6, v5
	v_div_fmas_f32 v3, v3, v4, v6
	v_div_fixup_f32 v3, v3, v2, 1.0
.LBB21_10:
	ds_write_b32 v1, v3
.LBB21_11:
	s_or_b64 exec, exec, s[18:19]
	s_load_dword s3, s[0:1], 0x60
	s_load_dword s22, s[0:1], 0x48
	s_lshl_b64 s[10:11], s[10:11], 2
	s_mul_i32 s0, s2, 0xffffffec
	s_waitcnt lgkmcnt(0)
	s_ashr_i32 s23, s22, 31
	s_add_u32 s5, s8, s10
	s_addc_u32 s13, s9, s11
	s_add_i32 s3, s3, -1
	s_add_i32 s0, s7, s0
	s_cmp_ge_u32 s2, s3
	s_mul_i32 s2, s2, 20
	s_cselect_b32 s7, s0, 20
	s_mul_hi_i32 s1, s22, s2
	s_mul_i32 s0, s22, s2
	s_ashr_i32 s3, s2, 31
	s_lshl_b64 s[0:1], s[0:1], 2
	s_add_u32 s12, s5, s0
	s_addc_u32 s13, s13, s1
	s_cmp_gt_i32 s6, 0
	v_cmp_gt_i32_e64 s[0:1], s7, v0
	s_cselect_b64 s[14:15], -1, 0
	s_mov_b32 s5, 0
	s_and_b64 s[20:21], s[0:1], s[14:15]
	s_and_saveexec_b64 s[18:19], s[20:21]
	s_cbranch_execz .LBB21_19
; %bb.12:
	s_cmp_lt_i32 s6, 2
	s_mov_b64 s[20:21], -1
	s_cbranch_scc1 .LBB21_16
; %bb.13:
	v_mad_i64_i32 v[2:3], s[20:21], s22, v0, 0
	v_mov_b32_e32 v1, 0x640
	s_and_b32 s5, s26, 30
	v_lshl_add_u64 v[2:3], v[2:3], 2, s[12:13]
	v_lshl_add_u32 v1, v0, 2, v1
	s_mov_b32 s17, s16
	s_mov_b32 s7, 1
	;; [unrolled: 1-line block ×4, first 2 shown]
.LBB21_14:                              ; =>This Inner Loop Header: Depth=1
	flat_load_dwordx2 v[4:5], v[2:3]
	s_mul_i32 s24, s7, 0x50
	s_mul_i32 s25, s20, 0x50
	s_add_i32 s20, s20, 2
	s_add_i32 s7, s7, 2
	s_add_i32 s21, s21, -2
	v_lshl_add_u64 v[2:3], v[2:3], 0, 8
	v_add_u32_e32 v6, s25, v1
	s_cmp_lg_u32 s21, 0
	v_add_u32_e32 v7, s24, v1
	s_waitcnt vmcnt(0) lgkmcnt(0)
	v_pk_mul_f32 v[4:5], s[16:17], v[4:5]
	ds_write_b32 v6, v4
	ds_write_b32 v7, v5
	s_cbranch_scc1 .LBB21_14
; %bb.15:
	s_cmp_lg_u32 s26, s5
	s_cselect_b64 s[20:21], -1, 0
.LBB21_16:
	s_and_b64 vcc, exec, s[20:21]
	s_cbranch_vccz .LBB21_19
; %bb.17:
	s_sub_i32 s7, s26, s5
	s_lshl_b32 s17, s5, 2
	s_add_u32 s17, s8, s17
	s_addc_u32 s21, s9, 0
	s_add_u32 s20, s17, s10
	v_lshlrev_b32_e32 v2, 2, v0
	v_mov_b32_e32 v3, 0
	s_addc_u32 s21, s21, s11
	v_lshl_add_u64 v[4:5], s[2:3], 2, v[2:3]
	v_mov_b64_e32 v[2:3], s[20:21]
	v_mad_u64_u32 v[2:3], s[20:21], v4, s22, v[2:3]
	v_mul_lo_u32 v1, v4, s23
	v_mul_lo_u32 v4, v5, s22
	s_mulk_i32 s5, 0x50
	v_add3_u32 v3, v4, v3, v1
	v_lshl_add_u32 v1, v0, 2, s5
	v_add_u32_e32 v1, 0x640, v1
.LBB21_18:                              ; =>This Inner Loop Header: Depth=1
	flat_load_dword v4, v[2:3]
	s_add_i32 s7, s7, -1
	v_lshl_add_u64 v[2:3], v[2:3], 0, 4
	s_cmp_lg_u32 s7, 0
	s_waitcnt vmcnt(0) lgkmcnt(0)
	v_mul_f32_e32 v4, s16, v4
	ds_write_b32 v1, v4
	v_add_u32_e32 v1, 0x50, v1
	s_cbranch_scc1 .LBB21_18
.LBB21_19:
	s_or_b64 exec, exec, s[18:19]
	v_mov_b32_e32 v1, 0x640
	s_cmpk_eq_i32 s4, 0x6f
	v_lshl_add_u32 v1, v0, 2, v1
	s_mov_b64 s[4:5], -1
	s_waitcnt lgkmcnt(0)
	; wave barrier
	s_cbranch_scc1 .LBB21_34
; %bb.20:
	s_cmp_gt_i32 s6, 19
	s_cselect_b64 s[4:5], -1, 0
	s_mov_b32 s7, 0
	s_and_b64 vcc, exec, s[4:5]
	s_cbranch_vccz .LBB21_22
; %bb.21:
	v_add_u32_e32 v41, 0x200, v1
	v_add_u32_e32 v33, 0x400, v1
	v_mov_b32_e32 v99, 0
	ds_read2_b32 v[14:15], v1 offset1:20
	ds_read2_b32 v[74:75], v1 offset0:40 offset1:60
	ds_read2_b32 v[76:77], v1 offset0:80 offset1:100
	;; [unrolled: 1-line block ×9, first 2 shown]
	ds_read_b128 v[16:19], v99 offset:240
	ds_read_b32 v9, v99
	ds_read_b64 v[84:85], v99 offset:80
	ds_read_b96 v[10:12], v99 offset:160
	ds_read_b128 v[20:23], v99 offset:320
	ds_read_b96 v[6:8], v99 offset:400
	ds_read2_b32 v[44:45], v99 offset0:84 offset1:105
	ds_read_b96 v[48:50], v99 offset:560
	ds_read2_b32 v[42:43], v99 offset0:103 offset1:104
	s_waitcnt lgkmcnt(7)
	v_mul_f32_e32 v64, v14, v9
	v_mov_b32_e32 v87, v18
	ds_read_b96 v[70:72], v99 offset:720
	ds_read2_b32 v[60:61], v99 offset0:143 offset1:144
	s_waitcnt lgkmcnt(3)
	v_mov_b32_e32 v91, v50
	ds_read2_b32 v[50:51], v99 offset0:147 offset1:168
	ds_read_b128 v[2:5], v99 offset:656
	ds_read_b96 v[38:40], v99 offset:496
	ds_read_b128 v[54:57], v99 offset:480
	ds_read2_b32 v[24:25], v99 offset0:145 offset1:146
	ds_read_b128 v[66:69], v99 offset:640
	ds_read2_b32 v[62:63], v99 offset0:183 offset1:184
	ds_read2_b32 v[58:59], v99 offset0:185 offset1:186
	;; [unrolled: 1-line block ×4, first 2 shown]
	v_fma_f32 v13, -v64, v84, v15
	v_fma_f32 v18, -v64, v16, v75
	ds_read_b96 v[30:32], v99 offset:832
	ds_read_b96 v[14:16], v99 offset:880
	v_mul_f32_e32 v65, v13, v85
	v_mov_b32_e32 v88, v7
	v_mov_b32_e32 v89, v8
	s_waitcnt lgkmcnt(13)
	v_mov_b32_e32 v92, v71
	v_mov_b32_e32 v93, v72
	v_fma_f32 v84, -v64, v6, v77
	v_fma_f32 v79, -v64, v48, v79
	;; [unrolled: 1-line block ×3, first 2 shown]
	ds_read_b128 v[70:73], v99 offset:800
	ds_read_b128 v[6:9], v99 offset:816
	s_waitcnt lgkmcnt(2)
	v_mov_b32_e32 v48, v15
	v_fma_f32 v83, -v64, v14, v83
	v_pk_mul_f32 v[10:11], v[64:65], v[10:11]
	v_pk_mul_f32 v[14:15], v[64:65], v[20:21]
	v_sub_f32_e32 v10, v74, v10
	v_sub_f32_e32 v13, v76, v14
	ds_read_b128 v[74:77], v99 offset:960
	v_mov_b32_e32 v86, v17
	v_mov_b32_e32 v90, v49
	;; [unrolled: 1-line block ×3, first 2 shown]
	v_pk_mul_f32 v[16:17], v[64:65], v[54:55]
	v_sub_f32_e32 v54, v10, v11
	s_waitcnt lgkmcnt(2)
	v_pk_mul_f32 v[10:11], v[64:65], v[70:71]
	v_pk_mul_f32 v[20:21], v[64:65], v[66:67]
	v_sub_f32_e32 v10, v82, v10
	v_sub_f32_e32 v70, v10, v11
	s_waitcnt lgkmcnt(0)
	v_fma_f32 v10, -v64, v74, v36
	v_mul_f32_e32 v95, v54, v12
	v_mov_b32_e32 v94, v65
	v_sub_f32_e32 v14, v78, v16
	v_sub_f32_e32 v16, v80, v20
	ds_write2_b32 v1, v64, v65 offset1:20
	v_fma_f32 v71, -v65, v75, v10
	v_pk_mul_f32 v[10:11], v[94:95], v[86:87]
	v_pk_mul_f32 v[54:55], v[94:95], v[90:91]
	v_sub_f32_e32 v66, v13, v15
	v_sub_f32_e32 v67, v14, v17
	;; [unrolled: 1-line block ×3, first 2 shown]
	ds_read2_b32 v[20:21], v99 offset0:223 offset1:224
	ds_read_b128 v[14:17], v99 offset:976
	v_sub_f32_e32 v10, v18, v10
	v_sub_f32_e32 v18, v79, v54
	ds_read_b96 v[78:80], v99 offset:1040
	v_sub_f32_e32 v106, v18, v55
	v_sub_f32_e32 v36, v10, v11
	v_pk_mul_f32 v[10:11], v[94:95], v[92:93]
	v_mul_f32_e32 v19, v36, v19
	s_waitcnt lgkmcnt(0)
	v_fma_f32 v18, -v64, v78, v37
	v_fma_f32 v18, -v65, v79, v18
	;; [unrolled: 1-line block ×3, first 2 shown]
	v_mov_b32_e32 v18, v95
	v_sub_f32_e32 v10, v81, v10
	v_pk_mul_f32 v[22:23], v[18:19], v[22:23]
	v_sub_f32_e32 v107, v10, v11
	v_pk_mul_f32 v[10:11], v[94:95], v[48:49]
	v_sub_f32_e32 v22, v66, v22
	s_movk_i32 s16, 0x200
	v_pk_mul_f32 v[12:13], v[94:95], v[88:89]
	v_sub_f32_e32 v10, v83, v10
	v_pk_mul_f32 v[54:55], v[18:19], v[68:69]
	v_sub_f32_e32 v93, v22, v23
	;; [unrolled: 2-line block ×3, first 2 shown]
	v_sub_f32_e32 v94, v10, v11
	v_add_u32_e64 v10, s16, 0
	v_sub_f32_e32 v54, v85, v54
	v_sub_f32_e32 v22, v70, v22
	v_sub_f32_e32 v103, v12, v13
	ds_read2_b32 v[48:49], v10 offset0:124 offset1:145
	ds_read_b128 v[10:13], v99 offset:992
	v_pk_mul_f32 v[36:37], v[18:19], v[56:57]
	v_sub_f32_e32 v114, v54, v55
	v_sub_f32_e32 v115, v22, v23
	v_pk_mul_f32 v[22:23], v[18:19], v[76:77]
	ds_read_b128 v[54:57], v99 offset:1120
	v_sub_f32_e32 v18, v71, v22
	ds_write2_b32 v1, v95, v19 offset0:40 offset1:60
	v_sub_f32_e32 v116, v18, v23
	v_mov_b32_e32 v18, 0x41c
	v_sub_f32_e32 v36, v67, v36
	ds_read2_b32 v[22:23], v18 offset1:1
	ds_read_b128 v[74:77], v99 offset:1136
	ds_read_b128 v[66:69], v99 offset:1200
	ds_read_b96 v[90:92], v99 offset:1216
	s_waitcnt lgkmcnt(5)
	v_fma_f32 v18, -v64, v54, v34
	v_fma_f32 v18, -v65, v55, v18
	;; [unrolled: 1-line block ×4, first 2 shown]
	s_waitcnt lgkmcnt(1)
	v_fma_f32 v18, -v64, v66, v35
	v_fma_f32 v18, -v65, v67, v18
	s_movk_i32 s7, 0x400
	v_fma_f32 v18, -v95, v68, v18
	v_fma_f32 v118, -v19, v69, v18
	v_add_u32_e64 v18, s7, 0
	v_sub_f32_e32 v113, v36, v37
	ds_read_b128 v[34:37], v99 offset:1280
	ds_read2_b32 v[56:57], v18 offset0:59 offset1:80
	ds_read_b128 v[78:81], v99 offset:1296
	ds_read_b128 v[66:69], v99 offset:1360
	ds_read_b96 v[96:98], v99 offset:1376
	ds_read_b128 v[70:73], v99 offset:1440
	s_waitcnt lgkmcnt(5)
	v_fma_f32 v28, -v64, v34, v28
	v_fma_f32 v28, -v65, v35, v28
	s_waitcnt lgkmcnt(2)
	v_fma_f32 v29, -v64, v66, v29
	v_fma_f32 v29, -v65, v67, v29
	;; [unrolled: 1-line block ×5, first 2 shown]
	ds_read2_b32 v[54:55], v18 offset0:101 offset1:143
	ds_read_b128 v[82:85], v99 offset:1456
	ds_read_b96 v[34:36], v99 offset:1504
	ds_read_b128 v[66:69], v99 offset:1520
	s_waitcnt lgkmcnt(4)
	v_fma_f32 v18, -v64, v70, v26
	v_fma_f32 v18, -v65, v71, v18
	;; [unrolled: 1-line block ×5, first 2 shown]
	s_waitcnt lgkmcnt(0)
	v_fma_f32 v18, -v64, v66, v27
	v_fma_f32 v18, -v65, v67, v18
	v_mov_b32_e32 v105, v92
	ds_read_b128 v[86:89], v99 offset:1536
	ds_read_b96 v[100:102], v99 offset:1552
	v_fma_f32 v18, -v95, v68, v18
	v_mul_f32_e32 v93, v93, v44
	v_mov_b32_e32 v92, v19
	v_fma_f32 v64, -v19, v69, v18
	v_pk_mul_f32 v[18:19], v[92:93], v[42:43]
	v_mov_b32_e32 v104, v91
	v_sub_f32_e32 v18, v103, v18
	v_sub_f32_e32 v91, v18, v19
	v_pk_mul_f32 v[18:19], v[92:93], v[62:63]
	s_waitcnt lgkmcnt(0)
	v_mov_b32_e32 v66, v101
	v_sub_f32_e32 v18, v107, v18
	v_sub_f32_e32 v101, v18, v19
	v_pk_mul_f32 v[18:19], v[92:93], v[20:21]
	v_mov_b32_e32 v65, 0x424
	v_sub_f32_e32 v18, v94, v18
	v_pk_mul_f32 v[26:27], v[92:93], v[60:61]
	v_sub_f32_e32 v119, v18, v19
	v_mov_b32_e32 v18, 0x61c
	v_mov_b32_e32 v19, 0x624
	;; [unrolled: 1-line block ×3, first 2 shown]
	v_sub_f32_e32 v26, v106, v26
	ds_read2_b32 v[102:103], v99 offset0:225 offset1:226
	ds_read2_b32 v[106:107], v99 offset0:227 offset1:228
	;; [unrolled: 1-line block ×3, first 2 shown]
	ds_read2_b32 v[110:111], v65 offset1:1
	ds_read2_b32 v[68:69], v18 offset1:1
	;; [unrolled: 1-line block ×3, first 2 shown]
	v_pk_mul_f32 v[18:19], v[92:93], v[22:23]
	v_mul_f32_e32 v23, v91, v45
	v_mov_b32_e32 v22, v93
	v_pk_mul_f32 v[2:3], v[22:23], v[2:3]
	v_sub_f32_e32 v18, v112, v18
	v_sub_f32_e32 v2, v114, v2
	;; [unrolled: 1-line block ×3, first 2 shown]
	v_mov_b32_e32 v18, 0x62c
	v_mov_b32_e32 v20, 0x4e4
	;; [unrolled: 1-line block ×3, first 2 shown]
	v_sub_f32_e32 v45, v2, v3
	v_pk_mul_f32 v[2:3], v[22:23], v[6:7]
	v_fma_f32 v37, -v93, v82, v37
	v_fma_f32 v82, -v93, v86, v64
	v_mov_b32_e32 v19, 0x58c
	ds_read2_b32 v[60:61], v18 offset1:1
	ds_read2_b32 v[64:65], v19 offset1:1
	;; [unrolled: 1-line block ×4, first 2 shown]
	v_pk_mul_f32 v[20:21], v[22:23], v[38:39]
	v_sub_f32_e32 v2, v115, v2
	v_sub_f32_e32 v20, v113, v20
	;; [unrolled: 1-line block ×3, first 2 shown]
	v_pk_mul_f32 v[2:3], v[22:23], v[14:15]
	v_sub_f32_e32 v20, v20, v21
	v_sub_f32_e32 v2, v116, v2
	v_sub_f32_e32 v114, v2, v3
	v_mul_f32_e32 v3, v20, v40
	v_mov_b32_e32 v2, v23
	v_sub_f32_e32 v95, v26, v27
	v_pk_mul_f32 v[6:7], v[2:3], v[24:25]
	v_fma_f32 v78, -v93, v78, v28
	v_pk_mul_f32 v[18:19], v[22:23], v[74:75]
	v_sub_f32_e32 v6, v95, v6
	s_waitcnt lgkmcnt(6)
	v_pk_mul_f32 v[74:75], v[2:3], v[110:111]
	v_fma_f32 v40, -v23, v79, v78
	v_sub_f32_e32 v79, v6, v7
	v_pk_mul_f32 v[6:7], v[2:3], v[58:59]
	v_sub_f32_e32 v74, v112, v74
	v_fma_f32 v118, -v93, v90, v118
	v_sub_f32_e32 v6, v101, v6
	v_sub_f32_e32 v110, v74, v75
	v_pk_mul_f32 v[74:75], v[2:3], v[104:105]
	v_fma_f32 v94, -v93, v96, v29
	v_sub_f32_e32 v101, v6, v7
	v_pk_mul_f32 v[6:7], v[2:3], v[102:103]
	v_sub_f32_e32 v2, v118, v74
	v_mov_b32_e32 v86, 0x43c
	ds_read_b96 v[42:44], v99 offset:1168
	ds_read_b128 v[26:29], v99 offset:1152
	v_sub_f32_e32 v18, v117, v18
	ds_write2_b32 v1, v93, v23 offset0:80 offset1:100
	v_fma_f32 v14, -v23, v97, v94
	v_fma_f32 v37, -v23, v83, v37
	;; [unrolled: 1-line block ×3, first 2 shown]
	v_sub_f32_e32 v6, v119, v6
	v_mov_b32_e32 v58, 0x42c
	v_mov_b32_e32 v82, 0x434
	;; [unrolled: 1-line block ×3, first 2 shown]
	v_sub_f32_e32 v104, v2, v75
	v_mul_f32_e32 v75, v79, v50
	v_mov_b32_e32 v74, v3
	v_mov_b32_e32 v120, 0x4dc
	;; [unrolled: 1-line block ×3, first 2 shown]
	v_sub_f32_e32 v115, v18, v19
	ds_read_b128 v[18:21], v99 offset:1328
	ds_read_b128 v[90:93], v99 offset:1312
	;; [unrolled: 1-line block ×4, first 2 shown]
	v_sub_f32_e32 v102, v6, v7
	v_fma_f32 v103, -v3, v98, v14
	ds_read2_b32 v[6:7], v86 offset1:1
	ds_read2_b32 v[14:15], v120 offset1:1
	;; [unrolled: 1-line block ×4, first 2 shown]
	v_fma_f32 v37, -v3, v84, v37
	v_fma_f32 v84, -v3, v88, v78
	v_mov_b32_e32 v2, 0x4d4
	v_pk_mul_f32 v[78:79], v[74:75], v[80:81]
	v_mov_b32_e32 v50, 0x56c
	ds_read2_b32 v[80:81], v82 offset1:1
	ds_read2_b32 v[82:83], v83 offset1:1
	;; [unrolled: 1-line block ×4, first 2 shown]
	v_pk_mul_f32 v[4:5], v[74:75], v[4:5]
	v_pk_mul_f32 v[76:77], v[74:75], v[76:77]
	v_sub_f32_e32 v2, v45, v4
	v_sub_f32_e32 v4, v2, v5
	v_pk_mul_f32 v[16:17], v[74:75], v[16:17]
	v_mul_f32_e32 v5, v4, v51
	v_mov_b32_e32 v4, v75
	v_sub_f32_e32 v50, v115, v76
	v_sub_f32_e32 v16, v114, v16
	v_pk_mul_f32 v[52:53], v[4:5], v[52:53]
	ds_write2_b32 v1, v3, v75 offset0:120 offset1:140
	v_pk_mul_f32 v[2:3], v[74:75], v[8:9]
	v_sub_f32_e32 v74, v16, v17
	v_sub_f32_e32 v76, v50, v77
	s_waitcnt lgkmcnt(1)
	v_pk_mul_f32 v[8:9], v[4:5], v[98:99]
	v_pk_mul_f32 v[16:17], v[4:5], v[82:83]
	;; [unrolled: 1-line block ×4, first 2 shown]
	v_sub_f32_e32 v4, v101, v52
	v_sub_f32_e32 v8, v103, v8
	;; [unrolled: 1-line block ×7, first 2 shown]
	v_mul_f32_e32 v9, v4, v46
	v_mov_b32_e32 v8, v5
	v_sub_f32_e32 v45, v2, v3
	v_pk_mul_f32 v[30:31], v[8:9], v[30:31]
	v_sub_f32_e32 v16, v104, v16
	v_sub_f32_e32 v4, v45, v30
	v_fma_f32 v37, -v75, v85, v37
	v_fma_f32 v77, -v75, v89, v84
	v_sub_f32_e32 v58, v16, v17
	v_pk_mul_f32 v[16:17], v[8:9], v[94:95]
	v_sub_f32_e32 v4, v4, v31
	v_sub_f32_e32 v50, v110, v50
	;; [unrolled: 1-line block ×3, first 2 shown]
	v_fma_f32 v37, -v5, v100, v77
	ds_write2_b32 v1, v5, v9 offset0:160 offset1:180
	v_mul_f32_e32 v5, v4, v32
	v_mov_b32_e32 v4, v9
	v_mov_b32_e32 v2, 0x574
	v_sub_f32_e32 v53, v50, v51
	v_pk_mul_f32 v[50:51], v[8:9], v[90:91]
	v_pk_mul_f32 v[26:27], v[8:9], v[26:27]
	;; [unrolled: 1-line block ×4, first 2 shown]
	ds_read2_b32 v[2:3], v2 offset1:1
	v_sub_f32_e32 v8, v52, v8
	v_sub_f32_e32 v26, v76, v26
	;; [unrolled: 1-line block ×5, first 2 shown]
	v_pk_mul_f32 v[10:11], v[4:5], v[80:81]
	v_sub_f32_e32 v45, v26, v27
	v_pk_mul_f32 v[26:27], v[4:5], v[86:87]
	v_mul_f32_e32 v9, v8, v47
	v_mov_b32_e32 v8, v5
	v_sub_f32_e32 v10, v53, v10
	v_sub_f32_e32 v26, v58, v26
	v_pk_mul_f32 v[12:13], v[8:9], v[12:13]
	v_mov_b32_e32 v30, 0x634
	v_sub_f32_e32 v12, v32, v12
	v_sub_f32_e32 v32, v10, v11
	v_pk_mul_f32 v[10:11], v[8:9], v[28:29]
	v_sub_f32_e32 v28, v26, v27
	v_pk_mul_f32 v[26:27], v[4:5], v[66:67]
	ds_read2_b32 v[30:31], v30 offset1:1
	s_waitcnt lgkmcnt(1)
	v_pk_mul_f32 v[2:3], v[4:5], v[2:3]
	v_sub_f32_e32 v4, v37, v26
	v_sub_f32_e32 v26, v4, v27
	;; [unrolled: 1-line block ×5, first 2 shown]
	ds_write2_b32 v1, v5, v9 offset0:200 offset1:220
	v_mul_f32_e32 v5, v4, v48
	v_mov_b32_e32 v4, v9
	v_sub_f32_e32 v40, v40, v79
	v_sub_f32_e32 v46, v16, v17
	;; [unrolled: 1-line block ×3, first 2 shown]
	v_pk_mul_f32 v[2:3], v[8:9], v[96:97]
	v_pk_mul_f32 v[6:7], v[4:5], v[6:7]
	v_sub_f32_e32 v40, v40, v50
	v_sub_f32_e32 v2, v46, v2
	;; [unrolled: 1-line block ×4, first 2 shown]
	v_pk_mul_f32 v[16:17], v[8:9], v[92:93]
	v_pk_mul_f32 v[8:9], v[4:5], v[14:15]
	v_sub_f32_e32 v14, v2, v3
	v_sub_f32_e32 v2, v6, v7
	v_sub_f32_e32 v10, v45, v10
	v_sub_f32_e32 v16, v40, v16
	v_sub_f32_e32 v8, v28, v8
	v_mul_f32_e32 v3, v2, v49
	v_mov_b32_e32 v2, v5
	v_sub_f32_e32 v12, v10, v11
	v_sub_f32_e32 v13, v16, v17
	v_pk_mul_f32 v[10:11], v[4:5], v[38:39]
	v_pk_mul_f32 v[6:7], v[2:3], v[42:43]
	v_sub_f32_e32 v15, v8, v9
	v_pk_mul_f32 v[8:9], v[2:3], v[18:19]
	v_sub_f32_e32 v10, v29, v10
	v_sub_f32_e32 v6, v12, v6
	;; [unrolled: 1-line block ×3, first 2 shown]
	v_pk_mul_f32 v[12:13], v[4:5], v[68:69]
	v_sub_f32_e32 v16, v10, v11
	v_pk_mul_f32 v[10:11], v[2:3], v[22:23]
	v_sub_f32_e32 v2, v26, v12
	v_sub_f32_e32 v12, v2, v13
	;; [unrolled: 1-line block ×3, first 2 shown]
	ds_write2_b32 v41, v5, v3 offset0:112 offset1:132
	v_mul_f32_e32 v5, v2, v44
	v_mov_b32_e32 v4, v3
	v_pk_mul_f32 v[2:3], v[4:5], v[72:73]
	v_pk_mul_f32 v[6:7], v[4:5], v[70:71]
	v_sub_f32_e32 v2, v15, v2
	v_sub_f32_e32 v2, v2, v3
	v_mul_f32_e32 v3, v2, v56
	v_mov_b32_e32 v2, v5
	v_sub_f32_e32 v10, v14, v10
	v_sub_f32_e32 v13, v8, v9
	;; [unrolled: 1-line block ×3, first 2 shown]
	v_pk_mul_f32 v[8:9], v[2:3], v[20:21]
	v_sub_f32_e32 v10, v10, v11
	v_sub_f32_e32 v8, v13, v8
	;; [unrolled: 1-line block ×3, first 2 shown]
	v_pk_mul_f32 v[6:7], v[2:3], v[24:25]
	ds_write2_b32 v33, v5, v3 offset0:24 offset1:44
	v_sub_f32_e32 v6, v10, v6
	v_pk_mul_f32 v[10:11], v[4:5], v[62:63]
	v_mov_b32_e32 v4, v3
	v_sub_f32_e32 v2, v12, v10
	v_sub_f32_e32 v10, v2, v11
	;; [unrolled: 1-line block ×3, first 2 shown]
	v_mul_f32_e32 v5, v2, v57
	v_pk_mul_f32 v[2:3], v[4:5], v[64:65]
	v_sub_f32_e32 v8, v6, v7
	v_sub_f32_e32 v2, v13, v2
	;; [unrolled: 1-line block ×3, first 2 shown]
	v_mul_f32_e32 v3, v2, v54
	v_mov_b32_e32 v2, v5
	v_pk_mul_f32 v[6:7], v[2:3], v[34:35]
	ds_write2_b32 v33, v5, v3 offset0:64 offset1:84
	v_sub_f32_e32 v2, v8, v6
	v_pk_mul_f32 v[8:9], v[4:5], v[60:61]
	v_sub_f32_e32 v2, v2, v7
	v_sub_f32_e32 v4, v10, v8
	;; [unrolled: 1-line block ×3, first 2 shown]
	v_mul_f32_e32 v5, v2, v36
	v_mov_b32_e32 v4, v3
	s_waitcnt lgkmcnt(4)
	v_pk_mul_f32 v[2:3], v[4:5], v[30:31]
	s_mov_b32 s7, 20
	v_sub_f32_e32 v2, v6, v2
	v_sub_f32_e32 v2, v2, v3
	v_mul_f32_e32 v2, v2, v55
	ds_write2_b32 v33, v5, v2 offset0:104 offset1:124
.LBB21_22:
	s_cmp_lt_i32 s7, s26
	s_cbranch_scc0 .LBB21_33
; %bb.23:
	s_add_i32 s16, s7, 15
	s_cmp_ge_u32 s16, s26
	s_cbranch_scc1 .LBB21_28
; %bb.24:
	s_mul_i32 s16, s7, 0x50
	v_add_u32_e32 v17, s16, v1
	ds_read2_b32 v[40:41], v17 offset1:20
	ds_read2_b32 v[36:37], v17 offset0:40 offset1:60
	ds_read2_b32 v[38:39], v17 offset0:80 offset1:100
	;; [unrolled: 1-line block ×5, first 2 shown]
	v_add_u32_e32 v2, 0x200, v17
	ds_read2_b32 v[30:31], v2 offset0:112 offset1:132
	v_add_u32_e32 v2, 0x400, v17
	ds_read2_b32 v[26:27], v2 offset0:24 offset1:44
	s_andn2_b64 vcc, exec, s[4:5]
	s_cbranch_vccnz .LBB21_27
; %bb.25:
	v_mov_b32_e32 v2, 0x640
	v_lshl_add_u32 v4, v0, 2, v2
	s_mov_b32 s4, s7
	s_mov_b32 s5, s16
.LBB21_26:                              ; =>This Inner Loop Header: Depth=1
	v_mov_b32_e32 v5, s5
	ds_read2_b32 v[2:3], v4 offset1:20
	ds_read2_b32 v[14:15], v4 offset0:40 offset1:60
	ds_read_b128 v[90:93], v5
	ds_read_b128 v[6:9], v5 offset:80
	ds_read_b128 v[94:97], v5 offset:160
	;; [unrolled: 1-line block ×15, first 2 shown]
	s_waitcnt lgkmcnt(14)
	v_mov_b32_e32 v60, v90
	v_mov_b32_e32 v61, v6
	s_waitcnt lgkmcnt(13)
	v_mov_b32_e32 v62, v94
	s_waitcnt lgkmcnt(12)
	;; [unrolled: 2-line block ×14, first 2 shown]
	v_mov_b32_e32 v75, v54
	v_mov_b32_e32 v16, v3
	;; [unrolled: 1-line block ×10, first 2 shown]
	v_pk_fma_f32 v[40:41], v[2:3], v[60:61], v[40:41] op_sel_hi:[0,1,1] neg_lo:[1,0,0] neg_hi:[1,0,0]
	v_pk_fma_f32 v[36:37], v[2:3], v[62:63], v[36:37] op_sel_hi:[0,1,1] neg_lo:[1,0,0] neg_hi:[1,0,0]
	;; [unrolled: 1-line block ×8, first 2 shown]
	v_mov_b32_e32 v76, v92
	v_mov_b32_e32 v77, v8
	v_mov_b32_e32 v78, v96
	v_mov_b32_e32 v79, v12
	v_mov_b32_e32 v80, v100
	v_mov_b32_e32 v81, v20
	v_mov_b32_e32 v82, v104
	v_mov_b32_e32 v83, v24
	v_mov_b32_e32 v84, v108
	v_mov_b32_e32 v85, v44
	v_mov_b32_e32 v86, v112
	v_mov_b32_e32 v87, v48
	v_mov_b32_e32 v88, v116
	v_mov_b32_e32 v89, v52
	v_mov_b32_e32 v90, v120
	v_mov_b32_e32 v91, v56
	v_pk_fma_f32 v[6:7], v[16:17], v[6:7], v[40:41] op_sel_hi:[0,1,1] neg_lo:[1,0,0] neg_hi:[1,0,0]
	v_pk_fma_f32 v[10:11], v[16:17], v[10:11], v[36:37] op_sel_hi:[0,1,1] neg_lo:[1,0,0] neg_hi:[1,0,0]
	v_pk_fma_f32 v[18:19], v[16:17], v[18:19], v[38:39] op_sel_hi:[0,1,1] neg_lo:[1,0,0] neg_hi:[1,0,0]
	v_pk_fma_f32 v[22:23], v[16:17], v[22:23], v[34:35] op_sel_hi:[0,1,1] neg_lo:[1,0,0] neg_hi:[1,0,0]
	v_pk_fma_f32 v[26:27], v[16:17], v[42:43], v[32:33] op_sel_hi:[0,1,1] neg_lo:[1,0,0] neg_hi:[1,0,0]
	v_pk_fma_f32 v[28:29], v[16:17], v[46:47], v[28:29] op_sel_hi:[0,1,1] neg_lo:[1,0,0] neg_hi:[1,0,0]
	v_pk_fma_f32 v[30:31], v[16:17], v[50:51], v[30:31] op_sel_hi:[0,1,1] neg_lo:[1,0,0] neg_hi:[1,0,0]
	v_pk_fma_f32 v[2:3], v[16:17], v[54:55], v[2:3] op_sel_hi:[0,1,1] neg_lo:[1,0,0] neg_hi:[1,0,0]
	s_add_i32 s5, s5, 16
	s_add_i32 s4, s4, -4
	v_mov_b32_e32 v58, v15
	v_mov_b32_e32 v8, v93
	;; [unrolled: 1-line block ×9, first 2 shown]
	v_pk_fma_f32 v[6:7], v[14:15], v[76:77], v[6:7] op_sel_hi:[0,1,1] neg_lo:[1,0,0] neg_hi:[1,0,0]
	v_pk_fma_f32 v[10:11], v[14:15], v[78:79], v[10:11] op_sel_hi:[0,1,1] neg_lo:[1,0,0] neg_hi:[1,0,0]
	;; [unrolled: 1-line block ×8, first 2 shown]
	v_add_u32_e32 v4, 0x140, v4
	s_cmp_lg_u32 s4, 0
	v_pk_fma_f32 v[40:41], v[58:59], v[8:9], v[6:7] op_sel_hi:[0,1,1] neg_lo:[1,0,0] neg_hi:[1,0,0]
	v_pk_fma_f32 v[36:37], v[58:59], v[12:13], v[10:11] op_sel_hi:[0,1,1] neg_lo:[1,0,0] neg_hi:[1,0,0]
	;; [unrolled: 1-line block ×8, first 2 shown]
	s_cbranch_scc1 .LBB21_26
.LBB21_27:
	s_lshl_b32 s4, s7, 2
	s_add_i32 s5, s4, s16
	v_mov_b32_e32 v18, s5
	s_add_i32 s5, s16, 0x50
	s_add_i32 s17, s4, s5
	v_add_u32_e32 v21, s5, v1
	s_add_i32 s5, s16, 0xa0
	v_mov_b32_e32 v2, s17
	s_add_i32 s17, s4, s5
	v_add_u32_e32 v25, s5, v1
	s_add_i32 s5, s16, 0xf0
	v_mov_b32_e32 v3, s17
	s_add_i32 s17, s4, s5
	ds_read2_b32 v[44:45], v18 offset1:84
	ds_read_b64 v[78:79], v2
	ds_read_b96 v[80:82], v3
	v_mov_b32_e32 v2, s17
	ds_read_b128 v[2:5], v2
	s_add_i32 s17, s16, 0x190
	s_add_i32 s18, s4, s17
	v_mov_b32_e32 v10, s18
	v_add_u32_e32 v102, s5, v1
	s_add_i32 s5, s16, 0x140
	ds_read_b96 v[70:72], v10
	s_add_i32 s18, s4, s5
	v_add_u32_e32 v103, s5, v1
	s_add_i32 s5, s16, 0x1e0
	s_waitcnt lgkmcnt(1)
	v_mov_b32_e32 v90, v3
	v_mov_b32_e32 v3, s18
	v_add_u32_e32 v104, s17, v1
	s_add_i32 s17, s4, s5
	ds_read_b128 v[6:9], v3
	ds_read2_b32 v[48:49], v10 offset0:3 offset1:4
	ds_read2_b32 v[42:43], v18 offset0:105 offset1:147
	v_mov_b32_e32 v3, s17
	s_add_i32 s17, s16, 0x230
	s_add_i32 s18, s4, s17
	v_add_u32_e32 v105, s5, v1
	s_add_i32 s5, s16, 0x280
	v_mov_b32_e32 v91, v4
	v_mov_b32_e32 v4, s18
	v_add_u32_e32 v106, s17, v1
	s_add_i32 s17, s4, s5
	v_add_u32_e32 v107, s5, v1
	s_add_i32 s5, s16, 0x2d0
	s_waitcnt lgkmcnt(3)
	v_mov_b32_e32 v93, v72
	ds_read_b96 v[72:74], v4
	ds_read_b128 v[10:13], v3
	ds_read_b96 v[14:16], v3 offset:16
	v_mov_b32_e32 v3, s17
	s_add_i32 s17, s4, s5
	v_mov_b32_e32 v89, s17
	s_add_i32 s17, s16, 0x320
	s_add_i32 s18, s4, s17
	v_mov_b32_e32 v77, s18
	s_add_i32 s18, s16, 0x370
	s_add_i32 s19, s4, s18
	v_add_u32_e32 v109, s5, v1
	s_add_i32 s5, s16, 0x3c0
	ds_read2_b32 v[94:95], v4 offset0:3 offset1:4
	s_waitcnt lgkmcnt(3)
	v_mov_b32_e32 v97, v74
	ds_read_b128 v[54:57], v3
	ds_read2_b32 v[52:53], v18 offset0:168 offset1:189
	ds_read_b96 v[74:76], v89
	v_mov_b32_e32 v108, s19
	ds_read_b96 v[22:24], v77 offset:32
	ds_read_b96 v[84:86], v108
	ds_read_b128 v[58:61], v3 offset:16
	v_add_u32_e32 v110, s17, v1
	s_add_i32 s17, s4, s5
	v_add_u32_e32 v112, s5, v1
	s_add_i32 s5, s16, 0x410
	v_mov_b32_e32 v83, s17
	s_add_i32 s17, s4, s5
	v_mov_b32_e32 v113, s17
	v_add_u32_e32 v3, 0x400, v18
	s_add_i32 s17, s16, 0x460
	v_mul_f32_e32 v40, v40, v44
	v_add_u32_e32 v111, s18, v1
	ds_read2_b32 v[46:47], v3 offset0:17 offset1:59
	s_add_i32 s18, s4, s17
	s_addk_i32 s16, 0x4b0
	v_fma_f32 v3, -v40, v78, v41
	s_waitcnt lgkmcnt(2)
	v_mov_b32_e32 v100, v85
	v_mov_b32_e32 v85, s18
	s_add_i32 s4, s4, s16
	v_mul_f32_e32 v41, v3, v79
	v_mov_b32_e32 v101, v86
	ds_read2_b32 v[50:51], v18 offset0:231 offset1:252
	ds_read_b96 v[86:88], v113
	ds_read_b128 v[62:65], v85
	v_mov_b32_e32 v114, s4
	ds_read_b96 v[18:20], v85 offset:48
	ds_read_b128 v[66:69], v114
	ds_write_b32 v17, v40
	v_fma_f32 v17, -v40, v2, v37
	v_pk_mul_f32 v[2:3], v[40:41], v[80:81]
	v_mov_b32_e32 v92, v71
	v_sub_f32_e32 v2, v36, v2
	v_mov_b32_e32 v96, v73
	v_mov_b32_e32 v98, v75
	;; [unrolled: 1-line block ×3, first 2 shown]
	v_fma_f32 v44, -v40, v70, v39
	v_fma_f32 v115, -v40, v72, v35
	;; [unrolled: 1-line block ×3, first 2 shown]
	ds_read_b128 v[70:73], v77
	ds_read_b128 v[74:77], v77 offset:16
	v_fma_f32 v29, -v40, v84, v29
	v_sub_f32_e32 v84, v2, v3
	v_pk_mul_f32 v[2:3], v[40:41], v[10:11]
	v_pk_mul_f32 v[6:7], v[40:41], v[6:7]
	v_sub_f32_e32 v2, v34, v2
	v_sub_f32_e32 v118, v2, v3
	v_pk_mul_f32 v[2:3], v[40:41], v[54:55]
	v_sub_f32_e32 v6, v38, v6
	v_sub_f32_e32 v2, v32, v2
	ds_read_b128 v[36:39], v83
	ds_read_b128 v[78:81], v83 offset:16
	v_sub_f32_e32 v119, v2, v3
	s_waitcnt lgkmcnt(3)
	v_pk_mul_f32 v[2:3], v[40:41], v[70:71]
	v_fma_f32 v10, -v40, v66, v27
	v_sub_f32_e32 v2, v28, v2
	v_sub_f32_e32 v120, v2, v3
	v_fma_f32 v2, -v40, v86, v31
	v_mul_f32_e32 v11, v84, v82
	v_fma_f32 v3, -v40, v62, v26
	v_fma_f32 v66, -v41, v67, v10
	v_mov_b32_e32 v10, v41
	v_fma_f32 v62, -v41, v87, v2
	v_fma_f32 v63, -v41, v63, v3
	v_pk_mul_f32 v[2:3], v[10:11], v[90:91]
	v_sub_f32_e32 v117, v6, v7
	ds_read2_b32 v[6:7], v4 offset0:5 offset1:6
	ds_read_b128 v[32:35], v83 offset:32
	s_waitcnt lgkmcnt(3)
	v_fma_f32 v4, -v40, v36, v30
	ds_write_b32 v21, v41
	v_sub_f32_e32 v2, v17, v2
	ds_write_b32 v25, v11
	ds_read2_b32 v[30:31], v113 offset0:11 offset1:12
	v_fma_f32 v122, -v41, v37, v4
	v_sub_f32_e32 v17, v2, v3
	ds_read_b96 v[2:4], v114 offset:16
	ds_read2_b32 v[36:37], v114 offset0:7 offset1:8
	v_pk_mul_f32 v[26:27], v[10:11], v[92:93]
	v_mul_f32_e32 v5, v17, v5
	v_sub_f32_e32 v25, v44, v26
	v_sub_f32_e32 v25, v25, v27
	v_pk_mul_f32 v[26:27], v[10:11], v[96:97]
	s_waitcnt lgkmcnt(1)
	v_mov_b32_e32 v40, v3
	v_sub_f32_e32 v3, v115, v26
	v_sub_f32_e32 v3, v3, v27
	v_pk_mul_f32 v[26:27], v[10:11], v[100:101]
	v_mov_b32_e32 v41, v4
	v_sub_f32_e32 v4, v29, v26
	v_sub_f32_e32 v93, v4, v27
	v_mov_b32_e32 v4, v11
	v_pk_mul_f32 v[8:9], v[4:5], v[8:9]
	v_pk_mul_f32 v[28:29], v[10:11], v[98:99]
	v_sub_f32_e32 v8, v117, v8
	v_sub_f32_e32 v10, v116, v28
	v_fma_f32 v44, -v11, v64, v63
	v_fma_f32 v64, -v11, v68, v66
	v_pk_mul_f32 v[38:39], v[4:5], v[38:39]
	v_pk_mul_f32 v[70:71], v[4:5], v[72:73]
	;; [unrolled: 1-line block ×3, first 2 shown]
	v_sub_f32_e32 v68, v8, v9
	v_pk_mul_f32 v[8:9], v[4:5], v[12:13]
	ds_read2_b32 v[54:55], v114 offset0:9 offset1:10
	v_sub_f32_e32 v92, v10, v29
	v_fma_f32 v96, -v11, v88, v62
	ds_read_b128 v[26:29], v85 offset:16
	ds_read_b128 v[82:85], v85 offset:32
	ds_read2_b32 v[10:11], v89 offset0:7 offset1:8
	ds_read2_b32 v[62:63], v89 offset0:3 offset1:4
	;; [unrolled: 1-line block ×7, first 2 shown]
	v_sub_f32_e32 v17, v122, v38
	v_sub_f32_e32 v38, v120, v70
	;; [unrolled: 1-line block ×3, first 2 shown]
	ds_write_b32 v102, v5
	v_sub_f32_e32 v4, v118, v8
	v_sub_f32_e32 v70, v4, v9
	;; [unrolled: 1-line block ×5, first 2 shown]
	ds_read2_b32 v[8:9], v113 offset0:9 offset1:10
	ds_read2_b32 v[12:13], v113 offset0:3 offset1:4
	;; [unrolled: 1-line block ×4, first 2 shown]
	v_fma_f32 v98, -v5, v65, v44
	v_mul_f32_e32 v45, v68, v45
	v_mov_b32_e32 v44, v5
	v_pk_mul_f32 v[48:49], v[44:45], v[48:49]
	v_fma_f32 v69, -v5, v69, v64
	s_waitcnt lgkmcnt(2)
	v_pk_mul_f32 v[4:5], v[44:45], v[12:13]
	v_pk_mul_f32 v[62:63], v[44:45], v[62:63]
	v_sub_f32_e32 v25, v25, v48
	v_sub_f32_e32 v4, v96, v4
	;; [unrolled: 1-line block ×4, first 2 shown]
	v_pk_mul_f32 v[12:13], v[44:45], v[88:89]
	v_pk_mul_f32 v[64:65], v[44:45], v[94:95]
	v_sub_f32_e32 v49, v62, v63
	v_sub_f32_e32 v63, v4, v5
	v_mul_f32_e32 v5, v25, v42
	v_mov_b32_e32 v4, v45
	v_sub_f32_e32 v12, v93, v12
	v_sub_f32_e32 v3, v3, v64
	v_pk_mul_f32 v[14:15], v[4:5], v[14:15]
	ds_write_b32 v103, v45
	v_sub_f32_e32 v48, v3, v65
	v_sub_f32_e32 v62, v12, v13
	v_pk_mul_f32 v[12:13], v[4:5], v[26:27]
	v_fma_f32 v25, -v45, v2, v69
	v_pk_mul_f32 v[2:3], v[4:5], v[78:79]
	v_pk_mul_f32 v[26:27], v[4:5], v[74:75]
	;; [unrolled: 1-line block ×3, first 2 shown]
	v_sub_f32_e32 v4, v70, v14
	v_sub_f32_e32 v4, v4, v15
	v_mul_f32_e32 v15, v4, v16
	v_mov_b32_e32 v14, v5
	ds_write_b32 v104, v5
	v_pk_mul_f32 v[4:5], v[14:15], v[6:7]
	v_sub_f32_e32 v12, v98, v12
	v_sub_f32_e32 v4, v48, v4
	;; [unrolled: 1-line block ×6, first 2 shown]
	v_pk_mul_f32 v[6:7], v[14:15], v[66:67]
	v_mul_f32_e32 v5, v4, v43
	v_mov_b32_e32 v4, v15
	v_sub_f32_e32 v26, v26, v45
	v_sub_f32_e32 v6, v49, v6
	;; [unrolled: 1-line block ×3, first 2 shown]
	v_pk_mul_f32 v[16:17], v[14:15], v[90:91]
	v_sub_f32_e32 v44, v12, v13
	v_pk_mul_f32 v[12:13], v[4:5], v[60:61]
	v_sub_f32_e32 v16, v62, v16
	v_sub_f32_e32 v42, v2, v3
	s_waitcnt lgkmcnt(2)
	v_pk_mul_f32 v[2:3], v[14:15], v[56:57]
	v_sub_f32_e32 v12, v26, v12
	v_sub_f32_e32 v26, v6, v7
	v_pk_mul_f32 v[6:7], v[4:5], v[76:77]
	v_sub_f32_e32 v2, v63, v2
	ds_write_b32 v105, v15
	v_sub_f32_e32 v6, v27, v6
	v_sub_f32_e32 v27, v16, v17
	v_pk_mul_f32 v[16:17], v[4:5], v[80:81]
	v_pk_mul_f32 v[14:15], v[14:15], v[40:41]
	v_sub_f32_e32 v16, v42, v16
	v_sub_f32_e32 v42, v2, v3
	v_pk_mul_f32 v[2:3], v[4:5], v[28:29]
	v_sub_f32_e32 v4, v25, v14
	v_sub_f32_e32 v14, v4, v15
	;; [unrolled: 1-line block ×3, first 2 shown]
	v_mul_f32_e32 v13, v4, v52
	v_mov_b32_e32 v12, v5
	ds_write_b32 v106, v5
	v_pk_mul_f32 v[4:5], v[12:13], v[10:11]
	v_sub_f32_e32 v2, v44, v2
	v_sub_f32_e32 v4, v26, v4
	;; [unrolled: 1-line block ×6, first 2 shown]
	v_pk_mul_f32 v[6:7], v[12:13], v[86:87]
	v_mul_f32_e32 v3, v2, v53
	v_mov_b32_e32 v2, v13
	v_sub_f32_e32 v6, v27, v6
	v_pk_mul_f32 v[10:11], v[12:13], v[38:39]
	v_pk_mul_f32 v[4:5], v[2:3], v[22:23]
	v_sub_f32_e32 v10, v42, v10
	ds_write_b32 v107, v13
	v_sub_f32_e32 v4, v15, v4
	v_sub_f32_e32 v15, v6, v7
	v_pk_mul_f32 v[6:7], v[2:3], v[32:33]
	v_pk_mul_f32 v[12:13], v[12:13], v[36:37]
	v_sub_f32_e32 v6, v16, v6
	v_sub_f32_e32 v16, v10, v11
	v_pk_mul_f32 v[10:11], v[2:3], v[82:83]
	v_sub_f32_e32 v2, v14, v12
	v_sub_f32_e32 v14, v2, v13
	;; [unrolled: 1-line block ×3, first 2 shown]
	v_mul_f32_e32 v5, v2, v24
	v_mov_b32_e32 v4, v3
	ds_write_b32 v109, v3
	v_pk_mul_f32 v[2:3], v[4:5], v[72:73]
	v_sub_f32_e32 v12, v6, v7
	v_sub_f32_e32 v2, v15, v2
	;; [unrolled: 1-line block ×3, first 2 shown]
	v_pk_mul_f32 v[6:7], v[4:5], v[8:9]
	v_mul_f32_e32 v3, v2, v50
	v_mov_b32_e32 v2, v5
	v_sub_f32_e32 v6, v16, v6
	ds_write_b32 v110, v5
	v_pk_mul_f32 v[8:9], v[2:3], v[34:35]
	v_pk_mul_f32 v[4:5], v[4:5], v[54:55]
	v_sub_f32_e32 v8, v12, v8
	v_sub_f32_e32 v15, v6, v7
	v_pk_mul_f32 v[6:7], v[2:3], v[84:85]
	v_sub_f32_e32 v2, v14, v4
	v_sub_f32_e32 v10, v17, v10
	;; [unrolled: 1-line block ×5, first 2 shown]
	v_mul_f32_e32 v5, v2, v51
	v_mov_b32_e32 v4, v3
	v_sub_f32_e32 v6, v10, v6
	ds_read2_b32 v[10:11], v114 offset0:11 offset1:12
	ds_read2_b32 v[12:13], v114 offset0:13 offset1:14
	ds_write_b32 v111, v3
	v_pk_mul_f32 v[2:3], v[4:5], v[30:31]
	v_sub_f32_e32 v8, v6, v7
	v_sub_f32_e32 v2, v15, v2
	;; [unrolled: 1-line block ×3, first 2 shown]
	v_mul_f32_e32 v3, v2, v46
	v_mov_b32_e32 v2, v5
	v_pk_mul_f32 v[6:7], v[2:3], v[18:19]
	ds_write_b32 v112, v5
	v_sub_f32_e32 v2, v8, v6
	s_waitcnt lgkmcnt(3)
	v_pk_mul_f32 v[4:5], v[4:5], v[10:11]
	v_sub_f32_e32 v2, v2, v7
	v_sub_f32_e32 v4, v14, v4
	v_add_u32_e32 v121, s5, v1
	v_sub_f32_e32 v6, v4, v5
	v_mul_f32_e32 v5, v2, v20
	v_mov_b32_e32 v4, v3
	ds_write_b32 v121, v3
	s_waitcnt lgkmcnt(3)
	v_pk_mul_f32 v[2:3], v[4:5], v[12:13]
	v_add_u32_e32 v21, s17, v1
	v_sub_f32_e32 v2, v6, v2
	v_sub_f32_e32 v2, v2, v3
	v_mul_f32_e32 v2, v2, v47
	v_add_u32_e32 v3, s16, v1
	s_add_i32 s7, s7, 16
	ds_write_b32 v21, v5
	ds_write_b32 v3, v2
.LBB21_28:
	s_cmp_ge_i32 s7, s26
	s_cbranch_scc1 .LBB21_33
; %bb.29:
	v_mov_b32_e32 v2, 0x640
	s_mul_i32 s4, s7, 0x50
	v_lshl_add_u32 v2, v0, 2, v2
	s_branch .LBB21_31
.LBB21_30:                              ;   in Loop: Header=BB21_31 Depth=1
	s_mul_i32 s5, s7, 0x54
	v_mov_b32_e32 v5, s5
	ds_read_b32 v5, v5
	s_add_i32 s7, s7, 1
	s_addk_i32 s4, 0x50
	s_cmp_ge_i32 s7, s26
	s_waitcnt lgkmcnt(0)
	v_mul_f32_e32 v4, v4, v5
	ds_write_b32 v3, v4
	s_cbranch_scc1 .LBB21_33
.LBB21_31:                              ; =>This Loop Header: Depth=1
                                        ;     Child Loop BB21_32 Depth 2
	s_mul_i32 s5, s7, 0x50
	v_add_u32_e32 v3, s5, v1
	ds_read_b32 v4, v3
	s_cmp_eq_u32 s7, 0
	v_mov_b32_e32 v5, v2
	s_mov_b32 s5, s7
	s_mov_b32 s16, s4
	s_cbranch_scc1 .LBB21_30
.LBB21_32:                              ;   Parent Loop BB21_31 Depth=1
                                        ; =>  This Inner Loop Header: Depth=2
	v_mov_b32_e32 v7, s16
	ds_read_b32 v6, v5
	ds_read_b32 v7, v7
	s_add_i32 s16, s16, 4
	s_add_i32 s5, s5, -1
	v_add_u32_e32 v5, 0x50, v5
	s_cmp_lg_u32 s5, 0
	s_waitcnt lgkmcnt(0)
	v_fma_f32 v4, -v6, v7, v4
	s_cbranch_scc1 .LBB21_32
	s_branch .LBB21_30
.LBB21_33:
	s_mov_b64 s[4:5], 0
.LBB21_34:
	s_and_b64 vcc, exec, s[4:5]
	s_cbranch_vccz .LBB21_60
; %bb.35:
	s_add_i32 s4, s26, -1
	s_cmp_gt_i32 s6, 19
	s_mov_b32 s5, -1
	s_cbranch_scc0 .LBB21_37
; %bb.36:
	v_add_u32_e32 v78, 0x400, v1
	v_add_u32_e32 v77, 0x200, v1
	v_mov_b32_e32 v76, 0
	s_movk_i32 s7, 0x400
	ds_read2_b32 v[42:43], v78 offset0:104 offset1:124
	ds_read2_b32 v[54:55], v78 offset0:64 offset1:84
	;; [unrolled: 1-line block ×9, first 2 shown]
	ds_read2_b32 v[14:15], v1 offset1:20
	v_mov_b32_e32 v2, 0x5e4
	ds_read_b64 v[74:75], v76 offset:1592
	ds_read_b96 v[88:90], v76 offset:1584
	ds_read2_b64 v[6:9], v76 offset0:178 offset1:184
	v_mov_b32_e32 v3, 0x53c
	v_mov_b32_e32 v4, 0x62c
	;; [unrolled: 1-line block ×3, first 2 shown]
	ds_read2_b32 v[62:63], v2 offset1:1
	ds_read2_b32 v[28:29], v3 offset1:1
	ds_read2_b32 v[56:57], v4 offset1:1
	ds_read2_b32 v[32:33], v5 offset1:1
	ds_read_b64 v[10:11], v76 offset:1256
	s_waitcnt lgkmcnt(5)
	v_add_u32_e64 v9, s7, 0
	ds_read2_b32 v[64:65], v9 offset0:134 offset1:138
	ds_read2_b32 v[86:87], v9 offset0:94 offset1:98
	v_mov_b32_e32 v18, 0x494
	ds_read_b96 v[90:92], v76 offset:1568
	ds_read_b64 v[52:53], v76 offset:1504
	s_waitcnt lgkmcnt(6)
	ds_read_b32 v57, v76 offset:1500
	ds_read_b64 v[50:51], v76 offset:1496
	ds_read_b32 v67, v76 offset:1492
	ds_read_b96 v[80:82], v76 offset:1408
	ds_read2_b64 v[2:5], v76 offset0:136 offset1:142
	ds_read_b64 v[22:23], v76 offset:1336
	ds_read_b32 v35, v76 offset:1332
	ds_read_b64 v[12:13], v76 offset:1328
	ds_read2_b32 v[30:31], v76 offset0:251 offset1:252
	v_mov_b32_e32 v19, 0x4dc
	s_waitcnt lgkmcnt(4)
	v_mov_b32_e32 v5, 0x61c
	s_waitcnt lgkmcnt(1)
	v_mov_b32_e32 v13, 0x57c
	ds_read2_b32 v[20:21], v18 offset1:1
	ds_read2_b32 v[68:69], v5 offset1:1
	;; [unrolled: 1-line block ×4, first 2 shown]
	ds_read_b64 v[24:25], v76 offset:920
	ds_read2_b32 v[84:85], v9 offset0:50 offset1:54
	ds_read_b64 v[60:61], v76 offset:1488
	s_waitcnt lgkmcnt(5)
	ds_read_b32 v69, v76 offset:1484
	ds_read_b64 v[58:59], v76 offset:1480
	ds_read_b32 v73, v76 offset:1476
	ds_read2_b32 v[82:83], v9 offset0:10 offset1:14
	v_mul_f32_e32 v70, v43, v75
	ds_read_b96 v[92:94], v76 offset:1552
	v_fma_f32 v9, -v70, v74, v42
	v_mul_f32_e32 v71, v9, v63
	v_mov_b32_e32 v66, v91
	v_mov_b32_e32 v74, v89
	;; [unrolled: 1-line block ×3, first 2 shown]
	v_pk_mul_f32 v[56:57], v[70:71], v[56:57]
	v_fma_f32 v9, -v70, v65, v48
	v_pk_mul_f32 v[74:75], v[70:71], v[74:75]
	v_sub_f32_e32 v23, v49, v56
	v_pk_mul_f32 v[48:49], v[70:71], v[66:67]
	s_waitcnt lgkmcnt(3)
	v_mov_b32_e32 v59, v86
	v_fma_f32 v79, -v70, v90, v46
	s_waitcnt lgkmcnt(0)
	v_mov_b32_e32 v72, v93
	v_fma_f32 v86, -v70, v92, v40
	v_fma_f32 v92, -v70, v88, v54
	ds_read_b64 v[42:43], v76 offset:1320
	ds_read_b32 v37, v76 offset:1324
	ds_read_b32 v93, v76 offset:1316
	v_sub_f32_e32 v13, v55, v74
	ds_read_b64 v[62:63], v76 offset:1168
	ds_read_b32 v19, v76 offset:1164
	ds_read_b64 v[54:55], v76 offset:1160
	ds_read_b96 v[94:96], v76 offset:1248
	v_sub_f32_e32 v40, v47, v48
	v_pk_mul_f32 v[46:47], v[70:71], v[68:69]
	ds_read_b128 v[66:69], v76 offset:1520
	s_waitcnt lgkmcnt(1)
	ds_read_b96 v[96:98], v76 offset:1232
	ds_read_b128 v[88:91], v76 offset:1280
	v_mov_b32_e32 v53, v6
	v_sub_f32_e32 v6, v45, v46
	v_mov_b32_e32 v43, v85
	v_fma_f32 v85, -v70, v64, v44
	s_waitcnt lgkmcnt(1)
	ds_read_b96 v[98:100], v76 offset:1392
	v_sub_f32_e32 v74, v6, v47
	ds_read_b128 v[44:47], v76 offset:1536
	v_mov_b32_e32 v63, v2
	v_sub_f32_e32 v2, v13, v75
	v_mov_b32_e32 v65, v20
	v_sub_f32_e32 v20, v23, v57
	;; [unrolled: 2-line block ×3, first 2 shown]
	v_mov_b32_e32 v51, v87
	v_pk_mul_f32 v[48:49], v[70:71], v[72:73]
	v_fma_f32 v72, -v70, v69, v17
	v_fma_f32 v73, -v70, v68, v16
	v_mul_f32_e32 v69, v2, v7
	v_mov_b32_e32 v68, v71
	v_mov_b32_e32 v5, 0x43c
	;; [unrolled: 1-line block ×4, first 2 shown]
	v_sub_f32_e32 v6, v41, v48
	v_mov_b32_e32 v40, 0x42c
	v_fma_f32 v80, -v70, v67, v15
	v_fma_f32 v81, -v70, v66, v14
	v_pk_mul_f32 v[14:15], v[68:69], v[50:51]
	v_mov_b32_e32 v33, v28
	s_waitcnt lgkmcnt(0)
	v_fma_f32 v28, -v70, v47, v39
	v_fma_f32 v27, -v70, v45, v27
	;; [unrolled: 1-line block ×3, first 2 shown]
	v_sub_f32_e32 v75, v6, v49
	v_mov_b32_e32 v6, 0x56c
	v_mov_b32_e32 v39, 0x4cc
	ds_read2_b32 v[44:45], v5 offset1:1
	ds_read2_b32 v[66:67], v6 offset1:1
	;; [unrolled: 1-line block ×4, first 2 shown]
	v_sub_f32_e32 v5, v9, v14
	v_pk_mul_f32 v[6:7], v[68:69], v[52:53]
	v_sub_f32_e32 v5, v5, v15
	ds_read_b128 v[14:17], v76 offset:1456
	v_sub_f32_e32 v2, v92, v6
	v_sub_f32_e32 v2, v2, v7
	v_pk_mul_f32 v[6:7], v[68:69], v[60:61]
	v_fma_f32 v38, -v70, v46, v38
	v_sub_f32_e32 v6, v79, v6
	ds_read_b128 v[46:49], v76 offset:1440
	v_sub_f32_e32 v79, v6, v7
	v_pk_mul_f32 v[6:7], v[68:69], v[58:59]
	s_waitcnt lgkmcnt(1)
	v_fma_f32 v41, -v71, v16, v38
	v_sub_f32_e32 v6, v85, v6
	v_fma_f32 v85, -v71, v17, v28
	v_fma_f32 v52, -v71, v15, v27
	;; [unrolled: 1-line block ×3, first 2 shown]
	ds_read_b96 v[26:28], v76 offset:1040
	ds_read_b128 v[14:17], v76 offset:1360
	ds_write2_b32 v78, v71, v70 offset0:104 offset1:124
	v_mov_b32_e32 v9, v98
	v_mov_b32_e32 v55, v83
	v_sub_f32_e32 v83, v6, v7
	v_mov_b32_e32 v45, v30
	s_waitcnt lgkmcnt(3)
	v_fma_f32 v30, -v71, v49, v72
	v_fma_f32 v50, -v71, v48, v73
	;; [unrolled: 1-line block ×3, first 2 shown]
	v_pk_mul_f32 v[48:49], v[68:69], v[8:9]
	ds_read_b64 v[38:39], v76 offset:1000
	ds_read_b32 v47, v76 offset:996
	ds_read_b96 v[6:8], v76 offset:1376
	s_waitcnt lgkmcnt(4)
	v_fma_f32 v58, -v69, v16, v50
	v_fma_f32 v59, -v69, v15, v51
	v_mul_f32_e32 v51, v2, v29
	v_mov_b32_e32 v50, v69
	v_fma_f32 v46, -v71, v46, v81
	v_pk_mul_f32 v[32:33], v[50:51], v[32:33]
	v_fma_f32 v30, -v69, v17, v30
	v_fma_f32 v68, -v69, v14, v46
	ds_read_b128 v[14:17], v76 offset:960
	v_mov_b32_e32 v92, v99
	ds_read_b96 v[98:100], v76 offset:1072
	ds_read_b64 v[72:73], v76 offset:1312
	v_sub_f32_e32 v9, v86, v48
	v_sub_f32_e32 v2, v20, v32
	s_waitcnt lgkmcnt(5)
	v_mov_b32_e32 v39, v24
	v_sub_f32_e32 v2, v2, v33
	s_waitcnt lgkmcnt(1)
	ds_read_b96 v[100:102], v76 offset:1056
	v_sub_f32_e32 v17, v9, v49
	v_fma_f32 v20, -v69, v8, v41
	v_fma_f32 v24, -v69, v7, v52
	;; [unrolled: 1-line block ×3, first 2 shown]
	ds_read2_b64 v[6:9], v76 offset0:94 offset1:100
	v_pk_mul_f32 v[32:33], v[50:51], v[34:35]
	ds_read_b64 v[52:53], v76 offset:1152
	ds_read_b32 v71, v76 offset:1156
	ds_read_b32 v57, v76 offset:1148
	s_waitcnt lgkmcnt(3)
	v_sub_f32_e32 v9, v10, v32
	v_sub_f32_e32 v9, v9, v33
	v_pk_mul_f32 v[32:33], v[50:51], v[36:37]
	ds_write2_b32 v78, v51, v69 offset0:64 offset1:84
	v_sub_f32_e32 v10, v74, v32
	v_mov_b32_e32 v13, v94
	v_sub_f32_e32 v80, v10, v33
	ds_read_b64 v[48:49], v76 offset:992
	ds_read_b32 v41, v76 offset:988
	v_pk_mul_f32 v[32:33], v[50:51], v[92:93]
	ds_read_b96 v[92:94], v76 offset:912
	ds_read2_b32 v[34:35], v76 offset0:227 offset1:228
	ds_read_b32 v67, v76 offset:1308
	v_sub_f32_e32 v10, v75, v32
	s_waitcnt lgkmcnt(4)
	v_sub_f32_e32 v49, v10, v33
	v_fma_f32 v81, -v51, v90, v58
	v_fma_f32 v86, -v51, v89, v59
	ds_read_b128 v[58:61], v76 offset:1296
	s_waitcnt lgkmcnt(1)
	v_pk_mul_f32 v[32:33], v[50:51], v[66:67]
	v_mul_f32_e32 v75, v2, v11
	v_sub_f32_e32 v10, v85, v32
	v_mov_b32_e32 v74, v51
	v_sub_f32_e32 v85, v10, v33
	v_pk_mul_f32 v[10:11], v[74:75], v[22:23]
	v_fma_f32 v87, -v51, v88, v68
	v_sub_f32_e32 v2, v5, v10
	v_sub_f32_e32 v2, v2, v11
	v_pk_mul_f32 v[10:11], v[74:75], v[12:13]
	s_waitcnt lgkmcnt(0)
	v_fma_f32 v88, -v51, v59, v24
	ds_read2_b32 v[36:37], v76 offset0:209 offset1:210
	ds_read_b96 v[22:24], v76 offset:880
	ds_read_b64 v[32:33], v76 offset:832
	ds_read_b32 v35, v76 offset:828
	v_sub_f32_e32 v5, v79, v10
	s_waitcnt lgkmcnt(2)
	v_sub_f32_e32 v24, v5, v11
	v_pk_mul_f32 v[10:11], v[74:75], v[42:43]
	v_mov_b32_e32 v73, v96
	v_sub_f32_e32 v5, v83, v10
	s_waitcnt lgkmcnt(1)
	v_sub_f32_e32 v33, v5, v11
	v_pk_mul_f32 v[10:11], v[74:75], v[72:73]
	v_mov_b32_e32 v61, v84
	v_sub_f32_e32 v5, v17, v10
	v_fma_f32 v29, -v51, v58, v29
	ds_read_b128 v[66:69], v76 offset:1200
	v_sub_f32_e32 v17, v5, v11
	v_pk_mul_f32 v[42:43], v[74:75], v[60:61]
	ds_read2_b64 v[10:13], v76 offset0:73 offset1:80
	ds_read_b96 v[58:60], v76 offset:1216
	v_fma_f32 v30, -v51, v91, v30
	v_mov_b32_e32 v46, v99
	v_mov_b32_e32 v53, v98
	s_waitcnt lgkmcnt(2)
	v_fma_f32 v5, -v75, v69, v30
	s_waitcnt lgkmcnt(1)
	v_fma_f32 v13, -v75, v68, v81
	v_fma_f32 v30, -v75, v67, v86
	;; [unrolled: 1-line block ×3, first 2 shown]
	ds_read_b64 v[66:67], v76 offset:1144
	ds_read2_b32 v[98:99], v76 offset0:222 offset1:226
	ds_read2_b32 v[102:103], v76 offset0:182 offset1:186
	s_waitcnt lgkmcnt(3)
	v_fma_f32 v81, -v75, v58, v29
	v_mov_b32_e32 v68, v59
	ds_read_b128 v[58:61], v76 offset:1120
	v_mov_b32_e32 v64, v95
	v_sub_f32_e32 v20, v20, v42
	v_mul_f32_e32 v73, v2, v21
	v_mov_b32_e32 v72, v75
	v_sub_f32_e32 v79, v20, v43
	ds_write2_b32 v78, v73, v75 offset0:24 offset1:44
	v_pk_mul_f32 v[20:21], v[72:73], v[64:65]
	ds_read2_b32 v[42:43], v76 offset0:187 offset1:188
	ds_read_b64 v[50:51], v76 offset:808
	ds_read_b32 v29, v76 offset:804
	ds_read_b96 v[94:96], v76 offset:736
	ds_read_b32 v69, v76 offset:1140
	v_sub_f32_e32 v2, v9, v20
	v_sub_f32_e32 v2, v2, v21
	v_pk_mul_f32 v[18:19], v[72:73], v[18:19]
	s_waitcnt lgkmcnt(4)
	v_fma_f32 v43, -v73, v61, v5
	v_fma_f32 v5, -v73, v60, v13
	;; [unrolled: 1-line block ×4, first 2 shown]
	v_mul_f32_e32 v3, v2, v3
	v_mov_b32_e32 v70, v97
	v_sub_f32_e32 v9, v80, v18
	s_waitcnt lgkmcnt(3)
	v_fma_f32 v51, -v3, v28, v5
	v_fma_f32 v13, -v3, v27, v13
	;; [unrolled: 1-line block ×3, first 2 shown]
	v_pk_mul_f32 v[26:27], v[72:73], v[56:57]
	v_sub_f32_e32 v9, v9, v19
	ds_read2_b64 v[18:21], v76 offset0:52 offset1:60
	v_pk_mul_f32 v[58:59], v[72:73], v[70:71]
	v_sub_f32_e32 v2, v85, v26
	s_waitcnt lgkmcnt(0)
	v_sub_f32_e32 v21, v49, v58
	v_sub_f32_e32 v49, v2, v27
	v_pk_mul_f32 v[26:27], v[72:73], v[68:69]
	v_sub_f32_e32 v21, v21, v59
	v_sub_f32_e32 v2, v88, v26
	;; [unrolled: 1-line block ×3, first 2 shown]
	v_mov_b32_e32 v2, v73
	ds_read2_b32 v[60:61], v76 offset0:167 offset1:168
	ds_read_b64 v[56:57], v76 offset:664
	ds_read_b32 v59, v76 offset:660
	ds_read_b64 v[26:27], v76 offset:656
	v_mov_b32_e32 v5, 0x41c
	v_pk_mul_f32 v[62:63], v[2:3], v[62:63]
	v_pk_mul_f32 v[54:55], v[2:3], v[54:55]
	ds_read2_b32 v[64:65], v5 offset1:1
	v_sub_f32_e32 v24, v24, v62
	s_waitcnt lgkmcnt(1)
	v_sub_f32_e32 v27, v33, v54
	v_sub_f32_e32 v24, v24, v63
	;; [unrolled: 1-line block ×3, first 2 shown]
	ds_read_b64 v[54:55], v76 offset:984
	ds_read_b32 v63, v76 offset:980
	ds_read_b64 v[68:69], v76 offset:976
	s_waitcnt lgkmcnt(3)
	ds_read_b32 v65, v76 offset:972
	v_mov_b32_e32 v67, v82
	v_mov_b32_e32 v5, v100
	v_pk_mul_f32 v[52:53], v[2:3], v[52:53]
	v_pk_mul_f32 v[66:67], v[2:3], v[66:67]
	v_mul_f32_e32 v31, v24, v31
	v_mov_b32_e32 v30, v3
	v_pk_mul_f32 v[4:5], v[2:3], v[4:5]
	v_sub_f32_e32 v17, v17, v52
	v_sub_f32_e32 v2, v79, v66
	v_pk_mul_f32 v[40:41], v[30:31], v[40:41]
	v_sub_f32_e32 v33, v17, v53
	v_sub_f32_e32 v57, v2, v67
	;; [unrolled: 1-line block ×4, first 2 shown]
	v_mov_b32_e32 v62, v101
	ds_read_b96 v[84:86], v76 offset:896
	ds_read2_b32 v[52:53], v76 offset0:223 offset1:224
	v_sub_f32_e32 v70, v2, v5
	ds_write2_b32 v77, v31, v3 offset0:112 offset1:132
	v_pk_mul_f32 v[2:3], v[30:31], v[44:45]
	v_pk_mul_f32 v[44:45], v[30:31], v[46:47]
	v_sub_f32_e32 v46, v17, v41
	s_waitcnt lgkmcnt(5)
	v_pk_mul_f32 v[40:41], v[30:31], v[62:63]
	v_sub_f32_e32 v2, v9, v2
	v_sub_f32_e32 v17, v58, v40
	s_waitcnt lgkmcnt(3)
	v_pk_mul_f32 v[62:63], v[30:31], v[64:65]
	v_sub_f32_e32 v9, v2, v3
	v_sub_f32_e32 v77, v17, v41
	;; [unrolled: 1-line block ×4, first 2 shown]
	v_fma_f32 v14, -v31, v14, v28
	v_mul_f32_e32 v25, v9, v25
	v_mov_b32_e32 v24, v31
	v_mov_b32_e32 v17, v98
	v_fma_f32 v79, -v25, v22, v14
	v_fma_f32 v80, -v31, v15, v13
	v_pk_mul_f32 v[14:15], v[24:25], v[16:17]
	v_pk_mul_f32 v[16:17], v[24:25], v[38:39]
	v_mov_b32_e32 v49, v92
	v_sub_f32_e32 v9, v27, v16
	v_sub_f32_e32 v9, v9, v17
	v_pk_mul_f32 v[16:17], v[24:25], v[48:49]
	v_mov_b32_e32 v55, v99
	v_sub_f32_e32 v13, v33, v16
	v_sub_f32_e32 v81, v13, v17
	v_pk_mul_f32 v[16:17], v[24:25], v[54:55]
	s_waitcnt lgkmcnt(2)
	v_mov_b32_e32 v69, v84
	v_sub_f32_e32 v13, v57, v16
	v_sub_f32_e32 v54, v13, v17
	v_pk_mul_f32 v[16:17], v[24:25], v[68:69]
	ds_read_b64 v[66:67], v76 offset:824
	ds_read_b32 v71, v76 offset:820
	ds_read_b64 v[72:73], v76 offset:816
	s_waitcnt lgkmcnt(4)
	ds_read_b32 v53, v76 offset:812
	v_sub_f32_e32 v13, v70, v16
	ds_read2_b64 v[2:5], v76 offset0:31 offset1:40
	v_sub_f32_e32 v82, v13, v17
	v_sub_f32_e32 v13, v51, v14
	s_waitcnt lgkmcnt(0)
	v_sub_f32_e32 v5, v21, v44
	v_sub_f32_e32 v83, v13, v15
	v_mul_f32_e32 v15, v9, v37
	v_mov_b32_e32 v14, v25
	v_mov_b32_e32 v17, v36
	;; [unrolled: 1-line block ×3, first 2 shown]
	v_sub_f32_e32 v5, v5, v45
	v_pk_mul_f32 v[16:17], v[14:15], v[16:17]
	v_mov_b32_e32 v70, v85
	v_sub_f32_e32 v5, v5, v16
	v_sub_f32_e32 v5, v5, v17
	ds_read2_b32 v[44:45], v76 offset0:183 offset1:184
	ds_read_b96 v[86:88], v76 offset:720
	v_pk_mul_f32 v[68:69], v[14:15], v[70:71]
	v_mul_f32_e32 v71, v5, v7
	v_mov_b32_e32 v70, v15
	v_mov_b32_e32 v33, v6
	s_waitcnt lgkmcnt(0)
	ds_read_b96 v[88:90], v76 offset:576
	ds_read_b32 v45, v76 offset:652
	ds_read_b64 v[40:41], v76 offset:648
	ds_read_b32 v47, v76 offset:644
	v_pk_mul_f32 v[6:7], v[70:71], v[32:33]
	ds_read2_b32 v[62:63], v76 offset0:143 offset1:144
	s_waitcnt lgkmcnt(2)
	ds_read_b32 v41, v76 offset:568
	v_mov_b32_e32 v28, v23
	v_sub_f32_e32 v6, v81, v6
	ds_read2_b32 v[22:23], v76 offset0:125 offset1:126
	ds_read_b64 v[30:31], v76 offset:496
	s_waitcnt lgkmcnt(3)
	ds_read_b32 v63, v76 offset:492
	ds_read_b64 v[64:65], v76 offset:488
	ds_read2_b32 v[38:39], v76 offset0:83 offset1:84
	ds_read_b64 v[74:75], v76 offset:328
	ds_read_b96 v[96:98], v76 offset:560
	v_pk_mul_f32 v[28:29], v[14:15], v[28:29]
	v_pk_mul_f32 v[34:35], v[14:15], v[34:35]
	v_sub_f32_e32 v6, v6, v7
	s_waitcnt lgkmcnt(1)
	v_mov_b32_e32 v75, v2
	v_sub_f32_e32 v2, v46, v34
	v_mov_b32_e32 v57, v10
	v_mov_b32_e32 v43, v60
	;; [unrolled: 1-line block ×3, first 2 shown]
	v_sub_f32_e32 v10, v80, v28
	v_mul_f32_e32 v7, v6, v61
	v_mov_b32_e32 v6, v71
	v_mov_b32_e32 v9, v86
	v_sub_f32_e32 v2, v2, v35
	v_mov_b32_e32 v51, v102
	v_pk_mul_f32 v[32:33], v[70:71], v[66:67]
	v_sub_f32_e32 v10, v10, v29
	v_pk_mul_f32 v[28:29], v[6:7], v[42:43]
	ds_read2_b32 v[48:49], v76 offset0:103 offset1:104
	ds_read_b32 v55, v76 offset:484
	ds_read_b32 v65, v76 offset:408
	ds_read_b96 v[90:92], v76 offset:400
	v_mov_b32_e32 v31, v18
	v_mov_b32_e32 v35, v22
	;; [unrolled: 1-line block ×3, first 2 shown]
	v_sub_f32_e32 v18, v77, v68
	v_sub_f32_e32 v22, v54, v32
	v_pk_mul_f32 v[50:51], v[70:71], v[50:51]
	v_sub_f32_e32 v2, v2, v28
	v_mov_b32_e32 v46, v87
	v_pk_mul_f32 v[8:9], v[70:71], v[8:9]
	s_waitcnt lgkmcnt(3)
	v_mov_b32_e32 v49, v38
	v_sub_f32_e32 v18, v18, v69
	v_sub_f32_e32 v38, v83, v50
	;; [unrolled: 1-line block ×3, first 2 shown]
	v_pk_mul_f32 v[32:33], v[6:7], v[58:59]
	v_pk_mul_f32 v[42:43], v[6:7], v[44:45]
	;; [unrolled: 1-line block ×3, first 2 shown]
	v_sub_f32_e32 v6, v79, v8
	v_sub_f32_e32 v2, v2, v29
	ds_write2_b32 v1, v15, v25 offset0:200 offset1:220
	v_sub_f32_e32 v18, v18, v32
	v_sub_f32_e32 v32, v38, v51
	;; [unrolled: 1-line block ×3, first 2 shown]
	v_mul_f32_e32 v9, v2, v11
	v_mov_b32_e32 v8, v7
	ds_read2_b32 v[24:25], v76 offset0:41 offset1:42
	ds_read_b32 v37, v76 offset:324
	ds_read_b96 v[98:100], v76 offset:240
	ds_write2_b32 v1, v7, v71 offset0:160 offset1:180
	v_pk_mul_f32 v[6:7], v[8:9], v[56:57]
	v_mov_b32_e32 v73, v94
	v_sub_f32_e32 v2, v22, v6
	v_pk_mul_f32 v[52:53], v[14:15], v[52:53]
	ds_read2_b64 v[14:17], v76 offset0:10 offset1:20
	v_pk_mul_f32 v[66:67], v[70:71], v[72:73]
	v_sub_f32_e32 v2, v2, v7
	v_mov_b32_e32 v34, v89
	v_mov_b32_e32 v27, v88
	s_waitcnt lgkmcnt(0)
	v_sub_f32_e32 v17, v78, v52
	v_sub_f32_e32 v36, v82, v66
	v_mul_f32_e32 v7, v2, v23
	v_mov_b32_e32 v6, v9
	v_sub_f32_e32 v17, v17, v53
	v_sub_f32_e32 v28, v36, v67
	;; [unrolled: 1-line block ×4, first 2 shown]
	v_pk_mul_f32 v[10:11], v[8:9], v[26:27]
	v_pk_mul_f32 v[22:23], v[6:7], v[34:35]
	v_mov_b32_e32 v13, v96
	v_sub_f32_e32 v17, v17, v42
	v_sub_f32_e32 v10, v28, v10
	v_pk_mul_f32 v[26:27], v[8:9], v[40:41]
	v_sub_f32_e32 v2, v18, v22
	v_sub_f32_e32 v17, v17, v43
	;; [unrolled: 1-line block ×4, first 2 shown]
	v_pk_mul_f32 v[10:11], v[6:7], v[62:63]
	v_mov_b32_e32 v54, v97
	v_pk_mul_f32 v[12:13], v[8:9], v[12:13]
	v_sub_f32_e32 v2, v2, v23
	v_sub_f32_e32 v28, v36, v45
	;; [unrolled: 1-line block ×4, first 2 shown]
	v_pk_mul_f32 v[26:27], v[6:7], v[54:55]
	v_sub_f32_e32 v6, v38, v12
	ds_write2_b32 v1, v7, v9 offset0:120 offset1:140
	v_mul_f32_e32 v9, v2, v19
	v_mov_b32_e32 v8, v7
	v_sub_f32_e32 v22, v28, v26
	v_sub_f32_e32 v26, v6, v13
	v_pk_mul_f32 v[6:7], v[8:9], v[30:31]
	v_mov_b32_e32 v21, v90
	v_sub_f32_e32 v2, v18, v6
	v_sub_f32_e32 v2, v2, v7
	v_mul_f32_e32 v7, v2, v39
	v_mov_b32_e32 v6, v9
	v_sub_f32_e32 v18, v10, v11
	v_pk_mul_f32 v[12:13], v[6:7], v[48:49]
	v_pk_mul_f32 v[10:11], v[8:9], v[64:65]
	v_sub_f32_e32 v2, v18, v12
	v_sub_f32_e32 v10, v17, v10
	v_mov_b32_e32 v36, v91
	v_pk_mul_f32 v[18:19], v[8:9], v[20:21]
	v_sub_f32_e32 v2, v2, v13
	v_sub_f32_e32 v17, v22, v27
	;; [unrolled: 1-line block ×3, first 2 shown]
	v_pk_mul_f32 v[10:11], v[6:7], v[36:37]
	v_sub_f32_e32 v6, v26, v18
	v_mul_f32_e32 v3, v2, v3
	v_mov_b32_e32 v2, v7
	v_sub_f32_e32 v10, v17, v10
	v_sub_f32_e32 v17, v6, v19
	ds_write2_b32 v1, v7, v9 offset0:80 offset1:100
	v_pk_mul_f32 v[6:7], v[2:3], v[74:75]
	v_mov_b32_e32 v5, v98
	v_sub_f32_e32 v6, v12, v6
	v_sub_f32_e32 v6, v6, v7
	v_mul_f32_e32 v7, v6, v25
	v_mov_b32_e32 v6, v3
	v_mov_b32_e32 v8, v99
	;; [unrolled: 1-line block ×3, first 2 shown]
	v_sub_f32_e32 v10, v10, v11
	v_pk_mul_f32 v[8:9], v[6:7], v[8:9]
	v_pk_mul_f32 v[4:5], v[2:3], v[4:5]
	v_sub_f32_e32 v6, v10, v8
	v_sub_f32_e32 v2, v17, v4
	ds_read_b32 v11, v76
	v_sub_f32_e32 v8, v2, v5
	v_sub_f32_e32 v2, v6, v9
	ds_write2_b32 v1, v7, v3 offset0:40 offset1:60
	v_mul_f32_e32 v3, v2, v15
	v_mov_b32_e32 v2, v7
	v_mov_b32_e32 v17, v14
	v_pk_mul_f32 v[4:5], v[2:3], v[16:17]
	s_nop 0
	v_sub_f32_e32 v2, v8, v4
	v_sub_f32_e32 v2, v2, v5
	s_waitcnt lgkmcnt(1)
	v_mul_f32_e32 v2, v2, v11
	ds_write2_b32 v1, v2, v3 offset1:20
	s_cmp_gt_i32 s5, -1
	s_cbranch_scc1 .LBB21_38
	s_branch .LBB21_60
.LBB21_37:
	s_mov_b32 s5, s4
	s_cmp_gt_i32 s5, -1
	s_cbranch_scc0 .LBB21_60
.LBB21_38:
	s_cmp_lt_u32 s5, 15
	s_cbranch_scc1 .LBB21_43
; %bb.39:
	s_mul_i32 s7, s5, 0x50
	v_add_u32_e32 v40, s7, v1
	v_add_u32_e32 v2, 0xffffffb0, v40
	;; [unrolled: 1-line block ×8, first 2 shown]
	ds_read_b32 v14, v40
	ds_read_b32 v15, v2
	;; [unrolled: 1-line block ×8, first 2 shown]
	v_add_u32_e32 v2, 0xfffffd80, v40
	v_add_u32_e32 v10, 0xfffffce0, v40
	;; [unrolled: 1-line block ×8, first 2 shown]
	ds_read_b32 v6, v2
	ds_read_b32 v7, v3
	;; [unrolled: 1-line block ×8, first 2 shown]
	s_cmp_le_i32 s4, s5
	s_cbranch_scc1 .LBB21_42
; %bb.40:
	s_mul_i32 s16, s26, 0x50
	s_lshl_b32 s17, s5, 2
	v_lshl_add_u32 v2, v0, 2, s16
	s_add_i32 s16, s16, s17
	v_add_u32_e32 v2, 0x5f0, v2
	s_addk_i32 s16, 0xff74
	s_mov_b32 s17, s4
.LBB21_41:                              ; =>This Inner Loop Header: Depth=1
	v_mov_b32_e32 v3, s16
	ds_read_b32 v20, v2
	ds_read2_b32 v[22:23], v3 offset0:14 offset1:15
	ds_read2_b32 v[24:25], v3 offset0:12 offset1:13
	;; [unrolled: 1-line block ×7, first 2 shown]
	ds_read2_b32 v[36:37], v3 offset1:1
	s_add_i32 s17, s17, -1
	s_addk_i32 s16, 0xffb0
	v_add_u32_e32 v2, 0xffffffb0, v2
	s_waitcnt lgkmcnt(7)
	v_pk_mul_f32 v[22:23], v[20:21], v[22:23] op_sel_hi:[0,1]
	s_waitcnt lgkmcnt(6)
	v_pk_mul_f32 v[24:25], v[20:21], v[24:25] op_sel_hi:[0,1]
	s_waitcnt lgkmcnt(5)
	v_pk_mul_f32 v[26:27], v[20:21], v[26:27] op_sel_hi:[0,1]
	s_waitcnt lgkmcnt(4)
	v_pk_mul_f32 v[28:29], v[20:21], v[28:29] op_sel_hi:[0,1]
	s_waitcnt lgkmcnt(3)
	v_pk_mul_f32 v[30:31], v[20:21], v[30:31] op_sel_hi:[0,1]
	s_waitcnt lgkmcnt(2)
	v_pk_mul_f32 v[32:33], v[20:21], v[32:33] op_sel_hi:[0,1]
	s_waitcnt lgkmcnt(1)
	v_pk_mul_f32 v[34:35], v[20:21], v[34:35] op_sel_hi:[0,1]
	s_waitcnt lgkmcnt(0)
	v_pk_mul_f32 v[20:21], v[20:21], v[36:37] op_sel_hi:[0,1]
	s_cmp_gt_i32 s17, s5
	v_pk_add_f32 v[14:15], v[14:15], v[22:23] op_sel:[0,1] op_sel_hi:[1,0] neg_lo:[0,1] neg_hi:[0,1]
	v_pk_add_f32 v[12:13], v[12:13], v[24:25] op_sel:[0,1] op_sel_hi:[1,0] neg_lo:[0,1] neg_hi:[0,1]
	;; [unrolled: 1-line block ×8, first 2 shown]
	s_cbranch_scc1 .LBB21_41
.LBB21_42:
	s_lshl_b32 s33, s5, 2
	s_add_i32 s16, s33, -4
	s_add_i32 s16, s16, s7
	v_mov_b32_e32 v2, s16
	s_addk_i32 s16, 0xffb0
	v_mov_b32_e32 v3, s16
	s_add_i32 s29, s7, 0xffffffb0
	s_add_i32 s16, s33, -12
	s_add_i32 s17, s16, s7
	s_add_i32 s18, s16, s29
	;; [unrolled: 1-line block ×3, first 2 shown]
	v_mov_b32_e32 v20, s17
	v_mov_b32_e32 v21, s18
	s_add_i32 s16, s16, s21
	ds_read2_b32 v[38:39], v2 offset1:1
	ds_read_b32 v23, v3
	ds_read2_b32 v[30:31], v20 offset1:1
	ds_read2_b32 v[20:21], v21 offset1:1
	v_mov_b32_e32 v2, s16
	s_add_i32 s16, s17, 0xffffff10
	v_mov_b32_e32 v3, s16
	s_sub_i32 s16, s33, 20
	s_add_i32 s17, s16, s29
	s_add_i32 s24, s7, 0xffffff10
	;; [unrolled: 1-line block ×3, first 2 shown]
	v_mov_b32_e32 v26, s17
	s_add_i32 s17, s16, s21
	v_mov_b32_e32 v22, s18
	ds_read2_b32 v[24:25], v2 offset1:1
	ds_read_b32 v44, v3
	ds_read2_b32 v[32:33], v22 offset1:1
	ds_read2_b32 v[28:29], v26 offset1:1
	v_mov_b32_e32 v2, s17
	s_add_i32 s17, s16, s24
	v_mov_b32_e32 v54, s17
	s_add_i32 s17, s7, 0xfffffec0
	s_add_i32 s16, s16, s17
	s_sub_i32 s30, s33, 28
	v_mov_b32_e32 v55, s16
	s_add_i32 s16, s30, s29
	s_add_i32 s31, s18, 0xfffffe70
	;; [unrolled: 1-line block ×3, first 2 shown]
	v_mov_b32_e32 v3, s16
	s_add_i32 s16, s30, s21
	s_sub_i32 s27, s33, 44
	s_add_i32 s18, s7, 0xfffffce0
	ds_read2_b32 v[64:65], v2 offset1:1
	s_waitcnt lgkmcnt(5)
	v_mov_b32_e32 v35, v21
	v_mov_b32_e32 v2, s28
	;; [unrolled: 1-line block ×3, first 2 shown]
	s_add_i32 s34, s27, s7
	s_add_i32 s16, s27, s18
	ds_read2_b32 v[36:37], v2 offset1:1
	ds_read2_b32 v[26:27], v3 offset1:1
	v_mov_b32_e32 v2, s16
	s_add_i32 s16, s34, 0xfffffc90
	s_sub_i32 s25, s33, 52
	v_mov_b32_e32 v34, v31
	v_mov_b32_e32 v31, s16
	s_add_i32 s19, s25, s7
	s_add_i32 s16, s25, s29
	s_sub_i32 s20, s33, 60
	s_waitcnt lgkmcnt(3)
	v_mov_b32_e32 v22, v28
	v_mov_b32_e32 v28, v33
	;; [unrolled: 1-line block ×4, first 2 shown]
	s_add_i32 s16, s20, s7
	ds_read2_b32 v[2:3], v2 offset1:1
	ds_read_b32 v31, v31
	ds_read2_b32 v[46:47], v33 offset1:1
	ds_read2_b32 v[48:49], v48 offset1:1
	v_mov_b32_e32 v33, s16
	s_add_i32 s36, s20, s29
	ds_read2_b32 v[50:51], v33 offset1:1
	v_mov_b32_e32 v33, s36
	s_add_i32 s36, s20, s21
	v_mov_b32_e32 v53, s36
	s_add_i32 s36, s20, s24
	s_add_i32 s35, s30, s24
	v_mul_f32_e32 v52, v14, v39
	v_mov_b32_e32 v14, s36
	v_fma_f32 v56, -v52, v38, v15
	s_waitcnt lgkmcnt(2)
	v_fma_f32 v57, -v52, v47, v18
	v_fma_f32 v58, -v52, v46, v19
	ds_read2_b32 v[38:39], v33 offset1:1
	ds_read2_b32 v[46:47], v53 offset1:1
	;; [unrolled: 1-line block ×3, first 2 shown]
	v_mov_b32_e32 v14, s35
	s_sub_i32 s35, s33, 36
	s_add_i32 s33, s35, s29
	v_mul_f32_e32 v53, v56, v23
	v_mov_b32_e32 v23, s33
	s_add_i32 s33, s35, s21
	s_waitcnt lgkmcnt(3)
	v_fma_f32 v50, -v52, v50, v17
	v_mov_b32_e32 v17, v27
	v_mov_b32_e32 v27, s33
	s_add_i32 s33, s35, s24
	v_pk_mul_f32 v[34:35], v[52:53], v[34:35]
	s_add_i32 s36, s35, s7
	v_sub_f32_e32 v12, v12, v34
	v_mov_b32_e32 v34, s33
	s_add_i32 s33, s7, 0xfffffd80
	v_fma_f32 v30, -v52, v30, v13
	s_add_i32 s37, s35, s33
	v_sub_f32_e32 v56, v12, v35
	v_pk_mul_f32 v[12:13], v[52:53], v[28:29]
	v_add_u32_e32 v45, s29, v1
	v_fma_f32 v51, -v52, v51, v16
	ds_read2_b32 v[66:67], v21 offset1:1
	ds_read2_b32 v[14:15], v14 offset1:1
	v_mov_b32_e32 v16, v37
	v_mov_b32_e32 v21, s36
	;; [unrolled: 1-line block ×3, first 2 shown]
	s_addk_i32 s36, 0xfd30
	v_fma_f32 v59, -v52, v32, v9
	v_mov_b32_e32 v32, s34
	s_add_i32 s29, s27, s29
	v_sub_f32_e32 v8, v8, v12
	v_mov_b32_e32 v35, s36
	v_fma_f32 v60, -v52, v36, v5
	v_mov_b32_e32 v5, s29
	v_sub_f32_e32 v29, v8, v13
	ds_read2_b32 v[8:9], v33 offset1:1
	ds_read_b32 v28, v35
	ds_read2_b32 v[12:13], v32 offset1:1
	ds_read2_b32 v[32:33], v5 offset1:1
	v_pk_mul_f32 v[16:17], v[52:53], v[16:17]
	s_add_i32 s29, s7, 0xfffffe70
	v_sub_f32_e32 v4, v4, v16
	v_sub_f32_e32 v61, v4, v17
	ds_read2_b32 v[4:5], v21 offset1:1
	ds_read2_b32 v[16:17], v23 offset1:1
	;; [unrolled: 1-line block ×4, first 2 shown]
	s_waitcnt lgkmcnt(5)
	v_fma_f32 v62, -v52, v12, v11
	v_mov_b32_e32 v12, v13
	s_waitcnt lgkmcnt(4)
	v_mov_b32_e32 v13, v33
	s_waitcnt lgkmcnt(3)
	v_fma_f32 v33, -v52, v4, v7
	v_mov_b32_e32 v4, v5
	s_waitcnt lgkmcnt(2)
	v_mov_b32_e32 v5, v17
	v_pk_mul_f32 v[12:13], v[52:53], v[12:13]
	v_pk_mul_f32 v[4:5], v[52:53], v[4:5]
	v_sub_f32_e32 v12, v10, v12
	v_sub_f32_e32 v4, v6, v4
	v_mov_b32_e32 v6, s31
	s_add_i32 s31, s30, s17
	ds_read2_b32 v[36:37], v54 offset1:1
	ds_read2_b32 v[10:11], v55 offset1:1
	ds_read_b32 v54, v6
	v_sub_f32_e32 v55, v12, v13
	v_mov_b32_e32 v13, v15
	v_mov_b32_e32 v15, s31
	s_add_i32 s31, s30, s29
	v_mov_b32_e32 v17, s31
	s_add_i32 s31, s7, 0xfffffe20
	v_sub_f32_e32 v63, v4, v5
	v_mov_b32_e32 v21, v24
	s_add_i32 s30, s30, s31
	v_mul_f32_e32 v5, v56, v25
	v_mov_b32_e32 v4, v53
	v_fma_f32 v50, -v53, v38, v50
	ds_write_b32 v40, v52
	ds_write_b32 v45, v53
	v_mov_b32_e32 v38, s30
	s_addk_i32 s28, 0xfdd0
	v_pk_mul_f32 v[20:21], v[4:5], v[20:21]
	v_mov_b32_e32 v23, v64
	v_mov_b32_e32 v6, v65
	s_waitcnt lgkmcnt(4)
	v_mov_b32_e32 v7, v37
	s_waitcnt lgkmcnt(3)
	v_mov_b32_e32 v37, v10
	v_fma_f32 v10, -v53, v49, v57
	v_fma_f32 v48, -v53, v48, v58
	;; [unrolled: 1-line block ×3, first 2 shown]
	v_mov_b32_e32 v40, s28
	ds_read2_b32 v[64:65], v15 offset1:1
	ds_read2_b32 v[24:25], v17 offset1:1
	;; [unrolled: 1-line block ×3, first 2 shown]
	ds_read_b32 v53, v40
	v_sub_f32_e32 v15, v30, v20
	v_sub_f32_e32 v15, v15, v21
	v_pk_mul_f32 v[20:21], v[4:5], v[22:23]
	v_mov_b32_e32 v27, v66
	v_sub_f32_e32 v17, v59, v20
	v_sub_f32_e32 v56, v17, v21
	v_pk_mul_f32 v[20:21], v[4:5], v[26:27]
	s_add_i32 s34, s27, s21
	v_sub_f32_e32 v17, v60, v20
	v_mov_b32_e32 v22, s34
	s_add_i32 s34, s27, s24
	v_sub_f32_e32 v58, v17, v21
	v_mov_b32_e32 v17, v68
	v_mov_b32_e32 v20, s34
	s_add_i32 s34, s27, s17
	v_pk_mul_f32 v[16:17], v[4:5], v[16:17]
	v_mov_b32_e32 v21, s34
	s_add_i32 s34, s27, s29
	v_sub_f32_e32 v16, v33, v16
	v_mov_b32_e32 v12, v67
	v_sub_f32_e32 v59, v16, v17
	v_mov_b32_e32 v16, s34
	ds_read2_b32 v[66:67], v22 offset1:1
	ds_read2_b32 v[22:23], v20 offset1:1
	;; [unrolled: 1-line block ×4, first 2 shown]
	v_add_u32_e32 v43, s21, v1
	s_waitcnt lgkmcnt(3)
	v_mov_b32_e32 v33, v66
	s_add_i32 s21, s25, s21
	v_pk_mul_f32 v[16:17], v[4:5], v[32:33]
	v_mov_b32_e32 v26, s21
	v_sub_f32_e32 v4, v62, v16
	v_sub_f32_e32 v60, v4, v17
	ds_read2_b32 v[16:17], v26 offset1:1
	s_add_i32 s21, s25, s24
	v_mul_f32_e32 v45, v15, v44
	v_mov_b32_e32 v44, v5
	s_add_i32 s30, s35, s17
	v_mov_b32_e32 v4, s21
	s_add_i32 s21, s25, s17
	v_pk_mul_f32 v[6:7], v[44:45], v[6:7]
	s_add_i32 s28, s7, 0xfffffdd0
	v_mov_b32_e32 v40, s30
	s_add_i32 s30, s35, s29
	v_mov_b32_e32 v32, s21
	s_add_i32 s21, s25, s29
	v_sub_f32_e32 v6, v29, v6
	v_mov_b32_e32 v57, s30
	s_add_i32 s30, s35, s31
	v_mov_b32_e32 v33, s21
	ds_write_b32 v43, v5
	s_add_i32 s21, s35, s28
	v_sub_f32_e32 v15, v6, v7
	v_pk_mul_f32 v[6:7], v[44:45], v[12:13]
	v_fma_f32 v51, -v5, v47, v51
	v_fma_f32 v50, -v5, v46, v50
	ds_read2_b32 v[26:27], v4 offset1:1
	ds_read2_b32 v[72:73], v32 offset1:1
	;; [unrolled: 1-line block ×3, first 2 shown]
	s_waitcnt lgkmcnt(4)
	v_fma_f32 v43, -v5, v16, v48
	v_mov_b32_e32 v4, s30
	v_mov_b32_e32 v5, s21
	v_sub_f32_e32 v6, v61, v6
	ds_read2_b32 v[74:75], v40 offset1:1
	ds_read2_b32 v[46:47], v57 offset1:1
	;; [unrolled: 1-line block ×4, first 2 shown]
	v_sub_f32_e32 v57, v6, v7
	v_mov_b32_e32 v6, v69
	v_mov_b32_e32 v7, v35
	v_pk_mul_f32 v[6:7], v[44:45], v[6:7]
	v_add_u32_e32 v42, s24, v1
	v_sub_f32_e32 v6, v63, v6
	v_sub_f32_e32 v61, v6, v7
	v_mov_b32_e32 v6, v67
	v_mov_b32_e32 v7, v23
	v_pk_mul_f32 v[6:7], v[44:45], v[6:7]
	s_add_i32 s24, s27, s31
	v_sub_f32_e32 v6, v55, v6
	v_sub_f32_e32 v55, v6, v7
	v_mov_b32_e32 v6, v17
	s_waitcnt lgkmcnt(6)
	v_mov_b32_e32 v7, v27
	v_mov_b32_e32 v12, s24
	s_add_i32 s24, s27, s28
	v_pk_mul_f32 v[6:7], v[44:45], v[6:7]
	s_add_i32 s21, s7, 0xfffffd30
	v_mov_b32_e32 v13, s24
	s_add_i32 s24, s27, s33
	v_sub_f32_e32 v6, v10, v6
	v_sub_f32_e32 v44, v6, v7
	v_mov_b32_e32 v6, s24
	s_add_i32 s24, s27, s21
	s_add_i32 s27, s25, s31
	v_mov_b32_e32 v10, s27
	s_add_i32 s27, s25, s28
	v_mov_b32_e32 v7, s24
	v_fma_f32 v51, -v45, v19, v51
	v_fma_f32 v40, -v45, v18, v50
	v_mul_f32_e32 v19, v15, v11
	v_mov_b32_e32 v11, s27
	s_add_i32 s27, s25, s33
	v_mov_b32_e32 v18, v45
	ds_read2_b32 v[66:67], v12 offset1:1
	ds_read2_b32 v[16:17], v13 offset1:1
	;; [unrolled: 1-line block ×4, first 2 shown]
	ds_write_b32 v42, v45
	v_mov_b32_e32 v15, s27
	s_add_i32 s27, s25, s21
	v_pk_mul_f32 v[36:37], v[18:19], v[36:37]
	v_mov_b32_e32 v23, s27
	ds_read2_b32 v[78:79], v10 offset1:1
	ds_read2_b32 v[12:13], v11 offset1:1
	;; [unrolled: 1-line block ×4, first 2 shown]
	v_sub_f32_e32 v15, v56, v36
	v_sub_f32_e32 v36, v15, v37
	v_mov_b32_e32 v15, v64
	v_pk_mul_f32 v[14:15], v[18:19], v[14:15]
	s_waitcnt lgkmcnt(12)
	v_mov_b32_e32 v35, v74
	v_sub_f32_e32 v14, v58, v14
	v_add_u32_e32 v41, s17, v1
	v_sub_f32_e32 v58, v14, v15
	s_add_i32 s17, s20, s17
	v_pk_mul_f32 v[14:15], v[18:19], v[34:35]
	v_mov_b32_e32 v27, s17
	s_add_i32 s17, s20, s29
	v_sub_f32_e32 v14, v59, v14
	v_mov_b32_e32 v23, v70
	v_sub_f32_e32 v59, v14, v15
	v_mov_b32_e32 v34, s17
	s_add_i32 s17, s20, s31
	v_pk_mul_f32 v[14:15], v[18:19], v[22:23]
	v_mov_b32_e32 v35, s17
	s_add_i32 s17, s20, s28
	ds_write_b32 v41, v19
	v_sub_f32_e32 v14, v60, v14
	v_mov_b32_e32 v37, s17
	v_sub_f32_e32 v60, v14, v15
	ds_read2_b32 v[14:15], v27 offset1:1
	ds_read2_b32 v[22:23], v34 offset1:1
	;; [unrolled: 1-line block ×4, first 2 shown]
	v_mov_b32_e32 v27, v72
	v_pk_mul_f32 v[26:27], v[18:19], v[26:27]
	v_mul_f32_e32 v37, v36, v54
	v_sub_f32_e32 v18, v43, v26
	v_sub_f32_e32 v64, v18, v27
	v_mov_b32_e32 v26, v65
	v_mov_b32_e32 v27, v25
	;; [unrolled: 1-line block ×3, first 2 shown]
	s_add_i32 s24, s7, 0xfffffc90
	s_add_i32 s27, s25, s18
	s_waitcnt lgkmcnt(3)
	v_fma_f32 v54, -v19, v14, v40
	v_pk_mul_f32 v[18:19], v[36:37], v[26:27]
	v_mov_b32_e32 v45, s27
	s_add_i32 s27, s25, s24
	s_waitcnt lgkmcnt(2)
	v_mov_b32_e32 v40, v22
	v_mov_b32_e32 v22, v15
	;; [unrolled: 1-line block ×4, first 2 shown]
	v_sub_f32_e32 v18, v57, v18
	v_add_u32_e32 v49, s29, v1
	v_mov_b32_e32 v56, s27
	s_add_i32 s27, s7, 0xfffffc40
	v_sub_f32_e32 v26, v18, v19
	v_mov_b32_e32 v18, v71
	v_mov_b32_e32 v19, v21
	v_pk_mul_f32 v[14:15], v[36:37], v[14:15]
	s_add_i32 s17, s19, 0xfffffbf0
	s_add_i32 s25, s25, s27
	ds_write_b32 v49, v37
	v_pk_mul_f32 v[42:43], v[36:37], v[18:19]
	v_mov_b32_e32 v21, s17
	v_sub_f32_e32 v14, v61, v14
	v_mov_b32_e32 v63, s25
	v_mov_b32_e32 v25, v38
	v_mul_f32_e32 v27, v26, v39
	v_mov_b32_e32 v38, v73
	v_mov_b32_e32 v39, v33
	v_sub_f32_e32 v57, v14, v15
	ds_read2_b32 v[70:71], v45 offset1:1
	ds_read2_b32 v[14:15], v56 offset1:1
	;; [unrolled: 1-line block ×3, first 2 shown]
	ds_read_b32 v56, v21
	s_add_i32 s19, s20, s33
	v_sub_f32_e32 v21, v55, v42
	v_add_u32_e32 v50, s18, v1
	v_pk_mul_f32 v[38:39], v[36:37], v[38:39]
	v_sub_f32_e32 v55, v21, v43
	v_mov_b32_e32 v21, s19
	s_add_i32 s19, s20, s21
	s_add_i32 s18, s20, s18
	v_pk_mul_f32 v[22:23], v[36:37], v[22:23]
	v_mov_b32_e32 v33, s19
	v_sub_f32_e32 v36, v44, v38
	v_mov_b32_e32 v38, s18
	s_add_i32 s18, s20, s24
	s_add_i32 s19, s20, s27
	v_sub_f32_e32 v63, v36, v39
	v_mov_b32_e32 v36, s19
	v_mov_b32_e32 v39, s18
	;; [unrolled: 1-line block ×3, first 2 shown]
	ds_read2_b32 v[72:73], v36 offset1:1
	ds_read2_b32 v[74:75], v21 offset1:1
	;; [unrolled: 1-line block ×5, first 2 shown]
	v_sub_f32_e32 v21, v51, v22
	v_sub_f32_e32 v51, v21, v23
	v_pk_mul_f32 v[22:23], v[26:27], v[24:25]
	v_mov_b32_e32 v47, v76
	v_sub_f32_e32 v21, v58, v22
	v_pk_mul_f32 v[24:25], v[26:27], v[46:47]
	v_sub_f32_e32 v42, v21, v23
	v_sub_f32_e32 v21, v59, v24
	v_add_u32_e32 v52, s31, v1
	s_waitcnt lgkmcnt(11)
	v_mov_b32_e32 v41, v82
	v_sub_f32_e32 v46, v21, v25
	v_mov_b32_e32 v21, v66
	v_mov_b32_e32 v33, v78
	ds_write_b32 v52, v27
	v_pk_mul_f32 v[20:21], v[26:27], v[20:21]
	v_pk_mul_f32 v[32:33], v[26:27], v[32:33]
	v_mul_f32_e32 v43, v42, v53
	v_mov_b32_e32 v42, v27
	v_pk_mul_f32 v[26:27], v[26:27], v[40:41]
	s_add_i32 s17, s7, 0xfffffbf0
	v_sub_f32_e32 v26, v54, v26
	v_sub_f32_e32 v53, v26, v27
	v_mov_b32_e32 v26, v4
	v_mov_b32_e32 v4, v77
	v_add_u32_e32 v61, s17, v1
	s_add_i32 s17, s20, s17
	s_addk_i32 s7, 0xfba0
	v_sub_f32_e32 v20, v60, v20
	v_pk_mul_f32 v[4:5], v[42:43], v[4:5]
	v_add_u32_e32 v30, s28, v1
	v_mov_b32_e32 v44, s17
	s_add_i32 s17, s20, s7
	v_add_u32_e32 v52, s7, v1
	s_waitcnt lgkmcnt(3)
	v_mov_b32_e32 v24, v36
	v_sub_f32_e32 v36, v20, v21
	v_sub_f32_e32 v21, v64, v32
	s_add_i32 s7, s16, 0xfffffb50
	v_sub_f32_e32 v4, v57, v4
	v_mov_b32_e32 v45, s17
	s_waitcnt lgkmcnt(1)
	v_mov_b32_e32 v20, v38
	v_sub_f32_e32 v38, v21, v33
	v_mov_b32_e32 v21, s7
	ds_read2_b32 v[32:33], v44 offset1:1
	ds_read2_b32 v[40:41], v45 offset1:1
	ds_read_b32 v47, v21
	ds_write_b32 v30, v43
	v_sub_f32_e32 v30, v4, v5
	v_mov_b32_e32 v27, v8
	v_mov_b32_e32 v8, v16
	;; [unrolled: 1-line block ×3, first 2 shown]
	v_mul_f32_e32 v45, v30, v9
	v_mov_b32_e32 v44, v43
	v_mov_b32_e32 v4, v79
	;; [unrolled: 1-line block ×3, first 2 shown]
	v_pk_mul_f32 v[16:17], v[42:43], v[16:17]
	v_pk_mul_f32 v[26:27], v[44:45], v[26:27]
	v_mov_b32_e32 v22, v34
	v_pk_mul_f32 v[4:5], v[42:43], v[4:5]
	v_mov_b32_e32 v34, v83
	v_sub_f32_e32 v9, v55, v16
	v_mov_b32_e32 v13, v80
	v_sub_f32_e32 v26, v46, v26
	v_pk_mul_f32 v[34:35], v[42:43], v[34:35]
	v_mov_b32_e32 v43, v15
	v_mov_b32_e32 v15, v18
	v_sub_f32_e32 v18, v9, v17
	v_mov_b32_e32 v17, v2
	v_sub_f32_e32 v2, v63, v4
	v_pk_mul_f32 v[12:13], v[44:45], v[12:13]
	v_sub_f32_e32 v26, v26, v27
	v_mov_b32_e32 v23, v74
	v_mov_b32_e32 v16, v6
	;; [unrolled: 1-line block ×3, first 2 shown]
	v_sub_f32_e32 v2, v2, v5
	v_mov_b32_e32 v4, v81
	v_mov_b32_e32 v5, v11
	v_sub_f32_e32 v12, v38, v12
	v_mul_f32_e32 v27, v26, v28
	v_mov_b32_e32 v26, v45
	v_pk_mul_f32 v[6:7], v[26:27], v[6:7]
	v_pk_mul_f32 v[4:5], v[26:27], v[4:5]
	v_sub_f32_e32 v28, v12, v13
	v_pk_mul_f32 v[12:13], v[44:45], v[22:23]
	v_mov_b32_e32 v9, v68
	v_sub_f32_e32 v6, v18, v6
	v_sub_f32_e32 v4, v2, v4
	;; [unrolled: 1-line block ×3, first 2 shown]
	v_pk_mul_f32 v[8:9], v[44:45], v[8:9]
	v_sub_f32_e32 v12, v2, v13
	v_sub_f32_e32 v2, v6, v7
	;; [unrolled: 1-line block ×3, first 2 shown]
	v_mul_f32_e32 v3, v2, v3
	v_mov_b32_e32 v2, v27
	v_sub_f32_e32 v18, v8, v9
	v_pk_mul_f32 v[6:7], v[2:3], v[16:17]
	v_sub_f32_e32 v30, v51, v34
	v_mov_b32_e32 v36, v75
	v_sub_f32_e32 v6, v18, v6
	v_mov_b32_e32 v11, v70
	v_sub_f32_e32 v30, v30, v35
	v_pk_mul_f32 v[8:9], v[26:27], v[36:37]
	v_sub_f32_e32 v6, v6, v7
	v_mov_b32_e32 v25, v84
	v_mov_b32_e32 v42, v71
	v_sub_f32_e32 v8, v30, v8
	v_sub_f32_e32 v13, v4, v5
	v_pk_mul_f32 v[4:5], v[2:3], v[10:11]
	v_mul_f32_e32 v7, v6, v31
	v_mov_b32_e32 v6, v3
	v_sub_f32_e32 v4, v28, v4
	v_sub_f32_e32 v10, v8, v9
	ds_write_b32 v50, v3
	v_pk_mul_f32 v[8:9], v[6:7], v[42:43]
	v_mov_b32_e32 v38, v85
	v_pk_mul_f32 v[2:3], v[2:3], v[24:25]
	v_sub_f32_e32 v8, v13, v8
	v_sub_f32_e32 v11, v4, v5
	v_pk_mul_f32 v[4:5], v[6:7], v[38:39]
	v_sub_f32_e32 v2, v12, v2
	v_sub_f32_e32 v4, v10, v4
	;; [unrolled: 1-line block ×4, first 2 shown]
	v_add_u32_e32 v62, s24, v1
	v_mul_f32_e32 v3, v2, v19
	v_mov_b32_e32 v2, v7
	ds_write_b32 v62, v7
	v_pk_mul_f32 v[6:7], v[2:3], v[14:15]
	v_sub_f32_e32 v8, v4, v5
	v_sub_f32_e32 v6, v11, v6
	v_sub_f32_e32 v4, v6, v7
	v_add_u32_e32 v29, s33, v1
	v_add_u32_e32 v48, s21, v1
	;; [unrolled: 1-line block ×3, first 2 shown]
	v_mov_b32_e32 v21, v72
	v_mul_f32_e32 v5, v4, v56
	v_mov_b32_e32 v4, v3
	v_mov_b32_e32 v6, v73
	s_waitcnt lgkmcnt(5)
	v_mov_b32_e32 v7, v33
	ds_write_b32 v29, v45
	ds_write_b32 v48, v27
	;; [unrolled: 1-line block ×3, first 2 shown]
	v_pk_mul_f32 v[6:7], v[4:5], v[6:7]
	v_pk_mul_f32 v[2:3], v[2:3], v[20:21]
	v_sub_f32_e32 v4, v8, v6
	v_sub_f32_e32 v2, v10, v2
	;; [unrolled: 1-line block ×4, first 2 shown]
	s_waitcnt lgkmcnt(7)
	v_mul_f32_e32 v3, v2, v41
	v_mov_b32_e32 v2, v5
	v_mov_b32_e32 v33, v40
	ds_write_b32 v61, v5
	ds_write_b32 v52, v3
	v_pk_mul_f32 v[2:3], v[2:3], v[32:33]
	s_add_i32 s5, s5, -16
	v_sub_f32_e32 v2, v6, v2
	v_sub_f32_e32 v2, v2, v3
	s_waitcnt lgkmcnt(8)
	v_mul_f32_e32 v2, v2, v47
	v_add_u32_e32 v3, 0xffffffb0, v52
	ds_write_b32 v3, v2
.LBB21_43:
	s_cmp_lt_i32 s5, 0
	s_cbranch_scc1 .LBB21_60
; %bb.44:
	s_and_b32 s7, s5, 3
	s_cmp_eq_u32 s7, 3
	s_mul_i32 s16, s26, 0x50
	s_mov_b32 s7, s5
	s_cbranch_scc1 .LBB21_49
; %bb.45:
	s_add_i32 s7, s5, 1
	s_and_b32 s17, s7, 3
	s_lshl_b32 s7, s5, 2
	s_add_i32 s7, s16, s7
	v_lshl_add_u32 v2, v0, 2, s16
	s_add_i32 s18, s7, 0xffffffb0
	v_add_u32_e32 v3, 0x5f0, v2
	s_mov_b32 s19, 0
	s_mov_b32 s7, s5
	s_branch .LBB21_47
.LBB21_46:                              ;   in Loop: Header=BB21_47 Depth=1
	s_mul_i32 s20, s7, 0x54
	v_mov_b32_e32 v5, s20
	ds_read_b32 v5, v5
	s_add_i32 s7, s7, -1
	s_add_i32 s19, s19, 1
	s_add_i32 s18, s18, -4
	s_cmp_lg_u32 s19, s17
	s_waitcnt lgkmcnt(0)
	v_mul_f32_e32 v2, v2, v5
	ds_write_b32 v4, v2
	s_cbranch_scc0 .LBB21_49
.LBB21_47:                              ; =>This Loop Header: Depth=1
                                        ;     Child Loop BB21_48 Depth 2
	s_mul_i32 s20, s7, 0x50
	v_add_u32_e32 v4, s20, v1
	ds_read_b32 v2, v4
	s_cmp_le_i32 s4, s7
	v_mov_b32_e32 v5, v3
	s_mov_b32 s20, s18
	s_mov_b32 s21, s4
	s_cbranch_scc1 .LBB21_46
.LBB21_48:                              ;   Parent Loop BB21_47 Depth=1
                                        ; =>  This Inner Loop Header: Depth=2
	v_mov_b32_e32 v7, s20
	ds_read_b32 v6, v5
	ds_read_b32 v7, v7
	s_add_i32 s21, s21, -1
	s_addk_i32 s20, 0xffb0
	v_add_u32_e32 v5, 0xffffffb0, v5
	s_cmp_gt_i32 s21, s7
	s_waitcnt lgkmcnt(0)
	v_fma_f32 v2, -v6, v7, v2
	s_cbranch_scc1 .LBB21_48
	s_branch .LBB21_46
.LBB21_49:
	s_cmp_lt_u32 s5, 3
	s_cbranch_scc1 .LBB21_60
; %bb.50:
	s_lshl_b32 s5, s7, 2
	s_add_i32 s18, s16, s5
	v_lshl_add_u32 v2, v0, 2, s16
	s_add_i32 s5, s18, 0xffffffb0
	v_add_u32_e32 v3, 0x5f0, v2
	s_add_i32 s16, s18, 0xffffffac
	s_add_i32 s17, s18, 0xffffffa8
	s_addk_i32 s18, 0xffa4
	s_branch .LBB21_52
.LBB21_51:                              ;   in Loop: Header=BB21_52 Depth=1
	s_add_i32 s19, s20, 0xffffffac
	v_mov_b32_e32 v2, s19
	ds_read_b32 v2, v2
	s_add_i32 s19, s7, -4
	s_add_i32 s5, s5, -16
	;; [unrolled: 1-line block ×5, first 2 shown]
	s_waitcnt lgkmcnt(0)
	v_mul_f32_e32 v2, v4, v2
	s_cmp_lt_i32 s7, 4
	s_mov_b32 s7, s19
	ds_write_b32 v5, v2
	s_cbranch_scc1 .LBB21_60
.LBB21_52:                              ; =>This Loop Header: Depth=1
                                        ;     Child Loop BB21_53 Depth 2
                                        ;     Child Loop BB21_55 Depth 2
	;; [unrolled: 1-line block ×4, first 2 shown]
	s_mul_i32 s19, s7, 0x50
	v_add_u32_e32 v6, s19, v1
	ds_read_b32 v2, v6
	s_cmp_le_i32 s4, s7
	v_mov_b32_e32 v4, v3
	s_mov_b32 s20, s5
	s_mov_b32 s21, s4
	s_cbranch_scc1 .LBB21_54
.LBB21_53:                              ;   Parent Loop BB21_52 Depth=1
                                        ; =>  This Inner Loop Header: Depth=2
	v_mov_b32_e32 v7, s20
	ds_read_b32 v5, v4
	ds_read_b32 v7, v7
	s_add_i32 s21, s21, -1
	s_addk_i32 s20, 0xffb0
	v_add_u32_e32 v4, 0xffffffb0, v4
	s_cmp_gt_i32 s21, s7
	s_waitcnt lgkmcnt(0)
	v_fma_f32 v2, -v5, v7, v2
	s_cbranch_scc1 .LBB21_53
.LBB21_54:                              ;   in Loop: Header=BB21_52 Depth=1
	s_mul_i32 s20, s7, 0x54
	v_mov_b32_e32 v4, s20
	ds_read_b32 v7, v4
	s_addk_i32 s19, 0xffb0
	v_add_u32_e32 v5, s19, v1
	ds_read_b32 v4, v5
	s_cmp_le_i32 s26, s7
	s_waitcnt lgkmcnt(1)
	v_mul_f32_e32 v2, v2, v7
	ds_write_b32 v6, v2
	v_mov_b32_e32 v2, v3
	s_mov_b32 s21, s16
	s_mov_b32 s24, s26
	s_cbranch_scc1 .LBB21_56
.LBB21_55:                              ;   Parent Loop BB21_52 Depth=1
                                        ; =>  This Inner Loop Header: Depth=2
	v_mov_b32_e32 v7, s21
	ds_read_b32 v6, v2
	ds_read_b32 v7, v7
	s_add_i32 s24, s24, -1
	s_addk_i32 s21, 0xffb0
	v_add_u32_e32 v2, 0xffffffb0, v2
	s_cmp_gt_i32 s24, s7
	s_waitcnt lgkmcnt(0)
	v_fma_f32 v4, -v6, v7, v4
	s_cbranch_scc1 .LBB21_55
.LBB21_56:                              ;   in Loop: Header=BB21_52 Depth=1
	s_addk_i32 s20, 0xffac
	v_mov_b32_e32 v2, s20
	ds_read_b32 v7, v2
	s_addk_i32 s19, 0xffb0
	v_add_u32_e32 v6, s19, v1
	ds_read_b32 v2, v6
	s_add_i32 s21, s7, -2
	s_waitcnt lgkmcnt(1)
	v_mul_f32_e32 v4, v4, v7
	ds_write_b32 v5, v4
	s_cmp_le_i32 s4, s21
	v_mov_b32_e32 v4, v3
	s_mov_b32 s24, s17
	s_mov_b32 s25, s4
	s_cbranch_scc1 .LBB21_58
.LBB21_57:                              ;   Parent Loop BB21_52 Depth=1
                                        ; =>  This Inner Loop Header: Depth=2
	v_mov_b32_e32 v7, s24
	ds_read_b32 v5, v4
	ds_read_b32 v7, v7
	s_add_i32 s25, s25, -1
	s_addk_i32 s24, 0xffb0
	v_add_u32_e32 v4, 0xffffffb0, v4
	s_cmp_gt_i32 s25, s21
	s_waitcnt lgkmcnt(0)
	v_fma_f32 v2, -v5, v7, v2
	s_cbranch_scc1 .LBB21_57
.LBB21_58:                              ;   in Loop: Header=BB21_52 Depth=1
	s_addk_i32 s20, 0xffac
	v_mov_b32_e32 v4, s20
	ds_read_b32 v7, v4
	s_addk_i32 s19, 0xffb0
	v_add_u32_e32 v5, s19, v1
	ds_read_b32 v4, v5
	s_add_i32 s21, s7, -3
	s_waitcnt lgkmcnt(1)
	v_mul_f32_e32 v2, v2, v7
	ds_write_b32 v6, v2
	s_cmp_le_i32 s4, s21
	v_mov_b32_e32 v2, v3
	s_mov_b32 s19, s18
	s_mov_b32 s24, s4
	s_cbranch_scc1 .LBB21_51
.LBB21_59:                              ;   Parent Loop BB21_52 Depth=1
                                        ; =>  This Inner Loop Header: Depth=2
	v_mov_b32_e32 v7, s19
	ds_read_b32 v6, v2
	ds_read_b32 v7, v7
	s_add_i32 s24, s24, -1
	s_addk_i32 s19, 0xffb0
	v_add_u32_e32 v2, 0xffffffb0, v2
	s_cmp_gt_i32 s24, s21
	s_waitcnt lgkmcnt(0)
	v_fma_f32 v4, -v6, v7, v4
	s_cbranch_scc1 .LBB21_59
	s_branch .LBB21_51
.LBB21_60:
	s_waitcnt lgkmcnt(0)
	; wave barrier
	s_and_saveexec_b64 s[4:5], s[0:1]
	s_cbranch_execz .LBB21_69
; %bb.61:
	s_andn2_b64 vcc, exec, s[14:15]
	s_cbranch_vccnz .LBB21_69
; %bb.62:
	s_cmp_eq_u32 s6, 1
	s_cbranch_scc1 .LBB21_66
; %bb.63:
	v_mad_i64_i32 v[2:3], s[0:1], s22, v0, 0
	s_and_b32 s4, s26, 30
	v_lshl_add_u64 v[2:3], v[2:3], 2, s[12:13]
	s_mov_b32 s0, 1
	s_mov_b32 s1, 0
	;; [unrolled: 1-line block ×3, first 2 shown]
.LBB21_64:                              ; =>This Inner Loop Header: Depth=1
	s_mul_i32 s6, s0, 0x50
	s_mul_i32 s7, s1, 0x50
	v_add_u32_e32 v4, s7, v1
	v_add_u32_e32 v5, s6, v1
	ds_read_b32 v4, v4
	ds_read_b32 v5, v5
	s_add_i32 s1, s1, 2
	s_add_i32 s0, s0, 2
	s_add_i32 s5, s5, -2
	s_cmp_lg_u32 s5, 0
	s_waitcnt lgkmcnt(0)
	flat_store_dwordx2 v[2:3], v[4:5]
	v_lshl_add_u64 v[2:3], v[2:3], 0, 8
	s_cbranch_scc1 .LBB21_64
; %bb.65:
	s_cmp_lg_u32 s26, s4
	s_cselect_b64 s[0:1], -1, 0
	s_and_b64 vcc, exec, s[0:1]
	s_cbranch_vccnz .LBB21_67
	s_branch .LBB21_69
.LBB21_66:
	s_mov_b32 s4, 0
	s_cbranch_execz .LBB21_69
.LBB21_67:
	s_sub_i32 s0, s26, s4
	s_lshl_b32 s1, s4, 2
	v_lshlrev_b32_e32 v2, 2, v0
	v_mov_b32_e32 v3, 0
	s_add_u32 s1, s8, s1
	v_lshl_add_u64 v[4:5], s[2:3], 2, v[2:3]
	s_addc_u32 s3, s9, 0
	s_add_u32 s2, s1, s10
	s_addc_u32 s3, s3, s11
	v_mov_b64_e32 v[2:3], s[2:3]
	s_mul_i32 s1, s4, 0x50
	v_mad_u64_u32 v[2:3], s[2:3], v4, s22, v[2:3]
	v_mul_lo_u32 v1, v4, s23
	v_mul_lo_u32 v4, v5, s22
	v_lshl_add_u32 v0, v0, 2, s1
	v_add3_u32 v3, v4, v3, v1
	v_add_u32_e32 v0, 0x640, v0
.LBB21_68:                              ; =>This Inner Loop Header: Depth=1
	ds_read_b32 v1, v0
	s_add_i32 s0, s0, -1
	v_add_u32_e32 v0, 0x50, v0
	s_cmp_lg_u32 s0, 0
	s_waitcnt lgkmcnt(0)
	flat_store_dword v[2:3], v1
	v_lshl_add_u64 v[2:3], v[2:3], 0, 4
	s_cbranch_scc1 .LBB21_68
.LBB21_69:
	s_endpgm
	.section	.rodata,"a",@progbits
	.p2align	6, 0x0
	.amdhsa_kernel _ZL38rocblas_trsm_small_left_device_sharedBILi20ELi20ELb0EffPKPKfPKPfEv13rocblas_fill_18rocblas_operation_17rocblas_diagonal_iiT3_T4_lilT5_lili
		.amdhsa_group_segment_fixed_size 3200
		.amdhsa_private_segment_fixed_size 0
		.amdhsa_kernarg_size 352
		.amdhsa_user_sgpr_count 2
		.amdhsa_user_sgpr_dispatch_ptr 0
		.amdhsa_user_sgpr_queue_ptr 0
		.amdhsa_user_sgpr_kernarg_segment_ptr 1
		.amdhsa_user_sgpr_dispatch_id 0
		.amdhsa_user_sgpr_kernarg_preload_length 0
		.amdhsa_user_sgpr_kernarg_preload_offset 0
		.amdhsa_user_sgpr_private_segment_size 0
		.amdhsa_uses_dynamic_stack 0
		.amdhsa_enable_private_segment 0
		.amdhsa_system_sgpr_workgroup_id_x 1
		.amdhsa_system_sgpr_workgroup_id_y 0
		.amdhsa_system_sgpr_workgroup_id_z 1
		.amdhsa_system_sgpr_workgroup_info 0
		.amdhsa_system_vgpr_workitem_id 0
		.amdhsa_next_free_vgpr 123
		.amdhsa_next_free_sgpr 38
		.amdhsa_accum_offset 124
		.amdhsa_reserve_vcc 1
		.amdhsa_float_round_mode_32 0
		.amdhsa_float_round_mode_16_64 0
		.amdhsa_float_denorm_mode_32 3
		.amdhsa_float_denorm_mode_16_64 3
		.amdhsa_dx10_clamp 1
		.amdhsa_ieee_mode 1
		.amdhsa_fp16_overflow 0
		.amdhsa_tg_split 0
		.amdhsa_exception_fp_ieee_invalid_op 0
		.amdhsa_exception_fp_denorm_src 0
		.amdhsa_exception_fp_ieee_div_zero 0
		.amdhsa_exception_fp_ieee_overflow 0
		.amdhsa_exception_fp_ieee_underflow 0
		.amdhsa_exception_fp_ieee_inexact 0
		.amdhsa_exception_int_div_zero 0
	.end_amdhsa_kernel
	.section	.text._ZL38rocblas_trsm_small_left_device_sharedBILi20ELi20ELb0EffPKPKfPKPfEv13rocblas_fill_18rocblas_operation_17rocblas_diagonal_iiT3_T4_lilT5_lili,"axG",@progbits,_ZL38rocblas_trsm_small_left_device_sharedBILi20ELi20ELb0EffPKPKfPKPfEv13rocblas_fill_18rocblas_operation_17rocblas_diagonal_iiT3_T4_lilT5_lili,comdat
.Lfunc_end21:
	.size	_ZL38rocblas_trsm_small_left_device_sharedBILi20ELi20ELb0EffPKPKfPKPfEv13rocblas_fill_18rocblas_operation_17rocblas_diagonal_iiT3_T4_lilT5_lili, .Lfunc_end21-_ZL38rocblas_trsm_small_left_device_sharedBILi20ELi20ELb0EffPKPKfPKPfEv13rocblas_fill_18rocblas_operation_17rocblas_diagonal_iiT3_T4_lilT5_lili
                                        ; -- End function
	.set _ZL38rocblas_trsm_small_left_device_sharedBILi20ELi20ELb0EffPKPKfPKPfEv13rocblas_fill_18rocblas_operation_17rocblas_diagonal_iiT3_T4_lilT5_lili.num_vgpr, 123
	.set _ZL38rocblas_trsm_small_left_device_sharedBILi20ELi20ELb0EffPKPKfPKPfEv13rocblas_fill_18rocblas_operation_17rocblas_diagonal_iiT3_T4_lilT5_lili.num_agpr, 0
	.set _ZL38rocblas_trsm_small_left_device_sharedBILi20ELi20ELb0EffPKPKfPKPfEv13rocblas_fill_18rocblas_operation_17rocblas_diagonal_iiT3_T4_lilT5_lili.numbered_sgpr, 38
	.set _ZL38rocblas_trsm_small_left_device_sharedBILi20ELi20ELb0EffPKPKfPKPfEv13rocblas_fill_18rocblas_operation_17rocblas_diagonal_iiT3_T4_lilT5_lili.num_named_barrier, 0
	.set _ZL38rocblas_trsm_small_left_device_sharedBILi20ELi20ELb0EffPKPKfPKPfEv13rocblas_fill_18rocblas_operation_17rocblas_diagonal_iiT3_T4_lilT5_lili.private_seg_size, 0
	.set _ZL38rocblas_trsm_small_left_device_sharedBILi20ELi20ELb0EffPKPKfPKPfEv13rocblas_fill_18rocblas_operation_17rocblas_diagonal_iiT3_T4_lilT5_lili.uses_vcc, 1
	.set _ZL38rocblas_trsm_small_left_device_sharedBILi20ELi20ELb0EffPKPKfPKPfEv13rocblas_fill_18rocblas_operation_17rocblas_diagonal_iiT3_T4_lilT5_lili.uses_flat_scratch, 0
	.set _ZL38rocblas_trsm_small_left_device_sharedBILi20ELi20ELb0EffPKPKfPKPfEv13rocblas_fill_18rocblas_operation_17rocblas_diagonal_iiT3_T4_lilT5_lili.has_dyn_sized_stack, 0
	.set _ZL38rocblas_trsm_small_left_device_sharedBILi20ELi20ELb0EffPKPKfPKPfEv13rocblas_fill_18rocblas_operation_17rocblas_diagonal_iiT3_T4_lilT5_lili.has_recursion, 0
	.set _ZL38rocblas_trsm_small_left_device_sharedBILi20ELi20ELb0EffPKPKfPKPfEv13rocblas_fill_18rocblas_operation_17rocblas_diagonal_iiT3_T4_lilT5_lili.has_indirect_call, 0
	.section	.AMDGPU.csdata,"",@progbits
; Kernel info:
; codeLenInByte = 14968
; TotalNumSgprs: 44
; NumVgprs: 123
; NumAgprs: 0
; TotalNumVgprs: 123
; ScratchSize: 0
; MemoryBound: 0
; FloatMode: 240
; IeeeMode: 1
; LDSByteSize: 3200 bytes/workgroup (compile time only)
; SGPRBlocks: 5
; VGPRBlocks: 15
; NumSGPRsForWavesPerEU: 44
; NumVGPRsForWavesPerEU: 123
; AccumOffset: 124
; Occupancy: 4
; WaveLimiterHint : 0
; COMPUTE_PGM_RSRC2:SCRATCH_EN: 0
; COMPUTE_PGM_RSRC2:USER_SGPR: 2
; COMPUTE_PGM_RSRC2:TRAP_HANDLER: 0
; COMPUTE_PGM_RSRC2:TGID_X_EN: 1
; COMPUTE_PGM_RSRC2:TGID_Y_EN: 0
; COMPUTE_PGM_RSRC2:TGID_Z_EN: 1
; COMPUTE_PGM_RSRC2:TIDIG_COMP_CNT: 0
; COMPUTE_PGM_RSRC3_GFX90A:ACCUM_OFFSET: 30
; COMPUTE_PGM_RSRC3_GFX90A:TG_SPLIT: 0
	.section	.text._ZL30rocblas_trsm_small_left_deviceILi20ELi20ELb0EffPKPKfPKPfEv13rocblas_fill_18rocblas_operation_17rocblas_diagonal_iiT3_T4_lilT5_lili,"axG",@progbits,_ZL30rocblas_trsm_small_left_deviceILi20ELi20ELb0EffPKPKfPKPfEv13rocblas_fill_18rocblas_operation_17rocblas_diagonal_iiT3_T4_lilT5_lili,comdat
	.globl	_ZL30rocblas_trsm_small_left_deviceILi20ELi20ELb0EffPKPKfPKPfEv13rocblas_fill_18rocblas_operation_17rocblas_diagonal_iiT3_T4_lilT5_lili ; -- Begin function _ZL30rocblas_trsm_small_left_deviceILi20ELi20ELb0EffPKPKfPKPfEv13rocblas_fill_18rocblas_operation_17rocblas_diagonal_iiT3_T4_lilT5_lili
	.p2align	8
	.type	_ZL30rocblas_trsm_small_left_deviceILi20ELi20ELb0EffPKPKfPKPfEv13rocblas_fill_18rocblas_operation_17rocblas_diagonal_iiT3_T4_lilT5_lili,@function
_ZL30rocblas_trsm_small_left_deviceILi20ELi20ELb0EffPKPKfPKPfEv13rocblas_fill_18rocblas_operation_17rocblas_diagonal_iiT3_T4_lilT5_lili: ; @_ZL30rocblas_trsm_small_left_deviceILi20ELi20ELb0EffPKPKfPKPfEv13rocblas_fill_18rocblas_operation_17rocblas_diagonal_iiT3_T4_lilT5_lili
; %bb.0:
	s_load_dwordx4 s[8:11], s[0:1], 0x38
	s_load_dwordx4 s[4:7], s[0:1], 0x4
	s_load_dword s16, s[0:1], 0x14
	s_mov_b32 s20, s3
	s_mov_b32 s21, 0
	s_lshl_b64 s[24:25], s[20:21], 3
	s_waitcnt lgkmcnt(0)
	s_add_u32 s8, s8, s24
	s_addc_u32 s9, s9, s25
	s_load_dwordx2 s[8:9], s[8:9], 0x0
	s_min_i32 s17, s6, 20
	v_cmp_gt_i32_e32 vcc, s17, v0
	s_and_saveexec_b64 s[18:19], vcc
	s_cbranch_execz .LBB22_11
; %bb.1:
	s_load_dwordx4 s[12:15], s[0:1], 0x18
	s_load_dword s22, s[0:1], 0x28
	v_lshlrev_b32_e32 v2, 2, v0
	v_mov_b32_e32 v3, 0
	s_mov_b32 s3, 1
	s_waitcnt lgkmcnt(0)
	s_add_u32 s12, s12, s24
	s_addc_u32 s13, s13, s25
	s_load_dwordx2 s[12:13], s[12:13], 0x0
	s_cmp_lt_u32 s17, 2
	s_cselect_b64 s[26:27], -1, 0
	s_cmp_lg_u32 s22, 1
	s_cselect_b64 s[28:29], -1, 0
	s_or_b64 s[26:27], s[26:27], s[28:29]
	s_mov_b64 s[24:25], -1
	s_and_b64 vcc, exec, s[26:27]
	s_cbranch_vccnz .LBB22_5
; %bb.2:
	s_lshl_b64 s[20:21], s[14:15], 2
	s_waitcnt lgkmcnt(0)
	s_add_u32 s20, s12, s20
	s_addc_u32 s21, s13, s21
	v_lshl_add_u64 v[4:5], s[20:21], 0, v[2:3]
	s_and_b32 s21, s17, -2
	s_mov_b32 s20, 0
	s_mov_b32 s23, s21
.LBB22_3:                               ; =>This Inner Loop Header: Depth=1
	flat_load_dwordx2 v[6:7], v[4:5]
	s_mul_i32 s24, s3, 0x50
	s_mul_i32 s25, s20, 0x50
	s_add_i32 s20, s20, 2
	s_add_i32 s3, s3, 2
	s_add_i32 s23, s23, -2
	v_lshl_add_u64 v[4:5], v[4:5], 0, 8
	v_add_u32_e32 v1, s25, v2
	s_cmp_lg_u32 s23, 0
	v_add_u32_e32 v3, s24, v2
	s_waitcnt vmcnt(0) lgkmcnt(0)
	ds_write_b32 v1, v6
	ds_write_b32 v3, v7
	s_cbranch_scc1 .LBB22_3
; %bb.4:
	s_cmp_lg_u32 s17, s21
	s_cselect_b64 s[24:25], -1, 0
.LBB22_5:
	s_and_b64 vcc, exec, s[24:25]
	s_cbranch_vccz .LBB22_8
; %bb.6:
	s_ashr_i32 s23, s22, 31
	s_mul_hi_u32 s3, s22, s21
	s_mul_i32 s20, s23, s21
	s_add_i32 s25, s3, s20
	s_mul_i32 s24, s22, s21
	s_lshl_b64 s[24:25], s[24:25], 2
	s_lshl_b64 s[14:15], s[14:15], 2
	s_add_u32 s3, s24, s14
	s_addc_u32 s14, s25, s15
	s_waitcnt lgkmcnt(0)
	s_add_u32 s12, s12, s3
	v_mov_b32_e32 v3, 0
	s_addc_u32 s13, s13, s14
	s_mul_i32 s14, s21, 0x50
	v_lshl_add_u64 v[4:5], s[12:13], 0, v[2:3]
	s_lshl_b64 s[12:13], s[22:23], 2
	s_sub_i32 s3, s17, s21
	v_lshl_add_u32 v1, v0, 2, s14
.LBB22_7:                               ; =>This Inner Loop Header: Depth=1
	flat_load_dword v3, v[4:5]
	s_add_i32 s3, s3, -1
	v_lshl_add_u64 v[4:5], v[4:5], 0, s[12:13]
	s_cmp_eq_u32 s3, 0
	s_waitcnt vmcnt(0) lgkmcnt(0)
	ds_write_b32 v1, v3
	v_add_u32_e32 v1, 0x50, v1
	s_cbranch_scc0 .LBB22_7
.LBB22_8:
	v_mul_u32_u24_e32 v1, 0x50, v0
	s_cmpk_lg_i32 s5, 0x84
	v_mov_b32_e32 v3, 1.0
	v_add_u32_e32 v1, v2, v1
	s_cbranch_scc0 .LBB22_10
; %bb.9:
	ds_read_b32 v2, v1
	s_waitcnt lgkmcnt(0)
	v_div_scale_f32 v3, s[12:13], v2, v2, 1.0
	v_rcp_f32_e32 v4, v3
	v_div_scale_f32 v5, vcc, 1.0, v2, 1.0
	v_fma_f32 v6, -v3, v4, 1.0
	v_fmac_f32_e32 v4, v6, v4
	v_mul_f32_e32 v6, v5, v4
	v_fma_f32 v7, -v3, v6, v5
	v_fmac_f32_e32 v6, v7, v4
	v_fma_f32 v3, -v3, v6, v5
	v_div_fmas_f32 v3, v3, v4, v6
	v_div_fixup_f32 v3, v3, v2, 1.0
.LBB22_10:
	ds_write_b32 v1, v3
.LBB22_11:
	s_or_b64 exec, exec, s[18:19]
	s_load_dword s3, s[0:1], 0x60
	s_mul_i32 s5, s2, 0xffffffec
	s_add_i32 s5, s7, s5
	s_waitcnt lgkmcnt(0)
	; wave barrier
	s_add_i32 s3, s3, -1
	s_cmp_ge_u32 s2, s3
	s_cselect_b32 s3, s5, 20
	v_cmp_gt_i32_e32 vcc, s3, v0
	s_and_saveexec_b64 s[12:13], vcc
	s_cbranch_execz .LBB22_56
; %bb.12:
	s_load_dword s5, s[0:1], 0x48
	s_lshl_b64 s[0:1], s[10:11], 2
	s_add_u32 s0, s8, s0
	v_mad_u64_u32 v[0:1], s[2:3], s2, 20, v[0:1]
	s_addc_u32 s1, s9, s1
	s_waitcnt lgkmcnt(0)
	v_mad_i64_i32 v[0:1], s[2:3], s5, v0, 0
	v_lshl_add_u64 v[36:37], v[0:1], 2, s[0:1]
	s_cmpk_eq_i32 s4, 0x6f
	s_mov_b64 s[0:1], -1
	s_cbranch_scc1 .LBB22_30
; %bb.13:
	s_cmp_lt_i32 s6, 20
	s_cselect_b64 s[2:3], -1, 0
	s_cmp_gt_i32 s6, 19
	s_cbranch_scc0 .LBB22_15
; %bb.14:
	flat_load_dwordx4 v[0:3], v[36:37]
	flat_load_dwordx4 v[8:11], v[36:37] offset:16
	flat_load_dwordx4 v[26:29], v[36:37] offset:32
	;; [unrolled: 1-line block ×4, first 2 shown]
	v_mov_b32_e32 v7, 0
	ds_read_b32 v66, v7
	ds_read_b64 v[12:13], v7 offset:80
	ds_read_b96 v[82:84], v7 offset:160
	ds_read2_b32 v[34:35], v7 offset0:84 offset1:105
	ds_read_b128 v[30:33], v7 offset:240
	ds_read_b128 v[48:51], v7 offset:320
	ds_read_b96 v[60:62], v7 offset:400
	ds_read2_b32 v[94:95], v7 offset0:103 offset1:104
	ds_read_b96 v[4:6], v7 offset:496
	ds_read_b128 v[52:55], v7 offset:480
	ds_read_b96 v[68:70], v7 offset:560
	ds_read2_b32 v[96:97], v7 offset0:143 offset1:144
	ds_read_b32 v93, v7 offset:588
	ds_read2_b32 v[24:25], v7 offset0:145 offset1:146
	ds_read2_b32 v[18:19], v7 offset0:168 offset1:189
	ds_read_b96 v[72:74], v7 offset:720
	ds_read2_b32 v[98:99], v7 offset0:183 offset1:184
	ds_read_b128 v[56:59], v7 offset:640
	ds_read_b64 v[38:39], v7 offset:656
	ds_read2_b32 v[14:15], v7 offset0:210 offset1:220
	ds_read2_b32 v[22:23], v7 offset0:185 offset1:186
	ds_read_b64 v[16:17], v7 offset:800
	v_mov_b32_e32 v80, s16
	s_waitcnt lgkmcnt(0)
	v_mov_b32_e32 v21, v12
	s_movk_i32 s0, 0x200
	v_mov_b32_e32 v100, v31
	v_mov_b32_e32 v31, v30
	;; [unrolled: 1-line block ×6, first 2 shown]
	v_add_u32_e64 v67, s0, 0
	v_mov_b32_e32 v101, v32
	s_movk_i32 s0, 0x400
	v_mov_b32_e32 v65, v72
	v_mov_b32_e32 v104, v69
	;; [unrolled: 1-line block ×5, first 2 shown]
	s_waitcnt vmcnt(0)
	v_mul_f32_e32 v0, s16, v0
	v_mov_b32_e32 v20, v1
	v_mul_f32_e32 v81, v0, v66
	v_pk_mul_f32 v[0:1], v[80:81], v[20:21]
	v_mov_b32_e32 v88, v81
	v_sub_f32_e32 v0, v0, v1
	v_mul_f32_e32 v89, v0, v13
	v_mov_b32_e32 v30, v3
	v_mov_b32_e32 v60, v9
	;; [unrolled: 1-line block ×3, first 2 shown]
	v_mul_f32_e32 v3, v81, v15
	v_pk_mul_f32 v[12:13], v[88:89], v[16:17]
	v_pk_mul_f32 v[16:17], v[88:89], v[56:57]
	;; [unrolled: 1-line block ×4, first 2 shown]
	flat_store_dwordx2 v[36:37], v[88:89]
	v_mov_b32_e32 v64, v27
	v_pk_mul_f32 v[108:109], v[80:81], v[30:31]
	v_pk_mul_f32 v[110:111], v[80:81], v[60:61]
	v_pk_mul_f32 v[30:31], v[80:81], v[62:63]
	v_fma_f32 v15, s16, v29, -v3
	v_pk_mul_f32 v[48:49], v[88:89], v[48:49]
	v_fma_f32 v9, s16, v28, -v12
	v_fma_f32 v12, s16, v26, -v16
	;; [unrolled: 1-line block ×4, first 2 shown]
	ds_read2_b32 v[112:113], v7 offset0:221 offset1:222
	ds_read2_b32 v[114:115], v7 offset0:223 offset1:224
	ds_read_b32 v134, v7 offset:924
	ds_read2_b32 v[10:11], v67 offset0:124 offset1:145
	ds_read_b128 v[0:3], v7 offset:960
	ds_read_b96 v[86:88], v7 offset:1040
	ds_read_b128 v[26:29], v7 offset:1120
	ds_read_b128 v[60:63], v7 offset:1200
	v_fma_f32 v8, s16, v8, -v48
	s_waitcnt lgkmcnt(0)
	v_mul_f32_e32 v0, v81, v0
	v_fma_f32 v0, s16, v40, -v0
	v_fma_f32 v56, -v89, v1, v0
	v_add_u32_e64 v0, s0, 0
	v_pk_mul_f32 v[20:21], v[80:81], v[64:65]
	v_sub_f32_e32 v48, v8, v49
	v_sub_f32_e32 v49, v16, v53
	;; [unrolled: 1-line block ×3, first 2 shown]
	v_mul_f32_e32 v8, v81, v86
	ds_read2_b32 v[16:17], v0 offset0:38 offset1:48
	ds_read_b32 v135, v7 offset:1260
	ds_read_b128 v[64:67], v7 offset:1280
	v_sub_f32_e32 v53, v9, v13
	v_mul_f32_e32 v9, v81, v26
	v_fma_f32 v8, s16, v41, -v8
	v_mul_f32_e32 v1, v81, v60
	v_sub_f32_e32 v32, v32, v57
	v_fma_f32 v9, s16, v42, -v9
	v_fma_f32 v57, -v89, v87, v8
	v_fma_f32 v1, s16, v43, -v1
	ds_read_b64 v[86:87], v7 offset:1296
	ds_read_b128 v[40:43], v7 offset:1360
	v_fma_f32 v116, -v89, v27, v9
	ds_read2_b32 v[8:9], v0 offset0:80 offset1:101
	ds_read_b96 v[90:92], v7 offset:1376
	ds_read_b128 v[68:71], v7 offset:1440
	ds_read_b128 v[72:75], v7 offset:1456
	;; [unrolled: 1-line block ×3, first 2 shown]
	v_fma_f32 v60, -v89, v61, v1
	s_waitcnt lgkmcnt(0)
	v_mul_f32_e32 v1, v81, v64
	v_fma_f32 v1, s16, v44, -v1
	v_fma_f32 v61, -v89, v65, v1
	v_mul_f32_e32 v1, v81, v40
	v_fma_f32 v1, s16, v45, -v1
	v_fma_f32 v40, -v89, v41, v1
	v_mul_f32_e32 v1, v81, v68
	ds_read2_b32 v[12:13], v0 offset0:122 offset1:132
	v_mul_f32_e32 v0, v81, v76
	v_fma_f32 v1, s16, v46, -v1
	v_fma_f32 v0, s16, v47, -v0
	v_fma_f32 v41, -v89, v69, v1
	v_fma_f32 v64, -v89, v77, v0
	v_mul_f32_e32 v1, v32, v84
	v_mov_b32_e32 v0, v89
	v_pk_mul_f32 v[26:27], v[0:1], v[100:101]
	v_sub_f32_e32 v32, v108, v109
	ds_read_b128 v[44:47], v7 offset:1536
	ds_read2_b64 v[80:83], v7 offset0:101 offset1:102
	ds_read_b64 v[76:77], v7 offset:664
	v_sub_f32_e32 v26, v32, v26
	v_sub_f32_e32 v32, v26, v27
	v_pk_mul_f32 v[68:69], v[0:1], v[102:103]
	v_pk_mul_f32 v[26:27], v[0:1], v[112:113]
	v_mul_f32_e32 v103, v32, v33
	v_mov_b32_e32 v102, v1
	v_pk_mul_f32 v[84:85], v[0:1], v[104:105]
	v_pk_mul_f32 v[100:101], v[0:1], v[106:107]
	v_sub_f32_e32 v0, v15, v26
	v_pk_mul_f32 v[2:3], v[102:103], v[2:3]
	v_sub_f32_e32 v15, v0, v27
	v_sub_f32_e32 v2, v56, v2
	v_fma_f32 v136, -v1, v88, v57
	v_fma_f32 v28, -v1, v28, v116
	;; [unrolled: 1-line block ×7, first 2 shown]
	s_waitcnt lgkmcnt(0)
	v_pk_mul_f32 v[0:1], v[102:103], v[80:81]
	v_pk_mul_f32 v[40:41], v[102:103], v[50:51]
	v_sub_f32_e32 v0, v53, v0
	v_pk_mul_f32 v[26:27], v[102:103], v[58:59]
	v_pk_mul_f32 v[32:33], v[102:103], v[54:55]
	v_sub_f32_e32 v40, v48, v40
	flat_store_dwordx2 v[36:37], v[102:103] offset:8
	v_sub_f32_e32 v139, v0, v1
	v_mov_b32_e32 v0, 0x41c
	v_sub_f32_e32 v26, v52, v26
	v_sub_f32_e32 v32, v49, v32
	;; [unrolled: 1-line block ×4, first 2 shown]
	v_fma_f32 v145, -v103, v71, v60
	v_fma_f32 v146, -v103, v79, v61
	ds_read2_b32 v[78:79], v7 offset0:187 offset1:188
	ds_read2_b64 v[48:51], v7 offset0:103 offset1:104
	v_mov_b32_e32 v1, 0x424
	ds_read_b128 v[52:55], v7 offset:976
	ds_read_b64 v[80:81], v7 offset:1000
	v_mov_b32_e32 v2, 0x614
	v_mov_b32_e32 v3, 0x61c
	ds_read2_b32 v[70:71], v0 offset1:1
	ds_read2_b32 v[88:89], v1 offset1:1
	;; [unrolled: 1-line block ×4, first 2 shown]
	v_mul_f32_e32 v133, v102, v34
	v_mov_b32_e32 v132, v103
	s_waitcnt lgkmcnt(0)
	v_pk_mul_f32 v[70:71], v[132:133], v[70:71]
	v_mov_b32_e32 v0, 0x624
	v_mov_b32_e32 v1, 0x62c
	;; [unrolled: 1-line block ×6, first 2 shown]
	v_sub_f32_e32 v34, v136, v70
	v_sub_f32_e32 v70, v110, v111
	v_sub_f32_e32 v137, v32, v33
	v_sub_f32_e32 v138, v26, v27
	v_fma_f32 v141, -v103, v29, v28
	v_fma_f32 v142, -v103, v63, v56
	;; [unrolled: 1-line block ×4, first 2 shown]
	ds_read2_b32 v[32:33], v0 offset1:1
	ds_read2_b32 v[26:27], v1 offset1:1
	;; [unrolled: 1-line block ×4, first 2 shown]
	ds_read_b64 v[42:43], v7 offset:1336
	ds_read2_b64 v[56:59], v7 offset0:165 offset1:166
	ds_read2_b64 v[0:3], v7 offset0:187 offset1:188
	;; [unrolled: 1-line block ×3, first 2 shown]
	v_mov_b32_e32 v66, 0x4dc
	v_mov_b32_e32 v67, 0x57c
	ds_read2_b32 v[108:109], v64 offset1:1
	ds_read2_b32 v[112:113], v65 offset1:1
	;; [unrolled: 1-line block ×4, first 2 shown]
	ds_read2_b32 v[120:121], v7 offset0:225 offset1:226
	ds_read2_b32 v[122:123], v7 offset0:227 offset1:228
	;; [unrolled: 1-line block ×3, first 2 shown]
	v_mov_b32_e32 v64, 0x42c
	v_mov_b32_e32 v65, 0x4c4
	v_sub_f32_e32 v68, v70, v68
	ds_read2_b32 v[126:127], v64 offset1:1
	ds_read2_b32 v[128:129], v65 offset1:1
	ds_read2_b64 v[64:67], v7 offset0:145 offset1:146
	ds_read_b64 v[130:131], v7 offset:1136
	v_pk_mul_f32 v[94:95], v[132:133], v[94:95]
	v_sub_f32_e32 v68, v68, v69
	v_sub_f32_e32 v68, v68, v94
	;; [unrolled: 1-line block ×3, first 2 shown]
	v_pk_mul_f32 v[94:95], v[132:133], v[96:97]
	v_pk_mul_f32 v[96:97], v[132:133], v[98:99]
	;; [unrolled: 1-line block ×3, first 2 shown]
	v_sub_f32_e32 v98, v34, v71
	v_mul_f32_e32 v35, v70, v35
	v_mov_b32_e32 v34, v133
	v_sub_f32_e32 v15, v15, v68
	v_pk_mul_f32 v[4:5], v[34:35], v[4:5]
	v_sub_f32_e32 v30, v30, v31
	v_sub_f32_e32 v15, v15, v69
	s_waitcnt lgkmcnt(0)
	v_pk_mul_f32 v[68:69], v[34:35], v[130:131]
	v_pk_mul_f32 v[70:71], v[34:35], v[82:83]
	v_sub_f32_e32 v4, v137, v4
	v_sub_f32_e32 v30, v30, v84
	;; [unrolled: 1-line block ×3, first 2 shown]
	v_fma_f32 v86, -v133, v86, v143
	v_pk_mul_f32 v[52:53], v[34:35], v[52:53]
	v_sub_f32_e32 v70, v139, v70
	v_pk_mul_f32 v[38:39], v[34:35], v[38:39]
	flat_store_dwordx2 v[36:37], v[34:35] offset:16
	v_sub_f32_e32 v34, v4, v5
	v_sub_f32_e32 v30, v30, v85
	v_fma_f32 v72, -v133, v72, v145
	v_fma_f32 v44, -v133, v44, v146
	v_sub_f32_e32 v52, v140, v52
	v_sub_f32_e32 v38, v138, v38
	;; [unrolled: 1-line block ×4, first 2 shown]
	v_fma_f32 v111, -v35, v87, v86
	ds_read_b64 v[4:5], v7 offset:992
	ds_read2_b64 v[68:71], v7 offset0:143 offset1:144
	v_mul_f32_e32 v87, v34, v6
	v_mov_b32_e32 v86, v35
	v_sub_f32_e32 v30, v30, v94
	v_sub_f32_e32 v99, v38, v39
	;; [unrolled: 1-line block ×3, first 2 shown]
	v_fma_f32 v115, -v35, v73, v72
	v_fma_f32 v130, -v35, v45, v44
	v_mov_b32_e32 v44, 0x434
	v_mov_b32_e32 v52, 0x4cc
	;; [unrolled: 1-line block ×4, first 2 shown]
	v_pk_mul_f32 v[24:25], v[86:87], v[24:25]
	v_sub_f32_e32 v30, v30, v95
	v_fma_f32 v90, -v133, v90, v144
	ds_read2_b32 v[38:39], v38 offset1:1
	ds_read2_b32 v[44:45], v44 offset1:1
	;; [unrolled: 1-line block ×4, first 2 shown]
	ds_read_b64 v[82:83], v7 offset:1304
	v_sub_f32_e32 v24, v30, v24
	v_fma_f32 v17, -v133, v17, v142
	v_fma_f32 v114, -v35, v91, v90
	v_pk_mul_f32 v[34:35], v[86:87], v[128:129]
	v_sub_f32_e32 v24, v24, v25
	v_sub_f32_e32 v6, v17, v34
	v_mul_f32_e32 v25, v24, v93
	v_mov_b32_e32 v24, v87
	v_sub_f32_e32 v6, v6, v35
	s_waitcnt lgkmcnt(0)
	v_pk_mul_f32 v[34:35], v[24:25], v[68:69]
	v_pk_mul_f32 v[68:69], v[24:25], v[76:77]
	;; [unrolled: 1-line block ×3, first 2 shown]
	v_sub_f32_e32 v68, v99, v68
	v_pk_mul_f32 v[30:31], v[24:25], v[82:83]
	v_pk_mul_f32 v[54:55], v[24:25], v[54:55]
	v_sub_f32_e32 v48, v102, v48
	flat_store_dwordx2 v[36:37], v[24:25] offset:24
	v_sub_f32_e32 v24, v68, v69
	v_sub_f32_e32 v76, v48, v49
	v_mul_f32_e32 v49, v24, v18
	v_sub_f32_e32 v18, v20, v21
	v_sub_f32_e32 v18, v18, v100
	v_sub_f32_e32 v18, v18, v101
	v_sub_f32_e32 v18, v18, v96
	v_pk_mul_f32 v[22:23], v[86:87], v[22:23]
	v_sub_f32_e32 v30, v111, v30
	v_sub_f32_e32 v18, v18, v97
	v_fma_f32 v74, -v87, v74, v115
	v_fma_f32 v46, -v87, v46, v130
	v_sub_f32_e32 v34, v110, v34
	v_sub_f32_e32 v54, v103, v54
	;; [unrolled: 1-line block ×3, first 2 shown]
	v_mov_b32_e32 v30, 0x574
	v_mov_b32_e32 v48, v25
	v_sub_f32_e32 v18, v18, v22
	v_sub_f32_e32 v77, v54, v55
	;; [unrolled: 1-line block ×3, first 2 shown]
	v_fma_f32 v74, -v25, v75, v74
	v_fma_f32 v75, -v25, v47, v46
	ds_read2_b32 v[30:31], v30 offset1:1
	ds_read_b64 v[34:35], v7 offset:1312
	ds_read_b64 v[46:47], v7 offset:1472
	v_pk_mul_f32 v[54:55], v[48:49], v[78:79]
	v_sub_f32_e32 v18, v18, v23
	v_pk_mul_f32 v[90:91], v[86:87], v[120:121]
	v_sub_f32_e32 v18, v18, v54
	v_sub_f32_e32 v15, v15, v90
	v_sub_f32_e32 v18, v18, v55
	v_sub_f32_e32 v15, v15, v91
	v_pk_mul_f32 v[68:69], v[48:49], v[122:123]
	v_mul_f32_e32 v19, v18, v19
	v_mov_b32_e32 v18, v49
	v_pk_mul_f32 v[24:25], v[48:49], v[38:39]
	v_pk_mul_f32 v[38:39], v[48:49], v[52:53]
	v_sub_f32_e32 v15, v15, v68
	s_waitcnt lgkmcnt(0)
	v_pk_mul_f32 v[20:21], v[18:19], v[34:35]
	v_pk_mul_f32 v[34:35], v[18:19], v[50:51]
	v_sub_f32_e32 v6, v6, v38
	v_sub_f32_e32 v38, v15, v69
	v_sub_f32_e32 v15, v76, v34
	v_sub_f32_e32 v15, v15, v35
	v_pk_mul_f32 v[88:89], v[86:87], v[88:89]
	v_fma_f32 v82, -v87, v92, v114
	v_mul_f32_e32 v15, v15, v14
	v_mov_b32_e32 v14, v19
	v_sub_f32_e32 v17, v98, v88
	v_sub_f32_e32 v24, v82, v24
	v_pk_mul_f32 v[34:35], v[14:15], v[124:125]
	v_sub_f32_e32 v17, v17, v89
	v_pk_mul_f32 v[52:53], v[48:49], v[126:127]
	v_sub_f32_e32 v6, v6, v39
	v_sub_f32_e32 v39, v24, v25
	v_pk_mul_f32 v[22:23], v[18:19], v[46:47]
	v_pk_mul_f32 v[24:25], v[18:19], v[70:71]
	;; [unrolled: 1-line block ×3, first 2 shown]
	v_sub_f32_e32 v18, v38, v34
	v_sub_f32_e32 v17, v17, v52
	;; [unrolled: 1-line block ×8, first 2 shown]
	v_pk_mul_f32 v[4:5], v[14:15], v[44:45]
	v_sub_f32_e32 v38, v20, v21
	v_pk_mul_f32 v[30:31], v[14:15], v[30:31]
	v_mul_f32_e32 v21, v18, v134
	v_mov_b32_e32 v20, v15
	v_sub_f32_e32 v24, v83, v24
	v_sub_f32_e32 v4, v17, v4
	;; [unrolled: 1-line block ×4, first 2 shown]
	v_pk_mul_f32 v[22:23], v[20:21], v[80:81]
	v_sub_f32_e32 v17, v24, v25
	v_sub_f32_e32 v22, v34, v22
	;; [unrolled: 1-line block ×3, first 2 shown]
	v_pk_mul_f32 v[4:5], v[20:21], v[64:65]
	v_pk_mul_f32 v[24:25], v[14:15], v[72:73]
	v_sub_f32_e32 v4, v17, v4
	v_pk_mul_f32 v[34:35], v[14:15], v[104:105]
	v_sub_f32_e32 v14, v22, v23
	v_sub_f32_e32 v22, v4, v5
	v_mul_f32_e32 v5, v14, v10
	v_mov_b32_e32 v4, v21
	v_pk_mul_f32 v[14:15], v[4:5], v[112:113]
	v_sub_f32_e32 v6, v6, v24
	v_sub_f32_e32 v10, v44, v14
	;; [unrolled: 1-line block ×4, first 2 shown]
	v_pk_mul_f32 v[24:25], v[20:21], v[56:57]
	v_mov_b32_e32 v18, v49
	v_mul_f32_e32 v15, v10, v11
	v_mov_b32_e32 v14, v5
	v_sub_f32_e32 v17, v38, v24
	v_sub_f32_e32 v24, v30, v31
	v_pk_mul_f32 v[30:31], v[20:21], v[60:61]
	flat_store_dwordx4 v[36:37], v[18:21] offset:32
	v_pk_mul_f32 v[10:11], v[14:15], v[66:67]
	v_fma_f32 v13, -v49, v13, v75
	v_pk_mul_f32 v[18:19], v[4:5], v[116:117]
	v_pk_mul_f32 v[20:21], v[4:5], v[118:119]
	v_sub_f32_e32 v30, v39, v30
	v_sub_f32_e32 v6, v6, v18
	;; [unrolled: 1-line block ×8, first 2 shown]
	v_pk_mul_f32 v[18:19], v[14:15], v[58:59]
	v_sub_f32_e32 v24, v20, v21
	v_pk_mul_f32 v[20:21], v[14:15], v[62:63]
	v_sub_f32_e32 v10, v10, v11
	v_sub_f32_e32 v13, v13, v35
	;; [unrolled: 1-line block ×4, first 2 shown]
	v_pk_mul_f32 v[22:23], v[4:5], v[40:41]
	v_mul_f32_e32 v11, v10, v16
	v_mov_b32_e32 v10, v15
	v_sub_f32_e32 v4, v13, v22
	v_sub_f32_e32 v13, v17, v19
	v_pk_mul_f32 v[16:17], v[10:11], v[106:107]
	v_pk_mul_f32 v[18:19], v[10:11], v[108:109]
	v_sub_f32_e32 v6, v6, v16
	v_sub_f32_e32 v6, v6, v17
	v_mul_f32_e32 v17, v6, v135
	v_mov_b32_e32 v16, v11
	v_sub_f32_e32 v14, v14, v21
	v_sub_f32_e32 v18, v24, v18
	v_pk_mul_f32 v[20:21], v[16:17], v[42:43]
	v_sub_f32_e32 v4, v4, v23
	v_sub_f32_e32 v6, v13, v20
	;; [unrolled: 1-line block ×3, first 2 shown]
	v_pk_mul_f32 v[18:19], v[10:11], v[32:33]
	v_pk_mul_f32 v[0:1], v[16:17], v[0:1]
	v_sub_f32_e32 v4, v4, v18
	v_sub_f32_e32 v0, v14, v0
	;; [unrolled: 1-line block ×5, first 2 shown]
	v_mul_f32_e32 v1, v4, v8
	v_mov_b32_e32 v0, v17
	v_mov_b32_e32 v14, v5
	v_pk_mul_f32 v[4:5], v[0:1], v[28:29]
	flat_store_dwordx4 v[36:37], v[14:17] offset:48
	v_sub_f32_e32 v4, v13, v4
	v_sub_f32_e32 v4, v4, v5
	v_mul_f32_e32 v5, v4, v9
	v_mov_b32_e32 v4, v1
	v_pk_mul_f32 v[0:1], v[0:1], v[26:27]
	v_pk_mul_f32 v[2:3], v[4:5], v[2:3]
	v_sub_f32_e32 v0, v10, v0
	v_sub_f32_e32 v2, v6, v2
	;; [unrolled: 1-line block ×3, first 2 shown]
	flat_store_dwordx2 v[36:37], v[4:5] offset:64
	v_mov_b32_e32 v0, 0x634
	ds_read2_b32 v[0:1], v0 offset1:1
	ds_read_b32 v4, v7 offset:1596
	v_sub_f32_e32 v2, v2, v3
	v_mul_f32_e32 v3, v2, v12
	v_mov_b32_e32 v2, v5
	s_waitcnt lgkmcnt(0)
	v_pk_mul_f32 v[0:1], v[2:3], v[0:1]
	s_mov_b32 s0, 20
	v_sub_f32_e32 v0, v6, v0
	v_sub_f32_e32 v0, v0, v1
	v_mul_f32_e32 v1, v0, v4
	v_mov_b32_e32 v0, v3
	flat_store_dwordx2 v[36:37], v[0:1] offset:72
	s_cmp_lt_i32 s0, s17
	s_cbranch_scc1 .LBB22_16
	s_branch .LBB22_29
.LBB22_15:
	s_mov_b32 s0, 0
	s_cmp_lt_i32 s0, s17
	s_cbranch_scc0 .LBB22_29
.LBB22_16:
	s_add_i32 s1, s0, 15
	s_cmp_ge_u32 s1, s17
	s_cbranch_scc1 .LBB22_24
; %bb.17:
	s_lshl_b32 s4, s0, 2
	s_mov_b32 s5, 0
	v_lshl_add_u64 v[4:5], v[36:37], 0, s[4:5]
	flat_load_dwordx4 v[0:3], v[4:5]
	flat_load_dwordx4 v[8:11], v[4:5] offset:16
	flat_load_dwordx4 v[12:15], v[4:5] offset:32
	flat_load_dwordx4 v[22:25], v[4:5] offset:48
	s_andn2_b64 vcc, exec, s[2:3]
	s_waitcnt vmcnt(0) lgkmcnt(0)
	v_pk_mul_f32 v[20:21], s[16:17], v[0:1] op_sel_hi:[0,1]
	v_pk_mul_f32 v[6:7], s[16:17], v[2:3] op_sel_hi:[0,1]
	;; [unrolled: 1-line block ×8, first 2 shown]
	s_cbranch_vccnz .LBB22_19
; %bb.18:
	s_mul_i32 s1, s0, 0x50
	s_mov_b64 s[2:3], 0
	s_branch .LBB22_20
.LBB22_19:
	s_mov_b64 s[2:3], -1
                                        ; implicit-def: $sgpr1
.LBB22_20:
	s_andn2_b64 vcc, exec, s[2:3]
	s_cbranch_vccnz .LBB22_23
; %bb.21:
	s_mul_i32 s1, s0, 0x50
	v_mov_b64_e32 v[22:23], v[36:37]
	s_mov_b32 s2, s0
	s_mov_b32 s3, s1
.LBB22_22:                              ; =>This Inner Loop Header: Depth=1
	flat_load_dwordx4 v[0:3], v[22:23]
	v_mov_b32_e32 v54, s3
	ds_read_b128 v[88:91], v54
	ds_read_b128 v[24:27], v54 offset:80
	ds_read_b128 v[92:95], v54 offset:160
	;; [unrolled: 1-line block ×15, first 2 shown]
	s_waitcnt lgkmcnt(0)
	v_mov_b32_e32 v58, v88
	v_mov_b32_e32 v59, v24
	v_mov_b32_e32 v60, v92
	v_mov_b32_e32 v61, v28
	v_mov_b32_e32 v62, v96
	v_mov_b32_e32 v63, v32
	v_mov_b32_e32 v64, v100
	v_mov_b32_e32 v65, v38
	v_mov_b32_e32 v66, v104
	v_mov_b32_e32 v67, v42
	v_mov_b32_e32 v68, v108
	v_mov_b32_e32 v69, v46
	v_mov_b32_e32 v70, v112
	v_mov_b32_e32 v71, v50
	v_mov_b32_e32 v72, v116
	v_mov_b32_e32 v73, v54
	v_mov_b32_e32 v24, v89
	v_mov_b32_e32 v28, v93
	v_mov_b32_e32 v32, v97
	v_mov_b32_e32 v38, v101
	v_mov_b32_e32 v42, v105
	v_mov_b32_e32 v46, v109
	v_mov_b32_e32 v50, v113
	v_mov_b32_e32 v54, v117
	v_mov_b32_e32 v74, v90
	v_mov_b32_e32 v75, v26
	v_mov_b32_e32 v76, v94
	v_mov_b32_e32 v77, v30
	v_mov_b32_e32 v78, v98
	v_mov_b32_e32 v79, v34
	v_mov_b32_e32 v80, v102
	v_mov_b32_e32 v81, v40
	v_mov_b32_e32 v82, v106
	v_mov_b32_e32 v83, v44
	v_mov_b32_e32 v84, v110
	v_mov_b32_e32 v85, v48
	v_mov_b32_e32 v86, v114
	v_mov_b32_e32 v87, v52
	v_mov_b32_e32 v88, v118
	v_mov_b32_e32 v89, v56
	s_add_i32 s3, s3, 16
	s_add_i32 s2, s2, -4
	v_mov_b32_e32 v26, v91
	v_mov_b32_e32 v30, v95
	;; [unrolled: 1-line block ×8, first 2 shown]
	v_lshl_add_u64 v[22:23], v[22:23], 0, 16
	s_cmp_lg_u32 s2, 0
	s_waitcnt vmcnt(0)
	v_pk_fma_f32 v[20:21], v[0:1], v[58:59], v[20:21] op_sel_hi:[0,1,1] neg_lo:[1,0,0] neg_hi:[1,0,0]
	v_pk_fma_f32 v[6:7], v[0:1], v[60:61], v[6:7] op_sel_hi:[0,1,1] neg_lo:[1,0,0] neg_hi:[1,0,0]
	;; [unrolled: 1-line block ×8, first 2 shown]
	v_pk_fma_f32 v[20:21], v[0:1], v[24:25], v[20:21] op_sel:[1,0,0] neg_lo:[1,0,0] neg_hi:[1,0,0]
	v_pk_fma_f32 v[6:7], v[0:1], v[28:29], v[6:7] op_sel:[1,0,0] neg_lo:[1,0,0] neg_hi:[1,0,0]
	;; [unrolled: 1-line block ×8, first 2 shown]
	v_mov_b32_e32 v58, v3
	v_pk_fma_f32 v[14:15], v[2:3], v[74:75], v[20:21] op_sel_hi:[0,1,1] neg_lo:[1,0,0] neg_hi:[1,0,0]
	v_pk_fma_f32 v[6:7], v[2:3], v[76:77], v[6:7] op_sel_hi:[0,1,1] neg_lo:[1,0,0] neg_hi:[1,0,0]
	;; [unrolled: 1-line block ×16, first 2 shown]
	s_cbranch_scc1 .LBB22_22
.LBB22_23:
	s_add_i32 s1, s4, s1
	v_mov_b32_e32 v73, s1
	s_or_b32 s1, s0, 1
	s_mulk_i32 s1, 0x50
	s_add_i32 s1, s4, s1
	v_mov_b32_e32 v93, s1
	ds_read2_b32 v[2:3], v73 offset1:84
	ds_read_b128 v[22:25], v93 offset:160
	ds_read_b64 v[34:35], v93
	ds_read_b96 v[70:72], v93 offset:80
	ds_read_b96 v[74:76], v93 offset:320
	ds_read_b128 v[26:29], v93 offset:240
	ds_read_b96 v[78:80], v93 offset:480
	ds_read2_b32 v[100:101], v93 offset0:83 offset1:84
	v_add_u32_e32 v0, 0x200, v73
	s_add_i32 s2, s1, 0x47c
	s_waitcnt lgkmcnt(3)
	v_mov_b32_e32 v103, v76
	ds_read2_b32 v[76:77], v73 offset0:105 offset1:147
	ds_read2_b32 v[104:105], v93 offset0:123 offset1:124
	ds_read_b96 v[82:84], v93 offset:640
	s_waitcnt lgkmcnt(4)
	v_mov_b32_e32 v107, v80
	ds_read2_b32 v[80:81], v73 offset0:168 offset1:189
	ds_read_b96 v[86:88], v93 offset:800
	ds_read2_b32 v[108:109], v93 offset0:163 offset1:164
	v_mov_b32_e32 v102, v75
	v_mov_b32_e32 v98, v23
	s_waitcnt lgkmcnt(3)
	v_mov_b32_e32 v111, v84
	ds_read2_b32 v[84:85], v73 offset0:210 offset1:231
	ds_read2_b32 v[112:113], v93 offset0:207 offset1:208
	s_waitcnt lgkmcnt(3)
	v_mov_b32_e32 v115, v88
	ds_read2_b32 v[0:1], v0 offset0:124 offset1:145
	ds_read_b96 v[88:90], v93 offset:1136
	ds_read_b32 v75, v73 offset:1176
	v_mov_b32_e32 v23, s2
	s_add_i32 s2, s1, 0x484
	ds_read2_b32 v[116:117], v23 offset1:1
	v_mov_b32_e32 v23, s2
	s_add_i32 s2, s1, 0x48c
	v_mov_b32_e32 v99, v24
	s_waitcnt lgkmcnt(2)
	v_mov_b32_e32 v119, v90
	ds_read_b96 v[90:92], v93 offset:416
	ds_read_b128 v[30:33], v93 offset:400
	v_mov_b32_e32 v24, s2
	ds_read2_b32 v[120:121], v23 offset1:1
	ds_read2_b32 v[122:123], v24 offset1:1
	ds_read_b128 v[38:41], v93 offset:1120
	ds_read2_b64 v[42:45], v93 offset0:135 offset1:136
	ds_read_b64 v[124:125], v93 offset:880
	ds_read2_b32 v[126:127], v93 offset0:209 offset1:210
	ds_read2_b32 v[128:129], v93 offset0:251 offset1:252
	;; [unrolled: 1-line block ×3, first 2 shown]
	ds_read_b64 v[132:133], v93 offset:920
	ds_read2_b64 v[46:49], v93 offset0:113 offset1:114
	ds_read_b128 v[50:53], v93 offset:1040
	ds_read2_b64 v[54:57], v93 offset0:133 offset1:134
	ds_read2_b64 v[58:61], v93 offset0:93 offset1:94
	ds_read2_b32 v[134:135], v93 offset0:167 offset1:168
	ds_read_b96 v[94:96], v93 offset:960
	ds_read2_b32 v[136:137], v93 offset0:247 offset1:248
	ds_read2_b64 v[62:65], v93 offset0:73 offset1:90
	ds_read_b128 v[66:69], v93 offset:560
	ds_read2_b32 v[138:139], v93 offset0:125 offset1:126
	v_mul_f32_e32 v20, v20, v2
	v_fma_f32 v2, -v20, v34, v21
	v_mul_f32_e32 v21, v2, v35
	v_fma_f32 v24, -v20, v22, v7
	s_waitcnt lgkmcnt(2)
	v_pk_mul_f32 v[22:23], v[20:21], v[64:65]
	v_fma_f32 v7, -v20, v124, v16
	v_sub_f32_e32 v2, v18, v22
	v_fma_f32 v16, -v20, v94, v17
	v_fma_f32 v17, -v20, v50, v14
	;; [unrolled: 1-line block ×3, first 2 shown]
	s_waitcnt lgkmcnt(1)
	v_pk_mul_f32 v[14:15], v[20:21], v[66:67]
	v_fma_f32 v34, -v20, v82, v13
	v_sub_f32_e32 v14, v12, v14
	v_pk_mul_f32 v[12:13], v[20:21], v[30:31]
	v_fma_f32 v78, -v20, v78, v11
	v_sub_f32_e32 v12, v10, v12
	;; [unrolled: 3-line block ×4, first 2 shown]
	flat_store_dwordx2 v[4:5], v[20:21]
	v_sub_f32_e32 v20, v6, v9
	v_mul_f32_e32 v27, v20, v72
	v_mov_b32_e32 v26, v21
	v_mov_b32_e32 v110, v83
	;; [unrolled: 1-line block ×3, first 2 shown]
	v_fma_f32 v70, -v21, v39, v18
	v_pk_mul_f32 v[38:39], v[26:27], v[98:99]
	v_mov_b32_e32 v106, v79
	v_sub_f32_e32 v50, v10, v11
	v_sub_f32_e32 v64, v12, v13
	;; [unrolled: 1-line block ×4, first 2 shown]
	v_fma_f32 v66, -v21, v125, v7
	v_fma_f32 v67, -v21, v95, v16
	;; [unrolled: 1-line block ×3, first 2 shown]
	ds_read2_b32 v[10:11], v93 offset0:165 offset1:166
	ds_read_b64 v[12:13], v93 offset:576
	ds_read2_b32 v[14:15], v93 offset0:203 offset1:204
	ds_read2_b64 v[6:9], v93 offset0:91 offset1:92
	ds_read2_b32 v[16:17], v93 offset0:205 offset1:206
	ds_read2_b32 v[18:19], v93 offset0:243 offset1:244
	ds_read_b64 v[22:23], v93 offset:888
	v_pk_mul_f32 v[20:21], v[26:27], v[114:115]
	v_pk_mul_f32 v[30:31], v[26:27], v[110:111]
	v_sub_f32_e32 v24, v24, v38
	v_sub_f32_e32 v20, v35, v20
	;; [unrolled: 1-line block ×3, first 2 shown]
	v_pk_mul_f32 v[34:35], v[26:27], v[106:107]
	v_sub_f32_e32 v24, v24, v39
	v_pk_mul_f32 v[38:39], v[26:27], v[102:103]
	v_sub_f32_e32 v34, v78, v34
	v_sub_f32_e32 v26, v74, v38
	;; [unrolled: 1-line block ×4, first 2 shown]
	v_mul_f32_e32 v21, v24, v25
	v_mov_b32_e32 v20, v27
	v_sub_f32_e32 v38, v26, v39
	v_sub_f32_e32 v34, v34, v35
	v_fma_f32 v35, -v27, v96, v67
	v_fma_f32 v39, -v27, v52, v51
	;; [unrolled: 1-line block ×3, first 2 shown]
	s_waitcnt lgkmcnt(0)
	v_pk_mul_f32 v[6:7], v[20:21], v[6:7]
	v_pk_mul_f32 v[24:25], v[20:21], v[68:69]
	;; [unrolled: 1-line block ×4, first 2 shown]
	v_sub_f32_e32 v2, v2, v6
	v_sub_f32_e32 v6, v65, v24
	v_sub_f32_e32 v24, v64, v26
	v_sub_f32_e32 v26, v50, v28
	v_pk_mul_f32 v[22:23], v[20:21], v[22:23]
	flat_store_dwordx2 v[4:5], v[20:21] offset:8
	v_sub_f32_e32 v20, v26, v29
	v_sub_f32_e32 v22, v66, v22
	;; [unrolled: 1-line block ×3, first 2 shown]
	v_mul_f32_e32 v3, v20, v3
	v_mov_b32_e32 v2, v21
	v_sub_f32_e32 v32, v24, v27
	v_sub_f32_e32 v33, v6, v25
	;; [unrolled: 1-line block ×3, first 2 shown]
	v_fma_f32 v39, -v21, v53, v39
	v_fma_f32 v40, -v21, v41, v40
	ds_read2_b32 v[22:23], v93 offset0:245 offset1:246
	ds_read_b64 v[24:25], v93 offset:1056
	ds_read_b64 v[26:27], v93 offset:896
	v_pk_mul_f32 v[20:21], v[2:3], v[100:101]
	v_pk_mul_f32 v[6:7], v[2:3], v[14:15]
	v_sub_f32_e32 v20, v38, v20
	v_pk_mul_f32 v[28:29], v[2:3], v[104:105]
	v_pk_mul_f32 v[18:19], v[2:3], v[18:19]
	v_sub_f32_e32 v6, v31, v6
	v_pk_mul_f32 v[14:15], v[2:3], v[108:109]
	v_sub_f32_e32 v2, v34, v28
	v_sub_f32_e32 v20, v20, v21
	;; [unrolled: 1-line block ×4, first 2 shown]
	v_mul_f32_e32 v7, v20, v76
	v_mov_b32_e32 v6, v3
	v_sub_f32_e32 v18, v35, v18
	v_sub_f32_e32 v14, v30, v14
	v_pk_mul_f32 v[20:21], v[6:7], v[90:91]
	v_sub_f32_e32 v28, v14, v15
	s_waitcnt lgkmcnt(0)
	v_pk_mul_f32 v[14:15], v[6:7], v[26:27]
	v_sub_f32_e32 v26, v18, v19
	v_pk_mul_f32 v[18:19], v[6:7], v[24:25]
	v_pk_mul_f32 v[8:9], v[6:7], v[8:9]
	;; [unrolled: 1-line block ×3, first 2 shown]
	v_sub_f32_e32 v6, v32, v20
	v_sub_f32_e32 v6, v6, v21
	v_mul_f32_e32 v21, v6, v92
	v_mov_b32_e32 v20, v7
	v_pk_mul_f32 v[24:25], v[20:21], v[138:139]
	v_sub_f32_e32 v14, v51, v14
	v_sub_f32_e32 v2, v2, v24
	v_pk_mul_f32 v[10:11], v[20:21], v[10:11]
	v_sub_f32_e32 v8, v50, v8
	v_sub_f32_e32 v10, v28, v10
	;; [unrolled: 1-line block ×3, first 2 shown]
	v_pk_mul_f32 v[14:15], v[20:21], v[22:23]
	v_sub_f32_e32 v2, v2, v25
	v_sub_f32_e32 v18, v39, v18
	;; [unrolled: 1-line block ×5, first 2 shown]
	v_mul_f32_e32 v9, v2, v77
	v_mov_b32_e32 v8, v21
	v_mov_b32_e32 v118, v89
	v_sub_f32_e32 v6, v12, v13
	v_pk_mul_f32 v[12:13], v[20:21], v[16:17]
	v_sub_f32_e32 v18, v18, v19
	v_pk_mul_f32 v[16:17], v[8:9], v[62:63]
	;; [unrolled: 2-line block ×3, first 2 shown]
	v_fma_f32 v27, -v3, v88, v40
	v_sub_f32_e32 v2, v6, v16
	v_sub_f32_e32 v14, v18, v14
	v_pk_mul_f32 v[18:19], v[20:21], v[118:119]
	v_sub_f32_e32 v2, v2, v17
	v_sub_f32_e32 v6, v27, v18
	;; [unrolled: 1-line block ×3, first 2 shown]
	v_mov_b32_e32 v6, v3
	v_mul_f32_e32 v3, v2, v80
	v_mov_b32_e32 v2, v9
	v_sub_f32_e32 v16, v10, v11
	flat_store_dwordx4 v[4:5], v[6:9] offset:16
	v_sub_f32_e32 v12, v29, v12
	v_pk_mul_f32 v[10:11], v[8:9], v[58:59]
	v_pk_mul_f32 v[6:7], v[2:3], v[134:135]
	v_sub_f32_e32 v10, v24, v10
	v_sub_f32_e32 v6, v16, v6
	;; [unrolled: 1-line block ×3, first 2 shown]
	v_pk_mul_f32 v[12:13], v[8:9], v[46:47]
	v_sub_f32_e32 v6, v6, v7
	v_sub_f32_e32 v12, v28, v12
	v_sub_f32_e32 v17, v10, v11
	v_pk_mul_f32 v[10:11], v[2:3], v[136:137]
	v_mul_f32_e32 v7, v6, v81
	v_mov_b32_e32 v6, v3
	v_sub_f32_e32 v19, v12, v13
	v_pk_mul_f32 v[8:9], v[2:3], v[112:113]
	v_sub_f32_e32 v10, v23, v10
	v_pk_mul_f32 v[12:13], v[6:7], v[60:61]
	v_sub_f32_e32 v14, v14, v15
	v_sub_f32_e32 v8, v22, v8
	;; [unrolled: 1-line block ×4, first 2 shown]
	v_pk_mul_f32 v[10:11], v[6:7], v[56:57]
	v_sub_f32_e32 v16, v8, v9
	v_pk_mul_f32 v[8:9], v[6:7], v[48:49]
	v_sub_f32_e32 v6, v14, v10
	v_sub_f32_e32 v10, v12, v13
	;; [unrolled: 1-line block ×3, first 2 shown]
	v_pk_mul_f32 v[14:15], v[2:3], v[116:117]
	v_sub_f32_e32 v6, v6, v11
	v_mul_f32_e32 v11, v10, v84
	v_mov_b32_e32 v10, v7
	v_sub_f32_e32 v2, v18, v14
	v_sub_f32_e32 v18, v8, v9
	v_pk_mul_f32 v[8:9], v[10:11], v[126:127]
	v_pk_mul_f32 v[12:13], v[10:11], v[130:131]
	v_sub_f32_e32 v8, v16, v8
	v_sub_f32_e32 v8, v8, v9
	v_mul_f32_e32 v9, v8, v85
	v_mov_b32_e32 v8, v11
	v_sub_f32_e32 v2, v2, v15
	v_sub_f32_e32 v12, v17, v12
	v_pk_mul_f32 v[14:15], v[8:9], v[132:133]
	v_pk_mul_f32 v[16:17], v[10:11], v[120:121]
	v_sub_f32_e32 v14, v18, v14
	v_sub_f32_e32 v2, v2, v16
	;; [unrolled: 1-line block ×3, first 2 shown]
	v_pk_mul_f32 v[12:13], v[8:9], v[42:43]
	v_sub_f32_e32 v10, v2, v17
	v_sub_f32_e32 v2, v14, v15
	v_sub_f32_e32 v12, v6, v12
	v_mov_b32_e32 v6, v3
	v_mul_f32_e32 v3, v2, v0
	v_mov_b32_e32 v2, v9
	flat_store_dwordx4 v[4:5], v[6:9] offset:32
	s_addk_i32 s1, 0x494
	s_add_i32 s0, s0, 16
	v_pk_mul_f32 v[6:7], v[2:3], v[128:129]
	v_sub_f32_e32 v8, v12, v13
	v_sub_f32_e32 v0, v18, v6
	;; [unrolled: 1-line block ×3, first 2 shown]
	v_mul_f32_e32 v1, v0, v1
	v_mov_b32_e32 v0, v3
	v_pk_mul_f32 v[2:3], v[2:3], v[122:123]
	v_pk_mul_f32 v[6:7], v[0:1], v[44:45]
	v_sub_f32_e32 v2, v10, v2
	flat_store_dwordx2 v[4:5], v[0:1] offset:48
	v_mov_b32_e32 v0, s1
	v_sub_f32_e32 v6, v8, v6
	v_sub_f32_e32 v8, v2, v3
	ds_read2_b32 v[2:3], v0 offset1:1
	v_sub_f32_e32 v0, v6, v7
	ds_read_b32 v9, v73 offset:1260
	v_mul_f32_e32 v7, v0, v75
	v_mov_b32_e32 v6, v1
	s_waitcnt lgkmcnt(0)
	v_pk_mul_f32 v[0:1], v[6:7], v[2:3]
	s_nop 0
	v_sub_f32_e32 v0, v8, v0
	v_sub_f32_e32 v0, v0, v1
	v_mul_f32_e32 v1, v0, v9
	v_mov_b32_e32 v0, v7
	flat_store_dwordx2 v[4:5], v[0:1] offset:56
.LBB22_24:
	s_cmp_ge_i32 s0, s17
	s_cbranch_scc1 .LBB22_29
; %bb.25:
	s_mul_i32 s2, s0, 0x50
	s_mov_b32 s1, 0
	s_branch .LBB22_27
.LBB22_26:                              ;   in Loop: Header=BB22_27 Depth=1
	s_mul_i32 s3, s0, 0x54
	v_mov_b32_e32 v2, s3
	ds_read_b32 v2, v2
	s_add_i32 s0, s0, 1
	s_addk_i32 s2, 0x50
	s_cmp_ge_i32 s0, s17
	s_waitcnt lgkmcnt(0)
	v_mul_f32_e32 v2, v4, v2
	flat_store_dword v[0:1], v2
	s_cbranch_scc1 .LBB22_29
.LBB22_27:                              ; =>This Loop Header: Depth=1
                                        ;     Child Loop BB22_28 Depth 2
	v_lshl_add_u64 v[0:1], s[0:1], 2, v[36:37]
	flat_load_dword v4, v[0:1]
	s_cmp_eq_u32 s0, 0
	v_mov_b64_e32 v[2:3], v[36:37]
	s_mov_b32 s3, s0
	s_mov_b32 s4, s2
	s_waitcnt vmcnt(0) lgkmcnt(0)
	v_mul_f32_e32 v4, s16, v4
	s_cbranch_scc1 .LBB22_26
.LBB22_28:                              ;   Parent Loop BB22_27 Depth=1
                                        ; =>  This Inner Loop Header: Depth=2
	flat_load_dword v5, v[2:3]
	v_mov_b32_e32 v6, s4
	ds_read_b32 v6, v6
	s_add_i32 s4, s4, 4
	s_add_i32 s3, s3, -1
	v_lshl_add_u64 v[2:3], v[2:3], 0, 4
	s_cmp_lg_u32 s3, 0
	s_waitcnt vmcnt(0) lgkmcnt(0)
	v_fma_f32 v4, -v5, v6, v4
	s_cbranch_scc1 .LBB22_28
	s_branch .LBB22_26
.LBB22_29:
	s_mov_b64 s[0:1], 0
.LBB22_30:
	s_and_b64 vcc, exec, s[0:1]
	s_cbranch_vccz .LBB22_56
; %bb.31:
	s_add_i32 s20, s17, -1
	s_cmp_gt_i32 s6, 19
	s_mov_b32 s0, -1
	s_cbranch_scc0 .LBB22_33
; %bb.32:
	flat_load_dwordx4 v[16:19], v[36:37] offset:64
	flat_load_dwordx4 v[4:7], v[36:37] offset:48
	;; [unrolled: 1-line block ×4, first 2 shown]
	flat_load_dwordx4 v[8:11], v[36:37]
	v_mov_b32_e32 v166, 0
	v_mov_b32_e32 v22, 0x5e4
	;; [unrolled: 1-line block ×4, first 2 shown]
	ds_read2_b64 v[28:31], v166 offset0:178 offset1:184
	ds_read_b64 v[20:21], v166 offset:1592
	ds_read2_b32 v[22:23], v22 offset1:1
	ds_read2_b32 v[96:97], v24 offset1:1
	;; [unrolled: 1-line block ×3, first 2 shown]
	v_mov_b32_e32 v27, 0x494
	v_mov_b32_e32 v32, 0x61c
	v_mov_b32_e32 v33, 0x57c
	v_mov_b32_e32 v26, 0x58c
	s_movk_i32 s1, 0x400
	v_mov_b32_e32 v35, 0x4dc
	v_mov_b32_e32 v38, 0x43c
	;; [unrolled: 1-line block ×3, first 2 shown]
	ds_read_b96 v[42:44], v166 offset:1584
	ds_read_b96 v[176:178], v166 offset:1568
	ds_read_b64 v[66:67], v166 offset:1336
	ds_read_b96 v[172:174], v166 offset:1392
	ds_read_b32 v71, v166 offset:1332
	ds_read2_b32 v[98:99], v26 offset1:1
	ds_read2_b32 v[56:57], v27 offset1:1
	;; [unrolled: 1-line block ×4, first 2 shown]
	ds_read_b64 v[74:75], v166 offset:1504
	ds_read_b96 v[32:34], v166 offset:1552
	ds_read2_b32 v[52:53], v35 offset1:1
	s_waitcnt lgkmcnt(0)
	v_mov_b32_e32 v27, v22
	v_mov_b32_e32 v68, s16
	v_mov_b32_e32 v40, 0x434
	v_add_u32_e64 v70, s1, 0
	ds_read2_b32 v[34:35], v38 offset1:1
	ds_read2_b32 v[50:51], v39 offset1:1
	;; [unrolled: 1-line block ×3, first 2 shown]
	ds_read_b64 v[80:81], v166 offset:1496
	ds_read_b32 v25, v166 offset:1500
	ds_read_b32 v89, v166 offset:1492
	ds_read_b64 v[84:85], v166 offset:1488
	ds_read_b96 v[178:180], v166 offset:1408
	ds_read_b64 v[106:107], v166 offset:1480
	ds_read_b32 v83, v166 offset:1484
	ds_read_b32 v93, v166 offset:1476
	ds_read_b64 v[78:79], v166 offset:1328
	ds_read_b64 v[76:77], v166 offset:1320
	ds_read_b32 v73, v166 offset:1324
	ds_read_b32 v87, v166 offset:1316
	ds_read2_b32 v[44:45], v70 offset0:134 offset1:138
	ds_read2_b32 v[46:47], v70 offset0:94 offset1:98
	ds_read_b64 v[90:91], v166 offset:1256
	ds_read_b96 v[168:170], v166 offset:1248
	ds_read_b64 v[54:55], v166 offset:1168
	v_mov_b32_e32 v26, v43
	v_mov_b32_e32 v41, v42
	;; [unrolled: 1-line block ×3, first 2 shown]
	s_waitcnt lgkmcnt(0)
	v_mov_b32_e32 v81, v47
	v_mov_b32_e32 v47, v44
	;; [unrolled: 1-line block ×3, first 2 shown]
	ds_read_b32 v77, v166 offset:1240
	ds_read_b64 v[64:65], v166 offset:1088
	ds_read_b32 v53, v166 offset:1164
	ds_read_b64 v[60:61], v166 offset:1160
	ds_read_b32 v51, v166 offset:1156
	ds_read2_b32 v[58:59], v166 offset0:251 offset1:252
	v_mov_b32_e32 v31, v172
	v_mov_b32_e32 v75, v28
	;; [unrolled: 1-line block ×8, first 2 shown]
	s_waitcnt vmcnt(0)
	v_mul_f32_e32 v22, s16, v19
	v_mov_b32_e32 v19, v20
	v_mul_f32_e32 v69, v22, v21
	v_pk_mul_f32 v[18:19], v[68:69], v[18:19]
	v_mov_b32_e32 v40, v16
	v_mov_b32_e32 v44, v6
	;; [unrolled: 1-line block ×4, first 2 shown]
	v_sub_f32_e32 v2, v18, v19
	v_pk_mul_f32 v[108:109], v[68:69], v[40:41]
	v_pk_mul_f32 v[94:95], v[68:69], v[44:45]
	;; [unrolled: 1-line block ×4, first 2 shown]
	v_mul_f32_e32 v68, v2, v23
	v_mov_b32_e32 v100, v69
	v_mov_b32_e32 v101, v68
	v_pk_mul_f32 v[18:19], v[100:101], v[26:27]
	s_waitcnt lgkmcnt(2)
	ds_read_b32 v61, v166 offset:1080
	ds_read_b64 v[46:47], v166 offset:1000
	ds_read_b32 v39, v166 offset:996
	ds_read_b64 v[48:49], v166 offset:920
	ds_read2_b32 v[42:43], v166 offset0:209 offset1:210
	ds_read2_b32 v[40:41], v166 offset0:229 offset1:230
	ds_read_b32 v167, v166 offset:756
	v_fma_f32 v2, s16, v17, -v18
	v_pk_mul_f32 v[16:17], v[100:101], v[24:25]
	flat_store_dwordx2 v[36:37], v[68:69] offset:72
	v_fma_f32 v4, s16, v7, -v16
	v_sub_f32_e32 v2, v2, v19
	v_sub_f32_e32 v4, v4, v17
	ds_read2_b32 v[174:175], v70 offset0:50 offset1:52
	ds_read_b128 v[16:19], v166 offset:1536
	ds_read2_b32 v[170:171], v70 offset0:10 offset1:12
	ds_read_b128 v[20:23], v166 offset:1456
	v_mov_b32_e32 v6, 0x56c
	ds_read2_b32 v[104:105], v6 offset1:1
	ds_read_b128 v[24:27], v166 offset:1520
	s_waitcnt lgkmcnt(0)
	v_mul_f32_e32 v6, v69, v19
	v_mul_f32_e32 v103, v2, v29
	v_mov_b32_e32 v102, v68
	v_fma_f32 v6, s16, v15, -v6
	v_pk_mul_f32 v[136:137], v[102:103], v[80:81]
	v_pk_mul_f32 v[140:141], v[102:103], v[30:31]
	ds_read_b64 v[80:81], v166 offset:992
	ds_read_b96 v[28:30], v166 offset:1040
	v_fma_f32 v35, -v68, v23, v6
	v_pk_mul_f32 v[6:7], v[102:103], v[74:75]
	v_pk_mul_f32 v[74:75], v[102:103], v[106:107]
	s_waitcnt lgkmcnt(0)
	ds_read_b32 v81, v166 offset:912
	ds_read2_b32 v[116:117], v166 offset0:227 offset1:228
	ds_read_b32 v172, v166 offset:672
	ds_read2_b32 v[208:209], v166 offset0:181 offset1:182
	ds_read_b64 v[106:107], v166 offset:720
	ds_read2_b32 v[110:111], v166 offset0:167 offset1:168
	ds_read_b96 v[122:124], v166 offset:1376
	v_mul_f32_e32 v15, v69, v18
	v_fma_f32 v14, s16, v14, -v15
	v_fma_f32 v14, -v68, v22, v14
	v_sub_f32_e32 v2, v108, v109
	s_waitcnt lgkmcnt(0)
	v_fma_f32 v31, -v103, v124, v14
	v_mul_f32_e32 v14, v69, v17
	v_fma_f32 v13, s16, v13, -v14
	v_fma_f32 v13, -v68, v21, v13
	v_fma_f32 v41, -v103, v123, v13
	v_mul_f32_e32 v13, v69, v16
	v_fma_f32 v12, s16, v12, -v13
	v_sub_f32_e32 v2, v2, v6
	v_mov_b32_e32 v6, 0x4cc
	v_fma_f32 v12, -v68, v20, v12
	v_sub_f32_e32 v2, v2, v7
	v_mov_b32_e32 v7, 0x42c
	ds_read_b128 v[118:121], v166 offset:1440
	ds_read2_b32 v[210:211], v166 offset0:222 offset1:226
	ds_read2_b32 v[212:213], v166 offset0:162 offset1:166
	;; [unrolled: 1-line block ×3, first 2 shown]
	ds_read_b32 v176, v166 offset:588
	ds_read2_b32 v[112:113], v166 offset0:161 offset1:162
	ds_read_b64 v[108:109], v166 offset:584
	ds_read_b32 v21, v166 offset:580
	v_fma_f32 v47, -v103, v122, v12
	v_mov_b32_e32 v12, 0x41c
	ds_read2_b32 v[162:163], v6 offset1:1
	ds_read2_b32 v[148:149], v7 offset1:1
	;; [unrolled: 1-line block ×3, first 2 shown]
	s_waitcnt lgkmcnt(0)
	ds_read_b32 v163, v166 offset:1148
	ds_read_b64 v[156:157], v166 offset:1144
	ds_read_b32 v161, v166 offset:1140
	ds_read_b64 v[158:159], v166 offset:1136
	;; [unrolled: 2-line block ×6, first 2 shown]
	ds_read2_b32 v[214:215], v166 offset0:187 offset1:188
	ds_read2_b32 v[216:217], v166 offset0:185 offset1:186
	;; [unrolled: 1-line block ×3, first 2 shown]
	ds_read_b64 v[192:193], v166 offset:1312
	ds_read_b128 v[12:15], v166 offset:1360
	v_mul_f32_e32 v6, v69, v27
	v_mul_f32_e32 v7, v69, v26
	;; [unrolled: 1-line block ×3, first 2 shown]
	v_pk_mul_f32 v[84:85], v[102:103], v[84:85]
	v_mul_f32_e32 v17, v69, v24
	v_fma_f32 v6, s16, v11, -v6
	v_fma_f32 v7, s16, v10, -v7
	;; [unrolled: 1-line block ×3, first 2 shown]
	v_mul_f32_e32 v102, v2, v97
	v_fma_f32 v8, s16, v8, -v17
	v_fma_f32 v6, -v68, v121, v6
	v_fma_f32 v10, -v68, v120, v7
	;; [unrolled: 1-line block ×3, first 2 shown]
	v_mov_b32_e32 v194, v103
	v_mov_b32_e32 v195, v102
	ds_read2_b32 v[24:25], v166 offset0:82 offset1:84
	s_waitcnt lgkmcnt(0)
	v_fma_f32 v15, -v103, v15, v6
	v_fma_f32 v16, -v68, v118, v8
	ds_read_b128 v[6:9], v166 offset:1280
	ds_read_b96 v[198:200], v166 offset:896
	ds_read2_b32 v[144:145], v166 offset0:223 offset1:224
	v_fma_f32 v14, -v103, v14, v10
	v_fma_f32 v13, -v103, v13, v11
	v_pk_mul_f32 v[10:11], v[194:195], v[98:99]
	s_waitcnt lgkmcnt(0)
	ds_read_b96 v[200:202], v166 offset:656
	ds_read2_b32 v[134:135], v166 offset0:163 offset1:164
	v_sub_f32_e32 v2, v4, v10
	ds_read_b96 v[188:190], v166 offset:1216
	ds_read_b32 v178, v166 offset:252
	ds_read2_b32 v[114:115], v166 offset0:83 offset1:84
	ds_read2_b32 v[98:99], v166 offset0:81 offset1:82
	ds_read_b64 v[26:27], v166 offset:248
	v_fma_f32 v12, -v103, v12, v16
	v_sub_f32_e32 v2, v2, v11
	s_waitcnt lgkmcnt(0)
	ds_read_b32 v27, v166 offset:572
	ds_read_b32 v99, v166 offset:564
	ds_read_b64 v[130:131], v166 offset:576
	ds_read_b64 v[128:129], v166 offset:568
	ds_read_b32 v115, v166 offset:412
	ds_read_b32 v190, v166 offset:404
	ds_read_b64 v[120:121], v166 offset:416
	ds_read_b64 v[118:119], v166 offset:408
	ds_read_b32 v191, v166 offset:168
	ds_read_b32 v196, v166 offset:244
	;; [unrolled: 1-line block ×3, first 2 shown]
	ds_read2_b32 v[96:97], v166 offset0:41 offset1:42
	ds_read_b96 v[202:204], v166 offset:496
	v_fma_f32 v4, -v102, v9, v15
	v_fma_f32 v55, -v102, v8, v14
	;; [unrolled: 1-line block ×4, first 2 shown]
	s_waitcnt lgkmcnt(0)
	ds_read_b32 v97, v166 offset:420
	ds_read2_b32 v[132:133], v166 offset0:123 offset1:124
	ds_read2_b32 v[126:127], v166 offset0:121 offset1:122
	ds_read_b64 v[152:153], v166 offset:832
	ds_read_b96 v[18:20], v166 offset:880
	ds_read_b32 v105, v166 offset:1308
	ds_read_b128 v[180:183], v166 offset:1296
	ds_read_b64 v[164:165], v166 offset:1152
	ds_read_b128 v[184:187], v166 offset:1200
	ds_read_b96 v[204:206], v166 offset:1056
	ds_read_b128 v[14:17], v166 offset:1120
	ds_read_b32 v151, v166 offset:972
	ds_read_b128 v[10:13], v166 offset:960
	ds_read_b32 v145, v166 offset:812
	ds_read_b128 v[6:9], v166 offset:800
	flat_store_dwordx2 v[36:37], v[102:103] offset:64
	v_mul_f32_e32 v103, v2, v91
	v_mul_f32_e32 v2, v69, v32
	v_pk_mul_f32 v[32:33], v[100:101], v[88:89]
	s_waitcnt lgkmcnt(0)
	v_fma_f32 v9, -v103, v187, v4
	v_fma_f32 v123, -v103, v184, v68
	v_fma_f32 v20, s16, v5, -v32
	v_pk_mul_f32 v[4:5], v[100:101], v[82:83]
	v_pk_mul_f32 v[68:69], v[100:101], v[92:93]
	v_fma_f32 v0, s16, v0, -v2
	v_fma_f32 v2, s16, v3, -v4
	;; [unrolled: 1-line block ×3, first 2 shown]
	v_fma_f32 v3, -v102, v180, v47
	v_sub_f32_e32 v0, v0, v140
	v_mov_b32_e32 v70, v179
	v_fma_f32 v82, -v103, v188, v3
	v_sub_f32_e32 v3, v20, v33
	v_sub_f32_e32 v2, v2, v5
	;; [unrolled: 1-line block ×4, first 2 shown]
	v_pk_mul_f32 v[0:1], v[194:195], v[70:71]
	v_fma_f32 v91, -v103, v185, v67
	v_sub_f32_e32 v0, v3, v0
	v_sub_f32_e32 v20, v0, v1
	v_pk_mul_f32 v[0:1], v[194:195], v[72:73]
	v_mov_b32_e32 v67, v90
	v_sub_f32_e32 v0, v2, v0
	v_sub_f32_e32 v47, v0, v1
	v_pk_mul_f32 v[0:1], v[194:195], v[86:87]
	v_sub_f32_e32 v2, v94, v95
	v_sub_f32_e32 v0, v4, v0
	;; [unrolled: 1-line block ×3, first 2 shown]
	v_fma_f32 v13, -v103, v186, v55
	v_sub_f32_e32 v55, v0, v1
	v_pk_mul_f32 v[0:1], v[194:195], v[104:105]
	v_sub_f32_e32 v4, v2, v137
	v_pk_mul_f32 v[2:3], v[102:103], v[66:67]
	v_sub_f32_e32 v0, v35, v0
	v_mov_b32_e32 v183, v174
	v_sub_f32_e32 v2, v4, v2
	v_mov_b32_e32 v193, v175
	v_sub_f32_e32 v72, v0, v1
	v_pk_mul_f32 v[0:1], v[102:103], v[182:183]
	v_sub_f32_e32 v4, v2, v3
	v_pk_mul_f32 v[2:3], v[102:103], v[192:193]
	v_sub_f32_e32 v0, v31, v0
	v_sub_f32_e32 v2, v5, v2
	v_mul_f32_e32 v69, v4, v57
	v_mov_b32_e32 v68, v103
	v_fma_f32 v73, -v102, v181, v41
	v_sub_f32_e32 v83, v2, v3
	v_sub_f32_e32 v31, v0, v1
	v_pk_mul_f32 v[66:67], v[102:103], v[76:77]
	ds_read_b32 v35, v166 offset:640
	ds_read_b32 v41, v166 offset:480
	ds_read_b64 v[70:71], v166 offset:560
	ds_read_b64 v[4:5], v166 offset:400
	ds_read_b32 v76, v166 offset:320
	ds_read_b32 v77, v166 offset:160
	ds_read_b64 v[2:3], v166 offset:240
	ds_read_b64 v[0:1], v166 offset:80
	v_mov_b32_e32 v57, v56
	v_mov_b32_e32 v56, v169
	v_pk_mul_f32 v[52:53], v[68:69], v[52:53]
	v_pk_mul_f32 v[56:57], v[68:69], v[56:57]
	s_waitcnt lgkmcnt(0)
	v_sub_f32_e32 v3, v47, v52
	v_mov_b32_e32 v47, v48
	v_sub_f32_e32 v48, v62, v63
	v_sub_f32_e32 v1, v20, v56
	;; [unrolled: 1-line block ×3, first 2 shown]
	v_pk_mul_f32 v[32:33], v[102:103], v[78:79]
	v_sub_f32_e32 v1, v1, v57
	v_pk_mul_f32 v[50:51], v[68:69], v[50:51]
	v_sub_f32_e32 v48, v48, v85
	v_mov_b32_e32 v160, v189
	v_sub_f32_e32 v78, v3, v53
	v_sub_f32_e32 v3, v55, v50
	v_mov_b32_e32 v55, v64
	v_fma_f32 v9, -v69, v17, v9
	v_fma_f32 v13, -v69, v16, v13
	v_mul_f32_e32 v17, v1, v65
	v_mov_b32_e32 v16, v69
	v_sub_f32_e32 v32, v48, v32
	v_pk_mul_f32 v[52:53], v[68:69], v[160:161]
	v_pk_mul_f32 v[54:55], v[16:17], v[54:55]
	v_sub_f32_e32 v32, v32, v33
	v_mov_b32_e32 v165, v171
	v_mov_b32_e32 v157, v170
	;; [unrolled: 1-line block ×3, first 2 shown]
	v_sub_f32_e32 v22, v73, v52
	v_mov_b32_e32 v159, v204
	v_sub_f32_e32 v32, v32, v54
	v_mov_b32_e32 v5, v41
	v_mov_b32_e32 v41, v42
	;; [unrolled: 1-line block ×4, first 2 shown]
	v_sub_f32_e32 v22, v22, v53
	v_fma_f32 v24, -v69, v15, v91
	v_fma_f32 v42, -v69, v14, v123
	v_pk_mul_f32 v[14:15], v[16:17], v[158:159]
	v_pk_mul_f32 v[52:53], v[16:17], v[156:157]
	;; [unrolled: 1-line block ×3, first 2 shown]
	v_sub_f32_e32 v48, v32, v55
	v_sub_f32_e32 v79, v3, v51
	v_mov_b32_e32 v71, v35
	v_mov_b32_e32 v35, v58
	v_pk_mul_f32 v[50:51], v[68:69], v[162:163]
	v_mov_b32_e32 v154, v205
	v_sub_f32_e32 v1, v82, v14
	v_sub_f32_e32 v14, v31, v52
	;; [unrolled: 1-line block ×3, first 2 shown]
	v_fma_f32 v24, -v17, v29, v24
	v_fma_f32 v42, -v17, v28, v42
	v_mul_f32_e32 v29, v48, v59
	v_mov_b32_e32 v28, v17
	v_mov_b32_e32 v107, v6
	v_sub_f32_e32 v6, v72, v50
	v_pk_mul_f32 v[32:33], v[16:17], v[60:61]
	v_sub_f32_e32 v16, v31, v57
	v_fma_f32 v55, -v17, v30, v13
	v_pk_mul_f32 v[30:31], v[28:29], v[154:155]
	v_pk_mul_f32 v[34:35], v[28:29], v[34:35]
	v_sub_f32_e32 v6, v6, v51
	v_sub_f32_e32 v54, v14, v53
	;; [unrolled: 1-line block ×3, first 2 shown]
	v_pk_mul_f32 v[14:15], v[28:29], v[150:151]
	v_sub_f32_e32 v13, v22, v30
	v_pk_mul_f32 v[52:53], v[28:29], v[148:149]
	v_pk_mul_f32 v[38:39], v[28:29], v[38:39]
	v_sub_f32_e32 v22, v78, v34
	v_sub_f32_e32 v9, v9, v14
	;; [unrolled: 1-line block ×5, first 2 shown]
	v_mov_b32_e32 v143, v211
	v_mov_b32_e32 v147, v198
	v_sub_f32_e32 v28, v14, v39
	v_sub_f32_e32 v48, v6, v53
	;; [unrolled: 1-line block ×4, first 2 shown]
	v_mov_b32_e32 v13, v210
	v_mul_f32_e32 v15, v22, v49
	v_mov_b32_e32 v14, v29
	v_fma_f32 v24, -v29, v11, v24
	v_fma_f32 v42, -v29, v10, v42
	v_pk_mul_f32 v[10:11], v[14:15], v[12:13]
	v_pk_mul_f32 v[12:13], v[14:15], v[146:147]
	;; [unrolled: 1-line block ×5, first 2 shown]
	v_sub_f32_e32 v14, v44, v45
	v_sub_f32_e32 v14, v14, v74
	v_sub_f32_e32 v14, v14, v75
	v_sub_f32_e32 v14, v14, v66
	v_sub_f32_e32 v14, v14, v67
	v_sub_f32_e32 v14, v14, v32
	v_sub_f32_e32 v14, v14, v33
	v_sub_f32_e32 v14, v14, v38
	v_sub_f32_e32 v1, v1, v12
	v_sub_f32_e32 v12, v16, v34
	v_sub_f32_e32 v14, v14, v39
	v_sub_f32_e32 v6, v55, v10
	v_sub_f32_e32 v10, v54, v30
	v_sub_f32_e32 v22, v12, v35
	v_sub_f32_e32 v1, v1, v13
	v_mul_f32_e32 v13, v14, v43
	v_mov_b32_e32 v12, v15
	v_sub_f32_e32 v34, v10, v31
	v_sub_f32_e32 v35, v6, v11
	v_pk_mul_f32 v[10:11], v[12:13], v[40:41]
	v_mov_b32_e32 v6, v19
	v_sub_f32_e32 v10, v28, v10
	v_sub_f32_e32 v10, v10, v11
	v_mov_b32_e32 v153, v215
	v_pk_mul_f32 v[6:7], v[12:13], v[6:7]
	v_mov_b32_e32 v14, v13
	v_mov_b32_e32 v16, v29
	v_mul_f32_e32 v11, v10, v167
	v_mov_b32_e32 v10, v13
	v_mov_b32_e32 v138, v199
	v_sub_f32_e32 v6, v24, v6
	v_fma_f32 v24, -v15, v18, v42
	v_pk_mul_f32 v[18:19], v[12:13], v[144:145]
	flat_store_dwordx4 v[36:37], v[14:17] offset:40
	v_sub_f32_e32 v18, v53, v18
	v_pk_mul_f32 v[30:31], v[12:13], v[138:139]
	v_pk_mul_f32 v[14:15], v[10:11], v[152:153]
	v_pk_mul_f32 v[32:33], v[12:13], v[116:117]
	v_sub_f32_e32 v12, v22, v14
	v_mov_b32_e32 v125, v217
	v_mov_b32_e32 v123, v219
	;; [unrolled: 1-line block ×3, first 2 shown]
	v_sub_f32_e32 v18, v18, v19
	v_sub_f32_e32 v19, v6, v7
	;; [unrolled: 1-line block ×3, first 2 shown]
	v_mov_b32_e32 v111, v214
	v_sub_f32_e32 v32, v48, v32
	v_pk_mul_f32 v[16:17], v[10:11], v[124:125]
	v_pk_mul_f32 v[28:29], v[10:11], v[122:123]
	;; [unrolled: 1-line block ×3, first 2 shown]
	v_mul_f32_e32 v10, v6, v172
	v_mov_b32_e32 v135, v218
	v_sub_f32_e32 v14, v32, v33
	v_sub_f32_e32 v16, v34, v16
	v_pk_mul_f32 v[6:7], v[10:11], v[110:111]
	v_mov_b32_e32 v113, v208
	v_sub_f32_e32 v1, v1, v28
	v_sub_f32_e32 v8, v35, v8
	;; [unrolled: 1-line block ×4, first 2 shown]
	v_pk_mul_f32 v[16:17], v[10:11], v[134:135]
	v_sub_f32_e32 v6, v7, v6
	v_sub_f32_e32 v17, v18, v17
	;; [unrolled: 1-line block ×3, first 2 shown]
	v_pk_mul_f32 v[8:9], v[10:11], v[112:113]
	v_mov_b32_e32 v109, v213
	v_sub_f32_e32 v9, v19, v9
	v_mul_f32_e32 v6, v6, v176
	v_mov_b32_e32 v7, v10
	v_sub_f32_e32 v1, v1, v29
	v_sub_f32_e32 v29, v9, v8
	v_pk_mul_f32 v[8:9], v[6:7], v[108:109]
	v_mov_b32_e32 v50, v201
	v_mov_b32_e32 v51, v216
	v_sub_f32_e32 v30, v52, v30
	v_sub_f32_e32 v9, v28, v9
	;; [unrolled: 1-line block ×3, first 2 shown]
	v_pk_mul_f32 v[14:15], v[10:11], v[50:51]
	v_mov_b32_e32 v12, v11
	v_sub_f32_e32 v8, v9, v8
	v_mov_b32_e32 v20, v203
	v_sub_f32_e32 v15, v22, v15
	v_pk_mul_f32 v[12:13], v[12:13], v[106:107]
	v_mul_f32_e32 v8, v8, v23
	v_mov_b32_e32 v9, v6
	v_mov_b32_e32 v129, v212
	v_sub_f32_e32 v13, v24, v13
	v_sub_f32_e32 v19, v15, v14
	;; [unrolled: 1-line block ×3, first 2 shown]
	v_pk_mul_f32 v[16:17], v[8:9], v[20:21]
	v_mov_b32_e32 v131, v200
	v_pk_mul_f32 v[14:15], v[6:7], v[128:129]
	v_sub_f32_e32 v17, v19, v17
	v_sub_f32_e32 v22, v13, v12
	v_pk_mul_f32 v[12:13], v[6:7], v[130:131]
	v_sub_f32_e32 v15, v18, v15
	v_pk_mul_f32 v[18:19], v[6:7], v[70:71]
	v_sub_f32_e32 v6, v17, v16
	v_mov_b32_e32 v121, v202
	v_sub_f32_e32 v1, v1, v13
	v_sub_f32_e32 v7, v22, v19
	flat_store_dwordx4 v[36:37], v[8:11] offset:24
	v_sub_f32_e32 v1, v1, v12
	v_sub_f32_e32 v18, v7, v18
	v_mul_f32_e32 v10, v6, v97
	v_mov_b32_e32 v11, v8
	v_pk_mul_f32 v[6:7], v[10:11], v[120:121]
	v_mov_b32_e32 v127, v99
	v_sub_f32_e32 v1, v1, v7
	v_pk_mul_f32 v[12:13], v[8:9], v[132:133]
	v_sub_f32_e32 v1, v1, v6
	v_sub_f32_e32 v13, v24, v13
	;; [unrolled: 1-line block ×3, first 2 shown]
	v_pk_mul_f32 v[14:15], v[8:9], v[126:127]
	v_pk_mul_f32 v[8:9], v[10:11], v[118:119]
	v_mul_f32_e32 v6, v1, v25
	v_mov_b32_e32 v7, v10
	v_sub_f32_e32 v15, v29, v15
	v_sub_f32_e32 v16, v13, v12
	v_mov_b32_e32 v99, v190
	v_sub_f32_e32 v9, v20, v9
	v_pk_mul_f32 v[12:13], v[6:7], v[114:115]
	v_sub_f32_e32 v14, v15, v14
	v_sub_f32_e32 v1, v16, v13
	v_sub_f32_e32 v13, v9, v8
	v_pk_mul_f32 v[8:9], v[6:7], v[98:99]
	v_pk_mul_f32 v[4:5], v[10:11], v[4:5]
	v_sub_f32_e32 v7, v14, v9
	v_sub_f32_e32 v1, v1, v12
	;; [unrolled: 1-line block ×4, first 2 shown]
	v_mul_f32_e32 v8, v1, v178
	v_mov_b32_e32 v9, v6
	v_sub_f32_e32 v11, v5, v4
	v_pk_mul_f32 v[4:5], v[8:9], v[26:27]
	v_mov_b32_e32 v97, v196
	v_sub_f32_e32 v1, v13, v5
	v_sub_f32_e32 v1, v1, v4
	v_mul_f32_e32 v4, v1, v191
	v_mov_b32_e32 v5, v8
	v_mov_b32_e32 v3, v76
	v_pk_mul_f32 v[12:13], v[4:5], v[96:97]
	v_mov_b32_e32 v102, v69
	v_sub_f32_e32 v1, v7, v13
	v_pk_mul_f32 v[2:3], v[8:9], v[2:3]
	v_mov_b32_e32 v7, v10
	flat_store_dwordx2 v[36:37], v[102:103] offset:56
	v_sub_f32_e32 v3, v11, v3
	flat_store_dwordx4 v[36:37], v[4:7] offset:8
	v_sub_f32_e32 v9, v3, v2
	v_sub_f32_e32 v2, v1, v12
	ds_read_b32 v5, v166
	v_mov_b32_e32 v1, v77
	v_mul_f32_e32 v2, v2, v197
	v_mov_b32_e32 v3, v4
	v_pk_mul_f32 v[0:1], v[2:3], v[0:1]
	s_nop 0
	v_sub_f32_e32 v1, v9, v1
	v_sub_f32_e32 v0, v1, v0
	s_waitcnt lgkmcnt(0)
	v_mul_f32_e32 v0, v0, v5
	v_mov_b32_e32 v1, v2
	flat_store_dwordx2 v[36:37], v[0:1]
	s_cmp_gt_i32 s0, -1
	s_cbranch_scc1 .LBB22_34
	s_branch .LBB22_56
.LBB22_33:
	s_mov_b32 s0, s20
	s_cmp_gt_i32 s0, -1
	s_cbranch_scc0 .LBB22_56
.LBB22_34:
	s_cmp_lt_u32 s0, 15
	s_cbranch_scc1 .LBB22_39
; %bb.35:
	s_mov_b32 s3, 0
	s_mov_b32 s1, s3
	v_lshl_add_u64 v[10:11], s[0:1], 2, v[36:37]
	v_add_co_u32_e32 v0, vcc, -12, v10
	s_cmp_le_i32 s20, s0
	s_nop 0
	v_addc_co_u32_e32 v1, vcc, -1, v11, vcc
	v_add_co_u32_e32 v4, vcc, 0xffffffe4, v10
	flat_load_dwordx4 v[0:3], v[0:1]
	s_nop 0
	v_addc_co_u32_e32 v5, vcc, -1, v11, vcc
	v_add_co_u32_e32 v8, vcc, 0xffffffd4, v10
	flat_load_dwordx4 v[4:7], v[4:5]
	s_nop 0
	v_addc_co_u32_e32 v9, vcc, -1, v11, vcc
	flat_load_dwordx4 v[12:15], v[8:9]
	v_add_co_u32_e32 v8, vcc, 0xffffffc4, v10
	s_waitcnt vmcnt(0) lgkmcnt(0)
	v_pk_mul_f32 v[0:1], s[16:17], v[0:1] op_sel_hi:[0,1]
	v_addc_co_u32_e32 v9, vcc, -1, v11, vcc
	flat_load_dwordx4 v[16:19], v[8:9]
	v_pk_mul_f32 v[2:3], s[16:17], v[2:3] op_sel_hi:[0,1]
	v_pk_mul_f32 v[20:21], s[16:17], v[6:7] op_sel_hi:[0,1]
	;; [unrolled: 1-line block ×3, first 2 shown]
	v_mov_b32_e32 v8, v1
	v_mov_b32_e32 v9, v0
	v_pk_mul_f32 v[0:1], s[16:17], v[14:15] op_sel_hi:[0,1]
	v_pk_mul_f32 v[12:13], s[16:17], v[12:13] op_sel_hi:[0,1]
	v_mov_b32_e32 v40, v3
	v_mov_b32_e32 v41, v2
	;; [unrolled: 1-line block ×10, first 2 shown]
	s_waitcnt vmcnt(0) lgkmcnt(0)
	v_pk_mul_f32 v[14:15], s[16:17], v[18:19] op_sel_hi:[0,1]
	v_pk_mul_f32 v[16:17], s[16:17], v[16:17] op_sel_hi:[0,1]
	v_mov_b32_e32 v30, v15
	v_mov_b32_e32 v31, v14
	;; [unrolled: 1-line block ×4, first 2 shown]
	s_cbranch_scc1 .LBB22_38
; %bb.36:
	s_mul_i32 s1, s17, 0x50
	s_lshl_b32 s2, s0, 2
	s_add_i32 s1, s1, s2
	s_addk_i32 s1, 0xff74
	s_mov_b32 s2, s20
.LBB22_37:                              ; =>This Inner Loop Header: Depth=1
	v_lshl_add_u64 v[12:13], s[2:3], 2, v[36:37]
	flat_load_dword v12, v[12:13]
	v_mov_b32_e32 v13, s1
	ds_read2_b32 v[14:15], v13 offset0:14 offset1:15
	ds_read2_b32 v[16:17], v13 offset0:12 offset1:13
	;; [unrolled: 1-line block ×7, first 2 shown]
	ds_read2_b32 v[28:29], v13 offset1:1
	s_add_i32 s2, s2, -1
	s_addk_i32 s1, 0xffb0
	s_cmp_gt_i32 s2, s0
	s_waitcnt vmcnt(0) lgkmcnt(0)
	v_pk_mul_f32 v[14:15], v[12:13], v[14:15] op_sel_hi:[0,1]
	v_pk_mul_f32 v[16:17], v[12:13], v[16:17] op_sel_hi:[0,1]
	;; [unrolled: 1-line block ×8, first 2 shown]
	v_pk_add_f32 v[40:41], v[40:41], v[14:15] op_sel:[0,1] op_sel_hi:[1,0] neg_lo:[0,1] neg_hi:[0,1]
	v_pk_add_f32 v[8:9], v[8:9], v[16:17] op_sel:[0,1] op_sel_hi:[1,0] neg_lo:[0,1] neg_hi:[0,1]
	v_pk_add_f32 v[6:7], v[6:7], v[18:19] op_sel:[0,1] op_sel_hi:[1,0] neg_lo:[0,1] neg_hi:[0,1]
	v_pk_add_f32 v[4:5], v[4:5], v[20:21] op_sel:[0,1] op_sel_hi:[1,0] neg_lo:[0,1] neg_hi:[0,1]
	v_pk_add_f32 v[2:3], v[2:3], v[22:23] op_sel:[0,1] op_sel_hi:[1,0] neg_lo:[0,1] neg_hi:[0,1]
	v_pk_add_f32 v[0:1], v[0:1], v[24:25] op_sel:[0,1] op_sel_hi:[1,0] neg_lo:[0,1] neg_hi:[0,1]
	v_pk_add_f32 v[30:31], v[30:31], v[26:27] op_sel:[0,1] op_sel_hi:[1,0] neg_lo:[0,1] neg_hi:[0,1]
	v_pk_add_f32 v[32:33], v[32:33], v[12:13] op_sel:[0,1] op_sel_hi:[1,0] neg_lo:[0,1] neg_hi:[0,1]
	s_cbranch_scc1 .LBB22_37
.LBB22_38:
	s_add_i32 s2, s0, -1
	s_mul_i32 s24, s0, 0x50
	s_lshl_b32 s1, s2, 2
	s_add_i32 s13, s24, 0xffffffb0
	s_add_i32 s3, s1, s24
	;; [unrolled: 1-line block ×3, first 2 shown]
	s_add_i32 s10, s0, -3
	v_mov_b32_e32 v13, s1
	s_lshl_b32 s1, s10, 2
	s_add_i32 s4, s1, s24
	s_add_i32 s21, s24, 0xffffff60
	;; [unrolled: 1-line block ×3, first 2 shown]
	v_mov_b32_e32 v14, s4
	s_add_i32 s4, s1, s13
	s_add_i32 s9, s1, s21
	;; [unrolled: 1-line block ×3, first 2 shown]
	s_add_i32 s6, s0, -5
	v_mov_b32_e32 v46, s1
	s_lshl_b32 s1, s6, 2
	v_mov_b32_e32 v12, s3
	v_mov_b32_e32 v15, s4
	s_add_i32 s4, s1, s21
	ds_read2_b32 v[42:43], v12 offset1:1
	ds_read_b32 v66, v13
	ds_read2_b32 v[38:39], v14 offset1:1
	ds_read2_b32 v[26:27], v15 offset1:1
	v_mov_b32_e32 v12, s4
	s_add_i32 s4, s1, s23
	s_add_i32 s26, s24, 0xfffffec0
	s_mov_b32 s3, 0
	v_mov_b32_e32 v13, s4
	s_add_i32 s4, s1, s26
	s_add_i32 s8, s0, -9
	v_lshl_add_u64 v[34:35], s[2:3], 2, v[36:37]
	s_add_i32 s2, s0, -2
	v_mov_b32_e32 v14, s4
	s_add_i32 s33, s24, 0xfffffe70
	s_add_i32 s4, s0, -7
	s_lshl_b32 s7, s8, 2
	v_lshl_add_u64 v[28:29], s[2:3], 2, v[36:37]
	s_add_i32 s2, s0, -4
	s_add_i32 s15, s1, s24
	s_add_i32 s19, s1, s13
	;; [unrolled: 1-line block ×3, first 2 shown]
	s_lshl_b32 s31, s4, 2
	s_add_i32 s11, s7, s21
	v_lshl_add_u64 v[18:19], s[2:3], 2, v[36:37]
	v_mov_b32_e32 v15, s1
	s_add_i32 s2, s0, -6
	s_add_i32 s1, s31, s21
	s_add_i32 s38, s24, 0xfffffe20
	v_mov_b32_e32 v49, s11
	s_add_i32 s11, s7, s26
	ds_read2_b32 v[104:105], v12 offset1:1
	ds_read2_b32 v[22:23], v13 offset1:1
	;; [unrolled: 1-line block ×3, first 2 shown]
	ds_read_b32 v95, v15
	v_mov_b32_e32 v47, s1
	s_add_i32 s1, s31, s26
	v_lshl_add_u64 v[16:17], s[2:3], 2, v[36:37]
	s_add_i32 s2, s0, -8
	s_add_i32 s35, s7, s24
	s_add_i32 s36, s7, s13
	;; [unrolled: 1-line block ×3, first 2 shown]
	v_mov_b32_e32 v12, s11
	s_add_i32 s11, s7, s33
	s_add_i32 s7, s7, s38
	v_mov_b32_e32 v48, s1
	s_lshl_b32 s1, s2, 2
	s_add_i32 s5, s24, 0xfffffdd0
	v_mov_b32_e32 v14, s7
	s_add_i32 s7, s24, 0xfffffd80
	s_add_i32 s34, s1, s5
	;; [unrolled: 1-line block ×3, first 2 shown]
	v_mov_b32_e32 v15, s1
	v_mov_b32_e32 v13, s11
	ds_read2_b32 v[102:103], v12 offset1:1
	ds_read2_b32 v[20:21], v13 offset1:1
	;; [unrolled: 1-line block ×3, first 2 shown]
	ds_read_b32 v94, v15
	v_lshl_add_u64 v[14:15], s[2:3], 2, v[36:37]
	s_add_i32 s2, s0, -10
	s_add_i32 s12, s0, -11
	s_lshl_b32 s1, s2, 2
	s_lshl_b32 s14, s12, 2
	s_add_i32 s11, s1, s5
	s_add_i32 s18, s14, s13
	v_mov_b32_e32 v50, s11
	s_add_i32 s11, s24, 0xfffffd30
	v_mov_b32_e32 v51, s18
	s_add_i32 s18, s14, s21
	s_add_i32 s22, s24, 0xfffffce0
	v_lshl_add_u64 v[12:13], s[2:3], 2, v[36:37]
	s_add_i32 s2, s0, -12
	s_add_i32 s39, s1, s7
	s_add_i32 s40, s1, s11
	v_mov_b32_e32 v52, s18
	s_add_i32 s18, s14, s23
	s_add_i32 s1, s1, s22
	s_lshl_b32 s45, s2, 2
	v_mov_b32_e32 v53, s18
	s_add_i32 s18, s14, s26
	v_mov_b32_e32 v58, s1
	s_add_i32 s1, s45, s5
	v_mov_b32_e32 v54, s18
	v_mov_b32_e32 v59, s1
	s_add_i32 s1, s45, s11
	s_add_i32 s18, s0, -13
	s_add_i32 s41, s14, s24
	s_add_i32 s46, s14, s33
	;; [unrolled: 1-line block ×3, first 2 shown]
	v_mov_b32_e32 v67, s1
	s_lshl_b32 s1, s18, 2
	v_mov_b32_e32 v55, s14
	s_add_i32 s14, s1, s24
	v_mov_b32_e32 v44, s14
	s_add_i32 s14, s1, s13
	v_mov_b32_e32 v45, s14
	s_add_i32 s14, s1, s21
	v_mov_b32_e32 v56, s14
	s_add_i32 s14, s1, s23
	v_mov_b32_e32 v57, s14
	s_add_i32 s14, s1, s26
	s_waitcnt lgkmcnt(11)
	v_mul_f32_e32 v80, v40, v43
	v_mov_b32_e32 v62, s14
	s_add_i32 s14, s0, -15
	v_fma_f32 v72, -v80, v42, v41
	ds_read2_b32 v[40:41], v44 offset1:1
	ds_read2_b32 v[82:83], v45 offset1:1
	;; [unrolled: 1-line block ×4, first 2 shown]
	s_lshl_b32 s43, s14, 2
	s_add_i32 s47, s43, s24
	s_add_i32 s48, s1, s33
	;; [unrolled: 1-line block ×3, first 2 shown]
	s_waitcnt lgkmcnt(3)
	v_fma_f32 v99, -v80, v41, v30
	v_mov_b32_e32 v30, s47
	v_mov_b32_e32 v63, s1
	s_mul_i32 s1, s0, 0x54
	v_fma_f32 v130, -v80, v40, v31
	ds_read2_b32 v[44:45], v30 offset1:1
	v_lshl_add_u64 v[30:31], s[2:3], 2, v[36:37]
	s_add_i32 s2, s0, -14
	s_add_i32 s25, s24, 0xfffffc90
	s_add_i32 s47, s1, 0xfffffc10
	s_lshl_b32 s49, s2, 2
	v_mov_b32_e32 v68, s47
	s_add_i32 s47, s49, s25
	s_add_i32 s27, s31, s24
	v_mov_b32_e32 v40, s47
	s_add_i32 s47, s24, 0xfffffc40
	s_addk_i32 s24, 0xfbf0
	s_add_i32 s50, s49, s47
	s_add_i32 s51, s49, s24
	;; [unrolled: 1-line block ×6, first 2 shown]
	v_mov_b32_e32 v41, s50
	v_mov_b32_e32 v42, s51
	s_add_i32 s38, s43, s38
	ds_read2_b32 v[106:107], v40 offset1:1
	ds_read2_b32 v[40:41], v41 offset1:1
	;; [unrolled: 1-line block ×3, first 2 shown]
	s_waitcnt lgkmcnt(3)
	v_fma_f32 v132, -v80, v44, v33
	v_mov_b32_e32 v44, s38
	s_add_i32 s38, s1, 0xfffffb68
	ds_read2_b32 v[138:139], v52 offset1:1
	ds_read2_b32 v[140:141], v54 offset1:1
	;; [unrolled: 1-line block ×4, first 2 shown]
	v_mov_b32_e32 v51, s46
	v_fma_f32 v131, -v80, v45, v32
	s_add_i32 s33, s43, s33
	v_mov_b32_e32 v45, s38
	ds_read2_b32 v[142:143], v55 offset1:1
	ds_read_b32 v98, v58
	ds_read2_b32 v[108:109], v59 offset1:1
	ds_read2_b32 v[60:61], v51 offset1:1
	v_mov_b32_e32 v51, s48
	ds_read2_b32 v[144:145], v62 offset1:1
	ds_read2_b32 v[146:147], v63 offset1:1
	ds_read_b32 v97, v68
	ds_read2_b32 v[58:59], v51 offset1:1
	v_mov_b32_e32 v51, s33
	ds_read2_b32 v[148:149], v44 offset1:1
	ds_read_b32 v96, v45
	ds_read2_b32 v[70:71], v51 offset1:1
	v_mov_b32_e32 v44, s9
	v_mov_b32_e32 v45, s15
	;; [unrolled: 1-line block ×3, first 2 shown]
	ds_read_b32 v133, v46
	ds_read2_b32 v[110:111], v45 offset1:1
	ds_read2_b32 v[112:113], v51 offset1:1
	;; [unrolled: 1-line block ×3, first 2 shown]
	v_mov_b32_e32 v44, s27
	v_mov_b32_e32 v45, s28
	;; [unrolled: 1-line block ×3, first 2 shown]
	ds_read2_b32 v[150:151], v47 offset1:1
	ds_read2_b32 v[116:117], v44 offset1:1
	;; [unrolled: 1-line block ×4, first 2 shown]
	v_mov_b32_e32 v44, s30
	v_mov_b32_e32 v45, s31
	v_mov_b32_e32 v46, s34
	ds_read2_b32 v[152:153], v48 offset1:1
	ds_read2_b32 v[68:69], v44 offset1:1
	;; [unrolled: 1-line block ×4, first 2 shown]
	v_mov_b32_e32 v44, s35
	v_mov_b32_e32 v45, s36
	s_add_i32 s42, s45, s7
	s_add_i32 s44, s45, s22
	;; [unrolled: 1-line block ×4, first 2 shown]
	v_mov_b32_e32 v46, s37
	ds_read2_b32 v[154:155], v49 offset1:1
	ds_read2_b32 v[120:121], v44 offset1:1
	;; [unrolled: 1-line block ×4, first 2 shown]
	v_mov_b32_e32 v44, s39
	v_mov_b32_e32 v45, s40
	;; [unrolled: 1-line block ×3, first 2 shown]
	s_add_i32 s50, s49, s7
	s_add_i32 s51, s49, s11
	;; [unrolled: 1-line block ×4, first 2 shown]
	v_mov_b32_e32 v46, s41
	ds_read2_b32 v[156:157], v50 offset1:1
	ds_read2_b32 v[52:53], v44 offset1:1
	;; [unrolled: 1-line block ×4, first 2 shown]
	v_mov_b32_e32 v50, s42
	v_mov_b32_e32 v44, s44
	v_mov_b32_e32 v45, s45
	v_mov_b32_e32 v33, s51
	s_add_i32 s21, s43, s21
	s_add_i32 s23, s43, s23
	;; [unrolled: 1-line block ×3, first 2 shown]
	ds_read2_b32 v[158:159], v67 offset1:1
	ds_read2_b32 v[46:47], v44 offset1:1
	;; [unrolled: 1-line block ×4, first 2 shown]
	v_mov_b32_e32 v50, s50
	v_mov_b32_e32 v51, s49
	;; [unrolled: 1-line block ×3, first 2 shown]
	s_add_i32 s5, s43, s5
	ds_read2_b32 v[160:161], v32 offset1:1
	ds_read2_b32 v[162:163], v33 offset1:1
	;; [unrolled: 1-line block ×4, first 2 shown]
	v_mov_b32_e32 v73, s21
	v_mov_b32_e32 v78, s23
	;; [unrolled: 1-line block ×3, first 2 shown]
	ds_read2_b32 v[126:127], v67 offset1:1
	ds_read2_b32 v[128:129], v73 offset1:1
	;; [unrolled: 1-line block ×4, first 2 shown]
	flat_store_dword v[10:11], v80
	s_add_i32 s7, s43, s7
	v_mov_b32_e32 v10, s5
	s_add_i32 s5, s43, s11
	v_mul_f32_e32 v81, v72, v66
	v_mov_b32_e32 v11, s7
	s_add_i32 s7, s43, s22
	v_mov_b32_e32 v66, s5
	s_add_i32 s5, s43, s25
	;; [unrolled: 2-line block ×5, first 2 shown]
	v_mov_b32_e32 v136, s5
	v_mov_b32_e32 v137, s7
	ds_read_b32 v78, v10
	ds_read_b32 v79, v11
	;; [unrolled: 1-line block ×8, first 2 shown]
	flat_store_dword v[34:35], v81
	v_mov_b32_e32 v34, v39
	v_mov_b32_e32 v35, v27
	v_pk_mul_f32 v[34:35], v[80:81], v[34:35]
	v_fma_f32 v9, -v80, v38, v9
	v_sub_f32_e32 v8, v8, v34
	v_sub_f32_e32 v38, v8, v35
	s_waitcnt lgkmcnt(0)
	v_mov_b32_e32 v8, v112
	v_mov_b32_e32 v112, v111
	v_pk_mul_f32 v[34:35], v[80:81], v[112:113]
	v_fma_f32 v39, -v80, v110, v7
	v_sub_f32_e32 v6, v6, v34
	v_sub_f32_e32 v34, v6, v35
	v_mov_b32_e32 v6, v117
	v_mov_b32_e32 v7, v119
	v_pk_mul_f32 v[6:7], v[80:81], v[6:7]
	v_fma_f32 v35, -v80, v116, v5
	v_sub_f32_e32 v4, v4, v6
	v_sub_f32_e32 v6, v4, v7
	;; [unrolled: 6-line block ×4, first 2 shown]
	v_mov_b32_e32 v27, v114
	v_mul_f32_e32 v1, v38, v115
	v_mov_b32_e32 v0, v81
	v_pk_mul_f32 v[2:3], v[0:1], v[26:27]
	v_mov_b32_e32 v119, v150
	v_sub_f32_e32 v2, v9, v2
	v_mov_b32_e32 v9, v104
	v_sub_f32_e32 v26, v2, v3
	v_pk_mul_f32 v[2:3], v[0:1], v[8:9]
	v_mov_b32_e32 v123, v154
	v_sub_f32_e32 v2, v39, v2
	v_sub_f32_e32 v8, v2, v3
	v_pk_mul_f32 v[2:3], v[0:1], v[118:119]
	v_mov_b32_e32 v91, v138
	v_sub_f32_e32 v2, v35, v2
	v_sub_f32_e32 v9, v2, v3
	v_pk_mul_f32 v[2:3], v[0:1], v[122:123]
	v_fma_f32 v83, -v81, v83, v99
	v_sub_f32_e32 v2, v7, v2
	v_sub_f32_e32 v7, v2, v3
	v_pk_mul_f32 v[2:3], v[0:1], v[90:91]
	v_fma_f32 v82, -v81, v82, v130
	v_fma_f32 v99, -v81, v127, v131
	;; [unrolled: 1-line block ×3, first 2 shown]
	v_sub_f32_e32 v0, v5, v2
	s_mov_b32 s11, s3
	flat_store_dword v[28:29], v1
	v_sub_f32_e32 v5, v0, v3
	v_fma_f32 v27, -v1, v129, v99
	v_fma_f32 v28, -v1, v128, v110
	;; [unrolled: 1-line block ×3, first 2 shown]
	v_mul_f32_e32 v3, v26, v133
	v_mov_b32_e32 v2, v1
	v_lshl_add_u64 v[0:1], s[10:11], 2, v[36:37]
	flat_store_dword v[0:1], v3
	v_mov_b32_e32 v0, v105
	v_mov_b32_e32 v1, v23
	v_pk_mul_f32 v[0:1], v[2:3], v[0:1]
	v_mov_b32_e32 v23, v24
	v_sub_f32_e32 v0, v34, v0
	v_sub_f32_e32 v26, v0, v1
	v_mov_b32_e32 v0, v151
	v_mov_b32_e32 v1, v85
	v_pk_mul_f32 v[0:1], v[2:3], v[0:1]
	v_fma_f32 v27, -v3, v93, v27
	v_sub_f32_e32 v0, v6, v0
	v_sub_f32_e32 v6, v0, v1
	v_mov_b32_e32 v0, v155
	v_mov_b32_e32 v1, v87
	v_pk_mul_f32 v[0:1], v[2:3], v[0:1]
	v_mov_b32_e32 v85, v152
	v_sub_f32_e32 v0, v4, v0
	v_sub_f32_e32 v34, v0, v1
	v_mov_b32_e32 v0, v139
	v_mov_b32_e32 v1, v75
	v_pk_mul_f32 v[0:1], v[2:3], v[0:1]
	v_fma_f32 v4, -v3, v92, v28
	v_sub_f32_e32 v0, v80, v0
	v_sub_f32_e32 v35, v0, v1
	v_mov_b32_e32 v0, v65
	v_mov_b32_e32 v1, v57
	v_pk_mul_f32 v[0:1], v[2:3], v[0:1]
	v_mov_b32_e32 v87, v102
	v_sub_f32_e32 v0, v83, v0
	v_sub_f32_e32 v38, v0, v1
	v_mul_f32_e32 v1, v26, v25
	v_mov_b32_e32 v0, v3
	v_pk_mul_f32 v[2:3], v[0:1], v[22:23]
	v_mov_b32_e32 v75, v140
	v_sub_f32_e32 v2, v8, v2
	v_sub_f32_e32 v8, v2, v3
	v_pk_mul_f32 v[2:3], v[0:1], v[84:85]
	v_mov_b32_e32 v57, v144
	v_sub_f32_e32 v2, v9, v2
	v_sub_f32_e32 v24, v2, v3
	v_pk_mul_f32 v[2:3], v[0:1], v[86:87]
	s_mov_b32 s7, s3
	v_sub_f32_e32 v2, v7, v2
	v_sub_f32_e32 v25, v2, v3
	v_pk_mul_f32 v[2:3], v[0:1], v[74:75]
	flat_store_dword v[18:19], v1
	v_sub_f32_e32 v2, v5, v2
	v_sub_f32_e32 v26, v2, v3
	v_pk_mul_f32 v[2:3], v[0:1], v[56:57]
	v_mov_b32_e32 v7, v21
	v_sub_f32_e32 v0, v29, v2
	v_sub_f32_e32 v28, v0, v3
	v_mul_f32_e32 v3, v8, v95
	v_fma_f32 v29, -v1, v88, v4
	v_lshl_add_u64 v[4:5], s[6:7], 2, v[36:37]
	v_mov_b32_e32 v2, v1
	flat_store_dword v[4:5], v3
	v_mov_b32_e32 v4, v153
	v_mov_b32_e32 v5, v69
	v_pk_mul_f32 v[4:5], v[2:3], v[4:5]
	v_mov_b32_e32 v8, v141
	v_sub_f32_e32 v1, v6, v4
	v_mov_b32_e32 v6, v103
	v_sub_f32_e32 v1, v1, v5
	v_mov_b32_e32 v9, v61
	v_pk_mul_f32 v[6:7], v[2:3], v[6:7]
	v_mul_f32_e32 v5, v1, v77
	v_mov_b32_e32 v18, v145
	v_mov_b32_e32 v19, v59
	v_pk_mul_f32 v[8:9], v[2:3], v[8:9]
	v_sub_f32_e32 v1, v34, v6
	v_mov_b32_e32 v0, v70
	v_mov_b32_e32 v70, v89
	v_pk_mul_f32 v[18:19], v[2:3], v[18:19]
	v_sub_f32_e32 v34, v1, v7
	v_sub_f32_e32 v1, v35, v8
	v_mov_b32_e32 v69, v76
	v_pk_mul_f32 v[22:23], v[2:3], v[70:71]
	v_mov_b32_e32 v4, v3
	v_sub_f32_e32 v35, v1, v9
	v_sub_f32_e32 v1, v38, v18
	;; [unrolled: 1-line block ×4, first 2 shown]
	v_pk_mul_f32 v[2:3], v[4:5], v[68:69]
	v_sub_f32_e32 v22, v1, v23
	v_sub_f32_e32 v1, v24, v2
	v_mov_b32_e32 v21, v100
	flat_store_dword v[16:17], v5
	v_sub_f32_e32 v16, v1, v3
	v_pk_mul_f32 v[2:3], v[4:5], v[20:21]
	v_mov_b32_e32 v61, v142
	v_sub_f32_e32 v1, v25, v2
	v_pk_mul_f32 v[6:7], v[4:5], v[60:61]
	v_mov_b32_e32 v59, v146
	v_sub_f32_e32 v24, v1, v3
	v_sub_f32_e32 v1, v26, v6
	v_pk_mul_f32 v[8:9], v[4:5], v[58:59]
	v_sub_f32_e32 v26, v1, v7
	v_sub_f32_e32 v1, v28, v8
	v_mul_f32_e32 v17, v16, v63
	v_mov_b32_e32 v16, v5
	v_mov_b32_e32 v19, v62
	;; [unrolled: 1-line block ×3, first 2 shown]
	v_sub_f32_e32 v27, v1, v9
	v_mov_b32_e32 v1, v148
	v_pk_mul_f32 v[18:19], v[16:17], v[18:19]
	v_pk_mul_f32 v[0:1], v[4:5], v[0:1]
	v_sub_f32_e32 v18, v34, v18
	v_sub_f32_e32 v0, v29, v0
	;; [unrolled: 1-line block ×3, first 2 shown]
	v_mov_b32_e32 v18, v149
	v_mov_b32_e32 v19, v160
	v_sub_f32_e32 v28, v0, v1
	v_mov_b32_e32 v0, v143
	v_mov_b32_e32 v1, v156
	v_pk_mul_f32 v[18:19], v[16:17], v[18:19]
	v_pk_mul_f32 v[0:1], v[16:17], v[0:1]
	v_sub_f32_e32 v18, v22, v18
	s_mov_b32 s5, s3
	v_mul_f32_e32 v21, v20, v94
	v_mov_b32_e32 v20, v17
	v_sub_f32_e32 v0, v35, v0
	v_sub_f32_e32 v35, v18, v19
	v_mov_b32_e32 v18, v52
	v_mov_b32_e32 v52, v157
	v_lshl_add_u64 v[2:3], s[4:5], 2, v[36:37]
	flat_store_dword v[14:15], v21
	v_mov_b32_e32 v14, v54
	v_pk_mul_f32 v[22:23], v[20:21], v[52:53]
	v_mov_b32_e32 v54, v109
	flat_store_dword v[2:3], v17
	v_mov_b32_e32 v2, v147
	v_mov_b32_e32 v3, v108
	v_sub_f32_e32 v22, v24, v22
	v_pk_mul_f32 v[24:25], v[20:21], v[54:55]
	v_pk_mul_f32 v[2:3], v[16:17], v[2:3]
	v_sub_f32_e32 v24, v26, v24
	v_sub_f32_e32 v2, v38, v2
	v_sub_f32_e32 v38, v22, v23
	v_mov_b32_e32 v23, v33
	v_sub_f32_e32 v33, v24, v25
	v_mov_b32_e32 v24, v161
	v_mov_b32_e32 v25, v51
	v_pk_mul_f32 v[24:25], v[20:21], v[24:25]
	v_mov_b32_e32 v19, v48
	v_sub_f32_e32 v24, v27, v24
	v_mul_f32_e32 v27, v38, v49
	v_mov_b32_e32 v26, v21
	s_mov_b32 s9, s3
	v_sub_f32_e32 v29, v0, v1
	v_pk_mul_f32 v[18:19], v[26:27], v[18:19]
	v_lshl_add_u64 v[6:7], s[8:9], 2, v[36:37]
	v_sub_f32_e32 v18, v29, v18
	flat_store_dword v[6:7], v27
	v_sub_f32_e32 v6, v18, v19
	v_mov_b32_e32 v0, v46
	v_mov_b32_e32 v46, v159
	v_mul_f32_e32 v7, v6, v98
	v_mov_b32_e32 v6, v27
	v_pk_mul_f32 v[18:19], v[6:7], v[46:47]
	v_mov_b32_e32 v15, v158
	v_sub_f32_e32 v18, v33, v18
	v_sub_f32_e32 v34, v2, v3
	v_pk_mul_f32 v[14:15], v[26:27], v[14:15]
	v_pk_mul_f32 v[20:21], v[20:21], v[78:79]
	flat_store_dword v[12:13], v7
	v_sub_f32_e32 v12, v18, v19
	v_mov_b32_e32 v1, v44
	v_sub_f32_e32 v14, v34, v14
	v_sub_f32_e32 v20, v28, v20
	v_mul_f32_e32 v13, v12, v45
	v_mov_b32_e32 v12, v7
	v_sub_f32_e32 v20, v20, v21
	v_sub_f32_e32 v21, v14, v15
	v_pk_mul_f32 v[0:1], v[12:13], v[0:1]
	v_mov_b32_e32 v22, v163
	v_sub_f32_e32 v0, v21, v0
	v_sub_f32_e32 v29, v24, v25
	v_pk_mul_f32 v[14:15], v[6:7], v[22:23]
	v_sub_f32_e32 v0, v0, v1
	v_mov_b32_e32 v2, v107
	v_mov_b32_e32 v3, v41
	;; [unrolled: 1-line block ×3, first 2 shown]
	v_sub_f32_e32 v14, v29, v14
	v_mul_f32_e32 v1, v0, v97
	v_mov_b32_e32 v0, v13
	v_pk_mul_f32 v[24:25], v[26:27], v[50:51]
	v_sub_f32_e32 v18, v14, v15
	v_pk_mul_f32 v[2:3], v[0:1], v[2:3]
	v_sub_f32_e32 v24, v35, v24
	v_mov_b32_e32 v33, v106
	v_sub_f32_e32 v2, v18, v2
	s_mov_b32 s13, s3
	v_sub_f32_e32 v22, v24, v25
	v_pk_mul_f32 v[14:15], v[12:13], v[32:33]
	v_pk_mul_f32 v[6:7], v[6:7], v[72:73]
	v_sub_f32_e32 v2, v2, v3
	v_lshl_add_u64 v[8:9], s[12:13], 2, v[36:37]
	v_sub_f32_e32 v12, v22, v14
	v_sub_f32_e32 v6, v20, v6
	v_mul_f32_e32 v3, v2, v43
	v_mov_b32_e32 v2, v1
	v_mov_b32_e32 v41, v42
	v_sub_f32_e32 v14, v6, v7
	flat_store_dword v[8:9], v13
	v_sub_f32_e32 v8, v12, v15
	flat_store_dword v[30:31], v1
	v_pk_mul_f32 v[6:7], v[2:3], v[40:41]
	v_pk_mul_f32 v[0:1], v[0:1], v[66:67]
	v_sub_f32_e32 v2, v8, v6
	v_sub_f32_e32 v0, v14, v0
	s_mov_b32 s19, s3
	v_sub_f32_e32 v6, v0, v1
	v_sub_f32_e32 v0, v2, v7
	v_lshl_add_u64 v[4:5], s[18:19], 2, v[36:37]
	v_lshl_add_u64 v[16:17], s[2:3], 2, v[36:37]
	v_mul_f32_e32 v1, v0, v96
	s_addk_i32 s1, 0xfb14
	flat_store_dword v[4:5], v3
	flat_store_dword v[16:17], v1
	v_mov_b32_e32 v0, s1
	ds_read_b32 v2, v0
	v_mov_b32_e32 v0, v3
	v_pk_mul_f32 v[0:1], v[0:1], v[10:11]
	s_mov_b32 s15, s3
	v_sub_f32_e32 v0, v6, v0
	v_sub_f32_e32 v0, v0, v1
	s_waitcnt lgkmcnt(0)
	v_mul_f32_e32 v2, v0, v2
	v_lshl_add_u64 v[0:1], s[14:15], 2, v[36:37]
	s_add_i32 s0, s0, -16
	flat_store_dword v[0:1], v2
.LBB22_39:
	s_cmp_lt_i32 s0, 0
	s_cbranch_scc1 .LBB22_56
; %bb.40:
	s_and_b32 s1, s0, 3
	s_cmp_eq_u32 s1, 3
	s_mul_i32 s1, s17, 0x50
	s_mov_b32 s2, s0
	s_cbranch_scc1 .LBB22_45
; %bb.41:
	s_add_i32 s2, s0, 1
	s_and_b32 s6, s2, 3
	s_lshl_b32 s2, s0, 2
	s_add_i32 s2, s1, s2
	s_add_i32 s7, s2, 0xffffffb0
	s_mov_b32 s5, 0
	s_mov_b32 s2, s0
	;; [unrolled: 1-line block ×3, first 2 shown]
	s_branch .LBB22_43
.LBB22_42:                              ;   in Loop: Header=BB22_43 Depth=1
	s_mul_i32 s3, s2, 0x54
	v_mov_b32_e32 v1, s3
	ds_read_b32 v1, v1
	s_add_i32 s2, s2, -1
	s_add_i32 s8, s8, 1
	s_add_i32 s7, s7, -4
	s_cmp_lg_u32 s8, s6
	s_waitcnt lgkmcnt(0)
	v_mul_f32_e32 v0, v0, v1
	flat_store_dword v[2:3], v0
	s_cbranch_scc0 .LBB22_45
.LBB22_43:                              ; =>This Loop Header: Depth=1
                                        ;     Child Loop BB22_44 Depth 2
	s_mov_b32 s3, s5
	v_lshl_add_u64 v[2:3], s[2:3], 2, v[36:37]
	flat_load_dword v0, v[2:3]
	s_cmp_le_i32 s20, s2
	s_mov_b32 s3, s7
	s_mov_b32 s4, s20
	s_waitcnt vmcnt(0) lgkmcnt(0)
	v_mul_f32_e32 v0, s16, v0
	s_cbranch_scc1 .LBB22_42
.LBB22_44:                              ;   Parent Loop BB22_43 Depth=1
                                        ; =>  This Inner Loop Header: Depth=2
	v_lshl_add_u64 v[4:5], s[4:5], 2, v[36:37]
	flat_load_dword v1, v[4:5]
	v_mov_b32_e32 v4, s3
	ds_read_b32 v4, v4
	s_add_i32 s4, s4, -1
	s_addk_i32 s3, 0xffb0
	s_cmp_gt_i32 s4, s2
	s_waitcnt vmcnt(0) lgkmcnt(0)
	v_fma_f32 v0, -v1, v4, v0
	s_cbranch_scc1 .LBB22_44
	s_branch .LBB22_42
.LBB22_45:
	s_cmp_lt_u32 s0, 3
	s_cbranch_scc1 .LBB22_56
; %bb.46:
	s_lshl_b32 s0, s2, 2
	s_add_i32 s0, s1, s0
	s_add_i32 s6, s0, 0xffffffb0
	;; [unrolled: 1-line block ×5, first 2 shown]
	s_mov_b32 s1, 0
	s_branch .LBB22_48
.LBB22_47:                              ;   in Loop: Header=BB22_48 Depth=1
	s_add_i32 s0, s3, 0xffffffac
	v_mov_b32_e32 v1, s0
	ds_read_b32 v1, v1
	s_add_i32 s0, s2, -4
	s_add_i32 s6, s6, -16
	;; [unrolled: 1-line block ×5, first 2 shown]
	s_waitcnt lgkmcnt(0)
	v_mul_f32_e32 v0, v0, v1
	s_cmp_lt_i32 s2, 4
	s_mov_b32 s2, s0
	flat_store_dword v[2:3], v0
	s_cbranch_scc1 .LBB22_56
.LBB22_48:                              ; =>This Loop Header: Depth=1
                                        ;     Child Loop BB22_49 Depth 2
                                        ;     Child Loop BB22_51 Depth 2
	;; [unrolled: 1-line block ×4, first 2 shown]
	s_mov_b32 s3, s1
	v_lshl_add_u64 v[4:5], s[2:3], 2, v[36:37]
	flat_load_dword v0, v[4:5]
	s_cmp_le_i32 s20, s2
	s_mov_b32 s3, s6
	s_mov_b32 s0, s20
	s_waitcnt vmcnt(0) lgkmcnt(0)
	v_mul_f32_e32 v0, s16, v0
	s_cbranch_scc1 .LBB22_50
.LBB22_49:                              ;   Parent Loop BB22_48 Depth=1
                                        ; =>  This Inner Loop Header: Depth=2
	v_lshl_add_u64 v[2:3], s[0:1], 2, v[36:37]
	flat_load_dword v1, v[2:3]
	v_mov_b32_e32 v2, s3
	ds_read_b32 v2, v2
	s_add_i32 s0, s0, -1
	s_addk_i32 s3, 0xffb0
	s_cmp_gt_i32 s0, s2
	s_waitcnt vmcnt(0) lgkmcnt(0)
	v_fma_f32 v0, -v1, v2, v0
	s_cbranch_scc1 .LBB22_49
.LBB22_50:                              ;   in Loop: Header=BB22_48 Depth=1
	s_add_i32 s0, s2, -1
	v_lshl_add_u64 v[2:3], s[0:1], 2, v[36:37]
	flat_load_dword v1, v[2:3]
	s_mul_i32 s3, s2, 0x54
	v_mov_b32_e32 v6, s3
	ds_read_b32 v6, v6
	s_mov_b32 s4, s7
	s_cmp_le_i32 s17, s2
	s_mov_b32 s0, s17
	s_waitcnt lgkmcnt(0)
	v_mul_f32_e32 v0, v0, v6
	flat_store_dword v[4:5], v0
	s_waitcnt vmcnt(0)
	v_mul_f32_e32 v0, s16, v1
	s_cbranch_scc1 .LBB22_52
.LBB22_51:                              ;   Parent Loop BB22_48 Depth=1
                                        ; =>  This Inner Loop Header: Depth=2
	s_add_i32 s0, s0, -1
	v_lshl_add_u64 v[4:5], s[0:1], 2, v[36:37]
	flat_load_dword v1, v[4:5]
	v_mov_b32_e32 v4, s4
	ds_read_b32 v4, v4
	s_addk_i32 s4, 0xffb0
	s_cmp_gt_i32 s0, s2
	s_waitcnt vmcnt(0) lgkmcnt(0)
	v_fma_f32 v0, -v1, v4, v0
	s_cbranch_scc1 .LBB22_51
.LBB22_52:                              ;   in Loop: Header=BB22_48 Depth=1
	s_add_i32 s4, s2, -2
	s_mov_b32 s5, s1
	v_lshl_add_u64 v[4:5], s[4:5], 2, v[36:37]
	flat_load_dword v1, v[4:5]
	s_addk_i32 s3, 0xffac
	v_mov_b32_e32 v6, s3
	ds_read_b32 v6, v6
	s_mov_b32 s5, s8
	s_cmp_le_i32 s20, s4
	s_mov_b32 s0, s20
	s_waitcnt lgkmcnt(0)
	v_mul_f32_e32 v0, v0, v6
	flat_store_dword v[2:3], v0
	s_waitcnt vmcnt(0)
	v_mul_f32_e32 v0, s16, v1
	s_cbranch_scc1 .LBB22_54
.LBB22_53:                              ;   Parent Loop BB22_48 Depth=1
                                        ; =>  This Inner Loop Header: Depth=2
	v_lshl_add_u64 v[2:3], s[0:1], 2, v[36:37]
	flat_load_dword v1, v[2:3]
	v_mov_b32_e32 v2, s5
	ds_read_b32 v2, v2
	s_add_i32 s0, s0, -1
	s_addk_i32 s5, 0xffb0
	s_cmp_gt_i32 s0, s4
	s_waitcnt vmcnt(0) lgkmcnt(0)
	v_fma_f32 v0, -v1, v2, v0
	s_cbranch_scc1 .LBB22_53
.LBB22_54:                              ;   in Loop: Header=BB22_48 Depth=1
	s_add_i32 s4, s2, -3
	s_mov_b32 s5, s1
	v_lshl_add_u64 v[2:3], s[4:5], 2, v[36:37]
	flat_load_dword v1, v[2:3]
	s_addk_i32 s3, 0xffac
	v_mov_b32_e32 v6, s3
	ds_read_b32 v6, v6
	s_mov_b32 s5, s9
	s_cmp_le_i32 s20, s4
	s_mov_b32 s0, s20
	s_waitcnt lgkmcnt(0)
	v_mul_f32_e32 v0, v0, v6
	flat_store_dword v[4:5], v0
	s_waitcnt vmcnt(0)
	v_mul_f32_e32 v0, s16, v1
	s_cbranch_scc1 .LBB22_47
.LBB22_55:                              ;   Parent Loop BB22_48 Depth=1
                                        ; =>  This Inner Loop Header: Depth=2
	v_lshl_add_u64 v[4:5], s[0:1], 2, v[36:37]
	flat_load_dword v1, v[4:5]
	v_mov_b32_e32 v4, s5
	ds_read_b32 v4, v4
	s_add_i32 s0, s0, -1
	s_addk_i32 s5, 0xffb0
	s_cmp_gt_i32 s0, s4
	s_waitcnt vmcnt(0) lgkmcnt(0)
	v_fma_f32 v0, -v1, v4, v0
	s_cbranch_scc1 .LBB22_55
	s_branch .LBB22_47
.LBB22_56:
	s_endpgm
	.section	.rodata,"a",@progbits
	.p2align	6, 0x0
	.amdhsa_kernel _ZL30rocblas_trsm_small_left_deviceILi20ELi20ELb0EffPKPKfPKPfEv13rocblas_fill_18rocblas_operation_17rocblas_diagonal_iiT3_T4_lilT5_lili
		.amdhsa_group_segment_fixed_size 1600
		.amdhsa_private_segment_fixed_size 0
		.amdhsa_kernarg_size 352
		.amdhsa_user_sgpr_count 2
		.amdhsa_user_sgpr_dispatch_ptr 0
		.amdhsa_user_sgpr_queue_ptr 0
		.amdhsa_user_sgpr_kernarg_segment_ptr 1
		.amdhsa_user_sgpr_dispatch_id 0
		.amdhsa_user_sgpr_kernarg_preload_length 0
		.amdhsa_user_sgpr_kernarg_preload_offset 0
		.amdhsa_user_sgpr_private_segment_size 0
		.amdhsa_uses_dynamic_stack 0
		.amdhsa_enable_private_segment 0
		.amdhsa_system_sgpr_workgroup_id_x 1
		.amdhsa_system_sgpr_workgroup_id_y 0
		.amdhsa_system_sgpr_workgroup_id_z 1
		.amdhsa_system_sgpr_workgroup_info 0
		.amdhsa_system_vgpr_workitem_id 0
		.amdhsa_next_free_vgpr 220
		.amdhsa_next_free_sgpr 52
		.amdhsa_accum_offset 220
		.amdhsa_reserve_vcc 1
		.amdhsa_float_round_mode_32 0
		.amdhsa_float_round_mode_16_64 0
		.amdhsa_float_denorm_mode_32 3
		.amdhsa_float_denorm_mode_16_64 3
		.amdhsa_dx10_clamp 1
		.amdhsa_ieee_mode 1
		.amdhsa_fp16_overflow 0
		.amdhsa_tg_split 0
		.amdhsa_exception_fp_ieee_invalid_op 0
		.amdhsa_exception_fp_denorm_src 0
		.amdhsa_exception_fp_ieee_div_zero 0
		.amdhsa_exception_fp_ieee_overflow 0
		.amdhsa_exception_fp_ieee_underflow 0
		.amdhsa_exception_fp_ieee_inexact 0
		.amdhsa_exception_int_div_zero 0
	.end_amdhsa_kernel
	.section	.text._ZL30rocblas_trsm_small_left_deviceILi20ELi20ELb0EffPKPKfPKPfEv13rocblas_fill_18rocblas_operation_17rocblas_diagonal_iiT3_T4_lilT5_lili,"axG",@progbits,_ZL30rocblas_trsm_small_left_deviceILi20ELi20ELb0EffPKPKfPKPfEv13rocblas_fill_18rocblas_operation_17rocblas_diagonal_iiT3_T4_lilT5_lili,comdat
.Lfunc_end22:
	.size	_ZL30rocblas_trsm_small_left_deviceILi20ELi20ELb0EffPKPKfPKPfEv13rocblas_fill_18rocblas_operation_17rocblas_diagonal_iiT3_T4_lilT5_lili, .Lfunc_end22-_ZL30rocblas_trsm_small_left_deviceILi20ELi20ELb0EffPKPKfPKPfEv13rocblas_fill_18rocblas_operation_17rocblas_diagonal_iiT3_T4_lilT5_lili
                                        ; -- End function
	.set _ZL30rocblas_trsm_small_left_deviceILi20ELi20ELb0EffPKPKfPKPfEv13rocblas_fill_18rocblas_operation_17rocblas_diagonal_iiT3_T4_lilT5_lili.num_vgpr, 220
	.set _ZL30rocblas_trsm_small_left_deviceILi20ELi20ELb0EffPKPKfPKPfEv13rocblas_fill_18rocblas_operation_17rocblas_diagonal_iiT3_T4_lilT5_lili.num_agpr, 0
	.set _ZL30rocblas_trsm_small_left_deviceILi20ELi20ELb0EffPKPKfPKPfEv13rocblas_fill_18rocblas_operation_17rocblas_diagonal_iiT3_T4_lilT5_lili.numbered_sgpr, 52
	.set _ZL30rocblas_trsm_small_left_deviceILi20ELi20ELb0EffPKPKfPKPfEv13rocblas_fill_18rocblas_operation_17rocblas_diagonal_iiT3_T4_lilT5_lili.num_named_barrier, 0
	.set _ZL30rocblas_trsm_small_left_deviceILi20ELi20ELb0EffPKPKfPKPfEv13rocblas_fill_18rocblas_operation_17rocblas_diagonal_iiT3_T4_lilT5_lili.private_seg_size, 0
	.set _ZL30rocblas_trsm_small_left_deviceILi20ELi20ELb0EffPKPKfPKPfEv13rocblas_fill_18rocblas_operation_17rocblas_diagonal_iiT3_T4_lilT5_lili.uses_vcc, 1
	.set _ZL30rocblas_trsm_small_left_deviceILi20ELi20ELb0EffPKPKfPKPfEv13rocblas_fill_18rocblas_operation_17rocblas_diagonal_iiT3_T4_lilT5_lili.uses_flat_scratch, 0
	.set _ZL30rocblas_trsm_small_left_deviceILi20ELi20ELb0EffPKPKfPKPfEv13rocblas_fill_18rocblas_operation_17rocblas_diagonal_iiT3_T4_lilT5_lili.has_dyn_sized_stack, 0
	.set _ZL30rocblas_trsm_small_left_deviceILi20ELi20ELb0EffPKPKfPKPfEv13rocblas_fill_18rocblas_operation_17rocblas_diagonal_iiT3_T4_lilT5_lili.has_recursion, 0
	.set _ZL30rocblas_trsm_small_left_deviceILi20ELi20ELb0EffPKPKfPKPfEv13rocblas_fill_18rocblas_operation_17rocblas_diagonal_iiT3_T4_lilT5_lili.has_indirect_call, 0
	.section	.AMDGPU.csdata,"",@progbits
; Kernel info:
; codeLenInByte = 14260
; TotalNumSgprs: 58
; NumVgprs: 220
; NumAgprs: 0
; TotalNumVgprs: 220
; ScratchSize: 0
; MemoryBound: 0
; FloatMode: 240
; IeeeMode: 1
; LDSByteSize: 1600 bytes/workgroup (compile time only)
; SGPRBlocks: 7
; VGPRBlocks: 27
; NumSGPRsForWavesPerEU: 58
; NumVGPRsForWavesPerEU: 220
; AccumOffset: 220
; Occupancy: 2
; WaveLimiterHint : 1
; COMPUTE_PGM_RSRC2:SCRATCH_EN: 0
; COMPUTE_PGM_RSRC2:USER_SGPR: 2
; COMPUTE_PGM_RSRC2:TRAP_HANDLER: 0
; COMPUTE_PGM_RSRC2:TGID_X_EN: 1
; COMPUTE_PGM_RSRC2:TGID_Y_EN: 0
; COMPUTE_PGM_RSRC2:TGID_Z_EN: 1
; COMPUTE_PGM_RSRC2:TIDIG_COMP_CNT: 0
; COMPUTE_PGM_RSRC3_GFX90A:ACCUM_OFFSET: 54
; COMPUTE_PGM_RSRC3_GFX90A:TG_SPLIT: 0
	.section	.text._ZL38rocblas_trsm_small_left_device_sharedBILi20ELi20ELb1EffPKPKfPKPfEv13rocblas_fill_18rocblas_operation_17rocblas_diagonal_iiT3_T4_lilT5_lili,"axG",@progbits,_ZL38rocblas_trsm_small_left_device_sharedBILi20ELi20ELb1EffPKPKfPKPfEv13rocblas_fill_18rocblas_operation_17rocblas_diagonal_iiT3_T4_lilT5_lili,comdat
	.globl	_ZL38rocblas_trsm_small_left_device_sharedBILi20ELi20ELb1EffPKPKfPKPfEv13rocblas_fill_18rocblas_operation_17rocblas_diagonal_iiT3_T4_lilT5_lili ; -- Begin function _ZL38rocblas_trsm_small_left_device_sharedBILi20ELi20ELb1EffPKPKfPKPfEv13rocblas_fill_18rocblas_operation_17rocblas_diagonal_iiT3_T4_lilT5_lili
	.p2align	8
	.type	_ZL38rocblas_trsm_small_left_device_sharedBILi20ELi20ELb1EffPKPKfPKPfEv13rocblas_fill_18rocblas_operation_17rocblas_diagonal_iiT3_T4_lilT5_lili,@function
_ZL38rocblas_trsm_small_left_device_sharedBILi20ELi20ELb1EffPKPKfPKPfEv13rocblas_fill_18rocblas_operation_17rocblas_diagonal_iiT3_T4_lilT5_lili: ; @_ZL38rocblas_trsm_small_left_device_sharedBILi20ELi20ELb1EffPKPKfPKPfEv13rocblas_fill_18rocblas_operation_17rocblas_diagonal_iiT3_T4_lilT5_lili
; %bb.0:
	s_load_dwordx4 s[8:11], s[0:1], 0x38
	s_load_dwordx4 s[4:7], s[0:1], 0x4
	s_load_dword s16, s[0:1], 0x14
	s_mov_b32 s20, s3
	s_mov_b32 s21, 0
	s_lshl_b64 s[24:25], s[20:21], 3
	s_waitcnt lgkmcnt(0)
	s_add_u32 s8, s8, s24
	s_addc_u32 s9, s9, s25
	s_load_dwordx2 s[8:9], s[8:9], 0x0
	s_min_i32 s26, s6, 20
	v_cmp_gt_i32_e32 vcc, s26, v0
	s_and_saveexec_b64 s[18:19], vcc
	s_cbranch_execz .LBB23_11
; %bb.1:
	s_load_dwordx4 s[12:15], s[0:1], 0x18
	s_load_dword s22, s[0:1], 0x28
	v_lshlrev_b32_e32 v2, 2, v0
	v_mov_b32_e32 v3, 0
	s_mov_b32 s3, 1
	s_waitcnt lgkmcnt(0)
	s_add_u32 s12, s12, s24
	s_addc_u32 s13, s13, s25
	s_load_dwordx2 s[12:13], s[12:13], 0x0
	s_cmp_lt_u32 s26, 2
	s_cselect_b64 s[28:29], -1, 0
	s_cmp_lg_u32 s22, 1
	s_cselect_b64 s[30:31], -1, 0
	s_or_b64 s[28:29], s[28:29], s[30:31]
	s_mov_b64 s[24:25], -1
	s_and_b64 vcc, exec, s[28:29]
	s_cbranch_vccnz .LBB23_5
; %bb.2:
	s_lshl_b64 s[20:21], s[14:15], 2
	s_waitcnt lgkmcnt(0)
	s_add_u32 s20, s12, s20
	s_addc_u32 s21, s13, s21
	v_lshl_add_u64 v[4:5], s[20:21], 0, v[2:3]
	s_and_b32 s21, s26, -2
	s_mov_b32 s17, 0
	s_mov_b32 s20, s21
.LBB23_3:                               ; =>This Inner Loop Header: Depth=1
	flat_load_dwordx2 v[6:7], v[4:5]
	s_mul_i32 s23, s3, 0x50
	s_mul_i32 s24, s17, 0x50
	s_add_i32 s17, s17, 2
	s_add_i32 s3, s3, 2
	s_add_i32 s20, s20, -2
	v_lshl_add_u64 v[4:5], v[4:5], 0, 8
	v_add_u32_e32 v1, s24, v2
	s_cmp_lg_u32 s20, 0
	v_add_u32_e32 v3, s23, v2
	s_waitcnt vmcnt(0) lgkmcnt(0)
	ds_write_b32 v1, v6
	ds_write_b32 v3, v7
	s_cbranch_scc1 .LBB23_3
; %bb.4:
	s_cmp_lg_u32 s26, s21
	s_cselect_b64 s[24:25], -1, 0
.LBB23_5:
	s_and_b64 vcc, exec, s[24:25]
	s_cbranch_vccz .LBB23_8
; %bb.6:
	s_ashr_i32 s23, s22, 31
	s_mul_hi_u32 s3, s22, s21
	s_mul_i32 s17, s23, s21
	s_add_i32 s25, s3, s17
	s_mul_i32 s24, s22, s21
	s_lshl_b64 s[24:25], s[24:25], 2
	s_lshl_b64 s[14:15], s[14:15], 2
	s_add_u32 s3, s24, s14
	s_addc_u32 s14, s25, s15
	s_waitcnt lgkmcnt(0)
	s_add_u32 s12, s12, s3
	v_mov_b32_e32 v3, 0
	s_addc_u32 s13, s13, s14
	s_mul_i32 s14, s21, 0x50
	v_lshl_add_u64 v[4:5], s[12:13], 0, v[2:3]
	s_lshl_b64 s[12:13], s[22:23], 2
	s_sub_i32 s3, s26, s21
	v_lshl_add_u32 v1, v0, 2, s14
.LBB23_7:                               ; =>This Inner Loop Header: Depth=1
	flat_load_dword v3, v[4:5]
	s_add_i32 s3, s3, -1
	v_lshl_add_u64 v[4:5], v[4:5], 0, s[12:13]
	s_cmp_eq_u32 s3, 0
	s_waitcnt vmcnt(0) lgkmcnt(0)
	ds_write_b32 v1, v3
	v_add_u32_e32 v1, 0x50, v1
	s_cbranch_scc0 .LBB23_7
.LBB23_8:
	v_mul_u32_u24_e32 v1, 0x50, v0
	s_cmpk_lg_i32 s5, 0x84
	v_mov_b32_e32 v3, 1.0
	v_add_u32_e32 v1, v2, v1
	s_cbranch_scc0 .LBB23_10
; %bb.9:
	ds_read_b32 v2, v1
	s_waitcnt lgkmcnt(0)
	v_div_scale_f32 v3, s[12:13], v2, v2, 1.0
	v_rcp_f32_e32 v4, v3
	v_div_scale_f32 v5, vcc, 1.0, v2, 1.0
	v_fma_f32 v6, -v3, v4, 1.0
	v_fmac_f32_e32 v4, v6, v4
	v_mul_f32_e32 v6, v5, v4
	v_fma_f32 v7, -v3, v6, v5
	v_fmac_f32_e32 v6, v7, v4
	v_fma_f32 v3, -v3, v6, v5
	v_div_fmas_f32 v3, v3, v4, v6
	v_div_fixup_f32 v3, v3, v2, 1.0
.LBB23_10:
	ds_write_b32 v1, v3
.LBB23_11:
	s_or_b64 exec, exec, s[18:19]
	s_load_dword s3, s[0:1], 0x60
	s_load_dword s22, s[0:1], 0x48
	s_lshl_b64 s[10:11], s[10:11], 2
	s_mul_i32 s0, s2, 0xffffffec
	s_waitcnt lgkmcnt(0)
	s_ashr_i32 s23, s22, 31
	s_add_u32 s5, s8, s10
	s_addc_u32 s13, s9, s11
	s_add_i32 s3, s3, -1
	s_add_i32 s0, s7, s0
	s_cmp_ge_u32 s2, s3
	s_mul_i32 s2, s2, 20
	s_cselect_b32 s7, s0, 20
	s_mul_hi_i32 s1, s22, s2
	s_mul_i32 s0, s22, s2
	s_ashr_i32 s3, s2, 31
	s_lshl_b64 s[0:1], s[0:1], 2
	s_add_u32 s12, s5, s0
	s_addc_u32 s13, s13, s1
	s_cmp_gt_i32 s6, 0
	v_cmp_gt_i32_e64 s[0:1], s7, v0
	s_cselect_b64 s[14:15], -1, 0
	s_mov_b32 s5, 0
	s_and_b64 s[20:21], s[0:1], s[14:15]
	s_and_saveexec_b64 s[18:19], s[20:21]
	s_cbranch_execz .LBB23_19
; %bb.12:
	s_cmp_lt_i32 s6, 2
	s_mov_b64 s[20:21], -1
	s_cbranch_scc1 .LBB23_16
; %bb.13:
	v_mad_i64_i32 v[2:3], s[20:21], s22, v0, 0
	v_mov_b32_e32 v1, 0x640
	s_and_b32 s5, s26, 30
	v_lshl_add_u64 v[2:3], v[2:3], 2, s[12:13]
	v_lshl_add_u32 v1, v0, 2, v1
	s_mov_b32 s17, s16
	s_mov_b32 s7, 1
	;; [unrolled: 1-line block ×4, first 2 shown]
.LBB23_14:                              ; =>This Inner Loop Header: Depth=1
	flat_load_dwordx2 v[4:5], v[2:3]
	s_mul_i32 s24, s7, 0x50
	s_mul_i32 s25, s20, 0x50
	s_add_i32 s20, s20, 2
	s_add_i32 s7, s7, 2
	s_add_i32 s21, s21, -2
	v_lshl_add_u64 v[2:3], v[2:3], 0, 8
	v_add_u32_e32 v6, s25, v1
	s_cmp_lg_u32 s21, 0
	v_add_u32_e32 v7, s24, v1
	s_waitcnt vmcnt(0) lgkmcnt(0)
	v_pk_mul_f32 v[4:5], s[16:17], v[4:5]
	ds_write_b32 v6, v4
	ds_write_b32 v7, v5
	s_cbranch_scc1 .LBB23_14
; %bb.15:
	s_cmp_lg_u32 s26, s5
	s_cselect_b64 s[20:21], -1, 0
.LBB23_16:
	s_and_b64 vcc, exec, s[20:21]
	s_cbranch_vccz .LBB23_19
; %bb.17:
	s_sub_i32 s7, s26, s5
	s_lshl_b32 s17, s5, 2
	s_add_u32 s17, s8, s17
	s_addc_u32 s21, s9, 0
	s_add_u32 s20, s17, s10
	v_lshlrev_b32_e32 v2, 2, v0
	v_mov_b32_e32 v3, 0
	s_addc_u32 s21, s21, s11
	v_lshl_add_u64 v[4:5], s[2:3], 2, v[2:3]
	v_mov_b64_e32 v[2:3], s[20:21]
	v_mad_u64_u32 v[2:3], s[20:21], v4, s22, v[2:3]
	v_mul_lo_u32 v1, v4, s23
	v_mul_lo_u32 v4, v5, s22
	s_mulk_i32 s5, 0x50
	v_add3_u32 v3, v4, v3, v1
	v_lshl_add_u32 v1, v0, 2, s5
	v_add_u32_e32 v1, 0x640, v1
.LBB23_18:                              ; =>This Inner Loop Header: Depth=1
	flat_load_dword v4, v[2:3]
	s_add_i32 s7, s7, -1
	v_lshl_add_u64 v[2:3], v[2:3], 0, 4
	s_cmp_lg_u32 s7, 0
	s_waitcnt vmcnt(0) lgkmcnt(0)
	v_mul_f32_e32 v4, s16, v4
	ds_write_b32 v1, v4
	v_add_u32_e32 v1, 0x50, v1
	s_cbranch_scc1 .LBB23_18
.LBB23_19:
	s_or_b64 exec, exec, s[18:19]
	v_mov_b32_e32 v1, 0x640
	s_cmpk_eq_i32 s4, 0x6f
	v_lshl_add_u32 v1, v0, 2, v1
	s_mov_b64 s[4:5], -1
	s_waitcnt lgkmcnt(0)
	; wave barrier
	s_cbranch_scc1 .LBB23_42
; %bb.20:
	s_add_i32 s4, s26, -1
	s_cmp_gt_i32 s6, 19
	s_mov_b32 s5, -1
	s_cbranch_scc0 .LBB23_22
; %bb.21:
	v_add_u32_e32 v55, 0x400, v1
	v_add_u32_e32 v54, 0x200, v1
	v_mov_b32_e32 v56, 0
	ds_read2_b32 v[14:15], v55 offset0:104 offset1:124
	ds_read2_b32 v[16:17], v55 offset0:64 offset1:84
	;; [unrolled: 1-line block ×9, first 2 shown]
	ds_read2_b32 v[46:47], v1 offset1:20
	ds_read_b128 v[2:5], v56 offset:1344
	ds_read2_b64 v[6:9], v56 offset0:179 offset1:189
	s_movk_i32 s7, 0x400
	s_movk_i32 s16, 0x200
	v_add_u32_e64 v18, s7, 0
	s_waitcnt lgkmcnt(1)
	v_mov_b32_e32 v36, v3
	v_add_u32_e64 v3, s16, 0
	ds_read2_b32 v[48:49], v18 offset0:59 offset1:101
	ds_read_b128 v[10:13], v56 offset:1264
	v_mov_b32_e32 v37, v4
	ds_read2_b32 v[50:51], v18 offset0:38 offset1:43
	ds_read2_b32 v[26:27], v3 offset0:103 offset1:131
	;; [unrolled: 1-line block ×5, first 2 shown]
	v_mov_b32_e32 v3, 0x49c
	v_mov_b32_e32 v4, 0x3fc
	ds_read_b128 v[18:21], v56 offset:944
	v_mov_b32_e32 v30, 0x4a4
	ds_read_b32 v31, v56 offset:1596
	ds_read2_b32 v[64:65], v3 offset1:1
	ds_read2_b32 v[66:67], v4 offset1:1
	;; [unrolled: 1-line block ×3, first 2 shown]
	v_mov_b32_e32 v3, 0x404
	s_waitcnt lgkmcnt(3)
	v_mul_f32_e32 v73, v15, v31
	ds_read2_b32 v[68:69], v3 offset1:1
	ds_read2_b64 v[58:61], v56 offset0:137 offset1:138
	ds_read_b64 v[70:71], v56 offset:1112
	v_fma_f32 v3, -v73, v9, v14
	v_mul_f32_e32 v72, v3, v8
	v_fma_f32 v57, -v73, v5, v16
	v_pk_mul_f32 v[4:5], v[72:73], v[6:7]
	ds_read2_b32 v[30:31], v56 offset0:147 offset1:179
	v_sub_f32_e32 v3, v17, v5
	v_sub_f32_e32 v3, v3, v4
	ds_read_b64 v[4:5], v56 offset:792
	ds_read2_b64 v[14:17], v56 offset0:97 offset1:98
	v_pk_mul_f32 v[6:7], v[72:73], v[12:13]
	v_fma_f32 v24, -v73, v27, v24
	v_sub_f32_e32 v7, v23, v7
	v_fma_f32 v27, -v73, v45, v28
	v_sub_f32_e32 v28, v7, v6
	v_pk_mul_f32 v[6:7], v[72:73], v[20:21]
	s_waitcnt lgkmcnt(1)
	v_pk_mul_f32 v[4:5], v[72:73], v[4:5]
	v_pk_mul_f32 v[8:9], v[72:73], v[70:71]
	v_sub_f32_e32 v7, v29, v7
	v_sub_f32_e32 v5, v33, v5
	;; [unrolled: 1-line block ×3, first 2 shown]
	v_fma_f32 v25, -v73, v31, v32
	v_sub_f32_e32 v31, v7, v6
	v_sub_f32_e32 v32, v5, v4
	ds_read_b128 v[4:7], v56 offset:624
	v_sub_f32_e32 v29, v9, v8
	v_mul_f32_e32 v8, v3, v49
	v_mov_b32_e32 v9, v72
	v_pk_mul_f32 v[12:13], v[8:9], v[36:37]
	s_waitcnt lgkmcnt(0)
	v_fma_f32 v7, -v73, v7, v35
	v_sub_f32_e32 v3, v57, v13
	v_fma_f32 v22, -v73, v51, v22
	v_sub_f32_e32 v3, v3, v12
	ds_read2_b32 v[12:13], v56 offset0:177 offset1:178
	ds_read2_b32 v[20:21], v56 offset0:175 offset1:176
	v_fma_f32 v33, -v72, v6, v7
	v_pk_mul_f32 v[6:7], v[8:9], v[62:63]
	ds_read2_b32 v[36:37], v56 offset0:126 offset1:139
	v_sub_f32_e32 v7, v22, v7
	v_sub_f32_e32 v45, v7, v6
	v_pk_mul_f32 v[6:7], v[8:9], v[42:43]
	v_pk_mul_f32 v[22:23], v[8:9], v[68:69]
	v_sub_f32_e32 v7, v27, v7
	v_sub_f32_e32 v27, v7, v6
	s_waitcnt lgkmcnt(2)
	v_pk_mul_f32 v[6:7], v[8:9], v[12:13]
	ds_read2_b32 v[12:13], v56 offset0:137 offset1:138
	v_mul_f32_e32 v68, v3, v2
	v_mov_b32_e32 v69, v8
	v_pk_mul_f32 v[2:3], v[68:69], v[10:11]
	v_sub_f32_e32 v23, v24, v23
	v_sub_f32_e32 v3, v28, v3
	;; [unrolled: 1-line block ×4, first 2 shown]
	v_pk_mul_f32 v[2:3], v[68:69], v[16:17]
	v_sub_f32_e32 v7, v25, v7
	s_waitcnt lgkmcnt(1)
	v_fma_f32 v9, -v73, v37, v34
	v_sub_f32_e32 v3, v32, v3
	v_sub_f32_e32 v51, v7, v6
	ds_read2_b32 v[6:7], v56 offset0:135 offset1:136
	s_waitcnt lgkmcnt(1)
	v_fma_f32 v9, -v72, v13, v9
	v_sub_f32_e32 v76, v3, v2
	v_pk_mul_f32 v[2:3], v[68:69], v[4:5]
	ds_read_b64 v[4:5], v56 offset:472
	v_fma_f32 v37, -v8, v12, v9
	v_pk_mul_f32 v[10:11], v[68:69], v[60:61]
	v_pk_mul_f32 v[12:13], v[68:69], v[18:19]
	v_sub_f32_e32 v9, v29, v11
	v_sub_f32_e32 v11, v31, v13
	;; [unrolled: 1-line block ×3, first 2 shown]
	ds_read2_b64 v[60:63], v56 offset0:57 offset1:58
	ds_read2_b32 v[32:33], v56 offset0:63 offset1:99
	v_sub_f32_e32 v31, v9, v10
	v_sub_f32_e32 v57, v11, v12
	ds_read2_b32 v[10:11], v56 offset0:97 offset1:98
	ds_read2_b32 v[70:71], v56 offset0:95 offset1:96
	v_sub_f32_e32 v69, v3, v2
	s_waitcnt lgkmcnt(4)
	v_fma_f32 v2, -v73, v5, v39
	v_fma_f32 v9, -v72, v4, v2
	ds_read_b128 v[2:5], v56 offset:304
	s_waitcnt lgkmcnt(3)
	v_fma_f32 v12, -v73, v33, v38
	s_waitcnt lgkmcnt(2)
	v_fma_f32 v11, -v72, v11, v12
	ds_read2_b32 v[34:35], v56 offset0:42 offset1:59
	v_fma_f32 v23, -v8, v10, v11
	ds_read2_b32 v[10:11], v56 offset0:57 offset1:58
	s_waitcnt lgkmcnt(2)
	v_fma_f32 v5, -v73, v5, v41
	v_fma_f32 v4, -v72, v4, v5
	;; [unrolled: 1-line block ×3, first 2 shown]
	s_waitcnt lgkmcnt(1)
	v_fma_f32 v12, -v73, v35, v40
	v_fma_f32 v33, -v68, v2, v3
	ds_read_b128 v[2:5], v56 offset:256
	s_waitcnt lgkmcnt(1)
	v_fma_f32 v11, -v72, v11, v12
	ds_read_b64 v[12:13], v56 offset:152
	ds_read2_b32 v[38:39], v56 offset0:43 offset1:44
	ds_read2_b32 v[40:41], v56 offset0:45 offset1:46
	;; [unrolled: 1-line block ×4, first 2 shown]
	v_fma_f32 v28, -v8, v10, v11
	ds_write2_b32 v55, v72, v73 offset0:104 offset1:124
	s_waitcnt lgkmcnt(5)
	v_fma_f32 v10, -v73, v13, v47
	v_fma_f32 v29, -v72, v12, v10
	ds_read2_b32 v[10:11], v56 offset0:17 offset1:18
	ds_read2_b32 v[74:75], v56 offset0:15 offset1:16
	s_waitcnt lgkmcnt(3)
	v_fma_f32 v12, -v73, v24, v46
	ds_write2_b32 v55, v68, v8 offset0:64 offset1:84
	v_mov_b32_e32 v73, v68
	s_waitcnt lgkmcnt(2)
	v_fma_f32 v11, -v72, v11, v12
	v_fma_f32 v24, -v8, v10, v11
	ds_read2_b64 v[16:19], v56 offset0:17 offset1:18
	ds_read2_b64 v[10:13], v56 offset0:15 offset1:16
	v_mul_f32_e32 v72, v22, v48
	v_fma_f32 v9, -v8, v63, v9
	v_fma_f32 v35, -v68, v62, v9
	s_waitcnt lgkmcnt(1)
	v_fma_f32 v19, -v8, v19, v29
	v_fma_f32 v63, -v68, v18, v19
	v_pk_mul_f32 v[18:19], v[72:73], v[64:65]
	v_fma_f32 v62, -v68, v71, v23
	v_sub_f32_e32 v19, v45, v19
	v_sub_f32_e32 v45, v19, v18
	v_pk_mul_f32 v[18:19], v[72:73], v[66:67]
	ds_read2_b32 v[8:9], v56 offset0:55 offset1:56
	ds_read2_b32 v[22:23], v56 offset0:53 offset1:54
	v_sub_f32_e32 v19, v49, v19
	v_sub_f32_e32 v65, v19, v18
	v_pk_mul_f32 v[18:19], v[72:73], v[52:53]
	v_mul_f32_e32 v50, v45, v50
	v_sub_f32_e32 v19, v27, v19
	v_sub_f32_e32 v27, v19, v18
	v_pk_mul_f32 v[18:19], v[72:73], v[20:21]
	v_pk_mul_f32 v[6:7], v[72:73], v[6:7]
	v_sub_f32_e32 v19, v51, v19
	v_mov_b32_e32 v51, v72
	v_pk_mul_f32 v[58:59], v[50:51], v[58:59]
	s_waitcnt lgkmcnt(1)
	v_fma_f32 v9, -v68, v9, v28
	v_sub_f32_e32 v7, v37, v7
	ds_write2_b32 v55, v50, v72 offset0:24 offset1:44
	v_sub_f32_e32 v31, v31, v59
	ds_read2_b32 v[28:29], v56 offset0:13 offset1:14
	ds_read2_b32 v[46:47], v56 offset0:213 offset1:214
	;; [unrolled: 1-line block ×3, first 2 shown]
	v_fma_f32 v24, -v68, v75, v24
	v_sub_f32_e32 v68, v19, v18
	v_sub_f32_e32 v37, v7, v6
	v_fma_f32 v64, -v72, v8, v9
	ds_read_b128 v[18:21], v56 offset:288
	ds_read_b128 v[6:9], v56 offset:272
	v_pk_mul_f32 v[52:53], v[50:51], v[60:61]
	v_sub_f32_e32 v31, v31, v58
	ds_read_b128 v[58:61], v56 offset:928
	s_waitcnt lgkmcnt(2)
	v_fma_f32 v21, -v72, v21, v33
	v_fma_f32 v73, -v72, v70, v62
	;; [unrolled: 1-line block ×3, first 2 shown]
	v_pk_mul_f32 v[14:15], v[50:51], v[14:15]
	s_waitcnt lgkmcnt(0)
	v_pk_mul_f32 v[60:61], v[50:51], v[60:61]
	v_sub_f32_e32 v15, v76, v15
	v_sub_f32_e32 v33, v57, v61
	;; [unrolled: 1-line block ×3, first 2 shown]
	ds_read_b128 v[60:63], v56 offset:608
	v_fma_f32 v24, -v72, v74, v24
	v_fma_f32 v45, -v50, v16, v17
	v_sub_f32_e32 v55, v15, v14
	ds_read_b128 v[14:17], v56 offset:592
	ds_read2_b32 v[66:67], v56 offset0:51 offset1:52
	s_waitcnt lgkmcnt(2)
	v_pk_mul_f32 v[62:63], v[50:51], v[62:63]
	v_fma_f32 v72, -v50, v20, v21
	v_sub_f32_e32 v51, v69, v63
	v_sub_f32_e32 v57, v51, v62
	v_fma_f32 v23, -v50, v23, v64
	ds_read_b32 v20, v56 offset:1092
	ds_read_b96 v[62:64], v56 offset:1008
	v_sub_f32_e32 v35, v35, v53
	v_sub_f32_e32 v35, v35, v52
	v_mov_b32_e32 v53, v50
	s_waitcnt lgkmcnt(1)
	v_mul_f32_e32 v52, v31, v20
	s_waitcnt lgkmcnt(0)
	v_mov_b32_e32 v20, v63
	v_mov_b32_e32 v21, v64
	v_pk_mul_f32 v[20:21], v[52:53], v[20:21]
	v_fma_f32 v24, -v50, v29, v24
	v_sub_f32_e32 v21, v65, v21
	v_sub_f32_e32 v29, v21, v20
	v_pk_mul_f32 v[20:21], v[52:53], v[46:47]
	ds_read2_b32 v[50:51], v56 offset0:211 offset1:212
	ds_read2_b32 v[64:65], v56 offset0:171 offset1:172
	v_sub_f32_e32 v21, v27, v21
	v_sub_f32_e32 v27, v21, v20
	v_pk_mul_f32 v[20:21], v[52:53], v[48:49]
	v_fma_f32 v24, -v52, v28, v24
	v_sub_f32_e32 v21, v68, v21
	v_sub_f32_e32 v31, v21, v20
	ds_read2_b32 v[20:21], v56 offset0:133 offset1:134
	ds_read2_b32 v[68:69], v56 offset0:131 offset1:132
	v_mul_f32_e32 v28, v29, v62
	v_mov_b32_e32 v29, v52
	v_pk_mul_f32 v[46:47], v[28:29], v[18:19]
	s_waitcnt lgkmcnt(1)
	v_pk_mul_f32 v[20:21], v[52:53], v[20:21]
	v_fma_f32 v13, -v52, v13, v45
	v_sub_f32_e32 v21, v37, v21
	v_sub_f32_e32 v37, v21, v20
	ds_read2_b32 v[20:21], v56 offset0:93 offset1:94
	ds_read2_b32 v[70:71], v56 offset0:91 offset1:92
	v_fma_f32 v76, -v28, v12, v13
	v_pk_mul_f32 v[48:49], v[28:29], v[60:61]
	s_waitcnt lgkmcnt(1)
	v_pk_mul_f32 v[20:21], v[52:53], v[20:21]
	s_nop 0
	v_sub_f32_e32 v21, v73, v21
	v_sub_f32_e32 v63, v21, v20
	ds_read2_b64 v[18:21], v56 offset0:95 offset1:96
	ds_read_b32 v74, v56 offset:756
	v_fma_f32 v73, -v52, v22, v23
	v_pk_mul_f32 v[22:23], v[28:29], v[58:59]
	ds_write2_b32 v54, v28, v52 offset0:112 offset1:132
	s_waitcnt lgkmcnt(2)
	v_pk_mul_f32 v[20:21], v[28:29], v[20:21]
	v_sub_f32_e32 v23, v33, v23
	v_sub_f32_e32 v21, v55, v21
	;; [unrolled: 1-line block ×4, first 2 shown]
	ds_read2_b64 v[20:23], v56 offset0:55 offset1:56
	v_mul_f32_e32 v52, v33, v26
	v_mov_b32_e32 v53, v28
	v_pk_mul_f32 v[12:13], v[52:53], v[50:51]
	ds_read2_b32 v[54:55], v56 offset0:11 offset1:12
	v_sub_f32_e32 v13, v27, v13
	v_pk_mul_f32 v[26:27], v[52:53], v[64:65]
	s_waitcnt lgkmcnt(1)
	v_pk_mul_f32 v[22:23], v[28:29], v[22:23]
	v_sub_f32_e32 v27, v31, v27
	v_sub_f32_e32 v31, v27, v26
	v_pk_mul_f32 v[26:27], v[52:53], v[68:69]
	v_sub_f32_e32 v23, v35, v23
	v_sub_f32_e32 v27, v37, v27
	;; [unrolled: 1-line block ×5, first 2 shown]
	v_pk_mul_f32 v[26:27], v[52:53], v[66:67]
	v_pk_mul_f32 v[58:59], v[52:53], v[70:71]
	v_sub_f32_e32 v45, v57, v49
	v_sub_f32_e32 v72, v22, v46
	ds_read2_b32 v[46:47], v56 offset0:9 offset1:10
	s_waitcnt lgkmcnt(1)
	v_fma_f32 v55, -v28, v55, v24
	ds_read_b96 v[22:24], v56 offset:672
	ds_read_b32 v29, v56 offset:420
	v_sub_f32_e32 v33, v13, v12
	v_sub_f32_e32 v27, v73, v27
	;; [unrolled: 1-line block ×4, first 2 shown]
	ds_read2_b32 v[50:51], v56 offset0:49 offset1:50
	v_sub_f32_e32 v68, v28, v58
	v_sub_f32_e32 v69, v27, v26
	ds_read_b96 v[26:28], v56 offset:336
	v_mul_f32_e32 v44, v33, v44
	v_mov_b32_e32 v45, v52
	v_pk_mul_f32 v[18:19], v[44:45], v[18:19]
	s_waitcnt lgkmcnt(3)
	v_mov_b32_e32 v64, v23
	v_sub_f32_e32 v19, v75, v19
	v_sub_f32_e32 v23, v19, v18
	v_pk_mul_f32 v[8:9], v[44:45], v[8:9]
	v_mov_b32_e32 v65, v24
	v_mul_f32_e32 v66, v23, v74
	v_mov_b32_e32 v67, v44
	v_sub_f32_e32 v9, v72, v9
	s_waitcnt lgkmcnt(0)
	v_mov_b32_e32 v53, v28
	v_sub_f32_e32 v28, v9, v8
	v_pk_mul_f32 v[8:9], v[66:67], v[64:65]
	ds_read2_b32 v[12:13], v56 offset0:129 offset1:130
	v_sub_f32_e32 v9, v31, v9
	v_pk_mul_f32 v[10:11], v[44:45], v[10:11]
	v_pk_mul_f32 v[20:21], v[44:45], v[20:21]
	;; [unrolled: 1-line block ×3, first 2 shown]
	v_sub_f32_e32 v8, v9, v8
	ds_read2_b32 v[48:49], v56 offset0:89 offset1:90
	ds_read2_b32 v[62:63], v56 offset0:87 offset1:88
	ds_write2_b32 v1, v44, v52 offset0:200 offset1:220
	v_sub_f32_e32 v21, v35, v21
	v_sub_f32_e32 v17, v57, v17
	;; [unrolled: 1-line block ×3, first 2 shown]
	v_mul_f32_e32 v22, v8, v22
	v_mov_b32_e32 v23, v66
	ds_read2_b64 v[58:61], v56 offset0:53 offset1:54
	v_fma_f32 v33, -v52, v54, v55
	ds_read2_b32 v[54:55], v56 offset0:127 offset1:128
	v_mov_b32_e32 v52, v27
	v_sub_f32_e32 v24, v17, v16
	v_sub_f32_e32 v27, v21, v20
	ds_read2_b32 v[18:19], v56 offset0:7 offset1:8
	ds_read2_b32 v[20:21], v56 offset0:5 offset1:6
	;; [unrolled: 1-line block ×3, first 2 shown]
	v_sub_f32_e32 v31, v11, v10
	v_pk_mul_f32 v[64:65], v[22:23], v[14:15]
	ds_read2_b64 v[8:11], v56 offset0:11 offset1:12
	ds_read2_b64 v[14:17], v56 offset0:13 offset1:14
	s_waitcnt lgkmcnt(10)
	v_pk_mul_f32 v[12:13], v[66:67], v[12:13]
	s_waitcnt lgkmcnt(9)
	v_pk_mul_f32 v[48:49], v[66:67], v[48:49]
	v_sub_f32_e32 v13, v37, v13
	v_pk_mul_f32 v[46:47], v[66:67], v[46:47]
	v_sub_f32_e32 v35, v68, v49
	v_sub_f32_e32 v24, v24, v65
	;; [unrolled: 1-line block ×3, first 2 shown]
	s_waitcnt lgkmcnt(6)
	v_pk_mul_f32 v[12:13], v[22:23], v[60:61]
	v_pk_mul_f32 v[6:7], v[22:23], v[6:7]
	s_waitcnt lgkmcnt(0)
	v_pk_mul_f32 v[16:17], v[22:23], v[16:17]
	v_sub_f32_e32 v23, v33, v47
	v_sub_f32_e32 v33, v23, v46
	v_sub_f32_e32 v23, v24, v64
	v_pk_mul_f32 v[50:51], v[66:67], v[50:51]
	v_sub_f32_e32 v13, v27, v13
	v_sub_f32_e32 v17, v31, v17
	v_mul_f32_e32 v30, v23, v30
	v_mov_b32_e32 v31, v22
	v_sub_f32_e32 v37, v69, v51
	v_sub_f32_e32 v27, v35, v48
	;; [unrolled: 1-line block ×3, first 2 shown]
	ds_write2_b32 v1, v22, v66 offset0:160 offset1:180
	v_pk_mul_f32 v[22:23], v[30:31], v[54:55]
	v_sub_f32_e32 v24, v13, v12
	v_pk_mul_f32 v[12:13], v[30:31], v[62:63]
	v_sub_f32_e32 v28, v37, v50
	v_sub_f32_e32 v23, v49, v23
	;; [unrolled: 1-line block ×4, first 2 shown]
	v_pk_mul_f32 v[6:7], v[30:31], v[42:43]
	s_nop 0
	v_sub_f32_e32 v7, v28, v7
	v_sub_f32_e32 v28, v17, v16
	v_sub_f32_e32 v16, v23, v22
	v_mul_f32_e32 v16, v16, v36
	v_mov_b32_e32 v17, v30
	v_pk_mul_f32 v[22:23], v[16:17], v[58:59]
	v_pk_mul_f32 v[4:5], v[16:17], v[4:5]
	v_sub_f32_e32 v23, v24, v23
	v_sub_f32_e32 v24, v13, v12
	v_pk_mul_f32 v[12:13], v[30:31], v[18:19]
	v_sub_f32_e32 v5, v27, v5
	v_sub_f32_e32 v13, v33, v13
	;; [unrolled: 1-line block ×3, first 2 shown]
	v_pk_mul_f32 v[6:7], v[16:17], v[14:15]
	v_sub_f32_e32 v17, v13, v12
	v_sub_f32_e32 v12, v23, v22
	v_mul_f32_e32 v12, v12, v29
	v_mov_b32_e32 v13, v16
	v_pk_mul_f32 v[14:15], v[12:13], v[52:53]
	v_sub_f32_e32 v7, v28, v7
	v_sub_f32_e32 v15, v24, v15
	;; [unrolled: 1-line block ×4, first 2 shown]
	ds_write2_b32 v1, v16, v30 offset0:120 offset1:140
	v_sub_f32_e32 v16, v5, v4
	v_pk_mul_f32 v[4:5], v[12:13], v[40:41]
	v_mul_f32_e32 v6, v6, v26
	v_mov_b32_e32 v7, v12
	v_sub_f32_e32 v5, v27, v5
	v_pk_mul_f32 v[2:3], v[6:7], v[2:3]
	v_sub_f32_e32 v14, v5, v4
	v_sub_f32_e32 v3, v16, v3
	v_pk_mul_f32 v[4:5], v[6:7], v[10:11]
	v_pk_mul_f32 v[10:11], v[12:13], v[20:21]
	v_sub_f32_e32 v2, v3, v2
	v_sub_f32_e32 v7, v17, v11
	;; [unrolled: 1-line block ×3, first 2 shown]
	v_mul_f32_e32 v10, v2, v32
	v_mov_b32_e32 v11, v6
	v_pk_mul_f32 v[2:3], v[10:11], v[38:39]
	v_sub_f32_e32 v5, v18, v5
	v_sub_f32_e32 v3, v14, v3
	;; [unrolled: 1-line block ×3, first 2 shown]
	ds_write2_b32 v1, v6, v12 offset0:80 offset1:100
	v_mul_f32_e32 v6, v2, v34
	v_mov_b32_e32 v7, v10
	v_sub_f32_e32 v4, v5, v4
	v_pk_mul_f32 v[8:9], v[6:7], v[8:9]
	v_pk_mul_f32 v[12:13], v[10:11], v[44:45]
	v_sub_f32_e32 v5, v4, v9
	ds_read_b96 v[2:4], v56
	v_sub_f32_e32 v5, v5, v8
	v_sub_f32_e32 v7, v15, v13
	ds_write2_b32 v1, v6, v10 offset0:40 offset1:60
	v_mul_f32_e32 v8, v5, v25
	s_waitcnt lgkmcnt(1)
	v_mov_b32_e32 v10, v3
	v_mov_b32_e32 v11, v4
	;; [unrolled: 1-line block ×3, first 2 shown]
	v_sub_f32_e32 v7, v7, v12
	v_pk_mul_f32 v[4:5], v[8:9], v[10:11]
	s_nop 0
	v_sub_f32_e32 v3, v7, v5
	v_sub_f32_e32 v3, v3, v4
	v_mul_f32_e32 v2, v3, v2
	ds_write2_b32 v1, v2, v8 offset1:20
	s_cmp_gt_i32 s5, -1
	s_cbranch_scc1 .LBB23_23
	s_branch .LBB23_41
.LBB23_22:
	s_mov_b32 s5, s4
	s_cmp_gt_i32 s5, -1
	s_cbranch_scc0 .LBB23_41
.LBB23_23:
	s_cmp_lt_u32 s5, 15
	s_cbranch_scc1 .LBB23_28
; %bb.24:
	s_mul_i32 s20, s5, 0x50
	v_add_u32_e32 v38, s20, v1
	v_add_u32_e32 v2, 0xffffffb0, v38
	;; [unrolled: 1-line block ×8, first 2 shown]
	ds_read_b32 v22, v38
	ds_read_b32 v23, v2
	;; [unrolled: 1-line block ×8, first 2 shown]
	v_add_u32_e32 v2, 0xfffffd80, v38
	v_add_u32_e32 v3, 0xfffffd30, v38
	;; [unrolled: 1-line block ×8, first 2 shown]
	ds_read_b32 v8, v2
	ds_read_b32 v9, v3
	;; [unrolled: 1-line block ×8, first 2 shown]
	s_cmp_le_i32 s4, s5
	s_cbranch_scc1 .LBB23_27
; %bb.25:
	s_mul_i32 s7, s26, 0x50
	v_lshl_add_u32 v14, v0, 2, s7
	s_lshl_b32 s7, s26, 2
	s_add_i32 s7, s20, s7
	v_add_u32_e32 v14, 0x5f0, v14
	s_addk_i32 s7, 0xfb4c
	s_mov_b32 s16, s4
.LBB23_26:                              ; =>This Inner Loop Header: Depth=1
	v_mov_b32_e32 v15, s7
	v_add_u32_e32 v19, 0x400, v15
	ds_read_b32 v18, v14
	v_add_u32_e32 v20, 0x200, v15
	ds_read2_b32 v[24:25], v15 offset0:200 offset1:220
	ds_read2_b32 v[26:27], v15 offset0:160 offset1:180
	;; [unrolled: 1-line block ×5, first 2 shown]
	ds_read2_b32 v[34:35], v15 offset1:20
	ds_read2_b32 v[36:37], v19 offset0:24 offset1:44
	ds_read2_b32 v[40:41], v20 offset0:112 offset1:132
	s_add_i32 s16, s16, -1
	s_add_i32 s7, s7, -4
	s_waitcnt lgkmcnt(7)
	v_mov_b32_e32 v20, v25
	v_mov_b32_e32 v21, v24
	s_waitcnt lgkmcnt(6)
	v_mov_b32_e32 v24, v27
	v_mov_b32_e32 v25, v26
	;; [unrolled: 3-line block ×8, first 2 shown]
	v_add_u32_e32 v14, 0xffffffb0, v14
	s_cmp_gt_i32 s16, s5
	v_pk_fma_f32 v[12:13], v[18:19], v[20:21], v[12:13] op_sel_hi:[0,1,1] neg_lo:[1,0,0] neg_hi:[1,0,0]
	v_pk_fma_f32 v[10:11], v[18:19], v[24:25], v[10:11] op_sel_hi:[0,1,1] neg_lo:[1,0,0] neg_hi:[1,0,0]
	;; [unrolled: 1-line block ×8, first 2 shown]
	s_cbranch_scc1 .LBB23_26
.LBB23_27:
	s_mul_i32 s7, s5, 0x54
	s_lshl_b32 s24, s5, 2
	v_mov_b32_e32 v14, s7
	s_add_i32 s7, s20, 0xffffffb0
	s_add_i32 s21, s24, -4
	s_add_i32 s16, s7, s21
	v_add_u32_e32 v36, s7, v1
	s_add_i32 s7, s20, 0xffffff60
	v_mov_b32_e32 v15, s16
	s_add_i32 s16, s7, s21
	s_add_i32 s7, s24, s7
	s_add_i32 s7, s7, -8
	v_mov_b32_e32 v18, s7
	s_add_i32 s7, s20, 0xffffff10
	s_add_i32 s27, s24, -12
	s_add_i32 s17, s7, s24
	s_add_i32 s7, s7, s27
	v_mov_b32_e32 v20, s7
	s_add_i32 s7, s20, 0xfffffec0
	s_add_i32 s18, s7, s21
	;; [unrolled: 1-line block ×4, first 2 shown]
	s_add_i32 s7, s7, -16
	v_mov_b32_e32 v21, s7
	s_add_i32 s7, s20, 0xfffffe70
	s_add_i32 s25, s7, s24
	s_add_i32 s28, s25, -8
	v_mov_b32_e32 v19, s17
	s_add_i32 s17, s17, -8
	v_mov_b32_e32 v24, s25
	ds_read_b32 v30, v14
	ds_read2_b32 v[50:51], v15 offset1:1
	ds_read_b32 v57, v18
	ds_read_b32 v53, v19
	;; [unrolled: 1-line block ×5, first 2 shown]
	v_mov_b32_e32 v14, s28
	s_sub_i32 s28, s24, 20
	v_mov_b32_e32 v20, s17
	s_add_i32 s7, s7, s28
	v_mov_b32_e32 v15, s19
	v_mov_b32_e32 v21, s16
	ds_read2_b32 v[24:25], v14 offset1:1
	ds_read2_b32 v[18:19], v15 offset1:1
	;; [unrolled: 1-line block ×4, first 2 shown]
	v_mov_b32_e32 v20, s7
	s_add_i32 s7, s20, 0xfffffe20
	s_add_i32 s16, s7, s21
	v_mov_b32_e32 v21, s16
	s_add_i32 s16, s7, s27
	s_add_i32 s35, s7, s28
	;; [unrolled: 1-line block ×3, first 2 shown]
	s_add_i32 s25, s25, -16
	s_sub_i32 s7, s7, 24
	v_mov_b32_e32 v14, s18
	v_mov_b32_e32 v15, s25
	;; [unrolled: 1-line block ×3, first 2 shown]
	s_add_i32 s7, s20, 0xfffffdd0
	ds_read2_b32 v[34:35], v14 offset1:1
	ds_read2_b32 v[14:15], v15 offset1:1
	ds_read_b32 v44, v20
	ds_read2_b32 v[32:33], v21 offset1:1
	v_mov_b32_e32 v20, s16
	s_add_i32 s16, s7, s24
	s_add_i32 s17, s16, -8
	s_sub_i32 s29, s24, 28
	v_mov_b32_e32 v31, s17
	s_add_i32 s7, s7, s29
	s_add_i32 s17, s20, 0xfffffd80
	v_mov_b32_e32 v45, s7
	s_add_i32 s7, s17, s21
	v_mov_b32_e32 v29, s16
	v_mov_b32_e32 v46, s7
	s_add_i32 s37, s17, s27
	s_add_i32 s19, s17, s28
	;; [unrolled: 1-line block ×4, first 2 shown]
	ds_read2_b32 v[20:21], v20 offset1:1
	ds_read_b32 v43, v28
	ds_read_b32 v61, v29
	ds_read2_b32 v[28:29], v31 offset1:1
	s_sub_i32 s17, s17, 32
	s_add_i32 s30, s20, 0xfffffd30
	s_sub_i32 s31, s24, 36
	s_waitcnt lgkmcnt(14)
	v_mul_f32_e32 v31, v22, v30
	v_mov_b32_e32 v49, s17
	s_add_i32 s17, s30, s24
	s_add_i32 s30, s30, s31
	v_fma_f32 v30, -v31, v51, v23
	s_addk_i32 s20, 0xfce0
	v_mov_b32_e32 v62, s30
	v_mul_f32_e32 v30, v30, v50
	s_add_i32 s42, s20, s21
	s_add_i32 s45, s20, s27
	;; [unrolled: 1-line block ×6, first 2 shown]
	s_sub_i32 s24, s20, 40
	s_waitcnt lgkmcnt(8)
	v_pk_mul_f32 v[58:59], v[30:31], v[58:59]
	v_mov_b32_e32 v50, s24
	s_add_i32 s24, s20, 0xffffffb0
	v_sub_f32_e32 v16, v16, v59
	s_add_i32 s28, s20, 0xffffff84
	v_mov_b32_e32 v54, s17
	ds_read_b32 v47, v45
	ds_read2_b32 v[22:23], v46 offset1:1
	ds_read_b32 v46, v49
	ds_read_b32 v63, v54
	;; [unrolled: 1-line block ×3, first 2 shown]
	v_fma_f32 v62, -v31, v53, v17
	v_mov_b32_e32 v17, s24
	v_sub_f32_e32 v64, v16, v58
	v_mov_b32_e32 v16, s28
	ds_read_b32 v51, v50
	ds_read_b32 v58, v17
	;; [unrolled: 1-line block ×3, first 2 shown]
	s_waitcnt lgkmcnt(14)
	v_pk_mul_f32 v[16:17], v[30:31], v[34:35]
	s_add_i32 s31, s20, 0xffffff30
	v_sub_f32_e32 v12, v12, v17
	v_sub_f32_e32 v35, v12, v16
	v_mov_b32_e32 v16, s31
	ds_read_b32 v34, v16
	s_waitcnt lgkmcnt(13)
	v_pk_mul_f32 v[16:17], v[30:31], v[32:33]
	s_add_i32 s31, s20, 0xffffff10
	v_sub_f32_e32 v10, v10, v17
	v_sub_f32_e32 v33, v10, v16
	v_mov_b32_e32 v10, s31
	s_waitcnt lgkmcnt(10)
	v_fma_f32 v61, -v31, v61, v11
	ds_read_b32 v59, v10
	s_waitcnt lgkmcnt(8)
	v_pk_mul_f32 v[10:11], v[30:31], v[22:23]
	s_add_i32 s39, s17, -8
	v_sub_f32_e32 v11, v8, v11
	v_sub_f32_e32 v65, v11, v10
	v_mov_b32_e32 v10, s42
	ds_read2_b32 v[10:11], v10 offset1:1
	s_add_i32 s28, s20, 0xffffff5c
	s_add_i32 s31, s20, 0xffffff08
	v_fma_f32 v60, -v31, v60, v13
	v_mov_b32_e32 v13, s28
	v_mov_b32_e32 v16, s31
	s_waitcnt lgkmcnt(4)
	v_fma_f32 v22, -v31, v58, v7
	v_mov_b32_e32 v7, s39
	ds_read2_b32 v[12:13], v13 offset1:1
	v_fma_f32 v63, -v31, v63, v9
	ds_read2_b32 v[8:9], v16 offset1:1
	ds_read2_b32 v[16:17], v7 offset1:1
	s_waitcnt lgkmcnt(3)
	v_pk_mul_f32 v[10:11], v[30:31], v[10:11]
	s_add_i32 s39, s20, 0xfffffebc
	v_sub_f32_e32 v6, v6, v11
	s_add_i32 s42, s20, 0xfffffedc
	v_sub_f32_e32 v67, v6, v10
	v_mov_b32_e32 v6, s39
	s_add_i32 s39, s20, 0xfffffe70
	v_mov_b32_e32 v7, s42
	v_mov_b32_e32 v10, s39
	ds_read_b32 v66, v7
	ds_read2_b32 v[6:7], v6 offset1:1
	ds_read_b32 v10, v10
	s_waitcnt lgkmcnt(5)
	v_fma_f32 v4, -v31, v13, v4
	s_add_i32 s39, s20, 0xfffffeb4
	v_fma_f32 v68, -v30, v12, v4
	v_mov_b32_e32 v4, s39
	s_add_i32 s53, s20, 0xfffffe88
	v_fma_f32 v5, -v31, v59, v5
	ds_read2_b32 v[58:59], v4 offset1:1
	v_mov_b32_e32 v4, s53
	s_add_i32 s53, s20, 0xfffffe60
	ds_read_b32 v71, v4
	v_mov_b32_e32 v4, s53
	s_waitcnt lgkmcnt(2)
	v_fma_f32 v12, -v31, v10, v3
	v_fma_f32 v2, -v31, v7, v2
	;; [unrolled: 1-line block ×3, first 2 shown]
	ds_read2_b32 v[10:11], v4 offset1:1
	v_mul_f32_e32 v4, v64, v57
	v_mov_b32_e32 v5, v30
	v_fma_f32 v70, -v30, v6, v2
	v_pk_mul_f32 v[6:7], v[4:5], v[26:27]
	ds_write_b32 v38, v31
	v_sub_f32_e32 v7, v62, v7
	v_sub_f32_e32 v26, v7, v6
	v_pk_mul_f32 v[6:7], v[4:5], v[24:25]
	s_add_i32 s50, s20, 0xffffffa8
	v_sub_f32_e32 v7, v60, v7
	v_sub_f32_e32 v38, v7, v6
	v_pk_mul_f32 v[6:7], v[4:5], v[28:29]
	s_add_i32 s54, s20, 0xfffffe68
	v_sub_f32_e32 v7, v61, v7
	v_mov_b32_e32 v2, s54
	v_sub_f32_e32 v57, v7, v6
	v_mov_b32_e32 v6, s50
	ds_read2_b32 v[2:3], v2 offset1:1
	ds_read2_b32 v[6:7], v6 offset1:1
	s_add_i32 s36, s16, -16
	v_mov_b32_e32 v23, s35
	s_add_i32 s35, s20, 0xfffffe50
	s_waitcnt lgkmcnt(1)
	v_fma_f32 v3, -v30, v3, v12
	v_pk_mul_f32 v[12:13], v[4:5], v[16:17]
	s_waitcnt lgkmcnt(0)
	v_pk_mul_f32 v[6:7], v[4:5], v[6:7]
	v_sub_f32_e32 v13, v63, v13
	v_sub_f32_e32 v5, v22, v7
	ds_write_b32 v36, v30
	v_sub_f32_e32 v60, v13, v12
	v_mov_b32_e32 v12, s36
	v_sub_f32_e32 v61, v5, v6
	v_mov_b32_e32 v6, s35
	s_add_i32 s35, s20, 0xfffffe48
	v_mul_f32_e32 v26, v26, v56
	v_mov_b32_e32 v27, v4
	v_add_u32_e32 v55, 0xffffffb0, v36
	s_add_i32 s53, s20, 0xfffffe58
	v_mov_b32_e32 v13, s37
	v_fma_f32 v62, -v4, v8, v9
	ds_read2_b32 v[22:23], v23 offset1:1
	ds_read2_b32 v[24:25], v12 offset1:1
	;; [unrolled: 1-line block ×3, first 2 shown]
	v_fma_f32 v30, -v4, v2, v3
	v_mov_b32_e32 v12, s35
	s_add_i32 s35, s20, 0xfffffe40
	v_pk_mul_f32 v[2:3], v[26:27], v[18:19]
	v_mov_b32_e32 v5, s53
	ds_write_b32 v55, v4
	v_mov_b32_e32 v13, s35
	v_sub_f32_e32 v3, v35, v3
	v_fma_f32 v31, -v4, v59, v70
	v_sub_f32_e32 v35, v3, v2
	ds_read2_b32 v[16:17], v5 offset1:1
	ds_read2_b32 v[6:7], v6 offset1:1
	;; [unrolled: 1-line block ×4, first 2 shown]
	v_pk_mul_f32 v[12:13], v[26:27], v[20:21]
	s_waitcnt lgkmcnt(5)
	v_pk_mul_f32 v[8:9], v[26:27], v[8:9]
	v_sub_f32_e32 v13, v33, v13
	v_sub_f32_e32 v33, v13, v12
	v_mov_b32_e32 v12, s45
	ds_read2_b32 v[12:13], v12 offset1:1
	s_add_i32 s49, s20, 0xffffff54
	v_sub_f32_e32 v9, v65, v9
	s_add_i32 s25, s17, -16
	v_sub_f32_e32 v55, v9, v8
	v_mov_b32_e32 v8, s49
	ds_read2_b32 v[18:19], v8 offset1:1
	v_mov_b32_e32 v8, s25
	ds_read2_b32 v[28:29], v8 offset1:1
	s_waitcnt lgkmcnt(2)
	v_pk_mul_f32 v[8:9], v[26:27], v[12:13]
	v_fma_f32 v11, -v26, v11, v30
	v_sub_f32_e32 v9, v67, v9
	v_fma_f32 v67, -v26, v58, v31
	v_mul_f32_e32 v30, v35, v52
	v_mov_b32_e32 v31, v26
	v_pk_mul_f32 v[14:15], v[30:31], v[14:15]
	s_add_i32 s40, s20, 0xffffffa0
	v_sub_f32_e32 v15, v38, v15
	v_sub_f32_e32 v35, v15, v14
	v_pk_mul_f32 v[14:15], v[30:31], v[24:25]
	s_waitcnt lgkmcnt(0)
	v_pk_mul_f32 v[24:25], v[30:31], v[28:29]
	v_sub_f32_e32 v15, v57, v15
	v_add_u32_e32 v48, 0xffffff60, v36
	s_add_i32 s46, s20, 0xffffff00
	v_sub_f32_e32 v38, v15, v14
	v_mov_b32_e32 v14, s40
	v_sub_f32_e32 v25, v60, v25
	ds_write_b32 v48, v26
	ds_read2_b32 v[14:15], v14 offset1:1
	v_sub_f32_e32 v48, v25, v24
	v_mov_b32_e32 v24, s46
	ds_read2_b32 v[24:25], v24 offset1:1
	s_add_i32 s41, s20, 0xffffff88
	s_waitcnt lgkmcnt(1)
	v_pk_mul_f32 v[14:15], v[30:31], v[14:15]
	s_add_i32 s38, s20, 0xfffffef8
	s_add_i32 s47, s20, 0xfffffee8
	v_pk_mul_f32 v[12:13], v[26:27], v[18:19]
	v_mov_b32_e32 v26, s41
	v_sub_f32_e32 v15, v61, v15
	s_waitcnt lgkmcnt(0)
	v_pk_mul_f32 v[24:25], v[30:31], v[24:25]
	v_sub_f32_e32 v52, v15, v14
	ds_read2_b32 v[14:15], v26 offset1:1
	v_mov_b32_e32 v28, s47
	v_mov_b32_e32 v26, s38
	v_sub_f32_e32 v25, v62, v25
	ds_read2_b32 v[26:27], v26 offset1:1
	v_sub_f32_e32 v62, v25, v24
	ds_read2_b32 v[24:25], v28 offset1:1
	v_mov_b32_e32 v28, s19
	v_sub_f32_e32 v13, v68, v13
	v_fma_f32 v68, -v30, v10, v11
	ds_read2_b32 v[10:11], v28 offset1:1
	v_mul_f32_e32 v28, v35, v44
	v_mov_b32_e32 v29, v30
	v_add_u32_e32 v41, 0xffffff10, v36
	s_add_i32 s34, s20, 0xffffff4c
	s_add_i32 s44, s20, 0xffffff34
	;; [unrolled: 1-line block ×6, first 2 shown]
	v_pk_mul_f32 v[22:23], v[28:29], v[22:23]
	v_sub_f32_e32 v63, v9, v8
	v_mov_b32_e32 v8, s52
	v_sub_f32_e32 v65, v13, v12
	v_mov_b32_e32 v12, s48
	v_mov_b32_e32 v18, s44
	;; [unrolled: 1-line block ×4, first 2 shown]
	ds_write_b32 v41, v30
	v_mov_b32_e32 v41, s34
	v_mov_b32_e32 v30, s43
	v_sub_f32_e32 v23, v33, v23
	ds_read2_b32 v[8:9], v8 offset1:1
	ds_read2_b32 v[12:13], v12 offset1:1
	;; [unrolled: 1-line block ×5, first 2 shown]
	v_sub_f32_e32 v33, v23, v22
	ds_read2_b32 v[22:23], v41 offset1:1
	ds_read2_b32 v[56:57], v56 offset1:1
	s_sub_i32 s18, s17, 24
	v_add_u32_e32 v42, 0xfffffec0, v36
	s_sub_i32 s16, s16, 24
	v_mov_b32_e32 v35, s29
	v_mov_b32_e32 v41, s18
	ds_write_b32 v42, v28
	s_waitcnt lgkmcnt(3)
	v_pk_mul_f32 v[30:31], v[28:29], v[30:31]
	s_waitcnt lgkmcnt(2)
	v_pk_mul_f32 v[22:23], v[28:29], v[22:23]
	ds_read2_b32 v[58:59], v41 offset1:1
	s_waitcnt lgkmcnt(2)
	v_pk_mul_f32 v[56:57], v[28:29], v[56:57]
	v_pk_mul_f32 v[10:11], v[28:29], v[10:11]
	v_mul_f32_e32 v42, v33, v43
	v_mov_b32_e32 v43, v28
	ds_read2_b32 v[28:29], v35 offset1:1
	v_mov_b32_e32 v41, s16
	ds_read2_b32 v[60:61], v41 offset1:1
	v_sub_f32_e32 v23, v65, v23
	s_add_i32 s27, s20, 0xffffff98
	v_sub_f32_e32 v11, v55, v11
	v_sub_f32_e32 v55, v23, v22
	;; [unrolled: 1-line block ×5, first 2 shown]
	v_mov_b32_e32 v30, s27
	ds_read2_b32 v[30:31], v30 offset1:1
	s_waitcnt lgkmcnt(1)
	v_pk_mul_f32 v[22:23], v[42:43], v[60:61]
	s_add_i32 s33, s20, 0xffffff3c
	v_sub_f32_e32 v23, v38, v23
	v_sub_f32_e32 v38, v23, v22
	v_pk_mul_f32 v[22:23], v[42:43], v[58:59]
	s_add_i32 s42, s20, 0xfffffe9c
	v_mov_b32_e32 v33, s33
	v_sub_f32_e32 v23, v48, v23
	v_add_u32_e32 v40, 0xfffffe70, v36
	s_sub_i32 s17, s17, 32
	s_add_i32 s24, s20, 0xffffff90
	v_sub_f32_e32 v35, v11, v10
	ds_read2_b32 v[10:11], v33 offset1:1
	v_mov_b32_e32 v33, s42
	v_sub_f32_e32 v48, v23, v22
	s_waitcnt lgkmcnt(1)
	v_pk_mul_f32 v[22:23], v[42:43], v[30:31]
	v_pk_mul_f32 v[26:27], v[42:43], v[26:27]
	v_sub_f32_e32 v44, v41, v56
	ds_read2_b32 v[56:57], v33 offset1:1
	v_mov_b32_e32 v33, s17
	v_sub_f32_e32 v23, v52, v23
	v_mov_b32_e32 v30, s24
	v_sub_f32_e32 v27, v62, v27
	ds_write_b32 v40, v42
	v_mul_f32_e32 v40, v38, v47
	v_mov_b32_e32 v38, s21
	v_sub_f32_e32 v52, v23, v22
	ds_read2_b32 v[22:23], v33 offset1:1
	v_mov_b32_e32 v41, v42
	v_pk_mul_f32 v[16:17], v[42:43], v[16:17]
	ds_read2_b32 v[42:43], v38 offset1:1
	v_sub_f32_e32 v33, v27, v26
	ds_read2_b32 v[26:27], v30 offset1:1
	v_mov_b32_e32 v30, s7
	ds_read2_b32 v[30:31], v30 offset1:1
	s_add_i32 s28, s20, 0xffffff44
	s_add_i32 s39, s20, 0xfffffea4
	v_sub_f32_e32 v17, v68, v17
	v_sub_f32_e32 v47, v17, v16
	s_waitcnt lgkmcnt(0)
	v_pk_mul_f32 v[30:31], v[40:41], v[30:31]
	v_mov_b32_e32 v16, s28
	v_sub_f32_e32 v31, v35, v31
	v_sub_f32_e32 v35, v31, v30
	v_mov_b32_e32 v30, s39
	ds_read2_b32 v[16:17], v16 offset1:1
	ds_read2_b32 v[30:31], v30 offset1:1
	s_add_i32 s31, s20, 0xfffffef0
	v_add_u32_e32 v39, 0xfffffe20, v36
	v_mov_b32_e32 v58, s31
	ds_write_b32 v39, v40
	v_pk_mul_f32 v[38:39], v[40:41], v[42:43]
	s_waitcnt lgkmcnt(2)
	v_pk_mul_f32 v[16:17], v[40:41], v[16:17]
	s_waitcnt lgkmcnt(1)
	v_pk_mul_f32 v[30:31], v[40:41], v[30:31]
	v_mul_f32_e32 v42, v35, v46
	v_mov_b32_e32 v43, v40
	ds_read2_b32 v[40:41], v58 offset1:1
	v_pk_mul_f32 v[22:23], v[42:43], v[22:23]
	v_sub_f32_e32 v35, v44, v39
	v_sub_f32_e32 v23, v48, v23
	;; [unrolled: 1-line block ×4, first 2 shown]
	v_mul_f32_e32 v22, v22, v45
	v_mov_b32_e32 v23, v42
	v_sub_f32_e32 v35, v35, v38
	v_pk_mul_f32 v[26:27], v[42:43], v[26:27]
	v_sub_f32_e32 v38, v17, v16
	s_waitcnt lgkmcnt(0)
	v_pk_mul_f32 v[16:17], v[42:43], v[40:41]
	v_pk_mul_f32 v[28:29], v[22:23], v[28:29]
	;; [unrolled: 1-line block ×3, first 2 shown]
	v_sub_f32_e32 v27, v52, v27
	v_sub_f32_e32 v17, v33, v17
	v_sub_f32_e32 v29, v35, v29
	v_sub_f32_e32 v7, v47, v7
	v_sub_f32_e32 v26, v27, v26
	v_pk_mul_f32 v[10:11], v[22:23], v[10:11]
	v_sub_f32_e32 v27, v17, v16
	v_pk_mul_f32 v[16:17], v[22:23], v[56:57]
	v_sub_f32_e32 v23, v7, v6
	v_sub_f32_e32 v6, v29, v28
	v_mul_f32_e32 v6, v6, v51
	v_mov_b32_e32 v7, v22
	v_pk_mul_f32 v[14:15], v[6:7], v[14:15]
	v_sub_f32_e32 v31, v63, v31
	v_sub_f32_e32 v15, v26, v15
	;; [unrolled: 1-line block ×4, first 2 shown]
	v_add_u32_e32 v49, 0xfffffd80, v36
	v_sub_f32_e32 v11, v38, v11
	v_sub_f32_e32 v17, v30, v17
	v_mul_f32_e32 v14, v14, v54
	v_mov_b32_e32 v15, v6
	ds_write_b32 v49, v22
	v_sub_f32_e32 v22, v11, v10
	v_pk_mul_f32 v[10:11], v[6:7], v[24:25]
	v_sub_f32_e32 v24, v17, v16
	v_pk_mul_f32 v[16:17], v[14:15], v[18:19]
	v_pk_mul_f32 v[4:5], v[6:7], v[4:5]
	v_sub_f32_e32 v11, v27, v11
	v_sub_f32_e32 v17, v22, v17
	;; [unrolled: 1-line block ×4, first 2 shown]
	v_pk_mul_f32 v[10:11], v[14:15], v[20:21]
	v_sub_f32_e32 v15, v5, v4
	v_sub_f32_e32 v4, v17, v16
	v_add_u32_e32 v50, 0xfffffd30, v36
	v_mul_f32_e32 v4, v4, v34
	v_mov_b32_e32 v5, v14
	ds_write_b32 v50, v6
	v_pk_mul_f32 v[6:7], v[4:5], v[12:13]
	v_sub_f32_e32 v11, v24, v11
	v_sub_f32_e32 v7, v18, v7
	v_sub_f32_e32 v6, v7, v6
	v_mul_f32_e32 v6, v6, v66
	v_mov_b32_e32 v7, v4
	v_pk_mul_f32 v[2:3], v[4:5], v[2:3]
	s_add_i32 s35, s20, 0xfffffe38
	v_sub_f32_e32 v10, v11, v10
	v_pk_mul_f32 v[8:9], v[6:7], v[8:9]
	v_sub_f32_e32 v3, v15, v3
	v_add_u32_e32 v37, 0xfffffdd0, v36
	v_add_u32_e32 v53, 0xfffffce0, v36
	;; [unrolled: 1-line block ×3, first 2 shown]
	v_sub_f32_e32 v7, v10, v9
	v_sub_f32_e32 v9, v3, v2
	v_mov_b32_e32 v3, s35
	ds_write_b32 v37, v42
	ds_write_b32 v53, v14
	;; [unrolled: 1-line block ×3, first 2 shown]
	ds_read2_b32 v[4:5], v3 offset1:1
	s_add_i32 s7, s20, 0xfffffe34
	v_mov_b32_e32 v3, s7
	v_sub_f32_e32 v2, v7, v8
	ds_read_b32 v7, v3
	v_add_u32_e32 v69, 0xfffffc40, v36
	v_add_u32_e32 v64, 0xfffffbf0, v36
	v_mul_f32_e32 v2, v2, v71
	v_mov_b32_e32 v3, v6
	ds_write_b32 v69, v6
	ds_write_b32 v64, v2
	s_waitcnt lgkmcnt(3)
	v_pk_mul_f32 v[2:3], v[2:3], v[4:5]
	s_add_i32 s5, s5, -16
	v_sub_f32_e32 v3, v9, v3
	v_sub_f32_e32 v2, v3, v2
	s_waitcnt lgkmcnt(2)
	v_mul_f32_e32 v2, v2, v7
	v_add_u32_e32 v3, 0xfffffba0, v36
	ds_write_b32 v3, v2
.LBB23_28:
	s_cmp_lt_i32 s5, 0
	s_cbranch_scc1 .LBB23_41
; %bb.29:
	s_bitcmp1_b32 s5, 0
	s_cselect_b64 s[16:17], -1, 0
	s_and_b64 vcc, exec, s[16:17]
	s_mov_b32 s7, s5
	s_cbranch_vccnz .LBB23_34
; %bb.30:
	s_mul_i32 s7, s5, 0x50
	v_add_u32_e32 v3, s7, v1
	ds_read_b32 v2, v3
	s_cmp_le_i32 s4, s5
	s_cbranch_scc1 .LBB23_33
; %bb.31:
	s_lshl_b32 s16, s26, 2
	s_add_i32 s7, s7, s16
	s_mul_i32 s16, s26, 0x50
	v_lshl_add_u32 v4, v0, 2, s16
	s_add_i32 s7, s7, -4
	v_add_u32_e32 v4, 0x5f0, v4
	s_mov_b32 s16, s4
.LBB23_32:                              ; =>This Inner Loop Header: Depth=1
	v_mov_b32_e32 v6, s7
	ds_read_b32 v5, v4
	ds_read_b32 v6, v6
	s_add_i32 s16, s16, -1
	s_add_i32 s7, s7, -4
	v_add_u32_e32 v4, 0xffffffb0, v4
	s_cmp_gt_i32 s16, s5
	s_waitcnt lgkmcnt(0)
	v_fma_f32 v2, -v5, v6, v2
	s_cbranch_scc1 .LBB23_32
.LBB23_33:
	s_mul_i32 s7, s5, 0x54
	v_mov_b32_e32 v4, s7
	ds_read_b32 v4, v4
	s_add_i32 s7, s5, -1
	s_waitcnt lgkmcnt(0)
	v_mul_f32_e32 v2, v2, v4
	ds_write_b32 v3, v2
.LBB23_34:
	s_cmp_eq_u32 s5, 0
	s_cbranch_scc1 .LBB23_41
; %bb.35:
	s_mul_i32 s5, s7, 0x50
	s_lshl_b32 s16, s26, 2
	s_mul_i32 s17, s26, 0x50
	s_add_i32 s16, s5, s16
	v_lshl_add_u32 v2, v0, 2, s17
	s_add_i32 s5, s16, -4
	v_add_u32_e32 v3, 0x5f0, v2
	s_addk_i32 s16, 0xffac
	s_branch .LBB23_37
.LBB23_36:                              ;   in Loop: Header=BB23_37 Depth=1
	s_addk_i32 s17, 0xffac
	v_mov_b32_e32 v2, s17
	ds_read_b32 v2, v2
	s_add_i32 s17, s7, -2
	s_addk_i32 s5, 0xff60
	s_addk_i32 s16, 0xff60
	s_cmp_lt_i32 s7, 2
	s_waitcnt lgkmcnt(0)
	v_mul_f32_e32 v2, v4, v2
	s_mov_b32 s7, s17
	ds_write_b32 v5, v2
	s_cbranch_scc1 .LBB23_41
.LBB23_37:                              ; =>This Loop Header: Depth=1
                                        ;     Child Loop BB23_38 Depth 2
                                        ;     Child Loop BB23_40 Depth 2
	s_mul_i32 s18, s7, 0x50
	v_add_u32_e32 v6, s18, v1
	ds_read_b32 v2, v6
	s_cmp_le_i32 s4, s7
	v_mov_b32_e32 v4, v3
	s_mov_b32 s17, s5
	s_mov_b32 s19, s4
	s_cbranch_scc1 .LBB23_39
.LBB23_38:                              ;   Parent Loop BB23_37 Depth=1
                                        ; =>  This Inner Loop Header: Depth=2
	v_mov_b32_e32 v7, s17
	ds_read_b32 v5, v4
	ds_read_b32 v7, v7
	s_add_i32 s19, s19, -1
	s_add_i32 s17, s17, -4
	v_add_u32_e32 v4, 0xffffffb0, v4
	s_cmp_gt_i32 s19, s7
	s_waitcnt lgkmcnt(0)
	v_fma_f32 v2, -v5, v7, v2
	s_cbranch_scc1 .LBB23_38
.LBB23_39:                              ;   in Loop: Header=BB23_37 Depth=1
	s_mul_i32 s17, s7, 0x54
	v_mov_b32_e32 v4, s17
	ds_read_b32 v7, v4
	s_addk_i32 s18, 0xffb0
	v_add_u32_e32 v5, s18, v1
	ds_read_b32 v4, v5
	s_cmp_le_i32 s26, s7
	s_waitcnt lgkmcnt(1)
	v_mul_f32_e32 v2, v2, v7
	ds_write_b32 v6, v2
	v_mov_b32_e32 v2, v3
	s_mov_b32 s18, s16
	s_mov_b32 s19, s26
	s_cbranch_scc1 .LBB23_36
.LBB23_40:                              ;   Parent Loop BB23_37 Depth=1
                                        ; =>  This Inner Loop Header: Depth=2
	v_mov_b32_e32 v7, s18
	ds_read_b32 v6, v2
	ds_read_b32 v7, v7
	s_add_i32 s19, s19, -1
	s_add_i32 s18, s18, -4
	v_add_u32_e32 v2, 0xffffffb0, v2
	s_cmp_gt_i32 s19, s7
	s_waitcnt lgkmcnt(0)
	v_fma_f32 v4, -v6, v7, v4
	s_cbranch_scc1 .LBB23_40
	s_branch .LBB23_36
.LBB23_41:
	s_mov_b64 s[4:5], 0
.LBB23_42:
	s_and_b64 vcc, exec, s[4:5]
	s_cbranch_vccz .LBB23_56
; %bb.43:
	s_cmp_gt_i32 s6, 19
	s_cselect_b64 s[4:5], -1, 0
	s_mov_b32 s7, 0
	s_and_b64 vcc, exec, s[4:5]
	s_cbranch_vccz .LBB23_45
; %bb.44:
	ds_read2_b32 v[18:19], v1 offset1:20
	ds_read2_b32 v[26:27], v1 offset0:40 offset1:60
	ds_read2_b32 v[28:29], v1 offset0:80 offset1:100
	;; [unrolled: 1-line block ×5, first 2 shown]
	v_mov_b32_e32 v47, 0
	ds_read_b128 v[2:5], v47
	ds_read_b128 v[6:9], v47 offset:16
	ds_read_b128 v[14:17], v47 offset:32
	ds_read2_b32 v[44:45], v47 offset0:21 offset1:22
	ds_read2_b64 v[22:25], v47 offset0:21 offset1:22
	ds_read2_b32 v[48:49], v47 offset0:23 offset1:24
	ds_read2_b32 v[50:51], v47 offset0:25 offset1:26
	;; [unrolled: 1-line block ×3, first 2 shown]
	ds_read2_b64 v[38:41], v47 offset0:23 offset1:24
	ds_read2_b32 v[54:55], v47 offset0:27 offset1:28
	ds_read2_b32 v[56:57], v47 offset0:65 offset1:66
	ds_read_b128 v[10:13], v47 offset:336
	s_waitcnt lgkmcnt(11)
	v_mul_f32_e32 v36, v18, v2
	v_fma_f32 v18, -v36, v3, v19
	s_waitcnt lgkmcnt(7)
	v_mov_b32_e32 v60, v24
	s_waitcnt lgkmcnt(6)
	v_mov_b32_e32 v62, v48
	;; [unrolled: 2-line block ×3, first 2 shown]
	v_mov_b32_e32 v48, v6
	v_mov_b32_e32 v50, v8
	;; [unrolled: 1-line block ×4, first 2 shown]
	v_mul_f32_e32 v37, v18, v44
	s_waitcnt lgkmcnt(4)
	v_mov_b32_e32 v58, v52
	s_waitcnt lgkmcnt(1)
	v_mov_b32_e32 v32, v56
	v_mov_b32_e32 v56, v38
	v_mov_b32_e32 v38, v54
	v_mov_b32_e32 v54, v14
	v_fma_f32 v35, -v36, v15, v35
	v_mov_b32_e32 v52, v16
	v_fma_f32 v61, -v36, v17, v43
	v_pk_mul_f32 v[14:15], v[36:37], v[2:3]
	v_pk_mul_f32 v[16:17], v[36:37], v[48:49]
	;; [unrolled: 1-line block ×3, first 2 shown]
	v_add_u32_e32 v46, 0x200, v1
	v_fma_f32 v33, -v36, v9, v31
	v_fma_f32 v31, -v36, v5, v27
	v_sub_f32_e32 v14, v26, v14
	v_sub_f32_e32 v16, v28, v16
	;; [unrolled: 1-line block ×3, first 2 shown]
	v_pk_mul_f32 v[26:27], v[36:37], v[54:55]
	v_sub_f32_e32 v43, v14, v15
	v_sub_f32_e32 v48, v16, v17
	ds_read_b128 v[14:17], v47 offset:48
	v_sub_f32_e32 v49, v18, v19
	ds_read2_b32 v[18:19], v46 offset0:112 offset1:132
	v_sub_f32_e32 v26, v34, v26
	v_fma_f32 v21, -v36, v7, v29
	ds_read2_b32 v[6:7], v47 offset0:67 offset1:68
	ds_read2_b64 v[2:5], v47 offset0:25 offset1:26
	ds_read2_b32 v[64:65], v47 offset0:69 offset1:70
	ds_read2_b32 v[54:55], v47 offset0:71 offset1:72
	v_sub_f32_e32 v66, v26, v27
	ds_read2_b32 v[26:27], v47 offset0:31 offset1:32
	v_pk_mul_f32 v[28:29], v[36:37], v[52:53]
	v_mov_b32_e32 v63, v23
	v_mul_f32_e32 v23, v43, v22
	v_mov_b32_e32 v22, v37
	ds_read_b128 v[50:53], v47 offset:64
	s_waitcnt lgkmcnt(6)
	v_fma_f32 v14, -v36, v14, v18
	v_mov_b32_e32 v59, v41
	v_mov_b32_e32 v20, v12
	s_waitcnt lgkmcnt(5)
	v_mov_b32_e32 v12, v6
	v_mov_b32_e32 v41, v7
	ds_read_b128 v[6:9], v47 offset:352
	v_sub_f32_e32 v28, v42, v28
	s_waitcnt lgkmcnt(4)
	v_mov_b32_e32 v30, v64
	v_mov_b32_e32 v64, v2
	v_pk_mul_f32 v[24:25], v[22:23], v[24:25]
	ds_read2_b32 v[42:43], v47 offset0:33 offset1:34
	s_waitcnt lgkmcnt(3)
	v_mov_b32_e32 v2, v26
	v_fma_f32 v68, -v37, v27, v14
	ds_read2_b32 v[26:27], v47 offset0:109 offset1:110
	v_sub_f32_e32 v67, v28, v29
	v_pk_mul_f32 v[28:29], v[22:23], v[62:63]
	v_sub_f32_e32 v21, v21, v24
	v_sub_f32_e32 v14, v31, v28
	v_sub_f32_e32 v31, v21, v25
	v_pk_mul_f32 v[24:25], v[22:23], v[38:39]
	s_waitcnt lgkmcnt(0)
	v_mov_b32_e32 v18, v26
	v_sub_f32_e32 v21, v33, v24
	v_sub_f32_e32 v21, v21, v25
	v_pk_mul_f32 v[24:25], v[22:23], v[58:59]
	v_mov_b32_e32 v26, v8
	v_sub_f32_e32 v8, v35, v24
	v_sub_f32_e32 v44, v8, v25
	v_mov_b32_e32 v8, v54
	v_mov_b32_e32 v54, v4
	v_fma_f32 v4, -v36, v15, v19
	v_fma_f32 v4, -v37, v42, v4
	;; [unrolled: 1-line block ×3, first 2 shown]
	ds_read2_b32 v[4:5], v47 offset0:63 offset1:64
	ds_read2_b32 v[62:63], v47 offset0:107 offset1:108
	v_sub_f32_e32 v14, v14, v29
	v_pk_mul_f32 v[2:3], v[22:23], v[2:3]
	v_mov_b32_e32 v34, v23
	v_sub_f32_e32 v2, v61, v2
	s_waitcnt lgkmcnt(1)
	v_mov_b32_e32 v61, v5
	v_mul_f32_e32 v35, v14, v4
	v_pk_mul_f32 v[4:5], v[34:35], v[60:61]
	v_sub_f32_e32 v45, v2, v3
	v_sub_f32_e32 v4, v48, v4
	;; [unrolled: 1-line block ×3, first 2 shown]
	v_pk_mul_f32 v[4:5], v[34:35], v[56:57]
	v_add_u32_e32 v48, 0x400, v1
	v_sub_f32_e32 v4, v49, v4
	v_pk_mul_f32 v[2:3], v[34:35], v[40:41]
	v_sub_f32_e32 v40, v4, v5
	ds_read2_b32 v[4:5], v48 offset0:24 offset1:44
	v_sub_f32_e32 v2, v66, v2
	v_pk_mul_f32 v[24:25], v[34:35], v[64:65]
	ds_read2_b32 v[14:15], v47 offset0:35 offset1:36
	ds_read2_b32 v[38:39], v47 offset0:37 offset1:38
	v_sub_f32_e32 v41, v2, v3
	v_sub_f32_e32 v22, v67, v24
	s_waitcnt lgkmcnt(2)
	v_fma_f32 v24, -v36, v16, v4
	v_fma_f32 v49, -v36, v17, v5
	ds_read2_b64 v[2:5], v47 offset0:27 offset1:28
	ds_read2_b32 v[60:61], v47 offset0:105 offset1:106
	ds_read2_b32 v[16:17], v48 offset0:64 offset1:84
	v_sub_f32_e32 v42, v22, v25
	v_fma_f32 v22, -v37, v43, v24
	s_waitcnt lgkmcnt(2)
	v_fma_f32 v43, -v23, v2, v22
	v_fma_f32 v2, -v37, v14, v49
	;; [unrolled: 1-line block ×3, first 2 shown]
	s_waitcnt lgkmcnt(0)
	v_fma_f32 v2, -v36, v50, v16
	v_fma_f32 v2, -v37, v15, v2
	ds_read2_b32 v[14:15], v48 offset0:104 offset1:124
	v_fma_f32 v56, -v23, v4, v2
	v_fma_f32 v2, -v36, v51, v17
	;; [unrolled: 1-line block ×3, first 2 shown]
	v_pk_mul_f32 v[54:55], v[34:35], v[54:55]
	ds_read2_b32 v[28:29], v47 offset0:111 offset1:112
	ds_read2_b32 v[24:25], v47 offset0:149 offset1:150
	v_fma_f32 v50, -v23, v5, v2
	ds_read2_b64 v[2:5], v47 offset0:65 offset1:66
	v_sub_f32_e32 v22, v68, v54
	s_waitcnt lgkmcnt(3)
	v_fma_f32 v51, -v36, v52, v14
	v_fma_f32 v54, -v36, v53, v15
	ds_read_b128 v[14:17], v47 offset:368
	ds_read2_b32 v[52:53], v47 offset0:73 offset1:74
	v_sub_f32_e32 v38, v22, v55
	s_waitcnt lgkmcnt(3)
	v_mov_b32_e32 v22, v24
	s_waitcnt lgkmcnt(2)
	v_mov_b32_e32 v24, v2
	v_mov_b32_e32 v2, v28
	s_waitcnt lgkmcnt(1)
	v_mov_b32_e32 v28, v14
	ds_read_b32 v55, v47 offset:156
	s_waitcnt lgkmcnt(1)
	v_mov_b32_e32 v14, v52
	v_fma_f32 v43, -v35, v53, v43
	ds_read2_b32 v[52:53], v47 offset0:75 offset1:76
	v_fma_f32 v39, -v37, v39, v51
	ds_write2_b32 v1, v36, v37 offset1:20
	s_waitcnt lgkmcnt(2)
	v_fma_f32 v51, -v37, v55, v54
	ds_read_b64 v[36:37], v47 offset:232
	s_waitcnt lgkmcnt(2)
	v_fma_f32 v34, -v35, v52, v49
	v_fma_f32 v49, -v35, v53, v56
	ds_read2_b32 v[52:53], v47 offset0:77 offset1:78
	ds_read2_b32 v[54:55], v47 offset0:79 offset1:119
	v_mul_f32_e32 v57, v33, v10
	v_mov_b32_e32 v56, v35
	v_mov_b32_e32 v33, v11
	v_pk_mul_f32 v[10:11], v[56:57], v[32:33]
	s_waitcnt lgkmcnt(2)
	v_fma_f32 v36, -v23, v36, v39
	v_sub_f32_e32 v10, v31, v10
	v_pk_mul_f32 v[58:59], v[56:57], v[12:13]
	v_sub_f32_e32 v32, v10, v11
	ds_read_b128 v[10:13], v47 offset:672
	s_waitcnt lgkmcnt(2)
	v_fma_f32 v64, -v35, v52, v50
	v_fma_f32 v50, -v23, v37, v51
	;; [unrolled: 1-line block ×3, first 2 shown]
	ds_read2_b32 v[36:37], v47 offset0:151 offset1:152
	ds_write2_b32 v1, v23, v35 offset0:40 offset1:60
	s_waitcnt lgkmcnt(3)
	v_fma_f32 v23, -v35, v54, v50
	ds_read_b128 v[50:53], v47 offset:384
	v_mov_b32_e32 v31, v7
	v_sub_f32_e32 v7, v21, v58
	v_pk_mul_f32 v[30:31], v[56:57], v[30:31]
	v_pk_mul_f32 v[8:9], v[56:57], v[8:9]
	s_waitcnt lgkmcnt(0)
	v_fma_f32 v23, -v57, v53, v23
	v_sub_f32_e32 v53, v7, v59
	v_sub_f32_e32 v7, v44, v30
	;; [unrolled: 1-line block ×5, first 2 shown]
	v_mov_b32_e32 v7, v63
	v_mul_f32_e32 v45, v32, v60
	v_mov_b32_e32 v44, v57
	v_fma_f32 v49, -v57, v50, v49
	v_fma_f32 v54, -v57, v51, v64
	ds_read2_b32 v[50:51], v47 offset0:113 offset1:114
	v_pk_mul_f32 v[8:9], v[56:57], v[14:15]
	v_pk_mul_f32 v[14:15], v[44:45], v[6:7]
	v_mov_b32_e32 v21, v61
	v_sub_f32_e32 v14, v41, v14
	v_sub_f32_e32 v60, v14, v15
	v_pk_mul_f32 v[14:15], v[44:45], v[26:27]
	v_pk_mul_f32 v[20:21], v[44:45], v[20:21]
	v_sub_f32_e32 v14, v42, v14
	v_sub_f32_e32 v8, v19, v8
	;; [unrolled: 1-line block ×4, first 2 shown]
	v_pk_mul_f32 v[14:15], v[44:45], v[28:29]
	v_fma_f32 v52, -v57, v52, v39
	v_mov_b32_e32 v30, v12
	v_mov_b32_e32 v12, v36
	;; [unrolled: 1-line block ×3, first 2 shown]
	v_fma_f32 v59, -v57, v17, v34
	ds_read2_b32 v[34:35], v47 offset0:153 offset1:154
	v_sub_f32_e32 v56, v8, v9
	ds_read_b128 v[6:9], v47 offset:688
	ds_read2_b32 v[32:33], v47 offset0:191 offset1:192
	ds_write2_b32 v1, v57, v45 offset0:80 offset1:100
	v_sub_f32_e32 v57, v19, v21
	ds_read2_b32 v[20:21], v47 offset0:117 offset1:118
	s_waitcnt lgkmcnt(5)
	v_mov_b32_e32 v4, v50
	v_mov_b32_e32 v50, v16
	ds_read2_b32 v[16:17], v47 offset0:115 offset1:116
	v_sub_f32_e32 v14, v38, v14
	ds_read2_b64 v[38:41], v47 offset0:67 offset1:68
	v_sub_f32_e32 v29, v14, v15
	v_pk_mul_f32 v[14:15], v[44:45], v[50:51]
	s_waitcnt lgkmcnt(4)
	v_mov_b32_e32 v26, v32
	v_sub_f32_e32 v14, v43, v14
	v_sub_f32_e32 v61, v14, v15
	v_mov_b32_e32 v32, v6
	v_mov_b32_e32 v6, v34
	s_waitcnt lgkmcnt(0)
	v_mov_b32_e32 v34, v38
	v_mov_b32_e32 v38, v16
	v_fma_f32 v49, -v45, v17, v49
	ds_read2_b64 v[14:17], v47 offset0:63 offset1:64
	ds_read2_b32 v[50:51], v47 offset0:147 offset1:148
	v_fma_f32 v44, -v45, v20, v54
	v_fma_f32 v52, -v45, v21, v52
	;; [unrolled: 1-line block ×3, first 2 shown]
	s_waitcnt lgkmcnt(1)
	v_mov_b32_e32 v19, v17
	v_mov_b32_e32 v63, v15
	v_mul_f32_e32 v15, v57, v14
	v_mov_b32_e32 v14, v45
	v_pk_mul_f32 v[20:21], v[14:15], v[62:63]
	v_pk_mul_f32 v[18:19], v[14:15], v[18:19]
	;; [unrolled: 1-line block ×4, first 2 shown]
	v_sub_f32_e32 v20, v53, v20
	v_sub_f32_e32 v18, v31, v18
	;; [unrolled: 1-line block ×4, first 2 shown]
	s_waitcnt lgkmcnt(0)
	v_mov_b32_e32 v17, v51
	ds_read2_b32 v[42:43], v47 offset0:193 offset1:194
	v_sub_f32_e32 v51, v20, v21
	v_sub_f32_e32 v31, v18, v19
	ds_read2_b64 v[18:21], v47 offset0:105 offset1:106
	v_sub_f32_e32 v57, v2, v3
	v_sub_f32_e32 v56, v4, v5
	v_fma_f32 v58, -v15, v41, v44
	v_pk_mul_f32 v[4:5], v[14:15], v[38:39]
	ds_read_b64 v[38:39], v47 offset:552
	ds_read2_b32 v[44:45], v47 offset0:195 offset1:196
	ds_read2_b32 v[2:3], v47 offset0:155 offset1:156
	v_sub_f32_e32 v4, v59, v4
	v_mov_b32_e32 v23, v11
	s_waitcnt lgkmcnt(2)
	v_fma_f32 v41, -v15, v39, v54
	ds_read2_b32 v[54:55], v47 offset0:197 offset1:198
	v_mov_b32_e32 v28, v20
	v_mov_b32_e32 v20, v42
	;; [unrolled: 1-line block ×3, first 2 shown]
	s_waitcnt lgkmcnt(1)
	v_mov_b32_e32 v8, v2
	v_mov_b32_e32 v2, v40
	v_fma_f32 v40, -v15, v38, v52
	ds_read2_b32 v[38:39], v47 offset0:157 offset1:158
	ds_read_b32 v59, v47 offset:636
	v_sub_f32_e32 v11, v4, v5
	v_mul_f32_e32 v5, v51, v50
	v_mov_b32_e32 v4, v15
	v_pk_mul_f32 v[16:17], v[4:5], v[16:17]
	v_pk_mul_f32 v[34:35], v[4:5], v[34:35]
	ds_write2_b32 v1, v15, v5 offset0:120 offset1:140
	v_sub_f32_e32 v14, v60, v16
	v_sub_f32_e32 v34, v61, v34
	;; [unrolled: 1-line block ×3, first 2 shown]
	ds_read2_b64 v[14:17], v47 offset0:107 offset1:108
	v_sub_f32_e32 v61, v34, v35
	ds_read2_b32 v[34:35], v47 offset0:233 offset1:234
	ds_read_b128 v[50:53], v47 offset:704
	s_waitcnt lgkmcnt(5)
	v_fma_f32 v62, -v5, v39, v40
	s_waitcnt lgkmcnt(4)
	v_fma_f32 v59, -v5, v59, v41
	v_mul_f32_e32 v41, v60, v10
	v_mov_b32_e32 v40, v5
	v_pk_mul_f32 v[6:7], v[40:41], v[6:7]
	v_pk_mul_f32 v[36:37], v[4:5], v[36:37]
	;; [unrolled: 1-line block ×5, first 2 shown]
	v_sub_f32_e32 v6, v56, v6
	v_sub_f32_e32 v29, v29, v36
	;; [unrolled: 1-line block ×9, first 2 shown]
	s_waitcnt lgkmcnt(1)
	v_mov_b32_e32 v24, v34
	v_mov_b32_e32 v34, v14
	;; [unrolled: 1-line block ×3, first 2 shown]
	s_waitcnt lgkmcnt(0)
	v_mov_b32_e32 v44, v50
	v_mov_b32_e32 v50, v38
	ds_read2_b32 v[36:37], v47 offset0:199 offset1:200
	ds_read2_b32 v[38:39], v47 offset0:231 offset1:232
	v_pk_mul_f32 v[2:3], v[40:41], v[12:13]
	ds_read2_b32 v[12:13], v47 offset0:235 offset1:236
	v_sub_f32_e32 v11, v6, v9
	ds_read2_b32 v[8:9], v47 offset0:189 offset1:190
	v_pk_mul_f32 v[4:5], v[40:41], v[22:23]
	v_pk_mul_f32 v[6:7], v[40:41], v[50:51]
	v_sub_f32_e32 v4, v31, v4
	v_sub_f32_e32 v22, v4, v5
	;; [unrolled: 1-line block ×5, first 2 shown]
	s_waitcnt lgkmcnt(0)
	v_mov_b32_e32 v31, v9
	v_mul_f32_e32 v7, v22, v8
	v_mov_b32_e32 v6, v41
	v_sub_f32_e32 v37, v2, v3
	ds_read_b128 v[2:5], v47 offset:1008
	ds_read2_b32 v[50:51], v47 offset0:237 offset1:238
	ds_write2_b32 v1, v41, v7 offset0:160 offset1:180
	v_pk_mul_f32 v[8:9], v[6:7], v[30:31]
	v_mov_b32_e32 v27, 0x444
	v_fma_f32 v59, -v41, v53, v59
	ds_read2_b32 v[22:23], v47 offset0:239 offset1:240
	ds_read2_b32 v[40:41], v27 offset1:1
	v_sub_f32_e32 v8, v25, v8
	s_waitcnt lgkmcnt(1)
	v_sub_f32_e32 v23, v8, v9
	v_pk_mul_f32 v[42:43], v[6:7], v[42:43]
	v_mov_b32_e32 v27, v19
	v_pk_mul_f32 v[44:45], v[6:7], v[44:45]
	v_pk_mul_f32 v[8:9], v[6:7], v[32:33]
	v_mov_b32_e32 v32, v7
	v_mul_f32_e32 v33, v23, v18
	v_sub_f32_e32 v19, v61, v42
	v_sub_f32_e32 v18, v49, v44
	;; [unrolled: 1-line block ×3, first 2 shown]
	v_pk_mul_f32 v[42:43], v[32:33], v[14:15]
	v_mov_b32_e32 v10, v4
	v_mov_b32_e32 v4, v12
	;; [unrolled: 1-line block ×6, first 2 shown]
	v_sub_f32_e32 v11, v11, v42
	ds_read2_b32 v[30:31], v52 offset1:1
	v_sub_f32_e32 v61, v18, v45
	v_sub_f32_e32 v64, v11, v43
	ds_read_b128 v[42:45], v47 offset:1344
	v_pk_mul_f32 v[52:53], v[6:7], v[54:55]
	v_pk_mul_f32 v[54:55], v[32:33], v[20:21]
	v_sub_f32_e32 v18, v62, v52
	v_sub_f32_e32 v62, v18, v53
	v_pk_mul_f32 v[18:19], v[32:33], v[26:27]
	v_sub_f32_e32 v6, v29, v8
	v_sub_f32_e32 v18, v37, v18
	;; [unrolled: 1-line block ×3, first 2 shown]
	ds_read2_b64 v[18:21], v47 offset0:109 offset1:149
	v_sub_f32_e32 v63, v6, v9
	ds_read_b128 v[6:9], v47 offset:1024
	v_pk_mul_f32 v[56:57], v[32:33], v[16:17]
	v_mov_b32_e32 v25, 0x4ec
	s_waitcnt lgkmcnt(1)
	v_mov_b32_e32 v37, v19
	v_pk_mul_f32 v[36:37], v[32:33], v[36:37]
	v_sub_f32_e32 v19, v58, v56
	v_sub_f32_e32 v29, v59, v36
	;; [unrolled: 1-line block ×4, first 2 shown]
	v_mov_b32_e32 v29, v39
	v_mul_f32_e32 v39, v23, v38
	v_mov_b32_e32 v38, v33
	v_sub_f32_e32 v26, v60, v54
	v_mov_b32_e32 v11, 0x454
	v_pk_mul_f32 v[28:29], v[38:39], v[28:29]
	ds_read2_b64 v[14:17], v47 offset0:147 offset1:148
	v_sub_f32_e32 v60, v26, v55
	v_mov_b32_e32 v26, v30
	s_waitcnt lgkmcnt(1)
	v_mov_b32_e32 v30, v6
	v_mov_b32_e32 v6, v50
	;; [unrolled: 1-line block ×3, first 2 shown]
	ds_read2_b32 v[36:37], v25 offset1:1
	ds_read2_b32 v[50:51], v11 offset1:1
	v_sub_f32_e32 v11, v63, v28
	v_sub_f32_e32 v11, v11, v29
	v_pk_mul_f32 v[28:29], v[38:39], v[34:35]
	v_mov_b32_e32 v27, 0x4f4
	v_sub_f32_e32 v25, v49, v28
	v_mov_b32_e32 v54, 0x594
	v_mov_b32_e32 v23, v9
	;; [unrolled: 1-line block ×3, first 2 shown]
	v_sub_f32_e32 v49, v25, v29
	v_mov_b32_e32 v25, v3
	v_mul_f32_e32 v3, v11, v2
	v_mov_b32_e32 v2, v39
	v_pk_mul_f32 v[18:19], v[38:39], v[18:19]
	ds_read2_b32 v[52:53], v27 offset1:1
	ds_write2_b32 v1, v33, v39 offset0:200 offset1:220
	ds_read2_b32 v[32:33], v54 offset1:1
	ds_read2_b32 v[28:29], v9 offset1:1
	v_sub_f32_e32 v11, v62, v18
	v_pk_mul_f32 v[24:25], v[2:3], v[24:25]
	v_mov_b32_e32 v27, 0x4fc
	v_mov_b32_e32 v54, 0x59c
	v_pk_mul_f32 v[4:5], v[2:3], v[4:5]
	s_waitcnt lgkmcnt(0)
	v_mov_b32_e32 v29, v21
	v_sub_f32_e32 v21, v11, v19
	v_sub_f32_e32 v11, v60, v24
	ds_read2_b32 v[34:35], v27 offset1:1
	ds_read2_b32 v[54:55], v54 offset1:1
	v_pk_mul_f32 v[12:13], v[38:39], v[12:13]
	v_mov_b32_e32 v27, v15
	v_sub_f32_e32 v15, v11, v25
	v_sub_f32_e32 v4, v64, v4
	v_sub_f32_e32 v9, v61, v12
	v_sub_f32_e32 v38, v4, v5
	v_pk_mul_f32 v[4:5], v[2:3], v[6:7]
	v_mul_f32_e32 v7, v15, v40
	v_mov_b32_e32 v6, v3
	v_sub_f32_e32 v9, v9, v13
	v_pk_mul_f32 v[30:31], v[6:7], v[30:31]
	v_mov_b32_e32 v11, v41
	v_sub_f32_e32 v4, v56, v4
	v_sub_f32_e32 v15, v9, v30
	v_mov_b32_e32 v9, v51
	v_pk_mul_f32 v[10:11], v[6:7], v[10:11]
	v_sub_f32_e32 v30, v4, v5
	v_pk_mul_f32 v[4:5], v[6:7], v[8:9]
	v_pk_mul_f32 v[8:9], v[2:3], v[22:23]
	v_sub_f32_e32 v10, v49, v10
	v_sub_f32_e32 v2, v57, v8
	;; [unrolled: 1-line block ×4, first 2 shown]
	v_mov_b32_e32 v13, v37
	ds_read_b64 v[24:25], v47 offset:1512
	ds_read_b32 v37, v47 offset:1596
	ds_write2_b32 v46, v3, v7 offset0:112 offset1:132
	v_mul_f32_e32 v3, v2, v14
	v_mov_b32_e32 v2, v7
	v_pk_mul_f32 v[6:7], v[2:3], v[26:27]
	v_mov_b32_e32 v12, v16
	v_mov_b32_e32 v16, v50
	v_sub_f32_e32 v4, v21, v4
	v_sub_f32_e32 v6, v38, v6
	v_pk_mul_f32 v[8:9], v[2:3], v[16:17]
	v_sub_f32_e32 v11, v4, v5
	v_sub_f32_e32 v4, v6, v7
	;; [unrolled: 1-line block ×3, first 2 shown]
	v_mul_f32_e32 v5, v4, v36
	v_mov_b32_e32 v4, v3
	v_mov_b32_e32 v21, v53
	v_sub_f32_e32 v10, v15, v31
	v_pk_mul_f32 v[6:7], v[4:5], v[12:13]
	v_sub_f32_e32 v12, v8, v9
	v_pk_mul_f32 v[8:9], v[4:5], v[20:21]
	v_sub_f32_e32 v6, v10, v6
	v_sub_f32_e32 v8, v11, v8
	v_pk_mul_f32 v[10:11], v[2:3], v[28:29]
	v_mov_b32_e32 v18, v52
	v_sub_f32_e32 v2, v22, v10
	v_sub_f32_e32 v10, v2, v11
	;; [unrolled: 1-line block ×3, first 2 shown]
	v_mov_b32_e32 v19, v43
	ds_write2_b32 v48, v3, v5 offset0:24 offset1:44
	v_mul_f32_e32 v3, v2, v42
	v_mov_b32_e32 v2, v5
	v_pk_mul_f32 v[4:5], v[2:3], v[18:19]
	s_waitcnt lgkmcnt(5)
	v_mov_b32_e32 v35, v45
	v_sub_f32_e32 v4, v12, v4
	v_sub_f32_e32 v4, v4, v5
	v_mul_f32_e32 v5, v4, v32
	v_mov_b32_e32 v4, v3
	v_mov_b32_e32 v45, v33
	v_sub_f32_e32 v8, v8, v9
	v_pk_mul_f32 v[6:7], v[4:5], v[44:45]
	ds_write2_b32 v48, v3, v5 offset0:64 offset1:84
	v_sub_f32_e32 v4, v8, v6
	v_pk_mul_f32 v[8:9], v[2:3], v[34:35]
	s_waitcnt lgkmcnt(4)
	v_mov_b32_e32 v55, v25
	v_sub_f32_e32 v2, v10, v8
	v_sub_f32_e32 v6, v2, v9
	;; [unrolled: 1-line block ×3, first 2 shown]
	v_mul_f32_e32 v3, v2, v24
	v_mov_b32_e32 v2, v5
	v_pk_mul_f32 v[4:5], v[2:3], v[54:55]
	s_mov_b32 s7, 20
	v_sub_f32_e32 v2, v6, v4
	v_sub_f32_e32 v2, v2, v5
	s_waitcnt lgkmcnt(3)
	v_mul_f32_e32 v2, v2, v37
	ds_write2_b32 v48, v3, v2 offset0:104 offset1:124
.LBB23_45:
	s_cmp_lt_i32 s7, s26
	s_cbranch_scc0 .LBB23_56
; %bb.46:
	s_add_i32 s16, s7, 15
	s_cmp_ge_u32 s16, s26
	s_cbranch_scc1 .LBB23_51
; %bb.47:
	s_mul_i32 s17, s7, 0x50
	v_add_u32_e32 v29, s17, v1
	ds_read2_b32 v[22:23], v29 offset1:20
	ds_read2_b32 v[24:25], v29 offset0:40 offset1:60
	ds_read2_b32 v[12:13], v29 offset0:80 offset1:100
	;; [unrolled: 1-line block ×5, first 2 shown]
	v_add_u32_e32 v2, 0x200, v29
	v_add_u32_e32 v4, 0x400, v29
	ds_read2_b32 v[2:3], v2 offset0:112 offset1:132
	ds_read2_b32 v[4:5], v4 offset0:24 offset1:44
	s_andn2_b64 vcc, exec, s[4:5]
	s_lshl_b32 s4, s7, 2
	s_cbranch_vccnz .LBB23_50
; %bb.48:
	v_mov_b32_e32 v14, 0x640
	v_lshl_add_u32 v14, v0, 2, v14
	s_mov_b32 s5, s4
	s_mov_b32 s18, s7
.LBB23_49:                              ; =>This Inner Loop Header: Depth=1
	v_mov_b32_e32 v15, s5
	ds_read_b32 v20, v14
	ds_read_b128 v[16:19], v15
	ds_read_b128 v[30:33], v15 offset:16
	ds_read_b128 v[34:37], v15 offset:32
	;; [unrolled: 1-line block ×3, first 2 shown]
	s_add_i32 s18, s18, -1
	s_addk_i32 s5, 0x50
	v_add_u32_e32 v14, 0x50, v14
	s_cmp_lg_u32 s18, 0
	s_waitcnt lgkmcnt(3)
	v_pk_fma_f32 v[22:23], v[20:21], v[16:17], v[22:23] op_sel_hi:[0,1,1] neg_lo:[1,0,0] neg_hi:[1,0,0]
	v_pk_fma_f32 v[24:25], v[20:21], v[18:19], v[24:25] op_sel_hi:[0,1,1] neg_lo:[1,0,0] neg_hi:[1,0,0]
	s_waitcnt lgkmcnt(2)
	v_pk_fma_f32 v[12:13], v[20:21], v[30:31], v[12:13] op_sel_hi:[0,1,1] neg_lo:[1,0,0] neg_hi:[1,0,0]
	v_pk_fma_f32 v[10:11], v[20:21], v[32:33], v[10:11] op_sel_hi:[0,1,1] neg_lo:[1,0,0] neg_hi:[1,0,0]
	;; [unrolled: 3-line block ×4, first 2 shown]
	s_cbranch_scc1 .LBB23_49
.LBB23_50:
	s_add_i32 s24, s17, 0x50
	s_add_i32 s18, s4, s24
	;; [unrolled: 1-line block ×4, first 2 shown]
	v_mov_b32_e32 v37, s18
	s_add_i32 s18, s4, s21
	s_add_i32 s20, s17, 0xf0
	v_mov_b32_e32 v44, s5
	s_add_i32 s19, s4, s20
	v_mov_b32_e32 v56, s18
	ds_read_b128 v[30:33], v44
	ds_read_b128 v[40:43], v44 offset:16
	ds_read_b128 v[46:49], v44 offset:32
	;; [unrolled: 1-line block ×3, first 2 shown]
	ds_read2_b32 v[26:27], v37 offset0:5 offset1:6
	ds_read2_b32 v[54:55], v37 offset0:7 offset1:8
	;; [unrolled: 1-line block ×3, first 2 shown]
	v_mov_b32_e32 v45, s19
	ds_read2_b64 v[14:17], v56 offset0:3 offset1:4
	ds_read2_b32 v[18:19], v45 offset0:5 offset1:6
	s_waitcnt lgkmcnt(8)
	v_mul_f32_e32 v30, v22, v30
	s_waitcnt lgkmcnt(5)
	v_fma_f32 v39, -v30, v50, v2
	s_waitcnt lgkmcnt(2)
	v_mov_b32_e32 v38, v34
	v_mov_b32_e32 v34, v40
	v_fma_f32 v50, -v30, v51, v3
	v_fma_f32 v51, -v30, v52, v4
	;; [unrolled: 1-line block ×3, first 2 shown]
	s_waitcnt lgkmcnt(0)
	v_mov_b32_e32 v28, v18
	v_mov_b32_e32 v18, v14
	;; [unrolled: 1-line block ×3, first 2 shown]
	ds_read_b128 v[2:5], v44 offset:336
	ds_read2_b32 v[20:21], v45 offset0:7 offset1:8
	v_mov_b32_e32 v54, v46
	v_fma_f32 v57, -v30, v41, v13
	ds_read2_b32 v[40:41], v37 offset0:9 offset1:10
	v_fma_f32 v59, -v30, v47, v7
	ds_read2_b32 v[46:47], v44 offset0:21 offset1:22
	v_fma_f32 v7, -v30, v31, v23
	v_mov_b32_e32 v36, v26
	v_mov_b32_e32 v26, v42
	v_fma_f32 v58, -v30, v43, v11
	v_fma_f32 v23, -v30, v33, v25
	v_mov_b32_e32 v42, v32
	ds_read2_b32 v[32:33], v45 offset0:9 offset1:10
	s_waitcnt lgkmcnt(1)
	v_mul_f32_e32 v31, v7, v46
	v_mov_b32_e32 v43, v47
	v_pk_mul_f32 v[42:43], v[30:31], v[42:43]
	v_mov_b32_e32 v22, v4
	v_sub_f32_e32 v7, v24, v42
	v_pk_mul_f32 v[24:25], v[30:31], v[34:35]
	v_mov_b32_e32 v4, v20
	v_mov_b32_e32 v20, v16
	;; [unrolled: 1-line block ×4, first 2 shown]
	v_sub_f32_e32 v53, v7, v43
	v_sub_f32_e32 v7, v12, v24
	v_pk_mul_f32 v[12:13], v[30:31], v[26:27]
	v_sub_f32_e32 v61, v7, v25
	v_sub_f32_e32 v7, v10, v12
	s_add_i32 s18, s17, 0x190
	v_pk_mul_f32 v[24:25], v[30:31], v[40:41]
	v_fma_f32 v60, -v30, v49, v9
	v_sub_f32_e32 v62, v7, v13
	s_add_i32 s19, s17, 0x140
	s_add_i32 s27, s4, s18
	v_sub_f32_e32 v7, v8, v24
	v_pk_mul_f32 v[8:9], v[30:31], v[54:55]
	s_add_i32 s25, s4, s19
	v_mov_b32_e32 v63, s27
	v_sub_f32_e32 v6, v6, v8
	v_mov_b32_e32 v64, s25
	v_sub_f32_e32 v54, v6, v9
	ds_read2_b32 v[26:27], v63 offset0:7 offset1:8
	ds_read_b128 v[10:13], v64 offset:32
	v_sub_f32_e32 v25, v7, v25
	ds_read2_b64 v[40:43], v56 offset0:5 offset1:6
	ds_read2_b32 v[6:7], v37 offset0:11 offset1:12
	s_addk_i32 s5, 0x444
	s_waitcnt lgkmcnt(3)
	v_mov_b32_e32 v24, v26
	s_waitcnt lgkmcnt(2)
	v_mov_b32_e32 v26, v10
	v_mov_b32_e32 v10, v32
	s_waitcnt lgkmcnt(1)
	v_mov_b32_e32 v32, v40
	s_waitcnt lgkmcnt(0)
	v_mov_b32_e32 v40, v6
	v_fma_f32 v55, -v31, v7, v39
	ds_read2_b32 v[6:7], v37 offset0:13 offset1:14
	ds_read_b32 v8, v37 offset:60
	ds_read2_b64 v[46:49], v44 offset0:21 offset1:22
	ds_write_b32 v29, v30
	s_waitcnt lgkmcnt(3)
	v_fma_f32 v37, -v31, v6, v50
	v_fma_f32 v65, -v31, v7, v51
	v_mov_b32_e32 v50, v31
	s_waitcnt lgkmcnt(1)
	v_mul_f32_e32 v51, v53, v46
	v_pk_mul_f32 v[14:15], v[50:51], v[14:15]
	v_add_u32_e32 v6, s24, v1
	v_pk_mul_f32 v[40:41], v[50:51], v[40:41]
	v_mov_b32_e32 v39, v47
	v_pk_mul_f32 v[16:17], v[50:51], v[16:17]
	v_sub_f32_e32 v14, v58, v14
	ds_write_b32 v6, v31
	v_pk_mul_f32 v[38:39], v[50:51], v[38:39]
	v_sub_f32_e32 v58, v14, v15
	v_sub_f32_e32 v14, v59, v16
	;; [unrolled: 1-line block ×3, first 2 shown]
	v_fma_f32 v29, -v31, v8, v52
	ds_read2_b32 v[34:35], v63 offset0:9 offset1:10
	ds_read2_b64 v[6:9], v44 offset0:63 offset1:64
	ds_read2_b32 v[52:53], v45 offset0:11 offset1:12
	v_sub_f32_e32 v23, v23, v38
	v_sub_f32_e32 v59, v14, v17
	ds_read_b64 v[14:15], v56 offset:56
	ds_read_b32 v38, v45 offset:60
	v_sub_f32_e32 v56, v16, v41
	ds_read2_b32 v[16:17], v44 offset0:63 offset1:64
	ds_read2_b32 v[40:41], v63 offset0:11 offset1:12
	v_fma_f32 v31, -v51, v43, v37
	v_sub_f32_e32 v23, v23, v39
	v_mov_b32_e32 v37, v49
	v_pk_mul_f32 v[36:37], v[50:51], v[36:37]
	s_waitcnt lgkmcnt(3)
	v_fma_f32 v39, -v51, v14, v65
	v_fma_f32 v29, -v51, v15, v29
	ds_read2_b32 v[14:15], v45 offset0:13 offset1:14
	s_waitcnt lgkmcnt(2)
	v_mov_b32_e32 v49, v17
	v_mul_f32_e32 v17, v23, v16
	v_mov_b32_e32 v16, v51
	v_sub_f32_e32 v36, v57, v36
	v_pk_mul_f32 v[18:19], v[16:17], v[18:19]
	v_sub_f32_e32 v57, v36, v37
	v_add_u32_e32 v36, s21, v1
	s_add_i32 s24, s17, 0x1e0
	s_add_i32 s21, s17, 0x230
	v_sub_f32_e32 v18, v62, v18
	ds_write_b32 v36, v51
	v_pk_mul_f32 v[36:37], v[16:17], v[48:49]
	s_add_i32 s25, s4, s24
	s_add_i32 s27, s4, s21
	v_sub_f32_e32 v60, v18, v19
	v_pk_mul_f32 v[18:19], v[16:17], v[32:33]
	v_pk_mul_f32 v[20:21], v[16:17], v[20:21]
	v_sub_f32_e32 v23, v61, v36
	v_mov_b32_e32 v45, s27
	v_mov_b32_e32 v61, s25
	v_sub_f32_e32 v18, v25, v18
	v_sub_f32_e32 v20, v54, v20
	;; [unrolled: 1-line block ×3, first 2 shown]
	ds_read2_b32 v[36:37], v45 offset0:9 offset1:10
	v_sub_f32_e32 v25, v20, v21
	v_sub_f32_e32 v54, v18, v19
	ds_read2_b64 v[18:21], v61 offset0:5 offset1:6
	ds_read_b128 v[46:49], v64 offset:48
	v_mov_b32_e32 v30, v8
	v_mov_b32_e32 v8, v34
	;; [unrolled: 1-line block ×5, first 2 shown]
	v_pk_mul_f32 v[32:33], v[16:17], v[52:53]
	s_waitcnt lgkmcnt(4)
	v_fma_f32 v52, -v17, v15, v39
	v_sub_f32_e32 v16, v55, v32
	s_waitcnt lgkmcnt(2)
	v_mov_b32_e32 v32, v36
	s_waitcnt lgkmcnt(1)
	v_mov_b32_e32 v36, v18
	v_mov_b32_e32 v18, v40
	s_waitcnt lgkmcnt(0)
	v_mov_b32_e32 v40, v46
	v_mov_b32_e32 v46, v14
	v_add_u32_e32 v14, s20, v1
	ds_write_b32 v14, v17
	v_sub_f32_e32 v33, v16, v33
	v_fma_f32 v29, -v17, v38, v29
	v_mov_b32_e32 v42, v17
	ds_read_b128 v[14:17], v44 offset:672
	ds_read2_b32 v[38:39], v45 offset0:11 offset1:12
	ds_read2_b32 v[50:51], v63 offset0:13 offset1:14
	v_mul_f32_e32 v43, v23, v2
	v_pk_mul_f32 v[4:5], v[42:43], v[4:5]
	s_waitcnt lgkmcnt(2)
	v_mov_b32_e32 v2, v16
	s_waitcnt lgkmcnt(1)
	v_mov_b32_e32 v16, v38
	v_mov_b32_e32 v38, v20
	s_waitcnt lgkmcnt(0)
	v_mov_b32_e32 v20, v50
	v_mov_b32_e32 v50, v48
	v_fma_f32 v53, -v43, v49, v29
	v_pk_mul_f32 v[48:49], v[42:43], v[10:11]
	v_mov_b32_e32 v29, v3
	v_sub_f32_e32 v4, v58, v4
	v_pk_mul_f32 v[12:13], v[42:43], v[12:13]
	v_pk_mul_f32 v[10:11], v[42:43], v[28:29]
	v_sub_f32_e32 v5, v4, v5
	v_sub_f32_e32 v4, v59, v48
	;; [unrolled: 1-line block ×6, first 2 shown]
	ds_read_b32 v28, v63 offset:60
	ds_read_b64 v[10:11], v61 offset:56
	ds_read2_b32 v[48:49], v45 offset0:13 offset1:14
	v_sub_f32_e32 v56, v4, v13
	ds_read2_b32 v[12:13], v44 offset0:105 offset1:106
	ds_read_b32 v4, v45 offset:60
	v_pk_mul_f32 v[46:47], v[42:43], v[46:47]
	v_add_u32_e32 v29, s19, v1
	v_sub_f32_e32 v23, v31, v46
	v_sub_f32_e32 v31, v23, v47
	s_waitcnt lgkmcnt(1)
	v_mov_b32_e32 v23, v13
	v_mul_f32_e32 v13, v3, v12
	v_mov_b32_e32 v12, v43
	v_pk_mul_f32 v[22:23], v[12:13], v[22:23]
	s_add_i32 s19, s17, 0x2d0
	v_sub_f32_e32 v22, v60, v22
	ds_write_b32 v29, v43
	v_add_u32_e32 v3, s18, v1
	v_sub_f32_e32 v29, v22, v23
	s_add_i32 s18, s17, 0x280
	v_pk_mul_f32 v[22:23], v[12:13], v[26:27]
	v_add_u32_e32 v60, s19, v1
	s_add_i32 s19, s4, s19
	ds_read2_b32 v[46:47], v44 offset0:147 offset1:148
	v_add_u32_e32 v58, s18, v1
	s_add_i32 s18, s4, s18
	v_sub_f32_e32 v22, v25, v22
	v_mov_b32_e32 v61, s19
	s_add_i32 s19, s17, 0x370
	v_pk_mul_f32 v[26:27], v[12:13], v[40:41]
	v_pk_mul_f32 v[34:35], v[12:13], v[34:35]
	v_sub_f32_e32 v59, v22, v23
	ds_write_b32 v3, v13
	v_mov_b32_e32 v3, s18
	s_add_i32 s18, s4, s19
	v_pk_mul_f32 v[22:23], v[12:13], v[50:51]
	v_mov_b32_e32 v12, v13
	v_mul_f32_e32 v13, v29, v6
	v_mov_b32_e32 v25, v7
	v_sub_f32_e32 v6, v33, v26
	v_sub_f32_e32 v7, v54, v34
	v_mov_b32_e32 v62, s18
	v_pk_mul_f32 v[40:41], v[12:13], v[8:9]
	v_sub_f32_e32 v33, v7, v35
	v_sub_f32_e32 v51, v6, v27
	ds_read_b128 v[6:9], v3 offset:48
	ds_read2_b32 v[26:27], v62 offset0:13 offset1:14
	v_pk_mul_f32 v[24:25], v[12:13], v[24:25]
	ds_read2_b32 v[34:35], v61 offset0:11 offset1:12
	ds_read2_b32 v[42:43], v61 offset0:13 offset1:14
	ds_read_b32 v50, v61 offset:60
	v_sub_f32_e32 v5, v5, v24
	v_pk_mul_f32 v[18:19], v[12:13], v[18:19]
	v_pk_mul_f32 v[20:21], v[12:13], v[20:21]
	v_mov_b32_e32 v29, v11
	v_sub_f32_e32 v5, v5, v25
	v_sub_f32_e32 v11, v55, v40
	v_add_u32_e32 v45, s24, v1
	v_sub_f32_e32 v3, v52, v22
	v_sub_f32_e32 v41, v11, v41
	;; [unrolled: 1-line block ×4, first 2 shown]
	s_waitcnt lgkmcnt(6)
	v_mov_b32_e32 v31, v47
	v_mul_f32_e32 v47, v5, v46
	v_mov_b32_e32 v46, v13
	v_sub_f32_e32 v3, v3, v23
	s_waitcnt lgkmcnt(2)
	v_mov_b32_e32 v40, v34
	v_mov_b32_e32 v34, v6
	;; [unrolled: 1-line block ×3, first 2 shown]
	v_sub_f32_e32 v52, v11, v19
	v_sub_f32_e32 v54, v18, v21
	v_mov_b32_e32 v11, v49
	ds_read2_b32 v[48:49], v44 offset0:189 offset1:190
	ds_read2_b64 v[18:21], v44 offset0:105 offset1:106
	ds_write_b32 v45, v13
	v_pk_mul_f32 v[22:23], v[46:47], v[30:31]
	v_pk_mul_f32 v[12:13], v[12:13], v[28:29]
	s_add_i32 s18, s17, 0x320
	v_sub_f32_e32 v5, v59, v22
	v_sub_f32_e32 v12, v53, v12
	v_pk_mul_f32 v[28:29], v[46:47], v[36:37]
	v_add_u32_e32 v45, s18, v1
	s_add_i32 s18, s4, s18
	v_sub_f32_e32 v53, v12, v13
	v_sub_f32_e32 v5, v5, v23
	ds_read2_b32 v[12:13], v44 offset0:231 offset1:232
	ds_read_b128 v[22:25], v44 offset:1008
	v_mov_b32_e32 v30, s5
	v_sub_f32_e32 v28, v33, v28
	s_addk_i32 s17, 0x410
	v_sub_f32_e32 v44, v28, v29
	ds_read2_b32 v[28:29], v30 offset1:1
	v_mov_b32_e32 v33, s18
	v_pk_mul_f32 v[30:31], v[46:47], v[38:39]
	v_pk_mul_f32 v[10:11], v[46:47], v[10:11]
	s_add_i32 s4, s4, s17
	s_add_i32 s5, s7, 14
	v_add_u32_e32 v57, s21, v1
	v_add_u32_e32 v56, s17, v1
	v_mov_b32_e32 v36, v47
	v_mul_f32_e32 v37, v5, v14
	ds_read_b64 v[38:39], v33 offset:56
	s_mul_i32 s17, s5, 0x54
	v_mov_b32_e32 v33, v15
	v_mov_b32_e32 v5, v9
	v_sub_f32_e32 v9, v51, v30
	v_mov_b32_e32 v30, s4
	v_sub_f32_e32 v3, v3, v10
	s_mul_i32 s4, s16, 0x54
	ds_write_b32 v57, v47
	v_pk_mul_f32 v[14:15], v[36:37], v[16:17]
	v_mov_b32_e32 v16, s17
	v_sub_f32_e32 v46, v3, v11
	v_mov_b32_e32 v3, s4
	v_pk_mul_f32 v[32:33], v[36:37], v[32:33]
	ds_read_b64 v[10:11], v16
	ds_read_b32 v16, v30 offset:60
	ds_read_b32 v47, v3
	v_sub_f32_e32 v3, v41, v32
	v_sub_f32_e32 v9, v9, v31
	s_waitcnt lgkmcnt(6)
	v_mov_b32_e32 v31, v25
	v_sub_f32_e32 v25, v3, v33
	v_sub_f32_e32 v3, v52, v14
	v_pk_mul_f32 v[6:7], v[36:37], v[6:7]
	v_mov_b32_e32 v33, v13
	v_sub_f32_e32 v13, v3, v15
	v_sub_f32_e32 v3, v54, v6
	s_waitcnt lgkmcnt(4)
	v_mov_b32_e32 v51, v39
	v_sub_f32_e32 v39, v3, v7
	v_mov_b32_e32 v3, v49
	v_mul_f32_e32 v15, v25, v48
	v_mov_b32_e32 v14, v37
	v_pk_mul_f32 v[2:3], v[14:15], v[2:3]
	v_pk_mul_f32 v[4:5], v[36:37], v[4:5]
	v_sub_f32_e32 v2, v44, v2
	v_sub_f32_e32 v2, v2, v3
	v_mov_b32_e32 v41, v19
	v_sub_f32_e32 v4, v53, v4
	v_mul_f32_e32 v3, v2, v18
	v_mov_b32_e32 v2, v15
	v_mov_b32_e32 v7, v23
	v_pk_mul_f32 v[34:35], v[14:15], v[34:35]
	v_sub_f32_e32 v23, v4, v5
	v_pk_mul_f32 v[4:5], v[2:3], v[40:41]
	v_sub_f32_e32 v19, v9, v34
	v_mov_b32_e32 v9, v43
	v_sub_f32_e32 v4, v13, v4
	v_mov_b32_e32 v32, v20
	v_mov_b32_e32 v20, v42
	v_pk_mul_f32 v[8:9], v[14:15], v[8:9]
	v_sub_f32_e32 v4, v4, v5
	v_sub_f32_e32 v8, v46, v8
	ds_write_b32 v60, v15
	v_pk_mul_f32 v[14:15], v[2:3], v[20:21]
	v_mul_f32_e32 v5, v4, v12
	v_mov_b32_e32 v4, v3
	v_sub_f32_e32 v13, v19, v35
	v_sub_f32_e32 v14, v39, v14
	;; [unrolled: 1-line block ×3, first 2 shown]
	ds_write_b32 v45, v3
	v_pk_mul_f32 v[8:9], v[4:5], v[32:33]
	v_mov_b32_e32 v39, v27
	v_pk_mul_f32 v[2:3], v[2:3], v[50:51]
	v_sub_f32_e32 v8, v13, v8
	v_pk_mul_f32 v[12:13], v[4:5], v[38:39]
	v_sub_f32_e32 v2, v23, v2
	v_sub_f32_e32 v4, v18, v12
	;; [unrolled: 1-line block ×4, first 2 shown]
	ds_read_b32 v30, v62 offset:60
	v_mov_b32_e32 v6, v26
	v_mul_f32_e32 v3, v2, v22
	v_mov_b32_e32 v2, v5
	v_sub_f32_e32 v14, v14, v15
	v_pk_mul_f32 v[6:7], v[2:3], v[6:7]
	v_add_u32_e32 v55, s19, v1
	v_sub_f32_e32 v6, v14, v6
	v_sub_f32_e32 v8, v4, v13
	;; [unrolled: 1-line block ×3, first 2 shown]
	ds_write_b32 v58, v37
	ds_write2_b32 v55, v5, v3 offset1:20
	v_mul_f32_e32 v5, v4, v28
	v_mov_b32_e32 v4, v3
	v_mov_b32_e32 v25, v29
	v_pk_mul_f32 v[6:7], v[4:5], v[24:25]
	s_waitcnt lgkmcnt(2)
	v_pk_mul_f32 v[2:3], v[2:3], v[30:31]
	v_sub_f32_e32 v4, v8, v6
	v_sub_f32_e32 v2, v12, v2
	s_mulk_i32 s5, 0x50
	v_sub_f32_e32 v6, v2, v3
	v_sub_f32_e32 v2, v4, v7
	v_add_u32_e32 v17, s5, v1
	v_mul_f32_e32 v3, v2, v10
	ds_write_b32 v56, v5
	ds_write_b32 v17, v3
	v_mov_b32_e32 v2, v5
	v_mov_b32_e32 v17, v11
	v_pk_mul_f32 v[2:3], v[2:3], v[16:17]
	s_mulk_i32 s16, 0x50
	v_sub_f32_e32 v2, v6, v2
	v_sub_f32_e32 v2, v2, v3
	v_mul_f32_e32 v2, v2, v47
	v_add_u32_e32 v3, s16, v1
	s_add_i32 s7, s7, 16
	ds_write_b32 v3, v2
.LBB23_51:
	s_cmp_ge_i32 s7, s26
	s_cbranch_scc1 .LBB23_56
; %bb.52:
	v_mov_b32_e32 v2, 0x640
	s_lshl_b32 s4, s7, 2
	v_lshl_add_u32 v2, v0, 2, v2
	s_branch .LBB23_54
.LBB23_53:                              ;   in Loop: Header=BB23_54 Depth=1
	s_lshl_b32 s16, s7, 2
	s_add_i32 s5, s16, s5
	v_mov_b32_e32 v5, s5
	ds_read_b32 v5, v5
	s_add_i32 s7, s7, 1
	s_add_i32 s4, s4, 4
	s_cmp_ge_i32 s7, s26
	s_waitcnt lgkmcnt(0)
	v_mul_f32_e32 v4, v4, v5
	ds_write_b32 v3, v4
	s_cbranch_scc1 .LBB23_56
.LBB23_54:                              ; =>This Loop Header: Depth=1
                                        ;     Child Loop BB23_55 Depth 2
	s_mul_i32 s5, s7, 0x50
	v_add_u32_e32 v3, s5, v1
	ds_read_b32 v4, v3
	s_cmp_eq_u32 s7, 0
	v_mov_b32_e32 v5, v2
	s_mov_b32 s16, s4
	s_mov_b32 s17, s7
	s_cbranch_scc1 .LBB23_53
.LBB23_55:                              ;   Parent Loop BB23_54 Depth=1
                                        ; =>  This Inner Loop Header: Depth=2
	v_mov_b32_e32 v7, s16
	ds_read_b32 v6, v5
	ds_read_b32 v7, v7
	s_add_i32 s17, s17, -1
	s_addk_i32 s16, 0x50
	v_add_u32_e32 v5, 0x50, v5
	s_cmp_lg_u32 s17, 0
	s_waitcnt lgkmcnt(0)
	v_fma_f32 v4, -v6, v7, v4
	s_cbranch_scc1 .LBB23_55
	s_branch .LBB23_53
.LBB23_56:
	s_waitcnt lgkmcnt(0)
	; wave barrier
	s_and_saveexec_b64 s[4:5], s[0:1]
	s_cbranch_execz .LBB23_65
; %bb.57:
	s_andn2_b64 vcc, exec, s[14:15]
	s_cbranch_vccnz .LBB23_65
; %bb.58:
	s_cmp_eq_u32 s6, 1
	s_cbranch_scc1 .LBB23_62
; %bb.59:
	v_mad_i64_i32 v[2:3], s[0:1], s22, v0, 0
	s_and_b32 s4, s26, 30
	v_lshl_add_u64 v[2:3], v[2:3], 2, s[12:13]
	s_mov_b32 s0, 1
	s_mov_b32 s1, 0
	;; [unrolled: 1-line block ×3, first 2 shown]
.LBB23_60:                              ; =>This Inner Loop Header: Depth=1
	s_mul_i32 s6, s0, 0x50
	s_mul_i32 s7, s1, 0x50
	v_add_u32_e32 v4, s7, v1
	v_add_u32_e32 v5, s6, v1
	ds_read_b32 v4, v4
	ds_read_b32 v5, v5
	s_add_i32 s1, s1, 2
	s_add_i32 s0, s0, 2
	s_add_i32 s5, s5, -2
	s_cmp_lg_u32 s5, 0
	s_waitcnt lgkmcnt(0)
	flat_store_dwordx2 v[2:3], v[4:5]
	v_lshl_add_u64 v[2:3], v[2:3], 0, 8
	s_cbranch_scc1 .LBB23_60
; %bb.61:
	s_cmp_lg_u32 s26, s4
	s_cselect_b64 s[0:1], -1, 0
	s_and_b64 vcc, exec, s[0:1]
	s_cbranch_vccnz .LBB23_63
	s_branch .LBB23_65
.LBB23_62:
	s_mov_b32 s4, 0
	s_cbranch_execz .LBB23_65
.LBB23_63:
	s_sub_i32 s0, s26, s4
	s_lshl_b32 s1, s4, 2
	v_lshlrev_b32_e32 v2, 2, v0
	v_mov_b32_e32 v3, 0
	s_add_u32 s1, s8, s1
	v_lshl_add_u64 v[4:5], s[2:3], 2, v[2:3]
	s_addc_u32 s3, s9, 0
	s_add_u32 s2, s1, s10
	s_addc_u32 s3, s3, s11
	v_mov_b64_e32 v[2:3], s[2:3]
	s_mul_i32 s1, s4, 0x50
	v_mad_u64_u32 v[2:3], s[2:3], v4, s22, v[2:3]
	v_mul_lo_u32 v1, v4, s23
	v_mul_lo_u32 v4, v5, s22
	v_lshl_add_u32 v0, v0, 2, s1
	v_add3_u32 v3, v4, v3, v1
	v_add_u32_e32 v0, 0x640, v0
.LBB23_64:                              ; =>This Inner Loop Header: Depth=1
	ds_read_b32 v1, v0
	s_add_i32 s0, s0, -1
	v_add_u32_e32 v0, 0x50, v0
	s_cmp_lg_u32 s0, 0
	s_waitcnt lgkmcnt(0)
	flat_store_dword v[2:3], v1
	v_lshl_add_u64 v[2:3], v[2:3], 0, 4
	s_cbranch_scc1 .LBB23_64
.LBB23_65:
	s_endpgm
	.section	.rodata,"a",@progbits
	.p2align	6, 0x0
	.amdhsa_kernel _ZL38rocblas_trsm_small_left_device_sharedBILi20ELi20ELb1EffPKPKfPKPfEv13rocblas_fill_18rocblas_operation_17rocblas_diagonal_iiT3_T4_lilT5_lili
		.amdhsa_group_segment_fixed_size 3200
		.amdhsa_private_segment_fixed_size 0
		.amdhsa_kernarg_size 352
		.amdhsa_user_sgpr_count 2
		.amdhsa_user_sgpr_dispatch_ptr 0
		.amdhsa_user_sgpr_queue_ptr 0
		.amdhsa_user_sgpr_kernarg_segment_ptr 1
		.amdhsa_user_sgpr_dispatch_id 0
		.amdhsa_user_sgpr_kernarg_preload_length 0
		.amdhsa_user_sgpr_kernarg_preload_offset 0
		.amdhsa_user_sgpr_private_segment_size 0
		.amdhsa_uses_dynamic_stack 0
		.amdhsa_enable_private_segment 0
		.amdhsa_system_sgpr_workgroup_id_x 1
		.amdhsa_system_sgpr_workgroup_id_y 0
		.amdhsa_system_sgpr_workgroup_id_z 1
		.amdhsa_system_sgpr_workgroup_info 0
		.amdhsa_system_vgpr_workitem_id 0
		.amdhsa_next_free_vgpr 77
		.amdhsa_next_free_sgpr 55
		.amdhsa_accum_offset 80
		.amdhsa_reserve_vcc 1
		.amdhsa_float_round_mode_32 0
		.amdhsa_float_round_mode_16_64 0
		.amdhsa_float_denorm_mode_32 3
		.amdhsa_float_denorm_mode_16_64 3
		.amdhsa_dx10_clamp 1
		.amdhsa_ieee_mode 1
		.amdhsa_fp16_overflow 0
		.amdhsa_tg_split 0
		.amdhsa_exception_fp_ieee_invalid_op 0
		.amdhsa_exception_fp_denorm_src 0
		.amdhsa_exception_fp_ieee_div_zero 0
		.amdhsa_exception_fp_ieee_overflow 0
		.amdhsa_exception_fp_ieee_underflow 0
		.amdhsa_exception_fp_ieee_inexact 0
		.amdhsa_exception_int_div_zero 0
	.end_amdhsa_kernel
	.section	.text._ZL38rocblas_trsm_small_left_device_sharedBILi20ELi20ELb1EffPKPKfPKPfEv13rocblas_fill_18rocblas_operation_17rocblas_diagonal_iiT3_T4_lilT5_lili,"axG",@progbits,_ZL38rocblas_trsm_small_left_device_sharedBILi20ELi20ELb1EffPKPKfPKPfEv13rocblas_fill_18rocblas_operation_17rocblas_diagonal_iiT3_T4_lilT5_lili,comdat
.Lfunc_end23:
	.size	_ZL38rocblas_trsm_small_left_device_sharedBILi20ELi20ELb1EffPKPKfPKPfEv13rocblas_fill_18rocblas_operation_17rocblas_diagonal_iiT3_T4_lilT5_lili, .Lfunc_end23-_ZL38rocblas_trsm_small_left_device_sharedBILi20ELi20ELb1EffPKPKfPKPfEv13rocblas_fill_18rocblas_operation_17rocblas_diagonal_iiT3_T4_lilT5_lili
                                        ; -- End function
	.set _ZL38rocblas_trsm_small_left_device_sharedBILi20ELi20ELb1EffPKPKfPKPfEv13rocblas_fill_18rocblas_operation_17rocblas_diagonal_iiT3_T4_lilT5_lili.num_vgpr, 77
	.set _ZL38rocblas_trsm_small_left_device_sharedBILi20ELi20ELb1EffPKPKfPKPfEv13rocblas_fill_18rocblas_operation_17rocblas_diagonal_iiT3_T4_lilT5_lili.num_agpr, 0
	.set _ZL38rocblas_trsm_small_left_device_sharedBILi20ELi20ELb1EffPKPKfPKPfEv13rocblas_fill_18rocblas_operation_17rocblas_diagonal_iiT3_T4_lilT5_lili.numbered_sgpr, 55
	.set _ZL38rocblas_trsm_small_left_device_sharedBILi20ELi20ELb1EffPKPKfPKPfEv13rocblas_fill_18rocblas_operation_17rocblas_diagonal_iiT3_T4_lilT5_lili.num_named_barrier, 0
	.set _ZL38rocblas_trsm_small_left_device_sharedBILi20ELi20ELb1EffPKPKfPKPfEv13rocblas_fill_18rocblas_operation_17rocblas_diagonal_iiT3_T4_lilT5_lili.private_seg_size, 0
	.set _ZL38rocblas_trsm_small_left_device_sharedBILi20ELi20ELb1EffPKPKfPKPfEv13rocblas_fill_18rocblas_operation_17rocblas_diagonal_iiT3_T4_lilT5_lili.uses_vcc, 1
	.set _ZL38rocblas_trsm_small_left_device_sharedBILi20ELi20ELb1EffPKPKfPKPfEv13rocblas_fill_18rocblas_operation_17rocblas_diagonal_iiT3_T4_lilT5_lili.uses_flat_scratch, 0
	.set _ZL38rocblas_trsm_small_left_device_sharedBILi20ELi20ELb1EffPKPKfPKPfEv13rocblas_fill_18rocblas_operation_17rocblas_diagonal_iiT3_T4_lilT5_lili.has_dyn_sized_stack, 0
	.set _ZL38rocblas_trsm_small_left_device_sharedBILi20ELi20ELb1EffPKPKfPKPfEv13rocblas_fill_18rocblas_operation_17rocblas_diagonal_iiT3_T4_lilT5_lili.has_recursion, 0
	.set _ZL38rocblas_trsm_small_left_device_sharedBILi20ELi20ELb1EffPKPKfPKPfEv13rocblas_fill_18rocblas_operation_17rocblas_diagonal_iiT3_T4_lilT5_lili.has_indirect_call, 0
	.section	.AMDGPU.csdata,"",@progbits
; Kernel info:
; codeLenInByte = 14160
; TotalNumSgprs: 61
; NumVgprs: 77
; NumAgprs: 0
; TotalNumVgprs: 77
; ScratchSize: 0
; MemoryBound: 0
; FloatMode: 240
; IeeeMode: 1
; LDSByteSize: 3200 bytes/workgroup (compile time only)
; SGPRBlocks: 7
; VGPRBlocks: 9
; NumSGPRsForWavesPerEU: 61
; NumVGPRsForWavesPerEU: 77
; AccumOffset: 80
; Occupancy: 6
; WaveLimiterHint : 0
; COMPUTE_PGM_RSRC2:SCRATCH_EN: 0
; COMPUTE_PGM_RSRC2:USER_SGPR: 2
; COMPUTE_PGM_RSRC2:TRAP_HANDLER: 0
; COMPUTE_PGM_RSRC2:TGID_X_EN: 1
; COMPUTE_PGM_RSRC2:TGID_Y_EN: 0
; COMPUTE_PGM_RSRC2:TGID_Z_EN: 1
; COMPUTE_PGM_RSRC2:TIDIG_COMP_CNT: 0
; COMPUTE_PGM_RSRC3_GFX90A:ACCUM_OFFSET: 19
; COMPUTE_PGM_RSRC3_GFX90A:TG_SPLIT: 0
	.section	.text._ZL30rocblas_trsm_small_left_deviceILi20ELi20ELb1EffPKPKfPKPfEv13rocblas_fill_18rocblas_operation_17rocblas_diagonal_iiT3_T4_lilT5_lili,"axG",@progbits,_ZL30rocblas_trsm_small_left_deviceILi20ELi20ELb1EffPKPKfPKPfEv13rocblas_fill_18rocblas_operation_17rocblas_diagonal_iiT3_T4_lilT5_lili,comdat
	.globl	_ZL30rocblas_trsm_small_left_deviceILi20ELi20ELb1EffPKPKfPKPfEv13rocblas_fill_18rocblas_operation_17rocblas_diagonal_iiT3_T4_lilT5_lili ; -- Begin function _ZL30rocblas_trsm_small_left_deviceILi20ELi20ELb1EffPKPKfPKPfEv13rocblas_fill_18rocblas_operation_17rocblas_diagonal_iiT3_T4_lilT5_lili
	.p2align	8
	.type	_ZL30rocblas_trsm_small_left_deviceILi20ELi20ELb1EffPKPKfPKPfEv13rocblas_fill_18rocblas_operation_17rocblas_diagonal_iiT3_T4_lilT5_lili,@function
_ZL30rocblas_trsm_small_left_deviceILi20ELi20ELb1EffPKPKfPKPfEv13rocblas_fill_18rocblas_operation_17rocblas_diagonal_iiT3_T4_lilT5_lili: ; @_ZL30rocblas_trsm_small_left_deviceILi20ELi20ELb1EffPKPKfPKPfEv13rocblas_fill_18rocblas_operation_17rocblas_diagonal_iiT3_T4_lilT5_lili
; %bb.0:
	s_load_dwordx4 s[8:11], s[0:1], 0x38
	s_load_dwordx4 s[4:7], s[0:1], 0x4
	s_load_dword s16, s[0:1], 0x14
	s_mov_b32 s20, s3
	s_mov_b32 s21, 0
	s_lshl_b64 s[24:25], s[20:21], 3
	s_waitcnt lgkmcnt(0)
	s_add_u32 s8, s8, s24
	s_addc_u32 s9, s9, s25
	s_load_dwordx2 s[8:9], s[8:9], 0x0
	s_min_i32 s17, s6, 20
	v_cmp_gt_i32_e32 vcc, s17, v0
	s_and_saveexec_b64 s[18:19], vcc
	s_cbranch_execz .LBB24_11
; %bb.1:
	s_load_dwordx4 s[12:15], s[0:1], 0x18
	s_load_dword s22, s[0:1], 0x28
	v_lshlrev_b32_e32 v2, 2, v0
	v_mov_b32_e32 v3, 0
	s_mov_b32 s3, 1
	s_waitcnt lgkmcnt(0)
	s_add_u32 s12, s12, s24
	s_addc_u32 s13, s13, s25
	s_load_dwordx2 s[12:13], s[12:13], 0x0
	s_cmp_lt_u32 s17, 2
	s_cselect_b64 s[26:27], -1, 0
	s_cmp_lg_u32 s22, 1
	s_cselect_b64 s[28:29], -1, 0
	s_or_b64 s[26:27], s[26:27], s[28:29]
	s_mov_b64 s[24:25], -1
	s_and_b64 vcc, exec, s[26:27]
	s_cbranch_vccnz .LBB24_5
; %bb.2:
	s_lshl_b64 s[20:21], s[14:15], 2
	s_waitcnt lgkmcnt(0)
	s_add_u32 s20, s12, s20
	s_addc_u32 s21, s13, s21
	v_lshl_add_u64 v[4:5], s[20:21], 0, v[2:3]
	s_and_b32 s21, s17, -2
	s_mov_b32 s20, 0
	s_mov_b32 s23, s21
.LBB24_3:                               ; =>This Inner Loop Header: Depth=1
	flat_load_dwordx2 v[6:7], v[4:5]
	s_mul_i32 s24, s3, 0x50
	s_mul_i32 s25, s20, 0x50
	s_add_i32 s20, s20, 2
	s_add_i32 s3, s3, 2
	s_add_i32 s23, s23, -2
	v_lshl_add_u64 v[4:5], v[4:5], 0, 8
	v_add_u32_e32 v1, s25, v2
	s_cmp_lg_u32 s23, 0
	v_add_u32_e32 v3, s24, v2
	s_waitcnt vmcnt(0) lgkmcnt(0)
	ds_write_b32 v1, v6
	ds_write_b32 v3, v7
	s_cbranch_scc1 .LBB24_3
; %bb.4:
	s_cmp_lg_u32 s17, s21
	s_cselect_b64 s[24:25], -1, 0
.LBB24_5:
	s_and_b64 vcc, exec, s[24:25]
	s_cbranch_vccz .LBB24_8
; %bb.6:
	s_ashr_i32 s23, s22, 31
	s_mul_hi_u32 s3, s22, s21
	s_mul_i32 s20, s23, s21
	s_add_i32 s25, s3, s20
	s_mul_i32 s24, s22, s21
	s_lshl_b64 s[24:25], s[24:25], 2
	s_lshl_b64 s[14:15], s[14:15], 2
	s_add_u32 s3, s24, s14
	s_addc_u32 s14, s25, s15
	s_waitcnt lgkmcnt(0)
	s_add_u32 s12, s12, s3
	v_mov_b32_e32 v3, 0
	s_addc_u32 s13, s13, s14
	s_mul_i32 s14, s21, 0x50
	v_lshl_add_u64 v[4:5], s[12:13], 0, v[2:3]
	s_lshl_b64 s[12:13], s[22:23], 2
	s_sub_i32 s3, s17, s21
	v_lshl_add_u32 v1, v0, 2, s14
.LBB24_7:                               ; =>This Inner Loop Header: Depth=1
	flat_load_dword v3, v[4:5]
	s_add_i32 s3, s3, -1
	v_lshl_add_u64 v[4:5], v[4:5], 0, s[12:13]
	s_cmp_eq_u32 s3, 0
	s_waitcnt vmcnt(0) lgkmcnt(0)
	ds_write_b32 v1, v3
	v_add_u32_e32 v1, 0x50, v1
	s_cbranch_scc0 .LBB24_7
.LBB24_8:
	v_mul_u32_u24_e32 v1, 0x50, v0
	s_cmpk_lg_i32 s5, 0x84
	v_mov_b32_e32 v3, 1.0
	v_add_u32_e32 v1, v2, v1
	s_cbranch_scc0 .LBB24_10
; %bb.9:
	ds_read_b32 v2, v1
	s_waitcnt lgkmcnt(0)
	v_div_scale_f32 v3, s[12:13], v2, v2, 1.0
	v_rcp_f32_e32 v4, v3
	v_div_scale_f32 v5, vcc, 1.0, v2, 1.0
	v_fma_f32 v6, -v3, v4, 1.0
	v_fmac_f32_e32 v4, v6, v4
	v_mul_f32_e32 v6, v5, v4
	v_fma_f32 v7, -v3, v6, v5
	v_fmac_f32_e32 v6, v7, v4
	v_fma_f32 v3, -v3, v6, v5
	v_div_fmas_f32 v3, v3, v4, v6
	v_div_fixup_f32 v3, v3, v2, 1.0
.LBB24_10:
	ds_write_b32 v1, v3
.LBB24_11:
	s_or_b64 exec, exec, s[18:19]
	s_load_dword s3, s[0:1], 0x60
	s_mul_i32 s5, s2, 0xffffffec
	s_add_i32 s5, s7, s5
	s_waitcnt lgkmcnt(0)
	; wave barrier
	s_add_i32 s3, s3, -1
	s_cmp_ge_u32 s2, s3
	s_cselect_b32 s3, s5, 20
	v_cmp_gt_i32_e32 vcc, s3, v0
	s_and_saveexec_b64 s[12:13], vcc
	s_cbranch_execz .LBB24_53
; %bb.12:
	s_load_dword s5, s[0:1], 0x48
	s_lshl_b64 s[0:1], s[10:11], 2
	s_add_u32 s0, s8, s0
	v_mad_u64_u32 v[0:1], s[2:3], s2, 20, v[0:1]
	s_addc_u32 s1, s9, s1
	s_waitcnt lgkmcnt(0)
	v_mad_i64_i32 v[0:1], s[2:3], s5, v0, 0
	v_lshl_add_u64 v[48:49], v[0:1], 2, s[0:1]
	s_cmpk_eq_i32 s4, 0x6f
	s_mov_b64 s[0:1], -1
	s_cbranch_scc1 .LBB24_39
; %bb.13:
	s_add_i32 s7, s17, -1
	s_cmp_gt_i32 s6, 19
	s_mov_b32 s0, -1
	s_cbranch_scc0 .LBB24_15
; %bb.14:
	flat_load_dwordx4 v[50:53], v[48:49] offset:64
	flat_load_dwordx4 v[54:57], v[48:49] offset:48
	;; [unrolled: 1-line block ×4, first 2 shown]
	flat_load_dwordx4 v[12:15], v[48:49]
	v_mov_b32_e32 v46, 0
	s_movk_i32 s2, 0x200
	ds_read2_b64 v[62:65], v46 offset0:179 offset1:189
	s_movk_i32 s1, 0x400
	v_mov_b32_e32 v0, 0x4a4
	v_mov_b32_e32 v1, 0x49c
	v_mov_b32_e32 v2, 0x404
	v_mov_b32_e32 v3, 0x3fc
	v_add_u32_e64 v28, s2, 0
	v_add_u32_e64 v23, s1, 0
	ds_read_b128 v[66:69], v46 offset:1344
	ds_read_b128 v[70:73], v46 offset:1264
	ds_read_b64 v[36:37], v46 offset:1112
	ds_read2_b64 v[4:7], v46 offset0:137 offset1:138
	ds_read_b32 v47, v46 offset:1596
	ds_read2_b32 v[78:79], v0 offset1:1
	ds_read2_b32 v[42:43], v1 offset1:1
	;; [unrolled: 1-line block ×4, first 2 shown]
	ds_read_b32 v128, v46 offset:1092
	ds_read_b96 v[20:22], v46 offset:1008
	ds_read_b128 v[74:77], v46 offset:944
	ds_read_b128 v[0:3], v46 offset:928
	ds_read2_b32 v[26:27], v46 offset0:210 offset1:219
	ds_read2_b32 v[84:85], v46 offset0:217 offset1:218
	;; [unrolled: 1-line block ×4, first 2 shown]
	ds_read_b64 v[86:87], v46 offset:792
	ds_read2_b64 v[8:11], v46 offset0:97 offset1:98
	ds_read2_b32 v[24:25], v46 offset0:179 offset1:189
	ds_read2_b32 v[88:89], v23 offset0:59 offset1:101
	;; [unrolled: 1-line block ×4, first 2 shown]
	s_waitcnt lgkmcnt(0)
	v_mov_b32_e32 v32, v21
	v_mov_b32_e32 v80, s16
	;; [unrolled: 1-line block ×8, first 2 shown]
	s_waitcnt vmcnt(0)
	v_mul_f32_e32 v21, s16, v53
	v_mov_b32_e32 v53, v65
	v_mul_f32_e32 v81, v21, v47
	v_pk_mul_f32 v[52:53], v[80:81], v[52:53]
	v_mov_b32_e32 v68, v50
	v_mov_b32_e32 v34, v56
	;; [unrolled: 1-line block ×4, first 2 shown]
	v_mul_f32_e32 v21, v81, v24
	v_sub_f32_e32 v24, v52, v53
	v_pk_mul_f32 v[68:69], v[80:81], v[68:69]
	v_pk_mul_f32 v[94:95], v[80:81], v[34:35]
	;; [unrolled: 1-line block ×4, first 2 shown]
	v_mul_f32_e32 v80, v24, v64
	flat_store_dwordx2 v[48:49], v[80:81] offset:72
	v_pk_mul_f32 v[52:53], v[80:81], v[62:63]
	v_pk_mul_f32 v[36:37], v[80:81], v[36:37]
	v_sub_f32_e32 v27, v68, v69
	v_pk_mul_f32 v[68:69], v[80:81], v[86:87]
	v_fma_f32 v24, s16, v51, -v53
	v_fma_f32 v37, s16, v55, -v37
	ds_read2_b32 v[50:51], v46 offset0:177 offset1:178
	ds_read2_b32 v[86:87], v46 offset0:175 offset1:176
	ds_read_b32 v129, v46 offset:672
	ds_read2_b32 v[92:93], v46 offset0:173 offset1:174
	ds_read_b64 v[54:55], v46 offset:632
	v_sub_f32_e32 v24, v24, v52
	v_pk_mul_f32 v[62:63], v[80:81], v[72:73]
	v_mov_b32_e32 v73, v80
	v_mul_f32_e32 v72, v24, v89
	v_sub_f32_e32 v104, v37, v36
	v_pk_mul_f32 v[36:37], v[72:73], v[90:91]
	ds_read2_b32 v[90:91], v46 offset0:211 offset1:212
	ds_read_b64 v[96:97], v46 offset:768
	v_sub_f32_e32 v24, v27, v37
	s_waitcnt lgkmcnt(0)
	v_mul_f32_e32 v27, v81, v55
	v_sub_f32_e32 v24, v24, v36
	ds_read2_b32 v[36:37], v46 offset0:126 offset1:139
	v_fma_f32 v21, s16, v58, -v21
	v_fma_f32 v19, s16, v19, -v27
	v_pk_mul_f32 v[50:51], v[72:73], v[50:51]
	v_fma_f32 v27, -v80, v54, v19
	v_sub_f32_e32 v19, v21, v51
	v_fma_f32 v29, s16, v57, -v63
	v_fma_f32 v47, s16, v59, -v69
	v_sub_f32_e32 v21, v19, v50
	ds_read2_b32 v[58:59], v46 offset0:137 offset1:138
	ds_read2_b64 v[50:53], v46 offset0:77 offset1:78
	ds_read_b32 v130, v46 offset:588
	ds_read_b128 v[54:57], v46 offset:464
	s_waitcnt lgkmcnt(0)
	v_mul_f32_e32 v19, v81, v37
	v_fma_f32 v18, s16, v18, -v19
	v_fma_f32 v18, -v80, v59, v18
	v_fma_f32 v37, -v72, v58, v18
	ds_read2_b32 v[18:19], v46 offset0:84 offset1:99
	v_mul_f32_e32 v57, v81, v57
	v_fma_f32 v17, s16, v17, -v57
	v_fma_f32 v17, -v80, v56, v17
	ds_read2_b32 v[56:57], v46 offset0:97 offset1:98
	v_pk_mul_f32 v[64:65], v[80:81], v[76:77]
	v_fma_f32 v55, -v72, v55, v17
	s_waitcnt lgkmcnt(0)
	v_mul_f32_e32 v17, v81, v19
	v_fma_f32 v39, s16, v61, -v65
	v_sub_f32_e32 v47, v47, v68
	v_fma_f32 v16, s16, v16, -v17
	ds_read_b64 v[60:61], v46 offset:312
	ds_read_b32 v19, v46 offset:420
	ds_read2_b32 v[68:69], v46 offset0:95 offset1:96
	v_fma_f32 v16, -v80, v57, v16
	v_sub_f32_e32 v39, v39, v64
	v_pk_mul_f32 v[64:65], v[72:73], v[78:79]
	v_pk_mul_f32 v[82:83], v[72:73], v[82:83]
	;; [unrolled: 1-line block ×3, first 2 shown]
	v_fma_f32 v73, -v72, v56, v16
	ds_read2_b64 v[56:59], v46 offset0:37 offset1:38
	ds_read2_b32 v[76:77], v46 offset0:57 offset1:58
	ds_read2_b32 v[16:17], v46 offset0:42 offset1:59
	s_waitcnt lgkmcnt(0)
	v_mul_f32_e32 v61, v81, v61
	v_fma_f32 v15, s16, v15, -v61
	v_sub_f32_e32 v29, v29, v62
	v_fma_f32 v15, -v80, v60, v15
	ds_read2_b32 v[98:99], v46 offset0:55 offset1:56
	ds_read_b128 v[60:63], v46 offset:144
	v_fma_f32 v59, -v72, v59, v15
	v_mul_f32_e32 v15, v81, v17
	v_fma_f32 v14, s16, v14, -v15
	v_fma_f32 v14, -v80, v77, v14
	v_fma_f32 v17, -v72, v76, v14
	ds_read_b32 v131, v46 offset:252
	ds_read2_b32 v[100:101], v46 offset0:53 offset1:54
	ds_read_b128 v[76:79], v46 offset:128
	s_waitcnt lgkmcnt(0)
	v_mul_f32_e32 v63, v81, v63
	ds_read2_b32 v[14:15], v46 offset0:19 offset1:21
	v_fma_f32 v13, s16, v13, -v63
	v_fma_f32 v13, -v80, v62, v13
	ds_read2_b32 v[62:63], v46 offset0:17 offset1:18
	v_fma_f32 v61, -v72, v61, v13
	s_waitcnt lgkmcnt(0)
	v_mul_f32_e32 v13, v81, v14
	v_fma_f32 v14, s16, v12, -v13
	ds_read2_b32 v[12:13], v46 offset0:15 offset1:16
	v_fma_f32 v14, -v80, v63, v14
	v_fma_f32 v14, -v72, v62, v14
	v_mul_f32_e32 v62, v24, v66
	v_mov_b32_e32 v63, v72
	v_pk_mul_f32 v[6:7], v[62:63], v[6:7]
	v_pk_mul_f32 v[66:67], v[62:63], v[70:71]
	v_sub_f32_e32 v7, v104, v7
	v_sub_f32_e32 v24, v29, v67
	;; [unrolled: 1-line block ×3, first 2 shown]
	v_pk_mul_f32 v[6:7], v[62:63], v[74:75]
	ds_read2_b32 v[80:81], v46 offset0:13 offset1:14
	ds_read2_b32 v[102:103], v46 offset0:11 offset1:12
	v_sub_f32_e32 v7, v39, v7
	v_sub_f32_e32 v132, v7, v6
	v_pk_mul_f32 v[6:7], v[62:63], v[10:11]
	flat_store_dwordx2 v[48:49], v[62:63] offset:64
	v_sub_f32_e32 v7, v47, v7
	v_sub_f32_e32 v47, v7, v6
	v_pk_mul_f32 v[6:7], v[62:63], v[52:53]
	v_sub_f32_e32 v24, v24, v66
	v_sub_f32_e32 v7, v27, v7
	;; [unrolled: 1-line block ×3, first 2 shown]
	ds_read2_b32 v[6:7], v46 offset0:135 offset1:136
	ds_read2_b32 v[70:71], v46 offset0:133 offset1:134
	s_waitcnt lgkmcnt(0)
	v_fma_f32 v13, -v62, v13, v14
	v_sub_f32_e32 v14, v94, v95
	v_fma_f32 v39, -v62, v69, v73
	v_mul_f32_e32 v72, v24, v88
	v_mov_b32_e32 v73, v62
	v_sub_f32_e32 v14, v14, v65
	v_pk_mul_f32 v[10:11], v[72:73], v[42:43]
	v_sub_f32_e32 v14, v14, v64
	v_sub_f32_e32 v11, v14, v11
	v_pk_mul_f32 v[6:7], v[72:73], v[6:7]
	v_sub_f32_e32 v14, v11, v10
	v_sub_f32_e32 v7, v37, v7
	v_pk_mul_f32 v[10:11], v[72:73], v[86:87]
	v_fma_f32 v37, -v72, v68, v39
	v_mul_f32_e32 v38, v14, v38
	v_mov_b32_e32 v39, v72
	v_fma_f32 v52, -v62, v58, v59
	v_fma_f32 v17, -v62, v99, v17
	;; [unrolled: 1-line block ×3, first 2 shown]
	v_sub_f32_e32 v11, v21, v11
	v_pk_mul_f32 v[2:3], v[38:39], v[2:3]
	v_fma_f32 v133, -v62, v54, v55
	v_pk_mul_f32 v[74:75], v[72:73], v[40:41]
	v_pk_mul_f32 v[44:45], v[72:73], v[44:45]
	v_sub_f32_e32 v21, v11, v10
	v_sub_f32_e32 v24, v7, v6
	v_fma_f32 v57, -v72, v57, v52
	v_fma_f32 v17, -v72, v98, v17
	;; [unrolled: 1-line block ×4, first 2 shown]
	ds_read2_b32 v[86:87], v46 offset0:9 offset1:10
	ds_read2_b32 v[88:89], v46 offset0:7 offset1:8
	;; [unrolled: 1-line block ×4, first 2 shown]
	ds_read_b128 v[10:13], v46 offset:256
	ds_read_b64 v[98:99], v46 offset:272
	ds_read_b128 v[40:43], v46 offset:448
	ds_read2_b64 v[52:55], v46 offset0:53 offset1:54
	ds_read2_b64 v[58:61], v46 offset0:11 offset1:12
	;; [unrolled: 1-line block ×3, first 2 shown]
	ds_read2_b32 v[104:105], v46 offset0:43 offset1:44
	ds_read2_b32 v[106:107], v46 offset0:45 offset1:46
	;; [unrolled: 1-line block ×3, first 2 shown]
	ds_read_b64 v[110:111], v46 offset:608
	ds_read_b128 v[66:69], v46 offset:592
	ds_read_b64 v[112:113], v46 offset:760
	ds_read2_b32 v[114:115], v46 offset0:171 offset1:172
	ds_read2_b32 v[116:117], v46 offset0:169 offset1:170
	;; [unrolled: 1-line block ×7, first 2 shown]
	v_pk_mul_f32 v[4:5], v[38:39], v[4:5]
	v_sub_f32_e32 v3, v132, v3
	v_sub_f32_e32 v34, v34, v35
	;; [unrolled: 1-line block ×4, first 2 shown]
	v_pk_mul_f32 v[2:3], v[38:39], v[8:9]
	v_sub_f32_e32 v34, v34, v83
	flat_store_dwordx2 v[48:49], v[38:39] offset:56
	v_sub_f32_e32 v29, v5, v4
	v_sub_f32_e32 v3, v47, v3
	v_sub_f32_e32 v34, v34, v82
	s_waitcnt lgkmcnt(0)
	v_pk_mul_f32 v[42:43], v[38:39], v[42:43]
	v_pk_mul_f32 v[50:51], v[38:39], v[50:51]
	v_sub_f32_e32 v47, v3, v2
	ds_read2_b64 v[2:5], v46 offset0:35 offset1:36
	v_mul_f32_e32 v8, v29, v128
	v_mov_b32_e32 v9, v38
	v_sub_f32_e32 v34, v34, v75
	v_sub_f32_e32 v14, v133, v43
	;; [unrolled: 1-line block ×3, first 2 shown]
	v_pk_mul_f32 v[32:33], v[8:9], v[32:33]
	v_sub_f32_e32 v34, v34, v74
	v_sub_f32_e32 v27, v27, v50
	;; [unrolled: 1-line block ×3, first 2 shown]
	v_fma_f32 v56, -v38, v56, v57
	v_fma_f32 v17, -v38, v101, v17
	;; [unrolled: 1-line block ×4, first 2 shown]
	v_pk_mul_f32 v[38:39], v[8:9], v[126:127]
	v_pk_mul_f32 v[42:43], v[8:9], v[70:71]
	;; [unrolled: 1-line block ×3, first 2 shown]
	v_sub_f32_e32 v33, v34, v33
	v_sub_f32_e32 v29, v37, v39
	;; [unrolled: 1-line block ×8, first 2 shown]
	ds_read2_b32 v[32:33], v46 offset0:129 offset1:130
	ds_read_b64 v[34:35], v46 offset:440
	ds_read2_b32 v[38:39], v46 offset0:91 offset1:92
	ds_read2_b32 v[42:43], v46 offset0:89 offset1:90
	;; [unrolled: 1-line block ×3, first 2 shown]
	v_mul_f32_e32 v20, v37, v20
	v_mov_b32_e32 v21, v8
	s_waitcnt lgkmcnt(0)
	v_pk_mul_f32 v[4:5], v[20:21], v[4:5]
	v_pk_mul_f32 v[0:1], v[20:21], v[0:1]
	;; [unrolled: 1-line block ×3, first 2 shown]
	v_fma_f32 v17, -v8, v100, v17
	v_fma_f32 v29, -v8, v77, v57
	;; [unrolled: 1-line block ×3, first 2 shown]
	v_sub_f32_e32 v5, v56, v5
	v_pk_mul_f32 v[8:9], v[20:21], v[40:41]
	v_pk_mul_f32 v[40:41], v[20:21], v[110:111]
	;; [unrolled: 1-line block ×3, first 2 shown]
	v_sub_f32_e32 v1, v72, v1
	v_sub_f32_e32 v9, v14, v9
	;; [unrolled: 1-line block ×4, first 2 shown]
	flat_store_dwordx2 v[48:49], v[20:21] offset:48
	v_sub_f32_e32 v21, v1, v0
	v_sub_f32_e32 v37, v27, v56
	;; [unrolled: 1-line block ×3, first 2 shown]
	v_mul_f32_e32 v8, v21, v28
	v_mov_b32_e32 v9, v20
	v_sub_f32_e32 v14, v14, v40
	v_fma_f32 v56, -v20, v76, v29
	v_fma_f32 v57, -v20, v103, v73
	v_pk_mul_f32 v[20:21], v[8:9], v[50:51]
	v_pk_mul_f32 v[28:29], v[8:9], v[38:39]
	;; [unrolled: 1-line block ×5, first 2 shown]
	v_sub_f32_e32 v9, v22, v23
	v_sub_f32_e32 v9, v9, v85
	;; [unrolled: 1-line block ×9, first 2 shown]
	ds_read2_b32 v[0:1], v46 offset0:49 offset1:50
	ds_read_b64 v[4:5], v46 offset:120
	v_sub_f32_e32 v17, v17, v21
	v_sub_f32_e32 v21, v71, v29
	;; [unrolled: 1-line block ×5, first 2 shown]
	v_mul_f32_e32 v20, v9, v26
	v_mov_b32_e32 v21, v8
	v_fma_f32 v31, -v8, v102, v57
	v_pk_mul_f32 v[8:9], v[20:21], v[34:35]
	v_pk_mul_f32 v[22:23], v[20:21], v[68:69]
	v_sub_f32_e32 v9, v27, v9
	v_pk_mul_f32 v[26:27], v[20:21], v[112:113]
	v_sub_f32_e32 v14, v14, v23
	v_sub_f32_e32 v23, v37, v27
	;; [unrolled: 1-line block ×3, first 2 shown]
	s_waitcnt lgkmcnt(0)
	v_pk_mul_f32 v[4:5], v[20:21], v[4:5]
	v_pk_mul_f32 v[2:3], v[20:21], v[2:3]
	flat_store_dwordx2 v[48:49], v[20:21] offset:40
	v_sub_f32_e32 v21, v23, v26
	v_sub_f32_e32 v29, v70, v41
	;; [unrolled: 1-line block ×3, first 2 shown]
	v_mul_f32_e32 v24, v21, v25
	v_mov_b32_e32 v25, v20
	v_sub_f32_e32 v29, v29, v40
	v_pk_mul_f32 v[20:21], v[24:25], v[116:117]
	v_sub_f32_e32 v3, v47, v3
	v_sub_f32_e32 v21, v29, v21
	;; [unrolled: 1-line block ×6, first 2 shown]
	v_pk_mul_f32 v[8:9], v[24:25], v[42:43]
	v_pk_mul_f32 v[0:1], v[24:25], v[0:1]
	v_mul_f32_e32 v2, v2, v129
	v_mov_b32_e32 v3, v24
	v_sub_f32_e32 v14, v14, v22
	v_sub_f32_e32 v9, v28, v9
	;; [unrolled: 1-line block ×4, first 2 shown]
	v_pk_mul_f32 v[4:5], v[2:3], v[66:67]
	v_pk_mul_f32 v[20:21], v[2:3], v[54:55]
	v_sub_f32_e32 v5, v14, v5
	v_sub_f32_e32 v21, v26, v21
	;; [unrolled: 1-line block ×3, first 2 shown]
	v_pk_mul_f32 v[8:9], v[2:3], v[98:99]
	v_pk_mul_f32 v[22:23], v[24:25], v[32:33]
	v_sub_f32_e32 v9, v27, v9
	v_sub_f32_e32 v27, v1, v0
	v_pk_mul_f32 v[0:1], v[2:3], v[64:65]
	v_sub_f32_e32 v4, v5, v4
	v_sub_f32_e32 v23, v30, v23
	;; [unrolled: 1-line block ×3, first 2 shown]
	v_mul_f32_e32 v4, v4, v130
	v_mov_b32_e32 v5, v2
	v_sub_f32_e32 v14, v23, v22
	v_sub_f32_e32 v28, v1, v0
	v_pk_mul_f32 v[0:1], v[4:5], v[118:119]
	v_pk_mul_f32 v[22:23], v[24:25], v[86:87]
	v_sub_f32_e32 v1, v14, v1
	v_sub_f32_e32 v17, v21, v20
	v_pk_mul_f32 v[20:21], v[4:5], v[108:109]
	v_sub_f32_e32 v0, v1, v0
	v_sub_f32_e32 v3, v31, v23
	;; [unrolled: 1-line block ×3, first 2 shown]
	v_pk_mul_f32 v[8:9], v[4:5], v[124:125]
	v_sub_f32_e32 v14, v27, v21
	v_mul_f32_e32 v0, v0, v36
	v_mov_b32_e32 v1, v4
	v_sub_f32_e32 v3, v3, v22
	v_sub_f32_e32 v9, v26, v9
	v_pk_mul_f32 v[22:23], v[0:1], v[52:53]
	v_sub_f32_e32 v14, v14, v20
	v_pk_mul_f32 v[20:21], v[4:5], v[88:89]
	v_sub_f32_e32 v17, v17, v23
	v_sub_f32_e32 v23, v9, v8
	v_pk_mul_f32 v[8:9], v[0:1], v[12:13]
	v_pk_mul_f32 v[12:13], v[0:1], v[62:63]
	v_sub_f32_e32 v1, v3, v21
	v_sub_f32_e32 v20, v1, v20
	v_mov_b32_e32 v1, v4
	v_mov_b32_e32 v3, v24
	flat_store_dwordx4 v[48:49], v[0:3] offset:24
	v_mov_b32_e32 v5, v0
	v_sub_f32_e32 v9, v25, v9
	v_sub_f32_e32 v1, v17, v22
	v_mul_f32_e32 v4, v1, v19
	v_pk_mul_f32 v[0:1], v[4:5], v[122:123]
	v_sub_f32_e32 v17, v9, v8
	v_sub_f32_e32 v1, v23, v1
	;; [unrolled: 1-line block ×3, first 2 shown]
	v_pk_mul_f32 v[8:9], v[4:5], v[106:107]
	v_mul_f32_e32 v2, v0, v18
	v_mov_b32_e32 v3, v4
	v_sub_f32_e32 v13, v28, v13
	v_sub_f32_e32 v9, v14, v9
	v_pk_mul_f32 v[0:1], v[2:3], v[10:11]
	v_sub_f32_e32 v12, v13, v12
	v_sub_f32_e32 v1, v17, v1
	;; [unrolled: 1-line block ×3, first 2 shown]
	v_pk_mul_f32 v[8:9], v[2:3], v[60:61]
	v_sub_f32_e32 v0, v1, v0
	v_sub_f32_e32 v3, v12, v9
	;; [unrolled: 1-line block ×3, first 2 shown]
	v_mul_f32_e32 v8, v0, v131
	v_mov_b32_e32 v9, v2
	v_pk_mul_f32 v[0:1], v[8:9], v[104:105]
	v_pk_mul_f32 v[10:11], v[4:5], v[94:95]
	v_sub_f32_e32 v1, v13, v1
	v_sub_f32_e32 v0, v1, v0
	;; [unrolled: 1-line block ×3, first 2 shown]
	v_mul_f32_e32 v0, v0, v16
	v_mov_b32_e32 v1, v8
	v_sub_f32_e32 v5, v5, v10
	v_pk_mul_f32 v[10:11], v[0:1], v[58:59]
	v_pk_mul_f32 v[6:7], v[8:9], v[6:7]
	v_sub_f32_e32 v11, v3, v11
	v_mov_b32_e32 v3, v4
	flat_store_dwordx4 v[48:49], v[0:3] offset:8
	ds_read_b96 v[2:4], v46
	s_nop 0
	v_sub_f32_e32 v1, v5, v7
	v_sub_f32_e32 v8, v1, v6
	;; [unrolled: 1-line block ×3, first 2 shown]
	s_waitcnt lgkmcnt(0)
	v_mov_b32_e32 v6, v3
	v_mov_b32_e32 v7, v4
	v_mul_f32_e32 v4, v1, v15
	v_mov_b32_e32 v5, v0
	v_pk_mul_f32 v[0:1], v[4:5], v[6:7]
	s_nop 0
	v_sub_f32_e32 v1, v8, v1
	v_sub_f32_e32 v0, v1, v0
	v_mul_f32_e32 v0, v0, v2
	v_mov_b32_e32 v1, v4
	flat_store_dwordx2 v[48:49], v[0:1]
	s_cmp_gt_i32 s0, -1
	s_cbranch_scc1 .LBB24_16
	s_branch .LBB24_38
.LBB24_15:
	s_mov_b32 s0, s7
	s_cmp_gt_i32 s0, -1
	s_cbranch_scc0 .LBB24_38
.LBB24_16:
	s_cmp_lt_u32 s0, 15
	s_cbranch_scc1 .LBB24_21
; %bb.17:
	s_mov_b32 s3, 0
	s_mov_b32 s1, s3
	v_lshl_add_u64 v[10:11], s[0:1], 2, v[48:49]
	v_add_co_u32_e32 v0, vcc, -12, v10
	s_cmp_le_i32 s7, s0
	s_nop 0
	v_addc_co_u32_e32 v1, vcc, -1, v11, vcc
	v_add_co_u32_e32 v4, vcc, 0xffffffe4, v10
	flat_load_dwordx4 v[0:3], v[0:1]
	s_nop 0
	v_addc_co_u32_e32 v5, vcc, -1, v11, vcc
	v_add_co_u32_e32 v8, vcc, 0xffffffd4, v10
	flat_load_dwordx4 v[4:7], v[4:5]
	s_nop 0
	v_addc_co_u32_e32 v9, vcc, -1, v11, vcc
	flat_load_dwordx4 v[14:17], v[8:9]
	v_add_co_u32_e32 v8, vcc, 0xffffffc4, v10
	s_waitcnt vmcnt(0) lgkmcnt(0)
	v_pk_mul_f32 v[2:3], s[16:17], v[2:3] op_sel_hi:[0,1]
	v_addc_co_u32_e32 v9, vcc, -1, v11, vcc
	flat_load_dwordx4 v[18:21], v[8:9]
	v_pk_mul_f32 v[0:1], s[16:17], v[0:1] op_sel_hi:[0,1]
	v_pk_mul_f32 v[8:9], s[16:17], v[6:7] op_sel_hi:[0,1]
	;; [unrolled: 1-line block ×3, first 2 shown]
	v_mov_b32_e32 v12, v3
	v_pk_mul_f32 v[16:17], s[16:17], v[16:17] op_sel_hi:[0,1]
	v_pk_mul_f32 v[14:15], s[16:17], v[14:15] op_sel_hi:[0,1]
	v_mov_b32_e32 v13, v2
	v_mov_b32_e32 v4, v1
	;; [unrolled: 1-line block ×11, first 2 shown]
	s_waitcnt vmcnt(0) lgkmcnt(0)
	v_pk_mul_f32 v[20:21], s[16:17], v[20:21] op_sel_hi:[0,1]
	v_pk_mul_f32 v[18:19], s[16:17], v[18:19] op_sel_hi:[0,1]
	v_mov_b32_e32 v16, v21
	v_mov_b32_e32 v17, v20
	;; [unrolled: 1-line block ×4, first 2 shown]
	s_cbranch_scc1 .LBB24_20
; %bb.18:
	s_mul_i32 s1, s0, 0x50
	s_lshl_b32 s2, s17, 2
	s_add_i32 s1, s1, s2
	s_addk_i32 s1, 0xfb4c
	s_mov_b32 s2, s7
.LBB24_19:                              ; =>This Inner Loop Header: Depth=1
	v_lshl_add_u64 v[18:19], s[2:3], 2, v[48:49]
	flat_load_dword v18, v[18:19]
	v_mov_b32_e32 v19, s1
	v_add_u32_e32 v20, 0x400, v19
	v_add_u32_e32 v21, 0x200, v19
	ds_read2_b32 v[22:23], v19 offset0:200 offset1:220
	ds_read2_b32 v[24:25], v19 offset0:160 offset1:180
	;; [unrolled: 1-line block ×5, first 2 shown]
	ds_read2_b32 v[32:33], v19 offset1:20
	ds_read2_b32 v[34:35], v20 offset0:24 offset1:44
	ds_read2_b32 v[36:37], v21 offset0:112 offset1:132
	s_add_i32 s2, s2, -1
	s_add_i32 s1, s1, -4
	s_waitcnt lgkmcnt(0)
	v_mov_b32_e32 v20, v23
	v_mov_b32_e32 v21, v22
	;; [unrolled: 1-line block ×16, first 2 shown]
	s_cmp_gt_i32 s2, s0
	s_waitcnt vmcnt(0)
	v_pk_fma_f32 v[12:13], v[18:19], v[32:33], v[12:13] op_sel_hi:[0,1,1] neg_lo:[1,0,0] neg_hi:[1,0,0]
	v_pk_fma_f32 v[4:5], v[18:19], v[34:35], v[4:5] op_sel_hi:[0,1,1] neg_lo:[1,0,0] neg_hi:[1,0,0]
	v_pk_fma_f32 v[6:7], v[18:19], v[20:21], v[6:7] op_sel_hi:[0,1,1] neg_lo:[1,0,0] neg_hi:[1,0,0]
	v_pk_fma_f32 v[0:1], v[18:19], v[22:23], v[0:1] op_sel_hi:[0,1,1] neg_lo:[1,0,0] neg_hi:[1,0,0]
	v_pk_fma_f32 v[2:3], v[18:19], v[24:25], v[2:3] op_sel_hi:[0,1,1] neg_lo:[1,0,0] neg_hi:[1,0,0]
	v_pk_fma_f32 v[8:9], v[18:19], v[26:27], v[8:9] op_sel_hi:[0,1,1] neg_lo:[1,0,0] neg_hi:[1,0,0]
	v_pk_fma_f32 v[16:17], v[18:19], v[28:29], v[16:17] op_sel_hi:[0,1,1] neg_lo:[1,0,0] neg_hi:[1,0,0]
	v_pk_fma_f32 v[14:15], v[18:19], v[30:31], v[14:15] op_sel_hi:[0,1,1] neg_lo:[1,0,0] neg_hi:[1,0,0]
	s_cbranch_scc1 .LBB24_19
.LBB24_20:
	s_mul_i32 s1, s0, 0x54
	s_add_i32 s2, s0, -1
	v_mov_b32_e32 v20, s1
	s_mul_i32 s1, s2, 0x50
	s_lshl_b32 s8, s2, 2
	s_add_i32 s3, s1, s8
	v_mov_b32_e32 v21, s3
	s_mov_b32 s3, 0
	v_lshl_add_u64 v[46:47], s[2:3], 2, v[48:49]
	s_add_i32 s2, s0, -2
	s_add_i32 s4, s1, 0xffffffb0
	s_lshl_b32 s9, s2, 2
	s_add_i32 s5, s4, s8
	s_add_i32 s4, s4, s9
	v_lshl_add_u64 v[36:37], s[2:3], 2, v[48:49]
	s_add_i32 s2, s0, -3
	v_mov_b32_e32 v24, s4
	s_add_i32 s9, s1, 0xffffff60
	s_lshl_b32 s4, s0, 2
	s_lshl_b32 s11, s2, 2
	s_add_i32 s10, s9, s4
	s_add_i32 s9, s9, s11
	v_lshl_add_u64 v[22:23], s[2:3], 2, v[48:49]
	s_add_i32 s2, s0, -4
	v_mov_b32_e32 v26, s9
	s_add_i32 s9, s1, 0xffffff10
	s_lshl_b32 s14, s2, 2
	s_add_i32 s12, s9, s8
	s_add_i32 s13, s9, s11
	;; [unrolled: 1-line block ×3, first 2 shown]
	v_mov_b32_e32 v27, s9
	s_add_i32 s9, s1, 0xfffffec0
	v_mov_b32_e32 v25, s10
	s_add_i32 s10, s10, -8
	v_lshl_add_u64 v[18:19], s[2:3], 2, v[48:49]
	s_add_i32 s2, s0, -5
	s_add_i32 s14, s9, s4
	v_mov_b32_e32 v28, s14
	ds_read_b32 v90, v20
	ds_read2_b32 v[58:59], v21 offset1:1
	ds_read_b32 v136, v24
	ds_read_b32 v92, v25
	;; [unrolled: 1-line block ×5, first 2 shown]
	v_mov_b32_e32 v24, s10
	s_lshl_b32 s10, s2, 2
	v_mov_b32_e32 v25, s5
	s_add_i32 s5, s9, s10
	s_add_i32 s15, s14, -8
	v_mov_b32_e32 v26, s5
	s_add_i32 s5, s1, 0xfffffe70
	v_mov_b32_e32 v20, s15
	v_mov_b32_e32 v21, s13
	s_add_i32 s9, s5, s8
	s_add_i32 s14, s14, -16
	ds_read2_b32 v[52:53], v20 offset1:1
	ds_read2_b32 v[42:43], v21 offset1:1
	;; [unrolled: 1-line block ×4, first 2 shown]
	v_mov_b32_e32 v24, s12
	v_lshl_add_u64 v[20:21], s[2:3], 2, v[48:49]
	s_add_i32 s2, s0, -6
	v_mov_b32_e32 v27, s9
	s_add_i32 s9, s5, s11
	v_mov_b32_e32 v25, s14
	ds_read2_b32 v[66:67], v24 offset1:1
	ds_read2_b32 v[40:41], v25 offset1:1
	ds_read_b32 v139, v26
	ds_read2_b32 v[64:65], v27 offset1:1
	v_mov_b32_e32 v26, s9
	s_lshl_b32 s9, s2, 2
	s_add_i32 s14, s5, s10
	s_add_i32 s5, s5, s9
	v_mov_b32_e32 v27, s5
	v_lshl_add_u64 v[24:25], s[2:3], 2, v[48:49]
	s_add_i32 s2, s0, -7
	s_add_i32 s5, s1, 0xfffffe20
	s_add_i32 s9, s5, s4
	s_lshl_b32 s13, s2, 2
	s_add_i32 s12, s9, -8
	s_add_i32 s5, s5, s13
	v_mov_b32_e32 v28, s9
	v_mov_b32_e32 v29, s12
	ds_read2_b32 v[56:57], v26 offset1:1
	ds_read_b32 v140, v27
	ds_read_b32 v94, v28
	ds_read2_b32 v[62:63], v29 offset1:1
	v_mov_b32_e32 v30, s5
	v_lshl_add_u64 v[26:27], s[2:3], 2, v[48:49]
	s_add_i32 s2, s0, -8
	s_add_i32 s5, s1, 0xfffffdd0
	s_add_i32 s12, s5, s8
	s_lshl_b32 s20, s2, 2
	v_lshl_add_u64 v[28:29], s[2:3], 2, v[48:49]
	s_add_i32 s2, s0, -9
	v_mov_b32_e32 v31, s12
	s_add_i32 s18, s5, s11
	s_add_i32 s12, s5, s10
	;; [unrolled: 1-line block ×5, first 2 shown]
	s_lshl_b32 s24, s2, 2
	s_add_i32 s21, s20, s4
	s_add_i32 s20, s20, s24
	v_mov_b32_e32 v32, s5
	v_mov_b32_e32 v33, s21
	;; [unrolled: 1-line block ×3, first 2 shown]
	ds_read_b32 v141, v30
	ds_read2_b32 v[68:69], v31 offset1:1
	ds_read_b32 v142, v32
	ds_read_b32 v95, v33
	;; [unrolled: 1-line block ×3, first 2 shown]
	v_lshl_add_u64 v[30:31], s[2:3], 2, v[48:49]
	s_add_i32 s2, s0, -10
	s_add_i32 s20, s1, 0xfffffd30
	s_add_i32 s25, s20, s8
	s_lshl_b32 s8, s2, 2
	s_add_i32 s8, s20, s8
	s_add_i32 s26, s20, s11
	;; [unrolled: 1-line block ×3, first 2 shown]
	v_mov_b32_e32 v32, s8
	s_add_i32 s10, s1, 0xfffffce0
	s_add_i32 s27, s20, s13
	ds_read_b32 v144, v32
	v_lshl_add_u64 v[32:33], s[2:3], 2, v[48:49]
	s_add_i32 s2, s0, -11
	s_add_i32 s13, s10, s4
	s_add_i32 s24, s20, s24
	v_mov_b32_e32 v34, s13
	s_add_i32 s20, s13, -8
	s_add_i32 s28, s13, -16
	s_sub_i32 s8, s13, 24
	s_sub_i32 s29, s13, 32
	;; [unrolled: 1-line block ×3, first 2 shown]
	s_lshl_b32 s13, s2, 2
	s_add_i32 s10, s10, s13
	v_mov_b32_e32 v35, s10
	ds_read_b32 v96, v34
	ds_read_b32 v145, v35
	v_lshl_add_u64 v[34:35], s[2:3], 2, v[48:49]
	s_add_i32 s2, s0, -12
	s_add_i32 s10, s1, 0xfffffc90
	s_lshl_b32 s36, s2, 2
	s_add_i32 s31, s10, s4
	s_add_i32 s10, s10, s36
	;; [unrolled: 1-line block ×3, first 2 shown]
	s_add_i32 s13, s31, -4
	s_add_i32 s37, s36, s4
	v_mov_b32_e32 v38, s13
	v_mov_b32_e32 v44, s37
	ds_read2_b32 v[70:71], v38 offset1:1
	ds_read_b32 v97, v44
	v_mov_b32_e32 v38, s10
	ds_read_b32 v146, v38
	v_lshl_add_u64 v[38:39], s[2:3], 2, v[48:49]
	s_add_i32 s2, s0, -13
	s_add_i32 s10, s37, -8
	s_lshl_b32 s41, s2, 2
	v_mov_b32_e32 v44, s10
	s_add_i32 s36, s36, s41
	ds_read2_b32 v[72:73], v44 offset1:1
	v_mov_b32_e32 v44, s36
	s_add_i32 s36, s1, 0xfffffbf0
	ds_read_b32 v147, v44
	v_lshl_add_u64 v[44:45], s[2:3], 2, v[48:49]
	s_add_i32 s2, s0, -14
	s_add_i32 s41, s36, s4
	s_addk_i32 s1, 0xfba0
	s_add_i32 s42, s41, -4
	s_lshl_b32 s46, s2, 2
	s_add_i32 s4, s1, s4
	v_mov_b32_e32 v50, s42
	s_add_i32 s42, s41, -12
	s_add_i32 s36, s36, s46
	v_mov_b32_e32 v78, s4
	v_mov_b32_e32 v51, s42
	ds_read2_b32 v[74:75], v50 offset1:1
	ds_read2_b32 v[76:77], v51 offset1:1
	v_mov_b32_e32 v50, s36
	ds_read_b32 v98, v78
	s_add_i32 s36, s4, -8
	s_add_i32 s15, s9, -16
	s_add_i32 s22, s21, -8
	v_mov_b32_e32 v78, s36
	s_add_i32 s36, s4, -16
	v_mov_b32_e32 v82, s14
	s_waitcnt lgkmcnt(14)
	v_mul_f32_e32 v91, v12, v90
	s_sub_i32 s14, s4, 32
	v_mov_b32_e32 v80, s36
	v_mov_b32_e32 v84, s15
	;; [unrolled: 1-line block ×4, first 2 shown]
	v_fma_f32 v149, -v91, v92, v5
	v_mov_b32_e32 v5, s14
	s_sub_i32 s14, s4, 40
	ds_read_b32 v148, v50
	ds_read2_b32 v[78:79], v78 offset1:1
	ds_read2_b32 v[80:81], v80 offset1:1
	s_sub_i32 s36, s4, 24
	ds_read2_b32 v[82:83], v82 offset1:1
	ds_read2_b32 v[84:85], v84 offset1:1
	;; [unrolled: 1-line block ×4, first 2 shown]
	flat_store_dword v[10:11], v91
	v_fma_f32 v151, -v91, v94, v1
	v_mov_b32_e32 v1, s25
	s_waitcnt lgkmcnt(0)
	v_fma_f32 v153, -v91, v96, v9
	v_mov_b32_e32 v9, s14
	s_sub_i32 s14, s4, 48
	s_sub_i32 s42, s41, 20
	;; [unrolled: 1-line block ×6, first 2 shown]
	v_fma_f32 v150, -v91, v93, v7
	ds_read2_b32 v[92:93], v1 offset1:1
	v_mov_b32_e32 v1, s36
	v_mov_b32_e32 v10, s14
	s_add_i32 s38, s37, -16
	s_sub_i32 s10, s37, 24
	s_sub_i32 s39, s37, 32
	s_sub_i32 s40, s37, 40
	s_sub_i32 s37, s37, 48
	v_fma_f32 v152, -v91, v95, v3
	v_fma_f32 v3, -v91, v71, v16
	;; [unrolled: 1-line block ×5, first 2 shown]
	ds_read2_b32 v[14:15], v1 offset1:1
	ds_read2_b32 v[16:17], v5 offset1:1
	ds_read2_b32 v[94:95], v9 offset1:1
	ds_read2_b32 v[10:11], v10 offset1:1
	v_mov_b32_e32 v1, s41
	s_add_i32 s33, s31, -12
	s_sub_i32 s13, s31, 20
	s_sub_i32 s34, s31, 28
	;; [unrolled: 1-line block ×4, first 2 shown]
	v_fma_f32 v59, -v91, v59, v13
	ds_read2_b32 v[12:13], v1 offset1:1
	v_mov_b32_e32 v1, s37
	ds_read2_b32 v[96:97], v1 offset1:1
	v_mov_b32_e32 v1, s31
	;; [unrolled: 2-line block ×7, first 2 shown]
	s_add_i32 s23, s21, -16
	s_sub_i32 s5, s21, 24
	s_sub_i32 s21, s21, 32
	ds_read2_b32 v[108:109], v1 offset1:1
	v_mov_b32_e32 v1, s44
	ds_read2_b32 v[110:111], v1 offset1:1
	v_mov_b32_e32 v1, s21
	ds_read2_b32 v[112:113], v1 offset1:1
	v_mov_b32_e32 v1, s29
	ds_read2_b32 v[114:115], v1 offset1:1
	v_mov_b32_e32 v1, s39
	ds_read2_b32 v[116:117], v1 offset1:1
	v_mov_b32_e32 v1, s19
	ds_read2_b32 v[118:119], v1 offset1:1
	v_mov_b32_e32 v1, s27
	ds_read2_b32 v[120:121], v1 offset1:1
	v_mov_b32_e32 v1, s34
	s_sub_i32 s9, s9, 24
	ds_read2_b32 v[122:123], v1 offset1:1
	v_mov_b32_e32 v1, s43
	ds_read2_b32 v[124:125], v1 offset1:1
	v_mov_b32_e32 v1, s9
	v_mul_f32_e32 v90, v59, v58
	v_mov_b32_e32 v5, s12
	ds_read2_b32 v[126:127], v1 offset1:1
	ds_read2_b32 v[128:129], v5 offset1:1
	v_mov_b32_e32 v1, s23
	s_waitcnt lgkmcnt(0)
	v_pk_mul_f32 v[58:59], v[90:91], v[92:93]
	v_mov_b32_e32 v5, s26
	ds_read2_b32 v[130:131], v1 offset1:1
	ds_read2_b32 v[132:133], v5 offset1:1
	v_mov_b32_e32 v1, s20
	v_sub_f32_e32 v59, v8, v59
	v_pk_mul_f32 v[8:9], v[90:91], v[60:61]
	ds_read2_b32 v[134:135], v1 offset1:1
	v_sub_f32_e32 v1, v4, v9
	v_pk_mul_f32 v[4:5], v[90:91], v[66:67]
	v_sub_f32_e32 v8, v1, v8
	v_sub_f32_e32 v5, v6, v5
	;; [unrolled: 1-line block ×3, first 2 shown]
	v_pk_mul_f32 v[4:5], v[90:91], v[64:65]
	flat_store_dword v[46:47], v90
	v_sub_f32_e32 v0, v0, v5
	v_sub_f32_e32 v61, v0, v4
	v_pk_mul_f32 v[0:1], v[90:91], v[68:69]
	v_mov_b32_e32 v4, s28
	v_sub_f32_e32 v1, v2, v1
	v_sub_f32_e32 v64, v1, v0
	v_mov_b32_e32 v0, s5
	v_mov_b32_e32 v2, s11
	;; [unrolled: 1-line block ×3, first 2 shown]
	v_mul_f32_e32 v8, v8, v136
	v_mov_b32_e32 v9, v90
	v_fma_f32 v66, -v90, v70, v3
	v_fma_f32 v67, -v90, v73, v7
	ds_read2_b32 v[0:1], v0 offset1:1
	ds_read2_b32 v[2:3], v2 offset1:1
	ds_read2_b32 v[4:5], v4 offset1:1
	ds_read2_b32 v[6:7], v6 offset1:1
	flat_store_dword v[36:37], v8
	v_pk_mul_f32 v[36:37], v[8:9], v[52:53]
	v_sub_f32_e32 v65, v59, v58
	v_sub_f32_e32 v37, v150, v37
	;; [unrolled: 1-line block ×3, first 2 shown]
	v_pk_mul_f32 v[36:37], v[8:9], v[62:63]
	s_waitcnt lgkmcnt(0)
	v_pk_mul_f32 v[46:47], v[8:9], v[134:135]
	v_pk_mul_f32 v[58:59], v[8:9], v[88:89]
	;; [unrolled: 1-line block ×3, first 2 shown]
	v_sub_f32_e32 v9, v151, v37
	v_sub_f32_e32 v55, v149, v55
	;; [unrolled: 1-line block ×3, first 2 shown]
	v_mov_b32_e32 v9, s8
	v_sub_f32_e32 v47, v153, v47
	v_sub_f32_e32 v54, v55, v54
	ds_read2_b32 v[36:37], v9 offset1:1
	v_mov_b32_e32 v9, s13
	v_fma_f32 v68, -v90, v74, v71
	v_sub_f32_e32 v71, v47, v46
	ds_read2_b32 v[46:47], v9 offset1:1
	v_mov_b32_e32 v9, s38
	v_mul_f32_e32 v54, v54, v137
	v_mov_b32_e32 v55, v8
	v_fma_f32 v69, -v90, v79, v75
	v_sub_f32_e32 v59, v152, v59
	ds_read2_b32 v[52:53], v9 offset1:1
	v_pk_mul_f32 v[42:43], v[54:55], v[42:43]
	v_sub_f32_e32 v63, v59, v58
	v_fma_f32 v67, -v8, v72, v67
	v_fma_f32 v68, -v8, v77, v68
	;; [unrolled: 1-line block ×3, first 2 shown]
	v_pk_mul_f32 v[6:7], v[54:55], v[6:7]
	v_pk_mul_f32 v[8:9], v[54:55], v[132:133]
	;; [unrolled: 1-line block ×3, first 2 shown]
	v_sub_f32_e32 v43, v60, v43
	flat_store_dword v[22:23], v54
	v_pk_mul_f32 v[22:23], v[54:55], v[56:57]
	v_sub_f32_e32 v7, v66, v7
	v_sub_f32_e32 v9, v65, v9
	;; [unrolled: 1-line block ×9, first 2 shown]
	v_mov_b32_e32 v6, s10
	v_mov_b32_e32 v8, s42
	v_mul_f32_e32 v22, v42, v138
	v_mov_b32_e32 v23, v54
	ds_read2_b32 v[6:7], v6 offset1:1
	ds_read2_b32 v[8:9], v8 offset1:1
	flat_store_dword v[18:19], v22
	v_pk_mul_f32 v[18:19], v[22:23], v[40:41]
	s_waitcnt lgkmcnt(0)
	v_pk_mul_f32 v[42:43], v[22:23], v[52:53]
	v_pk_mul_f32 v[4:5], v[22:23], v[4:5]
	;; [unrolled: 1-line block ×3, first 2 shown]
	v_sub_f32_e32 v19, v70, v19
	v_sub_f32_e32 v5, v71, v5
	;; [unrolled: 1-line block ×6, first 2 shown]
	v_mul_f32_e32 v4, v18, v139
	v_mov_b32_e32 v5, v22
	v_fma_f32 v61, -v54, v81, v69
	v_sub_f32_e32 v43, v67, v43
	v_pk_mul_f32 v[40:41], v[4:5], v[82:83]
	v_fma_f32 v60, -v54, v76, v68
	v_pk_mul_f32 v[54:55], v[22:23], v[84:85]
	v_sub_f32_e32 v42, v43, v42
	v_pk_mul_f32 v[8:9], v[4:5], v[8:9]
	v_fma_f32 v43, -v22, v80, v61
	v_pk_mul_f32 v[18:19], v[4:5], v[46:47]
	v_pk_mul_f32 v[2:3], v[4:5], v[2:3]
	;; [unrolled: 1-line block ×3, first 2 shown]
	v_sub_f32_e32 v5, v56, v41
	v_sub_f32_e32 v5, v5, v40
	;; [unrolled: 1-line block ×3, first 2 shown]
	flat_store_dword v[20:21], v4
	v_mul_f32_e32 v20, v5, v140
	v_mov_b32_e32 v21, v4
	v_sub_f32_e32 v54, v55, v54
	v_pk_mul_f32 v[4:5], v[20:21], v[126:127]
	v_sub_f32_e32 v9, v60, v9
	v_sub_f32_e32 v5, v54, v5
	;; [unrolled: 1-line block ×6, first 2 shown]
	v_pk_mul_f32 v[0:1], v[20:21], v[0:1]
	v_mul_f32_e32 v4, v4, v141
	v_mov_b32_e32 v5, v20
	v_sub_f32_e32 v22, v23, v22
	v_sub_f32_e32 v1, v52, v1
	;; [unrolled: 1-line block ×3, first 2 shown]
	v_pk_mul_f32 v[2:3], v[20:21], v[36:37]
	v_sub_f32_e32 v18, v19, v18
	v_sub_f32_e32 v19, v9, v8
	v_pk_mul_f32 v[8:9], v[4:5], v[118:119]
	v_sub_f32_e32 v3, v53, v3
	v_pk_mul_f32 v[6:7], v[20:21], v[6:7]
	v_sub_f32_e32 v9, v22, v9
	v_sub_f32_e32 v22, v1, v0
	v_pk_mul_f32 v[0:1], v[4:5], v[120:121]
	v_sub_f32_e32 v7, v42, v7
	v_sub_f32_e32 v1, v23, v1
	;; [unrolled: 1-line block ×3, first 2 shown]
	v_pk_mul_f32 v[2:3], v[4:5], v[122:123]
	v_pk_mul_f32 v[14:15], v[20:21], v[14:15]
	v_sub_f32_e32 v3, v18, v3
	v_sub_f32_e32 v18, v7, v6
	v_pk_mul_f32 v[6:7], v[4:5], v[124:125]
	v_sub_f32_e32 v5, v43, v15
	v_sub_f32_e32 v14, v5, v14
	;; [unrolled: 1-line block ×3, first 2 shown]
	v_mul_f32_e32 v8, v5, v142
	v_mov_b32_e32 v9, v4
	flat_store_dword v[26:27], v4
	v_pk_mul_f32 v[4:5], v[8:9], v[112:113]
	v_sub_f32_e32 v7, v19, v7
	v_sub_f32_e32 v5, v22, v5
	;; [unrolled: 1-line block ×4, first 2 shown]
	v_pk_mul_f32 v[0:1], v[8:9], v[114:115]
	v_sub_f32_e32 v19, v3, v2
	v_pk_mul_f32 v[2:3], v[8:9], v[116:117]
	v_mul_f32_e32 v4, v4, v143
	v_mov_b32_e32 v5, v8
	v_sub_f32_e32 v1, v23, v1
	v_sub_f32_e32 v3, v18, v3
	;; [unrolled: 1-line block ×3, first 2 shown]
	v_pk_mul_f32 v[6:7], v[4:5], v[106:107]
	flat_store_dword v[28:29], v8
	v_sub_f32_e32 v7, v15, v7
	v_sub_f32_e32 v15, v1, v0
	v_pk_mul_f32 v[0:1], v[4:5], v[108:109]
	v_pk_mul_f32 v[8:9], v[8:9], v[16:17]
	v_sub_f32_e32 v1, v19, v1
	v_sub_f32_e32 v19, v3, v2
	v_pk_mul_f32 v[2:3], v[4:5], v[110:111]
	v_sub_f32_e32 v5, v14, v9
	v_sub_f32_e32 v8, v5, v8
	;; [unrolled: 1-line block ×3, first 2 shown]
	v_mul_f32_e32 v6, v5, v144
	v_mov_b32_e32 v7, v4
	flat_store_dword v[30:31], v4
	v_pk_mul_f32 v[4:5], v[6:7], v[102:103]
	v_sub_f32_e32 v3, v18, v3
	v_sub_f32_e32 v5, v15, v5
	v_sub_f32_e32 v14, v3, v2
	v_sub_f32_e32 v2, v5, v4
	v_sub_f32_e32 v9, v1, v0
	v_pk_mul_f32 v[0:1], v[6:7], v[104:105]
	v_mul_f32_e32 v2, v2, v145
	v_mov_b32_e32 v3, v6
	v_sub_f32_e32 v1, v19, v1
	flat_store_dword v[32:33], v6
	v_pk_mul_f32 v[4:5], v[2:3], v[98:99]
	v_pk_mul_f32 v[6:7], v[6:7], v[94:95]
	v_sub_f32_e32 v5, v9, v5
	v_sub_f32_e32 v9, v1, v0
	v_pk_mul_f32 v[0:1], v[2:3], v[100:101]
	v_sub_f32_e32 v3, v8, v7
	v_sub_f32_e32 v6, v3, v6
	;; [unrolled: 1-line block ×3, first 2 shown]
	v_mul_f32_e32 v4, v3, v146
	v_mov_b32_e32 v5, v2
	flat_store_dword v[34:35], v2
	v_pk_mul_f32 v[2:3], v[4:5], v[96:97]
	v_sub_f32_e32 v1, v14, v1
	v_sub_f32_e32 v3, v9, v3
	v_sub_f32_e32 v7, v1, v0
	v_sub_f32_e32 v0, v3, v2
	v_mul_f32_e32 v0, v0, v147
	v_mov_b32_e32 v1, v4
	v_pk_mul_f32 v[2:3], v[0:1], v[12:13]
	v_lshl_add_u64 v[50:51], s[2:3], 2, v[48:49]
	v_sub_f32_e32 v1, v7, v3
	v_sub_f32_e32 v1, v1, v2
	s_sub_i32 s4, s4, 56
	flat_store_dword v[38:39], v4
	v_pk_mul_f32 v[4:5], v[4:5], v[10:11]
	v_mul_f32_e32 v2, v1, v148
	s_add_i32 s2, s0, -15
	flat_store_dword v[24:25], v20
	v_sub_f32_e32 v3, v6, v5
	flat_store_dword v[44:45], v0
	flat_store_dword v[50:51], v2
	v_mov_b32_e32 v1, s4
	v_sub_f32_e32 v6, v3, v4
	ds_read2_b32 v[4:5], v1 offset1:1
	s_lshl_b32 s4, s2, 2
	s_add_i32 s1, s1, s4
	v_mov_b32_e32 v1, s1
	ds_read_b32 v7, v1
	v_mov_b32_e32 v3, v0
	s_waitcnt lgkmcnt(0)
	v_pk_mul_f32 v[0:1], v[2:3], v[4:5]
	s_add_i32 s0, s0, -16
	v_sub_f32_e32 v1, v6, v1
	v_sub_f32_e32 v0, v1, v0
	v_mul_f32_e32 v2, v0, v7
	v_lshl_add_u64 v[0:1], s[2:3], 2, v[48:49]
	flat_store_dword v[0:1], v2
.LBB24_21:
	s_cmp_lt_i32 s0, 0
	s_cbranch_scc1 .LBB24_38
; %bb.22:
	s_and_b32 s1, s0, 3
	s_cmp_eq_u32 s1, 3
	s_mov_b32 s2, s0
	s_cbranch_scc1 .LBB24_27
; %bb.23:
	s_mul_i32 s2, s0, 0x50
	s_lshl_b32 s3, s17, 2
	s_add_i32 s1, s0, 1
	s_add_i32 s2, s2, s3
	s_and_b32 s1, s1, 3
	s_add_i32 s8, s2, -4
	s_mov_b32 s5, 0
	s_mov_b32 s2, s0
	;; [unrolled: 1-line block ×3, first 2 shown]
	s_branch .LBB24_25
.LBB24_24:                              ;   in Loop: Header=BB24_25 Depth=1
	s_mul_i32 s3, s2, 0x54
	v_mov_b32_e32 v1, s3
	ds_read_b32 v1, v1
	s_add_i32 s2, s2, -1
	s_add_i32 s9, s9, 1
	s_addk_i32 s8, 0xffb0
	s_cmp_lg_u32 s9, s1
	s_waitcnt lgkmcnt(0)
	v_mul_f32_e32 v0, v0, v1
	flat_store_dword v[2:3], v0
	s_cbranch_scc0 .LBB24_27
.LBB24_25:                              ; =>This Loop Header: Depth=1
                                        ;     Child Loop BB24_26 Depth 2
	s_mov_b32 s3, s5
	v_lshl_add_u64 v[2:3], s[2:3], 2, v[48:49]
	flat_load_dword v0, v[2:3]
	s_cmp_le_i32 s7, s2
	s_mov_b32 s3, s8
	s_mov_b32 s4, s7
	s_waitcnt vmcnt(0) lgkmcnt(0)
	v_mul_f32_e32 v0, s16, v0
	s_cbranch_scc1 .LBB24_24
.LBB24_26:                              ;   Parent Loop BB24_25 Depth=1
                                        ; =>  This Inner Loop Header: Depth=2
	v_lshl_add_u64 v[4:5], s[4:5], 2, v[48:49]
	flat_load_dword v1, v[4:5]
	v_mov_b32_e32 v4, s3
	ds_read_b32 v4, v4
	s_add_i32 s4, s4, -1
	s_add_i32 s3, s3, -4
	s_cmp_gt_i32 s4, s2
	s_waitcnt vmcnt(0) lgkmcnt(0)
	v_fma_f32 v0, -v1, v4, v0
	s_cbranch_scc1 .LBB24_26
	s_branch .LBB24_24
.LBB24_27:
	s_cmp_lt_u32 s0, 3
	s_cbranch_scc1 .LBB24_38
; %bb.28:
	s_mul_i32 s0, s2, 0x50
	s_lshl_b32 s1, s17, 2
	s_add_i32 s0, s0, s1
	s_add_i32 s8, s0, -4
	s_add_i32 s9, s0, 0xffffffac
	s_add_i32 s10, s0, 0xffffff5c
	s_add_i32 s11, s0, 0xffffff0c
	s_mov_b32 s1, 0
	s_branch .LBB24_30
.LBB24_29:                              ;   in Loop: Header=BB24_30 Depth=1
	s_add_i32 s0, s3, 0xffffffac
	v_mov_b32_e32 v1, s0
	ds_read_b32 v1, v1
	s_add_i32 s0, s2, -4
	s_addk_i32 s8, 0xfec0
	s_addk_i32 s9, 0xfec0
	;; [unrolled: 1-line block ×4, first 2 shown]
	s_waitcnt lgkmcnt(0)
	v_mul_f32_e32 v0, v0, v1
	s_cmp_lt_i32 s2, 4
	s_mov_b32 s2, s0
	flat_store_dword v[2:3], v0
	s_cbranch_scc1 .LBB24_38
.LBB24_30:                              ; =>This Loop Header: Depth=1
                                        ;     Child Loop BB24_31 Depth 2
                                        ;     Child Loop BB24_33 Depth 2
	;; [unrolled: 1-line block ×4, first 2 shown]
	s_mov_b32 s3, s1
	v_lshl_add_u64 v[4:5], s[2:3], 2, v[48:49]
	flat_load_dword v0, v[4:5]
	s_cmp_le_i32 s7, s2
	s_mov_b32 s3, s8
	s_mov_b32 s0, s7
	s_waitcnt vmcnt(0) lgkmcnt(0)
	v_mul_f32_e32 v0, s16, v0
	s_cbranch_scc1 .LBB24_32
.LBB24_31:                              ;   Parent Loop BB24_30 Depth=1
                                        ; =>  This Inner Loop Header: Depth=2
	v_lshl_add_u64 v[2:3], s[0:1], 2, v[48:49]
	flat_load_dword v1, v[2:3]
	v_mov_b32_e32 v2, s3
	ds_read_b32 v2, v2
	s_add_i32 s0, s0, -1
	s_add_i32 s3, s3, -4
	s_cmp_gt_i32 s0, s2
	s_waitcnt vmcnt(0) lgkmcnt(0)
	v_fma_f32 v0, -v1, v2, v0
	s_cbranch_scc1 .LBB24_31
.LBB24_32:                              ;   in Loop: Header=BB24_30 Depth=1
	s_add_i32 s0, s2, -1
	v_lshl_add_u64 v[2:3], s[0:1], 2, v[48:49]
	flat_load_dword v1, v[2:3]
	s_mul_i32 s3, s2, 0x54
	v_mov_b32_e32 v6, s3
	ds_read_b32 v6, v6
	s_mov_b32 s4, s9
	s_cmp_le_i32 s17, s2
	s_mov_b32 s0, s17
	s_waitcnt lgkmcnt(0)
	v_mul_f32_e32 v0, v0, v6
	flat_store_dword v[4:5], v0
	s_waitcnt vmcnt(0)
	v_mul_f32_e32 v0, s16, v1
	s_cbranch_scc1 .LBB24_34
.LBB24_33:                              ;   Parent Loop BB24_30 Depth=1
                                        ; =>  This Inner Loop Header: Depth=2
	s_add_i32 s0, s0, -1
	v_lshl_add_u64 v[4:5], s[0:1], 2, v[48:49]
	flat_load_dword v1, v[4:5]
	v_mov_b32_e32 v4, s4
	ds_read_b32 v4, v4
	s_add_i32 s4, s4, -4
	s_cmp_gt_i32 s0, s2
	s_waitcnt vmcnt(0) lgkmcnt(0)
	v_fma_f32 v0, -v1, v4, v0
	s_cbranch_scc1 .LBB24_33
.LBB24_34:                              ;   in Loop: Header=BB24_30 Depth=1
	s_add_i32 s4, s2, -2
	s_mov_b32 s5, s1
	v_lshl_add_u64 v[4:5], s[4:5], 2, v[48:49]
	flat_load_dword v1, v[4:5]
	s_addk_i32 s3, 0xffac
	v_mov_b32_e32 v6, s3
	ds_read_b32 v6, v6
	s_mov_b32 s5, s10
	s_cmp_le_i32 s7, s4
	s_mov_b32 s0, s7
	s_waitcnt lgkmcnt(0)
	v_mul_f32_e32 v0, v0, v6
	flat_store_dword v[2:3], v0
	s_waitcnt vmcnt(0)
	v_mul_f32_e32 v0, s16, v1
	s_cbranch_scc1 .LBB24_36
.LBB24_35:                              ;   Parent Loop BB24_30 Depth=1
                                        ; =>  This Inner Loop Header: Depth=2
	v_lshl_add_u64 v[2:3], s[0:1], 2, v[48:49]
	flat_load_dword v1, v[2:3]
	v_mov_b32_e32 v2, s5
	ds_read_b32 v2, v2
	s_add_i32 s0, s0, -1
	s_add_i32 s5, s5, -4
	s_cmp_gt_i32 s0, s4
	s_waitcnt vmcnt(0) lgkmcnt(0)
	v_fma_f32 v0, -v1, v2, v0
	s_cbranch_scc1 .LBB24_35
.LBB24_36:                              ;   in Loop: Header=BB24_30 Depth=1
	s_add_i32 s4, s2, -3
	s_mov_b32 s5, s1
	v_lshl_add_u64 v[2:3], s[4:5], 2, v[48:49]
	flat_load_dword v1, v[2:3]
	s_addk_i32 s3, 0xffac
	v_mov_b32_e32 v6, s3
	ds_read_b32 v6, v6
	s_mov_b32 s5, s11
	s_cmp_le_i32 s7, s4
	s_mov_b32 s0, s7
	s_waitcnt lgkmcnt(0)
	v_mul_f32_e32 v0, v0, v6
	flat_store_dword v[4:5], v0
	s_waitcnt vmcnt(0)
	v_mul_f32_e32 v0, s16, v1
	s_cbranch_scc1 .LBB24_29
.LBB24_37:                              ;   Parent Loop BB24_30 Depth=1
                                        ; =>  This Inner Loop Header: Depth=2
	v_lshl_add_u64 v[4:5], s[0:1], 2, v[48:49]
	flat_load_dword v1, v[4:5]
	v_mov_b32_e32 v4, s5
	ds_read_b32 v4, v4
	s_add_i32 s0, s0, -1
	s_add_i32 s5, s5, -4
	s_cmp_gt_i32 s0, s4
	s_waitcnt vmcnt(0) lgkmcnt(0)
	v_fma_f32 v0, -v1, v4, v0
	s_cbranch_scc1 .LBB24_37
	s_branch .LBB24_29
.LBB24_38:
	s_mov_b64 s[0:1], 0
.LBB24_39:
	s_and_b64 vcc, exec, s[0:1]
	s_cbranch_vccz .LBB24_53
; %bb.40:
	s_cmp_gt_i32 s6, 19
	s_cselect_b64 s[0:1], -1, 0
	s_mov_b32 s2, 0
	s_and_b64 vcc, exec, s[0:1]
	s_cbranch_vccz .LBB24_42
; %bb.41:
	flat_load_dwordx4 v[24:27], v[48:49]
	flat_load_dwordx4 v[64:67], v[48:49] offset:16
	flat_load_dwordx4 v[84:87], v[48:49] offset:32
	;; [unrolled: 1-line block ×4, first 2 shown]
	v_mov_b32_e32 v114, 0
	ds_read_b128 v[88:91], v114
	ds_read_b128 v[92:95], v114 offset:16
	ds_read_b128 v[96:99], v114 offset:32
	ds_read2_b32 v[46:47], v114 offset0:21 offset1:22
	ds_read_b128 v[12:15], v114 offset:336
	ds_read_b128 v[8:11], v114 offset:352
	ds_read2_b32 v[38:39], v114 offset0:23 offset1:24
	ds_read2_b32 v[40:41], v114 offset0:25 offset1:26
	;; [unrolled: 1-line block ×13, first 2 shown]
	ds_read_b128 v[0:3], v114 offset:672
	ds_read2_b32 v[50:51], v114 offset0:189 offset1:190
	ds_read2_b64 v[28:31], v114 offset0:23 offset1:24
	ds_read_b64 v[68:69], v114 offset:200
	ds_read2_b64 v[4:7], v114 offset0:63 offset1:64
	ds_read_b64 v[56:57], v114 offset:520
	ds_read_b32 v115, v114 offset:840
	ds_read2_b64 v[32:35], v114 offset0:21 offset1:22
	ds_read2_b32 v[80:81], v114 offset0:31 offset1:32
	v_mov_b32_e32 v70, s16
	s_waitcnt lgkmcnt(0)
	v_mov_b32_e32 v107, v89
	v_mov_b32_e32 v113, v93
	;; [unrolled: 1-line block ×35, first 2 shown]
	s_movk_i32 s2, 0x200
	s_waitcnt vmcnt(0)
	v_mul_f32_e32 v3, s16, v24
	v_mov_b32_e32 v106, v25
	v_mul_f32_e32 v71, v3, v88
	v_pk_mul_f32 v[24:25], v[70:71], v[106:107]
	v_mov_b32_e32 v98, v71
	v_sub_f32_e32 v5, v24, v25
	v_mul_f32_e32 v3, v71, v99
	v_mul_f32_e32 v99, v5, v46
	v_pk_mul_f32 v[46:47], v[98:99], v[96:97]
	v_mov_b32_e32 v52, v85
	v_fma_f32 v7, s16, v84, -v46
	v_pk_mul_f32 v[84:85], v[98:99], v[94:95]
	v_mov_b32_e32 v116, v67
	v_fma_f32 v11, s16, v66, -v84
	v_pk_mul_f32 v[66:67], v[98:99], v[92:93]
	v_mov_b32_e32 v112, v65
	v_pk_mul_f32 v[24:25], v[98:99], v[100:101]
	v_fma_f32 v13, s16, v64, -v66
	v_pk_mul_f32 v[64:65], v[98:99], v[90:91]
	v_mov_b32_e32 v108, v27
	v_fma_f32 v5, s16, v86, -v24
	v_fma_f32 v24, s16, v26, -v64
	flat_store_dwordx2 v[48:49], v[98:99]
	v_pk_mul_f32 v[106:107], v[70:71], v[108:109]
	v_sub_f32_e32 v33, v24, v65
	v_sub_f32_e32 v7, v7, v47
	;; [unrolled: 1-line block ×3, first 2 shown]
	ds_read2_b32 v[92:93], v114 offset0:79 offset1:91
	ds_read2_b32 v[96:97], v114 offset0:71 offset1:72
	;; [unrolled: 1-line block ×5, first 2 shown]
	ds_read_b128 v[24:27], v114 offset:48
	v_fma_f32 v3, s16, v87, -v3
	v_sub_f32_e32 v45, v11, v85
	ds_read_b128 v[84:87], v114 offset:128
	ds_read_b128 v[88:91], v114 offset:64
	v_pk_mul_f32 v[74:75], v[70:71], v[112:113]
	s_waitcnt lgkmcnt(0)
	v_mul_f32_e32 v11, v71, v24
	v_mul_f32_e32 v24, v71, v25
	;; [unrolled: 1-line block ×4, first 2 shown]
	v_fma_f32 v11, s16, v16, -v11
	v_fma_f32 v16, s16, v17, -v24
	;; [unrolled: 1-line block ×4, first 2 shown]
	ds_read_b128 v[24:27], v114 offset:144
	v_pk_mul_f32 v[42:43], v[70:71], v[116:117]
	v_pk_mul_f32 v[52:53], v[70:71], v[52:53]
	v_fma_f32 v57, -v99, v84, v11
	v_fma_f32 v63, -v99, v85, v16
	;; [unrolled: 1-line block ×3, first 2 shown]
	v_mul_f32_e32 v11, v71, v88
	v_mul_f32_e32 v84, v71, v89
	v_mul_f32_e32 v85, v71, v90
	v_mul_f32_e32 v86, v71, v91
	v_fma_f32 v11, s16, v20, -v11
	v_fma_f32 v20, s16, v21, -v84
	;; [unrolled: 1-line block ×4, first 2 shown]
	v_sub_f32_e32 v13, v13, v67
	v_mov_b32_e32 v67, v93
	v_fma_f32 v93, -v99, v87, v18
	s_waitcnt lgkmcnt(0)
	v_fma_f32 v94, -v99, v24, v11
	v_fma_f32 v95, -v99, v25, v20
	;; [unrolled: 1-line block ×4, first 2 shown]
	v_mov_b32_e32 v98, v99
	v_mul_f32_e32 v99, v33, v32
	v_pk_mul_f32 v[24:25], v[98:99], v[110:111]
	v_sub_f32_e32 v26, v106, v107
	v_sub_f32_e32 v24, v26, v24
	;; [unrolled: 1-line block ×3, first 2 shown]
	v_mul_f32_e32 v103, v32, v62
	v_mov_b32_e32 v102, v99
	ds_read_b32 v71, v114 offset:524
	ds_read_b128 v[16:19], v114 offset:528
	ds_read_b128 v[20:23], v114 offset:208
	ds_read_b128 v[84:87], v114 offset:224
	v_pk_mul_f32 v[34:35], v[102:103], v[34:35]
	v_pk_mul_f32 v[30:31], v[102:103], v[30:31]
	v_sub_f32_e32 v13, v13, v34
	v_pk_mul_f32 v[32:33], v[98:99], v[76:77]
	v_sub_f32_e32 v13, v13, v35
	v_sub_f32_e32 v7, v7, v30
	;; [unrolled: 1-line block ×3, first 2 shown]
	ds_read_b128 v[24:27], v114 offset:368
	ds_read_b128 v[88:91], v114 offset:384
	v_sub_f32_e32 v30, v30, v32
	v_mul_f32_e32 v125, v13, v12
	v_mov_b32_e32 v124, v103
	v_mov_b32_e32 v66, v96
	s_waitcnt lgkmcnt(0)
	v_mov_b32_e32 v96, v20
	v_fma_f32 v111, -v99, v21, v63
	v_pk_mul_f32 v[20:21], v[98:99], v[80:81]
	v_sub_f32_e32 v30, v30, v33
	v_pk_mul_f32 v[12:13], v[124:125], v[72:73]
	v_sub_f32_e32 v3, v3, v20
	v_sub_f32_e32 v12, v30, v12
	v_fma_f32 v70, -v99, v22, v70
	v_fma_f32 v23, -v99, v23, v93
	v_sub_f32_e32 v3, v3, v21
	v_fma_f32 v84, -v99, v84, v94
	v_fma_f32 v85, -v99, v85, v95
	;; [unrolled: 1-line block ×4, first 2 shown]
	ds_read2_b32 v[94:95], v114 offset0:151 offset1:152
	ds_read_b96 v[20:22], v114 offset:544
	v_pk_mul_f32 v[78:79], v[98:99], v[78:79]
	v_pk_mul_f32 v[62:63], v[98:99], v[82:83]
	;; [unrolled: 1-line block ×3, first 2 shown]
	ds_read2_b32 v[106:107], v114 offset0:111 offset1:112
	ds_read2_b32 v[100:101], v114 offset0:113 offset1:114
	;; [unrolled: 1-line block ×4, first 2 shown]
	v_sub_f32_e32 v12, v12, v13
	v_sub_f32_e32 v28, v45, v28
	v_fma_f32 v13, -v103, v47, v84
	v_mul_f32_e32 v33, v12, v44
	v_mov_b32_e32 v32, v125
	v_sub_f32_e32 v45, v28, v29
	v_pk_mul_f32 v[28:29], v[102:103], v[68:69]
	v_fma_f32 v136, -v125, v88, v13
	v_pk_mul_f32 v[12:13], v[32:33], v[14:15]
	v_sub_f32_e32 v134, v7, v31
	v_sub_f32_e32 v5, v5, v28
	v_fma_f32 v7, -v103, v108, v85
	v_sub_f32_e32 v12, v45, v12
	v_sub_f32_e32 v135, v5, v29
	v_pk_mul_f32 v[28:29], v[102:103], v[96:97]
	v_fma_f32 v7, -v125, v89, v7
	v_sub_f32_e32 v12, v12, v13
	v_sub_f32_e32 v5, v57, v28
	v_fma_f32 v28, -v103, v109, v86
	s_waitcnt lgkmcnt(0)
	v_fma_f32 v7, -v33, v34, v7
	v_mul_f32_e32 v133, v12, v4
	v_fma_f32 v28, -v125, v90, v28
	v_fma_f32 v138, -v133, v21, v7
	v_sub_f32_e32 v7, v42, v43
	v_fma_f32 v13, -v33, v35, v28
	v_sub_f32_e32 v7, v7, v78
	v_fma_f32 v139, -v133, v22, v13
	v_sub_f32_e32 v7, v7, v79
	v_pk_mul_f32 v[12:13], v[124:125], v[40:41]
	v_mov_b32_e32 v11, v105
	v_sub_f32_e32 v57, v5, v29
	ds_read_b32 v5, v114 offset:684
	ds_read2_b32 v[104:105], v114 offset0:153 offset1:154
	ds_read2_b32 v[80:81], v114 offset0:155 offset1:156
	;; [unrolled: 1-line block ×3, first 2 shown]
	v_sub_f32_e32 v7, v7, v12
	v_mov_b32_e32 v132, v33
	v_sub_f32_e32 v7, v7, v13
	v_pk_mul_f32 v[12:13], v[132:133], v[38:39]
	v_mov_b32_e32 v112, 0x444
	v_fma_f32 v29, -v103, v92, v87
	v_mov_b32_e32 v4, 0x454
	v_sub_f32_e32 v7, v7, v12
	v_mov_b32_e32 v113, 0x44c
	v_mov_b32_e32 v116, 0x4ec
	ds_read2_b32 v[126:127], v114 offset0:191 offset1:192
	ds_read2_b32 v[128:129], v114 offset0:193 offset1:194
	;; [unrolled: 1-line block ×4, first 2 shown]
	v_fma_f32 v137, -v125, v91, v29
	ds_read2_b32 v[76:77], v114 offset0:233 offset1:234
	ds_read2_b32 v[74:75], v114 offset0:235 offset1:236
	;; [unrolled: 1-line block ×3, first 2 shown]
	ds_read2_b32 v[90:91], v112 offset1:1
	ds_read2_b32 v[86:87], v113 offset1:1
	ds_read2_b32 v[82:83], v116 offset1:1
	ds_read2_b32 v[92:93], v4 offset1:1
	v_mov_b32_e32 v4, 0x4f4
	v_mov_b32_e32 v14, 0x594
	v_sub_f32_e32 v7, v7, v13
	s_waitcnt lgkmcnt(0)
	v_mov_b32_e32 v110, v80
	v_mov_b32_e32 v80, v20
	ds_read2_b32 v[88:89], v4 offset1:1
	ds_read2_b32 v[78:79], v14 offset1:1
	v_mul_f32_e32 v35, v7, v36
	v_mov_b32_e32 v7, v37
	v_fma_f32 v34, -v103, v46, v23
	ds_read_b64 v[84:85], v114 offset:1192
	ds_read2_b64 v[20:23], v114 offset0:147 offset1:148
	ds_read_b32 v140, v114 offset:1512
	ds_read_b128 v[12:15], v114 offset:1344
	ds_read_b32 v113, v114 offset:844
	ds_read_b128 v[44:47], v114 offset:848
	ds_read_b128 v[116:119], v114 offset:688
	;; [unrolled: 1-line block ×3, first 2 shown]
	ds_read2_b32 v[108:109], v114 offset0:231 offset1:232
	ds_read_b128 v[40:43], v114 offset:864
	ds_read_b128 v[36:39], v114 offset:1008
	;; [unrolled: 1-line block ×3, first 2 shown]
	v_pk_mul_f32 v[8:9], v[32:33], v[8:9]
	flat_store_dwordx2 v[48:49], v[102:103] offset:8
	s_waitcnt lgkmcnt(0)
	v_fma_f32 v15, -v103, v65, v70
	v_mov_b32_e32 v103, v25
	v_mov_b32_e32 v25, v107
	v_pk_mul_f32 v[10:11], v[32:33], v[10:11]
	v_sub_f32_e32 v8, v134, v8
	v_pk_mul_f32 v[66:67], v[124:125], v[66:67]
	v_pk_mul_f32 v[24:25], v[32:33], v[24:25]
	v_sub_f32_e32 v65, v8, v9
	v_sub_f32_e32 v8, v135, v10
	v_mov_b32_e32 v102, v64
	v_mov_b32_e32 v70, v106
	v_sub_f32_e32 v3, v3, v66
	v_sub_f32_e32 v11, v8, v11
	;; [unrolled: 1-line block ×4, first 2 shown]
	v_pk_mul_f32 v[66:67], v[124:125], v[102:103]
	v_sub_f32_e32 v85, v8, v25
	v_pk_mul_f32 v[24:25], v[132:133], v[70:71]
	v_mov_b32_e32 v107, v17
	v_sub_f32_e32 v31, v111, v66
	v_mov_b32_e32 v106, v100
	v_sub_f32_e32 v3, v3, v24
	;; [unrolled: 2-line block ×3, first 2 shown]
	v_mov_b32_e32 v100, v26
	v_fma_f32 v26, -v125, v27, v34
	v_sub_f32_e32 v95, v3, v25
	v_pk_mul_f32 v[24:25], v[132:133], v[106:107]
	v_mov_b32_e32 v34, v133
	v_mov_b32_e32 v4, v94
	v_fma_f32 v94, -v33, v99, v136
	v_mov_b32_e32 v99, v19
	v_sub_f32_e32 v3, v31, v24
	v_pk_mul_f32 v[6:7], v[34:35], v[6:7]
	v_sub_f32_e32 v31, v3, v25
	v_pk_mul_f32 v[24:25], v[132:133], v[98:99]
	;; [unrolled: 2-line block ×3, first 2 shown]
	v_sub_f32_e32 v3, v26, v24
	v_mov_b32_e32 v57, v55
	v_sub_f32_e32 v7, v6, v7
	v_add_u32_e64 v6, s2, 0
	s_movk_i32 s2, 0x400
	v_sub_f32_e32 v8, v15, v8
	v_mov_b32_e32 v19, v105
	v_sub_f32_e32 v98, v3, v25
	v_pk_mul_f32 v[24:25], v[124:125], v[60:61]
	ds_read_b32 v3, v114 offset:476
	ds_read2_b32 v[26:27], v114 offset0:139 offset1:159
	ds_read_b32 v99, v114 offset:716
	ds_read2_b32 v[60:61], v114 offset0:199 offset1:200
	ds_read2_b32 v[66:67], v114 offset0:239 offset1:240
	v_pk_mul_f32 v[56:57], v[34:35], v[56:57]
	ds_read2_b32 v[100:101], v6 offset0:91 offset1:131
	v_add_u32_e64 v6, s2, 0
	v_sub_f32_e32 v15, v8, v9
	v_pk_mul_f32 v[18:19], v[34:35], v[18:19]
	v_pk_mul_f32 v[16:17], v[34:35], v[16:17]
	ds_read2_b32 v[102:103], v6 offset0:43 offset1:83
	v_sub_f32_e32 v6, v11, v56
	s_waitcnt lgkmcnt(0)
	v_fma_f32 v3, -v33, v3, v137
	v_pk_mul_f32 v[70:71], v[34:35], v[80:81]
	v_sub_f32_e32 v80, v6, v57
	v_sub_f32_e32 v6, v85, v16
	v_mov_b32_e32 v55, v1
	v_sub_f32_e32 v1, v15, v18
	v_fma_f32 v3, -v133, v26, v3
	v_sub_f32_e32 v81, v6, v17
	v_sub_f32_e32 v15, v1, v19
	v_mov_b32_e32 v1, 0x45c
	v_sub_f32_e32 v6, v94, v70
	v_mov_b32_e32 v26, 0x59c
	v_mov_b32_e32 v11, 0x4fc
	v_sub_f32_e32 v70, v6, v71
	v_fma_f32 v71, -v35, v27, v3
	ds_read2_b32 v[16:17], v1 offset1:1
	ds_read2_b32 v[18:19], v11 offset1:1
	;; [unrolled: 1-line block ×3, first 2 shown]
	s_waitcnt lgkmcnt(0)
	ds_read_b32 v27, v114 offset:1516
	flat_store_dwordx4 v[48:49], v[32:35] offset:16
	v_pk_mul_f32 v[58:59], v[132:133], v[58:59]
	v_mov_b32_e32 v111, v119
	v_mul_f32_e32 v33, v7, v0
	v_sub_f32_e32 v0, v52, v53
	v_sub_f32_e32 v0, v0, v62
	v_mov_b32_e32 v53, v13
	v_sub_f32_e32 v13, v0, v63
	v_sub_f32_e32 v13, v13, v24
	;; [unrolled: 1-line block ×3, first 2 shown]
	v_mov_b32_e32 v32, v35
	v_sub_f32_e32 v13, v13, v58
	v_pk_mul_f32 v[54:55], v[32:33], v[54:55]
	v_sub_f32_e32 v13, v13, v59
	v_pk_mul_f32 v[0:1], v[32:33], v[110:111]
	v_sub_f32_e32 v13, v13, v54
	v_mov_b32_e32 v9, v117
	v_mov_b32_e32 v8, v104
	v_sub_f32_e32 v0, v98, v0
	v_sub_f32_e32 v13, v13, v55
	v_mov_b32_e32 v7, v37
	v_mov_b32_e32 v3, v51
	v_pk_mul_f32 v[8:9], v[32:33], v[8:9]
	v_pk_mul_f32 v[4:5], v[32:33], v[4:5]
	v_sub_f32_e32 v37, v0, v1
	v_mul_f32_e32 v1, v13, v50
	v_mov_b32_e32 v0, v33
	v_mov_b32_e32 v117, v127
	;; [unrolled: 1-line block ×3, first 2 shown]
	v_fma_f32 v85, -v35, v69, v139
	v_mov_b32_e32 v69, v121
	v_mov_b32_e32 v121, v97
	v_sub_f32_e32 v8, v31, v8
	v_sub_f32_e32 v4, v95, v4
	v_mov_b32_e32 v123, v73
	v_pk_mul_f32 v[2:3], v[0:1], v[2:3]
	v_pk_mul_f32 v[62:63], v[32:33], v[68:69]
	v_sub_f32_e32 v31, v4, v5
	v_sub_f32_e32 v32, v8, v9
	v_pk_mul_f32 v[4:5], v[0:1], v[120:121]
	v_pk_mul_f32 v[8:9], v[0:1], v[122:123]
	;; [unrolled: 1-line block ×4, first 2 shown]
	v_sub_f32_e32 v0, v80, v2
	v_sub_f32_e32 v0, v0, v3
	v_mov_b32_e32 v112, v126
	v_mul_f32_e32 v55, v0, v115
	v_mov_b32_e32 v54, v1
	v_pk_mul_f32 v[2:3], v[54:55], v[112:113]
	v_mov_b32_e32 v6, v76
	v_mov_b32_e32 v76, v46
	;; [unrolled: 1-line block ×3, first 2 shown]
	v_sub_f32_e32 v15, v15, v24
	v_sub_f32_e32 v24, v81, v50
	v_sub_f32_e32 v0, v31, v2
	v_mov_b32_e32 v65, v21
	v_mov_b32_e32 v56, v38
	;; [unrolled: 1-line block ×5, first 2 shown]
	v_sub_f32_e32 v21, v138, v62
	v_sub_f32_e32 v4, v70, v4
	;; [unrolled: 1-line block ×4, first 2 shown]
	v_pk_mul_f32 v[24:25], v[54:55], v[46:47]
	v_sub_f32_e32 v0, v0, v3
	v_mov_b32_e32 v10, v44
	v_mov_b32_e32 v11, v109
	v_sub_f32_e32 v13, v21, v63
	v_sub_f32_e32 v8, v85, v8
	;; [unrolled: 1-line block ×4, first 2 shown]
	v_pk_mul_f32 v[4:5], v[54:55], v[40:41]
	v_mul_f32_e32 v3, v0, v108
	v_mov_b32_e32 v2, v55
	v_mov_b32_e32 v61, v100
	v_sub_f32_e32 v4, v13, v4
	v_sub_f32_e32 v13, v8, v9
	v_pk_mul_f32 v[8:9], v[2:3], v[10:11]
	v_pk_mul_f32 v[10:11], v[2:3], v[76:77]
	v_mov_b32_e32 v43, v131
	v_fma_f32 v21, -v33, v99, v71
	v_sub_f32_e32 v10, v15, v10
	v_sub_f32_e32 v15, v24, v25
	v_pk_mul_f32 v[24:25], v[2:3], v[74:75]
	v_pk_mul_f32 v[40:41], v[54:55], v[60:61]
	v_sub_f32_e32 v24, v37, v24
	v_sub_f32_e32 v37, v4, v5
	v_pk_mul_f32 v[4:5], v[2:3], v[42:43]
	v_sub_f32_e32 v0, v21, v40
	v_mov_b32_e32 v44, v128
	v_sub_f32_e32 v8, v31, v8
	v_sub_f32_e32 v4, v13, v4
	;; [unrolled: 1-line block ×3, first 2 shown]
	v_mov_b32_e32 v0, v33
	v_pk_mul_f32 v[44:45], v[54:55], v[44:45]
	flat_store_dwordx4 v[48:49], v[0:3] offset:32
	v_sub_f32_e32 v32, v32, v44
	v_sub_f32_e32 v21, v4, v5
	;; [unrolled: 1-line block ×3, first 2 shown]
	v_mul_f32_e32 v5, v0, v36
	v_mov_b32_e32 v4, v3
	v_sub_f32_e32 v32, v32, v45
	v_pk_mul_f32 v[0:1], v[4:5], v[6:7]
	v_mov_b32_e32 v64, v86
	v_sub_f32_e32 v0, v32, v0
	v_mov_b32_e32 v86, v28
	v_mov_b32_e32 v28, v130
	v_sub_f32_e32 v0, v0, v1
	v_mov_b32_e32 v57, v91
	v_pk_mul_f32 v[6:7], v[4:5], v[28:29]
	v_mul_f32_e32 v1, v0, v90
	v_mov_b32_e32 v0, v5
	v_sub_f32_e32 v10, v10, v11
	v_mov_b32_e32 v31, v93
	v_pk_mul_f32 v[2:3], v[4:5], v[38:39]
	v_sub_f32_e32 v6, v37, v6
	v_pk_mul_f32 v[8:9], v[0:1], v[56:57]
	v_sub_f32_e32 v11, v24, v25
	v_sub_f32_e32 v2, v15, v2
	;; [unrolled: 1-line block ×4, first 2 shown]
	v_pk_mul_f32 v[6:7], v[0:1], v[30:31]
	v_mov_b32_e32 v67, v101
	v_sub_f32_e32 v15, v2, v3
	v_pk_mul_f32 v[2:3], v[0:1], v[86:87]
	v_sub_f32_e32 v0, v21, v6
	v_sub_f32_e32 v6, v8, v9
	;; [unrolled: 1-line block ×3, first 2 shown]
	v_pk_mul_f32 v[10:11], v[4:5], v[66:67]
	v_sub_f32_e32 v0, v0, v7
	v_mul_f32_e32 v7, v6, v20
	v_mov_b32_e32 v6, v1
	v_sub_f32_e32 v4, v13, v10
	v_sub_f32_e32 v13, v2, v3
	v_pk_mul_f32 v[2:3], v[6:7], v[64:65]
	v_mov_b32_e32 v34, v22
	v_sub_f32_e32 v2, v15, v2
	v_mov_b32_e32 v22, v92
	v_sub_f32_e32 v2, v2, v3
	v_mov_b32_e32 v35, v83
	v_pk_mul_f32 v[8:9], v[6:7], v[22:23]
	v_mul_f32_e32 v3, v2, v82
	v_mov_b32_e32 v2, v7
	v_mov_b32_e32 v17, v102
	v_sub_f32_e32 v4, v4, v11
	v_mov_b32_e32 v85, v89
	v_sub_f32_e32 v8, v24, v8
	v_pk_mul_f32 v[10:11], v[2:3], v[34:35]
	v_pk_mul_f32 v[16:17], v[6:7], v[16:17]
	v_sub_f32_e32 v10, v13, v10
	v_sub_f32_e32 v13, v8, v9
	v_pk_mul_f32 v[8:9], v[2:3], v[84:85]
	v_mov_b32_e32 v52, v88
	v_sub_f32_e32 v8, v0, v8
	v_sub_f32_e32 v0, v4, v16
	;; [unrolled: 1-line block ×3, first 2 shown]
	v_mov_b32_e32 v0, v5
	flat_store_dwordx4 v[48:49], v[0:3] offset:48
	v_mov_b32_e32 v19, v103
	v_mov_b32_e32 v15, v79
	v_sub_f32_e32 v0, v10, v11
	v_mul_f32_e32 v1, v0, v12
	v_mov_b32_e32 v0, v3
	v_pk_mul_f32 v[2:3], v[0:1], v[52:53]
	v_sub_f32_e32 v7, v8, v9
	v_sub_f32_e32 v2, v13, v2
	;; [unrolled: 1-line block ×3, first 2 shown]
	v_mul_f32_e32 v3, v2, v78
	v_mov_b32_e32 v2, v1
	v_pk_mul_f32 v[4:5], v[2:3], v[14:15]
	v_pk_mul_f32 v[0:1], v[0:1], v[18:19]
	v_sub_f32_e32 v4, v7, v4
	v_sub_f32_e32 v0, v6, v0
	flat_store_dwordx2 v[48:49], v[2:3] offset:64
	v_sub_f32_e32 v6, v0, v1
	v_sub_f32_e32 v0, v4, v5
	ds_read_b32 v4, v114 offset:1596
	v_mul_f32_e32 v1, v0, v140
	v_mov_b32_e32 v0, v3
	s_waitcnt lgkmcnt(0)
	v_pk_mul_f32 v[2:3], v[0:1], v[26:27]
	s_mov_b32 s2, 20
	v_sub_f32_e32 v0, v6, v2
	v_sub_f32_e32 v0, v0, v3
	v_mul_f32_e32 v3, v0, v4
	v_mov_b32_e32 v2, v1
	flat_store_dwordx2 v[48:49], v[2:3] offset:72
.LBB24_42:
	s_cmp_lt_i32 s2, s17
	s_cbranch_scc0 .LBB24_53
; %bb.43:
	s_add_i32 s3, s2, 15
	s_cmp_ge_u32 s3, s17
	s_cbranch_scc1 .LBB24_48
; %bb.44:
	s_lshl_b32 s4, s2, 2
	s_mov_b32 s5, 0
	v_lshl_add_u64 v[12:13], v[48:49], 0, s[4:5]
	flat_load_dwordx4 v[0:3], v[12:13]
	flat_load_dwordx4 v[8:11], v[12:13] offset:16
	flat_load_dwordx4 v[20:23], v[12:13] offset:32
	flat_load_dwordx4 v[24:27], v[12:13] offset:48
	s_andn2_b64 vcc, exec, s[0:1]
	s_waitcnt vmcnt(0) lgkmcnt(0)
	v_pk_mul_f32 v[4:5], s[16:17], v[0:1] op_sel_hi:[0,1]
	v_pk_mul_f32 v[6:7], s[16:17], v[2:3] op_sel_hi:[0,1]
	;; [unrolled: 1-line block ×8, first 2 shown]
	s_cbranch_vccnz .LBB24_47
; %bb.45:
	v_mov_b64_e32 v[0:1], v[48:49]
	s_mov_b32 s0, s2
.LBB24_46:                              ; =>This Inner Loop Header: Depth=1
	flat_load_dword v2, v[0:1]
	v_mov_b32_e32 v3, s4
	ds_read_b128 v[24:27], v3
	ds_read_b128 v[28:31], v3 offset:16
	ds_read_b128 v[32:35], v3 offset:32
	;; [unrolled: 1-line block ×3, first 2 shown]
	s_add_i32 s0, s0, -1
	s_addk_i32 s4, 0x50
	v_lshl_add_u64 v[0:1], v[0:1], 0, 4
	s_cmp_lg_u32 s0, 0
	s_waitcnt vmcnt(0) lgkmcnt(0)
	v_pk_fma_f32 v[4:5], v[2:3], v[24:25], v[4:5] op_sel_hi:[0,1,1] neg_lo:[1,0,0] neg_hi:[1,0,0]
	v_pk_fma_f32 v[6:7], v[2:3], v[26:27], v[6:7] op_sel_hi:[0,1,1] neg_lo:[1,0,0] neg_hi:[1,0,0]
	;; [unrolled: 1-line block ×8, first 2 shown]
	s_cbranch_scc1 .LBB24_46
.LBB24_47:
	s_lshl_b32 s0, s2, 2
	s_mul_i32 s1, s2, 0x50
	s_add_i32 s0, s0, s1
	v_mov_b32_e32 v77, s0
	ds_read_b128 v[24:27], v77
	ds_read_b128 v[42:45], v77 offset:16
	ds_read_b128 v[50:53], v77 offset:32
	;; [unrolled: 1-line block ×3, first 2 shown]
	ds_read2_b32 v[28:29], v77 offset0:21 offset1:22
	ds_read2_b32 v[34:35], v77 offset0:23 offset1:24
	;; [unrolled: 1-line block ×5, first 2 shown]
	ds_read_b128 v[0:3], v77 offset:688
	s_waitcnt lgkmcnt(9)
	v_mul_f32_e32 v4, v4, v24
	ds_read2_b32 v[46:47], v77 offset0:153 offset1:154
	v_mov_b32_e32 v36, v26
	v_fma_f32 v5, -v4, v25, v5
	v_fma_f32 v25, -v4, v27, v7
	s_waitcnt lgkmcnt(7)
	v_fma_f32 v72, -v4, v54, v10
	v_fma_f32 v61, -v4, v55, v11
	;; [unrolled: 1-line block ×4, first 2 shown]
	ds_read2_b32 v[54:55], v77 offset0:29 offset1:30
	ds_read2_b32 v[56:57], v77 offset0:31 offset1:32
	;; [unrolled: 1-line block ×3, first 2 shown]
	ds_read_b32 v68, v77 offset:140
	ds_read_b64 v[26:27], v77 offset:536
	ds_read_b128 v[8:11], v77 offset:672
	s_waitcnt lgkmcnt(12)
	v_mul_f32_e32 v5, v5, v28
	s_waitcnt lgkmcnt(5)
	v_mov_b32_e32 v28, v54
	v_mov_b32_e32 v54, v52
	;; [unrolled: 1-line block ×7, first 2 shown]
	s_waitcnt lgkmcnt(1)
	v_mov_b32_e32 v65, v27
	v_mov_b32_e32 v27, v47
	v_pk_mul_f32 v[46:47], v[4:5], v[54:55]
	v_mov_b32_e32 v30, v38
	v_mov_b32_e32 v38, v44
	v_fma_f32 v107, -v4, v53, v23
	v_sub_f32_e32 v31, v22, v46
	v_pk_mul_f32 v[22:23], v[4:5], v[40:41]
	v_mov_b32_e32 v32, v34
	v_mov_b32_e32 v34, v42
	v_fma_f32 v106, -v4, v51, v21
	v_sub_f32_e32 v22, v20, v22
	v_pk_mul_f32 v[20:21], v[4:5], v[38:39]
	v_mov_b32_e32 v37, v29
	v_fma_f32 v64, -v4, v45, v19
	v_sub_f32_e32 v7, v18, v20
	v_pk_mul_f32 v[18:19], v[4:5], v[34:35]
	v_fma_f32 v29, -v4, v43, v17
	v_sub_f32_e32 v18, v16, v18
	v_pk_mul_f32 v[16:17], v[4:5], v[36:37]
	ds_read2_b32 v[44:45], v77 offset0:149 offset1:150
	ds_read2_b32 v[42:43], v77 offset0:151 offset1:152
	;; [unrolled: 1-line block ×3, first 2 shown]
	v_sub_f32_e32 v6, v6, v16
	v_sub_f32_e32 v36, v6, v17
	v_sub_f32_e32 v37, v18, v19
	ds_read2_b64 v[16:19], v77 offset0:21 offset1:22
	v_sub_f32_e32 v38, v7, v21
	v_sub_f32_e32 v108, v22, v23
	ds_read2_b64 v[20:23], v77 offset0:23 offset1:24
	ds_read2_b32 v[6:7], v77 offset0:63 offset1:64
	ds_read_b64 v[34:35], v77 offset:216
	v_sub_f32_e32 v109, v31, v47
	s_waitcnt lgkmcnt(3)
	v_mov_b32_e32 v33, v17
	v_mul_f32_e32 v47, v36, v16
	v_mov_b32_e32 v46, v5
	v_mov_b32_e32 v31, v19
	v_pk_mul_f32 v[32:33], v[46:47], v[32:33]
	v_pk_mul_f32 v[30:31], v[46:47], v[30:31]
	v_sub_f32_e32 v19, v25, v32
	v_fma_f32 v39, -v5, v58, v61
	v_fma_f32 v40, -v5, v59, v66
	s_waitcnt lgkmcnt(2)
	v_mov_b32_e32 v61, v21
	v_fma_f32 v21, -v5, v68, v67
	v_sub_f32_e32 v25, v19, v33
	v_sub_f32_e32 v19, v29, v30
	ds_read2_b32 v[66:67], v77 offset0:65 offset1:66
	ds_read2_b32 v[68:69], v77 offset0:67 offset1:68
	;; [unrolled: 1-line block ×3, first 2 shown]
	v_sub_f32_e32 v110, v19, v31
	ds_read2_b64 v[30:33], v77 offset0:25 offset1:26
	v_pk_mul_f32 v[16:17], v[46:47], v[60:61]
	s_waitcnt lgkmcnt(5)
	v_mov_b32_e32 v19, v7
	v_mul_f32_e32 v7, v25, v6
	v_mov_b32_e32 v6, v47
	v_sub_f32_e32 v16, v64, v16
	s_waitcnt lgkmcnt(4)
	v_fma_f32 v25, -v47, v34, v40
	v_fma_f32 v34, -v47, v35, v21
	s_waitcnt lgkmcnt(3)
	v_mov_b32_e32 v21, v67
	v_pk_mul_f32 v[18:19], v[6:7], v[18:19]
	v_sub_f32_e32 v111, v16, v17
	ds_read2_b32 v[16:17], v77 offset0:71 offset1:72
	v_pk_mul_f32 v[20:21], v[6:7], v[20:21]
	v_sub_f32_e32 v18, v37, v18
	s_or_b32 s0, s2, 9
	v_sub_f32_e32 v67, v18, v19
	v_sub_f32_e32 v20, v38, v20
	ds_read2_b32 v[18:19], v77 offset0:75 offset1:115
	s_mulk_i32 s0, 0x54
	s_waitcnt lgkmcnt(2)
	v_mov_b32_e32 v73, v31
	v_mov_b32_e32 v31, v71
	v_sub_f32_e32 v71, v20, v21
	v_mov_b32_e32 v20, s0
	s_or_b32 s0, s2, 10
	s_mulk_i32 s0, 0x54
	v_mov_b32_e32 v21, s0
	s_or_b32 s0, s2, 11
	s_mul_i32 s1, s2, 0x54
	s_waitcnt lgkmcnt(1)
	v_mov_b32_e32 v76, v16
	v_mov_b32_e32 v16, v32
	s_mulk_i32 s0, 0x54
	s_add_i32 s4, s1, 0x444
	v_pk_mul_f32 v[78:79], v[6:7], v[30:31]
	v_mov_b32_e32 v29, v23
	v_mov_b32_e32 v23, v69
	s_waitcnt lgkmcnt(0)
	v_fma_f32 v114, -v7, v18, v34
	v_add_u32_e32 v18, 0x200, v77
	v_pk_mul_f32 v[82:83], v[6:7], v[16:17]
	v_mov_b32_e32 v16, s0
	v_mov_b32_e32 v30, s1
	;; [unrolled: 1-line block ×3, first 2 shown]
	v_fma_f32 v112, -v5, v57, v72
	v_mov_b32_e32 v72, v56
	ds_read2_b32 v[74:75], v77 offset0:73 offset1:74
	v_fma_f32 v113, -v47, v33, v39
	v_pk_mul_f32 v[80:81], v[6:7], v[22:23]
	v_mov_b32_e32 v64, v19
	ds_read2_b32 v[116:117], v18 offset0:107 offset1:147
	ds_read2_b32 v[118:119], v77 offset0:155 offset1:195
	ds_read2_b32 v[18:19], v17 offset1:1
	ds_read2_b32 v[84:85], v77 offset0:107 offset1:108
	ds_read2_b32 v[86:87], v77 offset0:109 offset1:110
	;; [unrolled: 1-line block ×4, first 2 shown]
	ds_read2_b32 v[92:93], v20 offset1:1
	ds_read2_b32 v[94:95], v77 offset0:193 offset1:194
	ds_read2_b32 v[96:97], v77 offset0:233 offset1:234
	ds_read_b64 v[98:99], v77 offset:856
	ds_read2_b32 v[100:101], v16 offset1:1
	ds_read2_b64 v[20:23], v21 offset1:1
	ds_read_b64 v[16:17], v30 offset:1176
	ds_read_b128 v[30:33], v30 offset:1008
	ds_read_b128 v[34:37], v77 offset:336
	;; [unrolled: 1-line block ×3, first 2 shown]
	ds_read2_b64 v[50:53], v77 offset0:63 offset1:64
	ds_read2_b64 v[54:57], v77 offset0:65 offset1:66
	ds_read2_b32 v[102:103], v77 offset0:105 offset1:106
	ds_read_b128 v[58:61], v77 offset:368
	v_mov_b32_e32 v104, v7
	s_waitcnt lgkmcnt(5)
	v_mul_f32_e32 v105, v67, v34
	v_mov_b32_e32 v67, v35
	flat_store_dwordx4 v[12:13], v[4:7]
	v_mov_b32_e32 v69, v37
	s_waitcnt lgkmcnt(0)
	v_mov_b32_e32 v37, v103
	v_pk_mul_f32 v[4:5], v[104:105], v[66:67]
	v_fma_f32 v25, -v7, v75, v25
	v_sub_f32_e32 v4, v110, v4
	v_sub_f32_e32 v6, v4, v5
	v_pk_mul_f32 v[4:5], v[104:105], v[68:69]
	v_pk_mul_f32 v[28:29], v[46:47], v[28:29]
	v_sub_f32_e32 v4, v111, v4
	v_sub_f32_e32 v66, v4, v5
	v_mul_f32_e32 v5, v6, v102
	v_mov_b32_e32 v4, v105
	v_pk_mul_f32 v[6:7], v[4:5], v[36:37]
	v_mov_b32_e32 v34, v5
	v_sub_f32_e32 v6, v71, v6
	v_sub_f32_e32 v6, v6, v7
	v_mov_b32_e32 v71, v39
	v_mov_b32_e32 v39, v85
	;; [unrolled: 1-line block ×3, first 2 shown]
	v_mul_f32_e32 v35, v6, v50
	v_pk_mul_f32 v[6:7], v[34:35], v[84:85]
	v_pk_mul_f32 v[36:37], v[46:47], v[72:73]
	v_sub_f32_e32 v6, v66, v6
	v_sub_f32_e32 v6, v6, v7
	v_mul_f32_e32 v7, v6, v62
	v_sub_f32_e32 v6, v106, v28
	v_sub_f32_e32 v28, v107, v36
	;; [unrolled: 1-line block ×4, first 2 shown]
	v_pk_mul_f32 v[36:37], v[104:105], v[70:71]
	v_mov_b32_e32 v77, v41
	v_sub_f32_e32 v28, v108, v80
	v_mov_b32_e32 v75, v59
	v_sub_f32_e32 v6, v6, v36
	;; [unrolled: 2-line block ×3, first 2 shown]
	v_sub_f32_e32 v28, v109, v78
	v_sub_f32_e32 v6, v6, v37
	v_pk_mul_f32 v[36:37], v[104:105], v[76:77]
	v_pk_mul_f32 v[50:51], v[104:105], v[74:75]
	v_sub_f32_e32 v67, v28, v79
	v_sub_f32_e32 v28, v112, v82
	v_mov_b32_e32 v59, v89
	v_sub_f32_e32 v29, v29, v36
	v_mov_b32_e32 v36, v10
	v_mov_b32_e32 v10, v42
	;; [unrolled: 1-line block ×5, first 2 shown]
	v_sub_f32_e32 v50, v113, v50
	v_pk_mul_f32 v[40:41], v[4:5], v[40:41]
	v_pk_mul_f32 v[38:39], v[4:5], v[38:39]
	v_mov_b32_e32 v62, v52
	v_mov_b32_e32 v52, v86
	v_sub_f32_e32 v68, v28, v83
	v_pk_mul_f32 v[46:47], v[4:5], v[58:59]
	v_sub_f32_e32 v58, v50, v51
	v_sub_f32_e32 v38, v66, v38
	;; [unrolled: 1-line block ×3, first 2 shown]
	v_pk_mul_f32 v[50:51], v[4:5], v[90:91]
	v_mov_b32_e32 v28, v44
	v_mov_b32_e32 v44, v54
	;; [unrolled: 1-line block ×3, first 2 shown]
	v_sub_f32_e32 v59, v38, v39
	v_pk_mul_f32 v[38:39], v[34:35], v[52:53]
	v_sub_f32_e32 v52, v40, v41
	v_sub_f32_e32 v40, v68, v46
	;; [unrolled: 1-line block ×5, first 2 shown]
	v_pk_mul_f32 v[40:41], v[34:35], v[54:55]
	v_sub_f32_e32 v25, v4, v51
	v_sub_f32_e32 v4, v6, v38
	v_pk_mul_f32 v[46:47], v[34:35], v[56:57]
	v_sub_f32_e32 v50, v4, v39
	v_sub_f32_e32 v4, v29, v40
	v_fma_f32 v37, -v105, v61, v114
	v_sub_f32_e32 v51, v4, v41
	v_sub_f32_e32 v4, v58, v46
	v_pk_mul_f32 v[38:39], v[34:35], v[64:65]
	v_sub_f32_e32 v46, v4, v47
	v_sub_f32_e32 v4, v37, v38
	v_mov_b32_e32 v6, v35
	v_sub_f32_e32 v47, v4, v39
	v_pk_mul_f32 v[38:39], v[6:7], v[62:63]
	v_mov_b32_e32 v4, v105
	v_sub_f32_e32 v29, v59, v38
	v_pk_mul_f32 v[40:41], v[6:7], v[44:45]
	v_sub_f32_e32 v44, v29, v39
	v_mov_b32_e32 v29, v9
	flat_store_dwordx4 v[12:13], v[4:7] offset:16
	v_pk_mul_f32 v[42:43], v[6:7], v[42:43]
	v_pk_mul_f32 v[26:27], v[6:7], v[26:27]
	v_mov_b32_e32 v4, v7
	v_mul_f32_e32 v5, v44, v8
	v_mov_b32_e32 v35, v3
	v_sub_f32_e32 v3, v52, v40
	v_pk_mul_f32 v[6:7], v[4:5], v[28:29]
	v_sub_f32_e32 v45, v3, v41
	v_sub_f32_e32 v3, v53, v42
	;; [unrolled: 1-line block ×5, first 2 shown]
	v_pk_mul_f32 v[8:9], v[4:5], v[10:11]
	v_pk_mul_f32 v[10:11], v[4:5], v[0:1]
	v_sub_f32_e32 v0, v6, v7
	v_mov_b32_e32 v34, v118
	v_mov_b32_e32 v41, v33
	v_sub_f32_e32 v33, v3, v27
	v_mov_b32_e32 v3, v95
	v_mov_b32_e32 v37, v93
	v_sub_f32_e32 v8, v51, v8
	v_sub_f32_e32 v10, v46, v10
	v_mul_f32_e32 v1, v0, v92
	v_mov_b32_e32 v0, v5
	v_mov_b32_e32 v25, v21
	v_pk_mul_f32 v[6:7], v[0:1], v[36:37]
	v_sub_f32_e32 v21, v8, v9
	v_pk_mul_f32 v[8:9], v[0:1], v[14:15]
	v_sub_f32_e32 v14, v10, v11
	v_pk_mul_f32 v[2:3], v[0:1], v[2:3]
	v_pk_mul_f32 v[10:11], v[4:5], v[34:35]
	v_sub_f32_e32 v6, v45, v6
	v_sub_f32_e32 v0, v33, v2
	;; [unrolled: 1-line block ×5, first 2 shown]
	v_mul_f32_e32 v7, v2, v20
	v_mov_b32_e32 v6, v1
	v_sub_f32_e32 v0, v0, v3
	v_pk_mul_f32 v[2:3], v[6:7], v[24:25]
	v_mov_b32_e32 v26, v22
	v_sub_f32_e32 v2, v21, v2
	v_mov_b32_e32 v22, v94
	v_sub_f32_e32 v8, v52, v8
	v_sub_f32_e32 v2, v2, v3
	v_mov_b32_e32 v27, v101
	v_sub_f32_e32 v15, v8, v9
	v_pk_mul_f32 v[8:9], v[6:7], v[22:23]
	v_mul_f32_e32 v3, v2, v100
	v_mov_b32_e32 v2, v7
	v_mov_b32_e32 v38, v119
	;; [unrolled: 1-line block ×4, first 2 shown]
	v_sub_f32_e32 v8, v14, v8
	v_pk_mul_f32 v[10:11], v[2:3], v[26:27]
	v_sub_f32_e32 v20, v8, v9
	v_sub_f32_e32 v10, v15, v10
	v_pk_mul_f32 v[8:9], v[2:3], v[98:99]
	v_pk_mul_f32 v[14:15], v[6:7], v[38:39]
	v_sub_f32_e32 v8, v0, v8
	v_sub_f32_e32 v0, v4, v14
	;; [unrolled: 1-line block ×3, first 2 shown]
	v_mov_b32_e32 v0, v5
	flat_store_dwordx4 v[12:13], v[0:3] offset:32
	v_mov_b32_e32 v42, v96
	v_mov_b32_e32 v43, v31
	v_sub_f32_e32 v0, v10, v11
	v_mul_f32_e32 v1, v0, v30
	v_mov_b32_e32 v0, v3
	v_pk_mul_f32 v[2:3], v[0:1], v[42:43]
	v_mov_b32_e32 v33, v19
	v_sub_f32_e32 v2, v20, v2
	v_sub_f32_e32 v2, v2, v3
	v_mul_f32_e32 v3, v2, v18
	v_mov_b32_e32 v2, v1
	v_sub_f32_e32 v7, v8, v9
	v_pk_mul_f32 v[4:5], v[2:3], v[32:33]
	v_mov_b32_e32 v40, v116
	v_sub_f32_e32 v4, v7, v4
	s_mul_i32 s0, s3, 0x54
	v_pk_mul_f32 v[0:1], v[0:1], v[40:41]
	flat_store_dwordx2 v[12:13], v[2:3] offset:48
	v_sub_f32_e32 v2, v4, v5
	v_mov_b32_e32 v4, s0
	v_sub_f32_e32 v0, v6, v0
	ds_read_b32 v7, v4
	v_sub_f32_e32 v6, v0, v1
	v_mov_b32_e32 v0, v117
	v_mov_b32_e32 v1, v17
	v_mul_f32_e32 v5, v2, v16
	v_mov_b32_e32 v4, v3
	v_pk_mul_f32 v[0:1], v[4:5], v[0:1]
	s_add_i32 s2, s2, 16
	v_sub_f32_e32 v0, v6, v0
	v_sub_f32_e32 v0, v0, v1
	s_waitcnt lgkmcnt(0)
	v_mul_f32_e32 v1, v0, v7
	v_mov_b32_e32 v0, v5
	flat_store_dwordx2 v[12:13], v[0:1] offset:56
.LBB24_48:
	s_cmp_ge_i32 s2, s17
	s_cbranch_scc1 .LBB24_53
; %bb.49:
	s_lshl_b32 s0, s2, 2
	s_mov_b32 s3, 0
	s_branch .LBB24_51
.LBB24_50:                              ;   in Loop: Header=BB24_51 Depth=1
	s_mul_i32 s1, s2, 0x54
	v_mov_b32_e32 v2, s1
	ds_read_b32 v2, v2
	s_add_i32 s2, s2, 1
	s_add_i32 s0, s0, 4
	s_cmp_ge_i32 s2, s17
	s_waitcnt lgkmcnt(0)
	v_mul_f32_e32 v2, v4, v2
	flat_store_dword v[0:1], v2
	s_cbranch_scc1 .LBB24_53
.LBB24_51:                              ; =>This Loop Header: Depth=1
                                        ;     Child Loop BB24_52 Depth 2
	v_lshl_add_u64 v[0:1], s[2:3], 2, v[48:49]
	flat_load_dword v4, v[0:1]
	s_cmp_eq_u32 s2, 0
	v_mov_b64_e32 v[2:3], v[48:49]
	s_mov_b32 s1, s0
	s_mov_b32 s4, s2
	s_waitcnt vmcnt(0) lgkmcnt(0)
	v_mul_f32_e32 v4, s16, v4
	s_cbranch_scc1 .LBB24_50
.LBB24_52:                              ;   Parent Loop BB24_51 Depth=1
                                        ; =>  This Inner Loop Header: Depth=2
	flat_load_dword v5, v[2:3]
	v_mov_b32_e32 v6, s1
	ds_read_b32 v6, v6
	s_add_i32 s4, s4, -1
	s_addk_i32 s1, 0x50
	v_lshl_add_u64 v[2:3], v[2:3], 0, 4
	s_cmp_lg_u32 s4, 0
	s_waitcnt vmcnt(0) lgkmcnt(0)
	v_fma_f32 v4, -v5, v6, v4
	s_cbranch_scc1 .LBB24_52
	s_branch .LBB24_50
.LBB24_53:
	s_endpgm
	.section	.rodata,"a",@progbits
	.p2align	6, 0x0
	.amdhsa_kernel _ZL30rocblas_trsm_small_left_deviceILi20ELi20ELb1EffPKPKfPKPfEv13rocblas_fill_18rocblas_operation_17rocblas_diagonal_iiT3_T4_lilT5_lili
		.amdhsa_group_segment_fixed_size 1600
		.amdhsa_private_segment_fixed_size 0
		.amdhsa_kernarg_size 352
		.amdhsa_user_sgpr_count 2
		.amdhsa_user_sgpr_dispatch_ptr 0
		.amdhsa_user_sgpr_queue_ptr 0
		.amdhsa_user_sgpr_kernarg_segment_ptr 1
		.amdhsa_user_sgpr_dispatch_id 0
		.amdhsa_user_sgpr_kernarg_preload_length 0
		.amdhsa_user_sgpr_kernarg_preload_offset 0
		.amdhsa_user_sgpr_private_segment_size 0
		.amdhsa_uses_dynamic_stack 0
		.amdhsa_enable_private_segment 0
		.amdhsa_system_sgpr_workgroup_id_x 1
		.amdhsa_system_sgpr_workgroup_id_y 0
		.amdhsa_system_sgpr_workgroup_id_z 1
		.amdhsa_system_sgpr_workgroup_info 0
		.amdhsa_system_vgpr_workitem_id 0
		.amdhsa_next_free_vgpr 154
		.amdhsa_next_free_sgpr 47
		.amdhsa_accum_offset 156
		.amdhsa_reserve_vcc 1
		.amdhsa_float_round_mode_32 0
		.amdhsa_float_round_mode_16_64 0
		.amdhsa_float_denorm_mode_32 3
		.amdhsa_float_denorm_mode_16_64 3
		.amdhsa_dx10_clamp 1
		.amdhsa_ieee_mode 1
		.amdhsa_fp16_overflow 0
		.amdhsa_tg_split 0
		.amdhsa_exception_fp_ieee_invalid_op 0
		.amdhsa_exception_fp_denorm_src 0
		.amdhsa_exception_fp_ieee_div_zero 0
		.amdhsa_exception_fp_ieee_overflow 0
		.amdhsa_exception_fp_ieee_underflow 0
		.amdhsa_exception_fp_ieee_inexact 0
		.amdhsa_exception_int_div_zero 0
	.end_amdhsa_kernel
	.section	.text._ZL30rocblas_trsm_small_left_deviceILi20ELi20ELb1EffPKPKfPKPfEv13rocblas_fill_18rocblas_operation_17rocblas_diagonal_iiT3_T4_lilT5_lili,"axG",@progbits,_ZL30rocblas_trsm_small_left_deviceILi20ELi20ELb1EffPKPKfPKPfEv13rocblas_fill_18rocblas_operation_17rocblas_diagonal_iiT3_T4_lilT5_lili,comdat
.Lfunc_end24:
	.size	_ZL30rocblas_trsm_small_left_deviceILi20ELi20ELb1EffPKPKfPKPfEv13rocblas_fill_18rocblas_operation_17rocblas_diagonal_iiT3_T4_lilT5_lili, .Lfunc_end24-_ZL30rocblas_trsm_small_left_deviceILi20ELi20ELb1EffPKPKfPKPfEv13rocblas_fill_18rocblas_operation_17rocblas_diagonal_iiT3_T4_lilT5_lili
                                        ; -- End function
	.set _ZL30rocblas_trsm_small_left_deviceILi20ELi20ELb1EffPKPKfPKPfEv13rocblas_fill_18rocblas_operation_17rocblas_diagonal_iiT3_T4_lilT5_lili.num_vgpr, 154
	.set _ZL30rocblas_trsm_small_left_deviceILi20ELi20ELb1EffPKPKfPKPfEv13rocblas_fill_18rocblas_operation_17rocblas_diagonal_iiT3_T4_lilT5_lili.num_agpr, 0
	.set _ZL30rocblas_trsm_small_left_deviceILi20ELi20ELb1EffPKPKfPKPfEv13rocblas_fill_18rocblas_operation_17rocblas_diagonal_iiT3_T4_lilT5_lili.numbered_sgpr, 47
	.set _ZL30rocblas_trsm_small_left_deviceILi20ELi20ELb1EffPKPKfPKPfEv13rocblas_fill_18rocblas_operation_17rocblas_diagonal_iiT3_T4_lilT5_lili.num_named_barrier, 0
	.set _ZL30rocblas_trsm_small_left_deviceILi20ELi20ELb1EffPKPKfPKPfEv13rocblas_fill_18rocblas_operation_17rocblas_diagonal_iiT3_T4_lilT5_lili.private_seg_size, 0
	.set _ZL30rocblas_trsm_small_left_deviceILi20ELi20ELb1EffPKPKfPKPfEv13rocblas_fill_18rocblas_operation_17rocblas_diagonal_iiT3_T4_lilT5_lili.uses_vcc, 1
	.set _ZL30rocblas_trsm_small_left_deviceILi20ELi20ELb1EffPKPKfPKPfEv13rocblas_fill_18rocblas_operation_17rocblas_diagonal_iiT3_T4_lilT5_lili.uses_flat_scratch, 0
	.set _ZL30rocblas_trsm_small_left_deviceILi20ELi20ELb1EffPKPKfPKPfEv13rocblas_fill_18rocblas_operation_17rocblas_diagonal_iiT3_T4_lilT5_lili.has_dyn_sized_stack, 0
	.set _ZL30rocblas_trsm_small_left_deviceILi20ELi20ELb1EffPKPKfPKPfEv13rocblas_fill_18rocblas_operation_17rocblas_diagonal_iiT3_T4_lilT5_lili.has_recursion, 0
	.set _ZL30rocblas_trsm_small_left_deviceILi20ELi20ELb1EffPKPKfPKPfEv13rocblas_fill_18rocblas_operation_17rocblas_diagonal_iiT3_T4_lilT5_lili.has_indirect_call, 0
	.section	.AMDGPU.csdata,"",@progbits
; Kernel info:
; codeLenInByte = 13324
; TotalNumSgprs: 53
; NumVgprs: 154
; NumAgprs: 0
; TotalNumVgprs: 154
; ScratchSize: 0
; MemoryBound: 0
; FloatMode: 240
; IeeeMode: 1
; LDSByteSize: 1600 bytes/workgroup (compile time only)
; SGPRBlocks: 6
; VGPRBlocks: 19
; NumSGPRsForWavesPerEU: 53
; NumVGPRsForWavesPerEU: 154
; AccumOffset: 156
; Occupancy: 3
; WaveLimiterHint : 1
; COMPUTE_PGM_RSRC2:SCRATCH_EN: 0
; COMPUTE_PGM_RSRC2:USER_SGPR: 2
; COMPUTE_PGM_RSRC2:TRAP_HANDLER: 0
; COMPUTE_PGM_RSRC2:TGID_X_EN: 1
; COMPUTE_PGM_RSRC2:TGID_Y_EN: 0
; COMPUTE_PGM_RSRC2:TGID_Z_EN: 1
; COMPUTE_PGM_RSRC2:TIDIG_COMP_CNT: 0
; COMPUTE_PGM_RSRC3_GFX90A:ACCUM_OFFSET: 38
; COMPUTE_PGM_RSRC3_GFX90A:TG_SPLIT: 0
	.section	.text._ZL31rocblas_trsm_small_right_deviceIffPKPKfPKPfLi20EEv13rocblas_fill_18rocblas_operation_17rocblas_diagonal_iiT0_T1_lilT2_lili,"axG",@progbits,_ZL31rocblas_trsm_small_right_deviceIffPKPKfPKPfLi20EEv13rocblas_fill_18rocblas_operation_17rocblas_diagonal_iiT0_T1_lilT2_lili,comdat
	.globl	_ZL31rocblas_trsm_small_right_deviceIffPKPKfPKPfLi20EEv13rocblas_fill_18rocblas_operation_17rocblas_diagonal_iiT0_T1_lilT2_lili ; -- Begin function _ZL31rocblas_trsm_small_right_deviceIffPKPKfPKPfLi20EEv13rocblas_fill_18rocblas_operation_17rocblas_diagonal_iiT0_T1_lilT2_lili
	.p2align	8
	.type	_ZL31rocblas_trsm_small_right_deviceIffPKPKfPKPfLi20EEv13rocblas_fill_18rocblas_operation_17rocblas_diagonal_iiT0_T1_lilT2_lili,@function
_ZL31rocblas_trsm_small_right_deviceIffPKPKfPKPfLi20EEv13rocblas_fill_18rocblas_operation_17rocblas_diagonal_iiT0_T1_lilT2_lili: ; @_ZL31rocblas_trsm_small_right_deviceIffPKPKfPKPfLi20EEv13rocblas_fill_18rocblas_operation_17rocblas_diagonal_iiT0_T1_lilT2_lili
; %bb.0:
	s_load_dwordx4 s[8:11], s[0:1], 0x38
	s_load_dwordx4 s[4:7], s[0:1], 0x0
	s_load_dwordx2 s[16:17], s[0:1], 0x10
	s_mov_b32 s20, s3
	s_mov_b32 s21, 0
	s_lshl_b64 s[24:25], s[20:21], 3
	s_waitcnt lgkmcnt(0)
	s_add_u32 s8, s8, s24
	s_addc_u32 s9, s9, s25
	s_load_dwordx2 s[8:9], s[8:9], 0x0
	s_min_i32 s20, s16, 20
	v_cmp_gt_i32_e32 vcc, s20, v0
	s_and_saveexec_b64 s[18:19], vcc
	s_cbranch_execz .LBB25_10
; %bb.1:
	s_load_dwordx4 s[12:15], s[0:1], 0x18
	s_load_dword s22, s[0:1], 0x28
	v_lshlrev_b32_e32 v2, 2, v0
	v_mov_b32_e32 v3, 0
	s_mov_b32 s3, 1
	s_waitcnt lgkmcnt(0)
	s_add_u32 s12, s12, s24
	s_addc_u32 s13, s13, s25
	s_load_dwordx2 s[12:13], s[12:13], 0x0
	s_cmp_lt_u32 s20, 2
	s_cselect_b64 s[26:27], -1, 0
	s_cmp_lg_u32 s22, 1
	s_cselect_b64 s[28:29], -1, 0
	s_or_b64 s[26:27], s[26:27], s[28:29]
	s_mov_b64 s[24:25], -1
	s_and_b64 vcc, exec, s[26:27]
	s_cbranch_vccnz .LBB25_5
; %bb.2:
	s_lshl_b64 s[24:25], s[14:15], 2
	s_waitcnt lgkmcnt(0)
	s_add_u32 s24, s12, s24
	s_addc_u32 s25, s13, s25
	s_and_b32 s21, s20, -2
	v_lshl_add_u64 v[4:5], s[24:25], 0, v[2:3]
	s_mov_b32 s23, 0
	s_mov_b32 s24, s21
.LBB25_3:                               ; =>This Inner Loop Header: Depth=1
	flat_load_dwordx2 v[6:7], v[4:5]
	s_mul_i32 s25, s3, 0x50
	s_mul_i32 s26, s23, 0x50
	s_add_i32 s23, s23, 2
	s_add_i32 s3, s3, 2
	s_add_i32 s24, s24, -2
	v_lshl_add_u64 v[4:5], v[4:5], 0, 8
	v_add_u32_e32 v1, s26, v2
	s_cmp_lg_u32 s24, 0
	v_add_u32_e32 v3, s25, v2
	s_waitcnt vmcnt(0) lgkmcnt(0)
	ds_write_b32 v1, v6
	ds_write_b32 v3, v7
	s_cbranch_scc1 .LBB25_3
; %bb.4:
	s_cmp_lg_u32 s20, s21
	s_cselect_b64 s[24:25], -1, 0
.LBB25_5:
	s_and_b64 vcc, exec, s[24:25]
	s_cbranch_vccz .LBB25_8
; %bb.6:
	s_ashr_i32 s23, s22, 31
	s_mul_hi_u32 s3, s22, s21
	s_mul_i32 s24, s23, s21
	s_add_i32 s25, s3, s24
	s_mul_i32 s24, s22, s21
	s_lshl_b64 s[24:25], s[24:25], 2
	s_lshl_b64 s[14:15], s[14:15], 2
	s_add_u32 s3, s24, s14
	s_addc_u32 s14, s25, s15
	s_waitcnt lgkmcnt(0)
	s_add_u32 s12, s12, s3
	v_mov_b32_e32 v3, 0
	s_addc_u32 s13, s13, s14
	s_mul_i32 s14, s21, 0x50
	v_lshl_add_u64 v[4:5], s[12:13], 0, v[2:3]
	s_lshl_b64 s[12:13], s[22:23], 2
	s_sub_i32 s3, s20, s21
	v_lshl_add_u32 v1, v0, 2, s14
.LBB25_7:                               ; =>This Inner Loop Header: Depth=1
	flat_load_dword v3, v[4:5]
	s_add_i32 s3, s3, -1
	v_lshl_add_u64 v[4:5], v[4:5], 0, s[12:13]
	s_cmp_eq_u32 s3, 0
	s_waitcnt vmcnt(0) lgkmcnt(0)
	ds_write_b32 v1, v3
	v_add_u32_e32 v1, 0x50, v1
	s_cbranch_scc0 .LBB25_7
.LBB25_8:
	s_cmpk_eq_i32 s6, 0x84
	s_cbranch_scc0 .LBB25_10
; %bb.9:
	s_movk_i32 s3, 0x50
	v_mad_u32_u24 v1, v0, s3, v2
	v_mov_b32_e32 v2, 1.0
	ds_write_b32 v1, v2
.LBB25_10:
	s_or_b64 exec, exec, s[18:19]
	s_load_dword s3, s[0:1], 0x60
	s_load_dword s6, s[0:1], 0x48
	s_lshl_b64 s[10:11], s[10:11], 2
	s_waitcnt lgkmcnt(0)
	s_add_u32 s0, s8, s10
	s_mul_i32 s12, s2, 0xffffffec
	s_addc_u32 s1, s9, s11
	s_add_i32 s3, s3, -1
	s_add_i32 s7, s7, s12
	s_cmp_ge_u32 s2, s3
	s_mul_i32 s22, s2, 0x50
	s_cselect_b32 s7, s7, 20
	s_mul_hi_i32 s21, s2, 0x50
	s_add_u32 s2, s0, s22
	s_addc_u32 s3, s1, s21
	v_cmp_gt_i32_e64 s[0:1], s7, v0
	s_and_saveexec_b64 s[12:13], s[0:1]
	s_cbranch_execz .LBB25_19
; %bb.11:
	s_cmp_lt_i32 s16, 1
	s_cbranch_scc1 .LBB25_19
; %bb.12:
	s_cmp_eq_u32 s16, 1
	s_cselect_b64 s[14:15], -1, 0
	s_cmp_lg_u32 s6, 1
	s_cselect_b64 s[18:19], -1, 0
	s_or_b64 s[14:15], s[14:15], s[18:19]
	v_mov_b32_e32 v3, 0
	s_and_b64 vcc, exec, s[14:15]
	s_cbranch_vccnz .LBB25_16
; %bb.13:
	v_lshlrev_b32_e32 v2, 2, v0
	v_mov_b32_e32 v1, 0x640
	s_and_b32 s18, s16, 0x7ffffffe
	v_lshl_add_u64 v[2:3], s[2:3], 0, v[2:3]
	v_lshl_add_u32 v1, v0, 2, v1
	s_mov_b32 s14, s17
	s_mov_b32 s15, s17
	;; [unrolled: 1-line block ×5, first 2 shown]
.LBB25_14:                              ; =>This Inner Loop Header: Depth=1
	flat_load_dwordx2 v[4:5], v[2:3]
	s_mul_i32 s24, s7, 0x50
	s_mul_i32 s25, s19, 0x50
	s_add_i32 s19, s19, 2
	s_add_i32 s7, s7, 2
	s_add_i32 s23, s23, -2
	v_lshl_add_u64 v[2:3], v[2:3], 0, 8
	v_add_u32_e32 v6, s25, v1
	s_cmp_lg_u32 s23, 0
	v_add_u32_e32 v7, s24, v1
	s_waitcnt vmcnt(0) lgkmcnt(0)
	v_pk_mul_f32 v[4:5], s[14:15], v[4:5]
	ds_write_b32 v6, v4
	ds_write_b32 v7, v5
	s_cbranch_scc1 .LBB25_14
; %bb.15:
	s_cmp_lg_u32 s16, s18
	s_cselect_b64 s[14:15], -1, 0
	s_and_b64 vcc, exec, s[14:15]
	s_cbranch_vccnz .LBB25_17
	s_branch .LBB25_19
.LBB25_16:
	s_mov_b32 s18, 0
	s_cbranch_execz .LBB25_19
.LBB25_17:
	s_mul_hi_i32 s15, s6, s18
	s_mul_i32 s14, s6, s18
	s_ashr_i32 s7, s6, 31
	s_sub_i32 s19, s16, s18
	s_lshl_b64 s[14:15], s[14:15], 2
	s_add_u32 s14, s14, s22
	s_addc_u32 s15, s15, s21
	s_add_u32 s14, s14, s10
	s_addc_u32 s15, s15, s11
	s_add_u32 s14, s8, s14
	v_lshlrev_b32_e32 v2, 2, v0
	v_mov_b32_e32 v3, 0
	s_addc_u32 s15, s9, s15
	v_lshl_add_u64 v[2:3], s[14:15], 0, v[2:3]
	s_lshl_b64 s[14:15], s[6:7], 2
	s_mul_i32 s7, s18, 0x50
	v_lshl_add_u32 v1, v0, 2, s7
	v_add_u32_e32 v1, 0x640, v1
.LBB25_18:                              ; =>This Inner Loop Header: Depth=1
	flat_load_dword v4, v[2:3]
	s_add_i32 s19, s19, -1
	v_lshl_add_u64 v[2:3], v[2:3], 0, s[14:15]
	s_cmp_lg_u32 s19, 0
	s_waitcnt vmcnt(0) lgkmcnt(0)
	v_mul_f32_e32 v4, s17, v4
	ds_write_b32 v1, v4
	v_add_u32_e32 v1, 0x50, v1
	s_cbranch_scc1 .LBB25_18
.LBB25_19:
	s_or_b64 exec, exec, s[12:13]
	s_cmpk_eq_i32 s5, 0x6f
	s_cselect_b64 s[14:15], -1, 0
	s_cmpk_lg_i32 s4, 0x79
	s_cselect_b64 s[12:13], -1, 0
	s_cmpk_eq_i32 s4, 0x79
	s_cselect_b64 s[18:19], -1, 0
	s_and_b64 s[18:19], s[18:19], s[14:15]
	s_andn2_b64 vcc, exec, s[18:19]
	s_mov_b64 s[18:19], -1
	s_waitcnt lgkmcnt(0)
	; wave barrier
	s_cbranch_vccz .LBB25_76
; %bb.20:
	s_cmpk_lg_i32 s4, 0x7a
	s_cselect_b64 s[4:5], -1, 0
	s_xor_b64 s[14:15], s[14:15], -1
	s_add_i32 s7, s20, -1
	s_or_b64 s[14:15], s[4:5], s[14:15]
	v_mov_b32_e32 v1, 0x640
	s_cmp_gt_i32 s16, 3
	v_lshl_add_u32 v1, v0, 2, v1
	s_cselect_b64 s[4:5], -1, 0
	s_and_b64 vcc, exec, s[14:15]
	s_cbranch_vccz .LBB25_55
; %bb.21:
	s_andn2_b64 vcc, exec, s[12:13]
	s_mov_b64 s[12:13], -1
	s_cbranch_vccnz .LBB25_34
; %bb.22:
	s_andn2_b64 vcc, exec, s[4:5]
	s_mov_b32 s14, 0
	s_cbranch_vccnz .LBB25_28
; %bb.23:
	v_mov_b32_e32 v2, 0x640
	v_lshl_add_u32 v6, v0, 2, v2
	s_mov_b32 s12, 0
	s_mov_b32 s13, 0
.LBB25_24:                              ; =>This Loop Header: Depth=1
                                        ;     Child Loop BB25_25 Depth 2
	s_or_b32 s15, s13, 3
	s_mul_i32 s14, s13, 0x50
	v_add_u32_e32 v8, s14, v1
	s_mulk_i32 s15, 0x50
	ds_read2_b32 v[4:5], v8 offset1:20
	v_add_u32_e32 v7, s15, v1
	ds_read_b32 v2, v8 offset:160
	ds_read_b32 v3, v7
	s_cmp_eq_u32 s13, 0
	v_mov_b32_e32 v9, v6
	s_mov_b32 s15, s12
	s_mov_b32 s17, s13
	s_cbranch_scc1 .LBB25_26
.LBB25_25:                              ;   Parent Loop BB25_24 Depth=1
                                        ; =>  This Inner Loop Header: Depth=2
	v_mov_b32_e32 v10, s15
	ds_read_b32 v14, v9
	ds_read_b128 v[10:13], v10
	s_add_i32 s17, s17, -1
	s_addk_i32 s15, 0x50
	v_add_u32_e32 v9, 0x50, v9
	s_cmp_eq_u32 s17, 0
	s_waitcnt lgkmcnt(0)
	v_pk_fma_f32 v[4:5], v[14:15], v[10:11], v[4:5] op_sel_hi:[0,1,1] neg_lo:[1,0,0] neg_hi:[1,0,0]
	v_pk_fma_f32 v[2:3], v[14:15], v[12:13], v[2:3] op_sel_hi:[0,1,1] neg_lo:[1,0,0] neg_hi:[1,0,0]
	s_cbranch_scc0 .LBB25_25
.LBB25_26:                              ;   in Loop: Header=BB25_24 Depth=1
	s_lshl_b32 s17, s13, 2
	s_add_i32 s18, s17, s14
	v_mov_b32_e32 v9, s18
	ds_read_b128 v[10:13], v9
	ds_read2_b32 v[14:15], v9 offset0:21 offset1:22
	s_addk_i32 s18, 0x54
	s_add_i32 s12, s12, 16
	s_waitcnt lgkmcnt(1)
	v_div_scale_f32 v16, s[14:15], v10, v10, v4
	v_rcp_f32_e32 v17, v16
	v_div_scale_f32 v18, vcc, v4, v10, v4
	v_fma_f32 v19, -v16, v17, 1.0
	v_fmac_f32_e32 v17, v19, v17
	v_mul_f32_e32 v19, v18, v17
	v_fma_f32 v20, -v16, v19, v18
	v_fmac_f32_e32 v19, v20, v17
	v_fma_f32 v16, -v16, v19, v18
	v_div_fmas_f32 v16, v16, v17, v19
	v_div_fixup_f32 v10, v16, v10, v4
	v_fma_f32 v4, -v10, v11, v5
	s_waitcnt lgkmcnt(0)
	v_div_scale_f32 v5, s[14:15], v14, v14, v4
	v_rcp_f32_e32 v11, v5
	v_div_scale_f32 v16, vcc, v4, v14, v4
	v_fma_f32 v2, -v10, v12, v2
	v_fma_f32 v17, -v5, v11, 1.0
	v_fmac_f32_e32 v11, v17, v11
	v_mul_f32_e32 v17, v16, v11
	v_fma_f32 v18, -v5, v17, v16
	v_fmac_f32_e32 v17, v18, v11
	v_fma_f32 v5, -v5, v17, v16
	v_div_fmas_f32 v5, v5, v11, v17
	v_div_fixup_f32 v11, v5, v14, v4
	ds_read_b64 v[4:5], v9 offset:168
	s_or_b32 s14, s17, 4
	v_fma_f32 v2, -v11, v15, v2
	s_sub_i32 s18, s18, s14
	ds_read_b32 v9, v9 offset:252
	s_waitcnt lgkmcnt(1)
	v_div_scale_f32 v12, s[14:15], v4, v4, v2
	v_rcp_f32_e32 v14, v12
	s_add_i32 s14, s18, s17
	v_mov_b32_e32 v15, s14
	ds_read_b32 v15, v15 offset:12
	v_fma_f32 v16, -v12, v14, 1.0
	v_fmac_f32_e32 v14, v16, v14
	v_div_scale_f32 v16, vcc, v2, v4, v2
	v_mul_f32_e32 v17, v16, v14
	v_fma_f32 v18, -v12, v17, v16
	v_fmac_f32_e32 v17, v18, v14
	v_fma_f32 v12, -v12, v17, v16
	v_div_fmas_f32 v12, v12, v14, v17
	v_fma_f32 v3, -v10, v13, v3
	v_div_fixup_f32 v2, v12, v4, v2
	s_waitcnt lgkmcnt(0)
	v_fma_f32 v3, -v11, v15, v3
	v_fma_f32 v3, -v2, v5, v3
	v_div_scale_f32 v4, s[14:15], v9, v9, v3
	v_rcp_f32_e32 v5, v4
	ds_write2_b32 v8, v10, v11 offset1:20
	ds_write_b32 v8, v2 offset:160
	s_add_i32 s14, s13, 4
	s_add_i32 s13, s13, 7
	v_fma_f32 v2, -v4, v5, 1.0
	v_fmac_f32_e32 v5, v2, v5
	v_div_scale_f32 v2, vcc, v3, v9, v3
	v_mul_f32_e32 v8, v2, v5
	v_fma_f32 v10, -v4, v8, v2
	v_fmac_f32_e32 v8, v10, v5
	v_fma_f32 v2, -v4, v8, v2
	v_div_fmas_f32 v2, v2, v5, v8
	v_div_fixup_f32 v2, v2, v9, v3
	s_cmp_ge_i32 s13, s20
	ds_write_b32 v7, v2
	s_cbranch_scc1 .LBB25_28
; %bb.27:                               ;   in Loop: Header=BB25_24 Depth=1
	s_mov_b32 s13, s14
	s_branch .LBB25_24
.LBB25_28:
	s_cmp_ge_i32 s14, s20
	s_cbranch_scc1 .LBB25_33
; %bb.29:
	v_mov_b32_e32 v2, 0x640
	s_lshl_b32 s12, s14, 2
	v_lshl_add_u32 v2, v0, 2, v2
	s_branch .LBB25_31
.LBB25_30:                              ;   in Loop: Header=BB25_31 Depth=1
	s_lshl_b32 s15, s14, 2
	s_add_i32 s13, s15, s13
	v_mov_b32_e32 v5, s13
	ds_read_b32 v5, v5
	s_add_i32 s14, s14, 1
	s_add_i32 s12, s12, 4
	s_cmp_ge_i32 s14, s20
	s_waitcnt lgkmcnt(0)
	v_div_scale_f32 v6, s[18:19], v5, v5, v4
	v_rcp_f32_e32 v7, v6
	v_div_scale_f32 v8, vcc, v4, v5, v4
	v_fma_f32 v9, -v6, v7, 1.0
	v_fmac_f32_e32 v7, v9, v7
	v_mul_f32_e32 v9, v8, v7
	v_fma_f32 v10, -v6, v9, v8
	v_fmac_f32_e32 v9, v10, v7
	v_fma_f32 v6, -v6, v9, v8
	v_div_fmas_f32 v6, v6, v7, v9
	v_div_fixup_f32 v4, v6, v5, v4
	ds_write_b32 v3, v4
	s_cbranch_scc1 .LBB25_33
.LBB25_31:                              ; =>This Loop Header: Depth=1
                                        ;     Child Loop BB25_32 Depth 2
	s_mul_i32 s13, s14, 0x50
	v_add_u32_e32 v3, s13, v1
	ds_read_b32 v4, v3
	s_cmp_eq_u32 s14, 0
	v_mov_b32_e32 v5, v2
	s_mov_b32 s15, s12
	s_mov_b32 s17, s14
	s_cbranch_scc1 .LBB25_30
.LBB25_32:                              ;   Parent Loop BB25_31 Depth=1
                                        ; =>  This Inner Loop Header: Depth=2
	v_mov_b32_e32 v7, s15
	ds_read_b32 v6, v5
	ds_read_b32 v7, v7
	s_add_i32 s17, s17, -1
	s_addk_i32 s15, 0x50
	v_add_u32_e32 v5, 0x50, v5
	s_cmp_eq_u32 s17, 0
	s_waitcnt lgkmcnt(0)
	v_fma_f32 v4, -v6, v7, v4
	s_cbranch_scc0 .LBB25_32
	s_branch .LBB25_30
.LBB25_33:
	s_mov_b64 s[12:13], 0
.LBB25_34:
	s_and_b64 vcc, exec, s[12:13]
	s_cbranch_vccz .LBB25_54
; %bb.35:
	s_andn2_b64 vcc, exec, s[4:5]
	s_mov_b32 s14, s7
	s_cbranch_vccnz .LBB25_41
; %bb.36:
	s_mul_i32 s13, s20, 0x50
	s_mul_i32 s12, s20, 0x54
	v_lshl_add_u32 v2, v0, 2, s13
	s_addk_i32 s12, 0xffa0
	v_add_u32_e32 v6, 0x5f0, v2
	s_mov_b32 s13, s7
.LBB25_37:                              ; =>This Loop Header: Depth=1
                                        ;     Child Loop BB25_38 Depth 2
	s_mul_i32 s14, s13, 0x50
	v_add_u32_e32 v8, s14, v1
	s_addk_i32 s14, 0xff10
	v_add_u32_e32 v9, 0xffffffb0, v8
	v_add_u32_e32 v10, 0xffffff60, v8
	;; [unrolled: 1-line block ×3, first 2 shown]
	ds_read_b32 v5, v8
	ds_read_b32 v4, v9
	ds_read_b32 v3, v10
	ds_read_b32 v2, v7
	s_cmp_le_i32 s7, s13
	v_mov_b32_e32 v11, v6
	s_mov_b32 s15, s12
	s_mov_b32 s17, s7
	s_cbranch_scc1 .LBB25_39
.LBB25_38:                              ;   Parent Loop BB25_37 Depth=1
                                        ; =>  This Inner Loop Header: Depth=2
	v_mov_b32_e32 v13, s15
	ds_read_b32 v12, v11
	ds_read2_b32 v[14:15], v13 offset0:2 offset1:3
	ds_read2_b32 v[16:17], v13 offset1:1
	s_add_i32 s17, s17, -1
	s_addk_i32 s15, 0xffb0
	v_add_u32_e32 v11, 0xffffffb0, v11
	s_cmp_le_i32 s17, s13
	s_waitcnt lgkmcnt(1)
	v_pk_fma_f32 v[4:5], v[12:13], v[14:15], v[4:5] op_sel_hi:[0,1,1] neg_lo:[1,0,0] neg_hi:[1,0,0]
	s_waitcnt lgkmcnt(0)
	v_pk_fma_f32 v[2:3], v[12:13], v[16:17], v[2:3] op_sel_hi:[0,1,1] neg_lo:[1,0,0] neg_hi:[1,0,0]
	s_cbranch_scc0 .LBB25_38
.LBB25_39:                              ;   in Loop: Header=BB25_37 Depth=1
	s_add_i32 s15, s13, -3
	s_add_i32 s17, s13, -1
	s_mul_i32 s19, s13, 0x54
	s_lshl_b32 s18, s17, 2
	s_lshl_b32 s15, s15, 2
	s_add_i32 s23, s19, -4
	s_mulk_i32 s17, 0x50
	v_mov_b32_e32 v11, s23
	s_add_i32 s23, s18, s17
	s_add_i32 s18, s19, -12
	s_add_i32 s17, s15, s17
	v_mov_b32_e32 v14, s23
	v_mov_b32_e32 v15, s18
	;; [unrolled: 1-line block ×3, first 2 shown]
	ds_read2_b32 v[12:13], v11 offset1:1
	ds_read_b32 v11, v14
	ds_read2_b32 v[14:15], v15 offset1:1
	ds_read2_b32 v[16:17], v16 offset1:1
	s_lshl_b32 s17, s13, 2
	s_waitcnt lgkmcnt(3)
	v_div_scale_f32 v18, s[18:19], v13, v13, v5
	v_rcp_f32_e32 v19, v18
	s_sub_i32 s17, s23, s17
	s_add_i32 s17, s17, s15
	s_addk_i32 s17, 0xffb4
	v_fma_f32 v20, -v18, v19, 1.0
	v_fmac_f32_e32 v19, v20, v19
	v_div_scale_f32 v20, vcc, v5, v13, v5
	v_mul_f32_e32 v21, v20, v19
	v_fma_f32 v22, -v18, v21, v20
	v_fmac_f32_e32 v21, v22, v19
	v_fma_f32 v18, -v18, v21, v20
	v_div_fmas_f32 v18, v18, v19, v21
	v_div_fixup_f32 v13, v18, v13, v5
	v_fma_f32 v4, -v13, v12, v4
	s_waitcnt lgkmcnt(2)
	v_div_scale_f32 v5, s[18:19], v11, v11, v4
	v_rcp_f32_e32 v12, v5
	s_waitcnt lgkmcnt(1)
	v_fma_f32 v3, -v13, v15, v3
	s_add_i32 s14, s15, s14
	v_fma_f32 v2, -v13, v14, v2
	v_fma_f32 v18, -v5, v12, 1.0
	v_fmac_f32_e32 v12, v18, v12
	v_div_scale_f32 v18, vcc, v4, v11, v4
	v_mul_f32_e32 v19, v18, v12
	v_fma_f32 v20, -v5, v19, v18
	v_fmac_f32_e32 v19, v20, v12
	v_fma_f32 v5, -v5, v19, v18
	v_div_fmas_f32 v5, v5, v12, v19
	v_div_fixup_f32 v11, v5, v11, v4
	v_mov_b32_e32 v4, s17
	ds_read2_b32 v[4:5], v4 offset1:1
	s_waitcnt lgkmcnt(1)
	v_fma_f32 v3, -v11, v17, v3
	v_mov_b32_e32 v12, s14
	ds_read_b32 v12, v12
	v_fma_f32 v2, -v11, v16, v2
	s_waitcnt lgkmcnt(1)
	v_div_scale_f32 v15, s[14:15], v5, v5, v3
	v_rcp_f32_e32 v17, v15
	s_add_i32 s12, s12, -16
	v_fma_f32 v18, -v15, v17, 1.0
	v_fmac_f32_e32 v17, v18, v17
	v_div_scale_f32 v18, vcc, v3, v5, v3
	v_mul_f32_e32 v19, v18, v17
	v_fma_f32 v20, -v15, v19, v18
	v_fmac_f32_e32 v19, v20, v17
	v_fma_f32 v15, -v15, v19, v18
	v_div_fmas_f32 v15, v15, v17, v19
	v_div_fixup_f32 v3, v15, v5, v3
	v_fma_f32 v2, -v3, v4, v2
	s_waitcnt lgkmcnt(0)
	v_div_scale_f32 v4, s[14:15], v12, v12, v2
	v_rcp_f32_e32 v5, v4
	ds_write_b32 v8, v13
	ds_write_b32 v9, v11
	;; [unrolled: 1-line block ×3, first 2 shown]
	s_add_i32 s14, s13, -4
	s_cmp_lt_i32 s13, 7
	v_fma_f32 v3, -v4, v5, 1.0
	v_fmac_f32_e32 v5, v3, v5
	v_div_scale_f32 v3, vcc, v2, v12, v2
	v_mul_f32_e32 v8, v3, v5
	v_fma_f32 v9, -v4, v8, v3
	v_fmac_f32_e32 v8, v9, v5
	v_fma_f32 v3, -v4, v8, v3
	v_div_fmas_f32 v3, v3, v5, v8
	v_div_fixup_f32 v2, v3, v12, v2
	ds_write_b32 v7, v2
	s_cbranch_scc1 .LBB25_41
; %bb.40:                               ;   in Loop: Header=BB25_37 Depth=1
	s_mov_b32 s13, s14
	s_branch .LBB25_37
.LBB25_41:
	s_cmp_lt_i32 s14, 0
	s_cbranch_scc1 .LBB25_54
; %bb.42:
	s_bitcmp1_b32 s14, 0
	s_cselect_b64 s[12:13], -1, 0
	s_and_b64 vcc, exec, s[12:13]
	s_mov_b32 s12, s14
	s_cbranch_vccnz .LBB25_47
; %bb.43:
	s_mul_i32 s12, s14, 0x50
	v_add_u32_e32 v2, s12, v1
	ds_read_b32 v3, v2
	s_cmp_le_i32 s7, s14
	s_cbranch_scc1 .LBB25_46
; %bb.44:
	s_mul_i32 s15, s20, 0x50
	s_lshl_b32 s13, s14, 2
	s_add_i32 s13, s15, s13
	v_lshl_add_u32 v4, v0, 2, s15
	s_addk_i32 s13, 0xffb0
	v_add_u32_e32 v4, 0x5f0, v4
	s_mov_b32 s15, s7
.LBB25_45:                              ; =>This Inner Loop Header: Depth=1
	v_mov_b32_e32 v6, s13
	ds_read_b32 v5, v4
	ds_read_b32 v6, v6
	s_add_i32 s15, s15, -1
	s_addk_i32 s13, 0xffb0
	v_add_u32_e32 v4, 0xffffffb0, v4
	s_cmp_gt_u32 s15, s14
	s_waitcnt lgkmcnt(0)
	v_fma_f32 v3, -v5, v6, v3
	s_cbranch_scc1 .LBB25_45
.LBB25_46:
	s_lshl_b32 s13, s14, 2
	s_add_i32 s12, s13, s12
	v_mov_b32_e32 v4, s12
	ds_read_b32 v4, v4
	s_waitcnt lgkmcnt(0)
	v_div_scale_f32 v5, s[12:13], v4, v4, v3
	v_rcp_f32_e32 v6, v5
	v_div_scale_f32 v7, vcc, v3, v4, v3
	s_add_i32 s12, s14, -1
	v_fma_f32 v8, -v5, v6, 1.0
	v_fmac_f32_e32 v6, v8, v6
	v_mul_f32_e32 v8, v7, v6
	v_fma_f32 v9, -v5, v8, v7
	v_fmac_f32_e32 v8, v9, v6
	v_fma_f32 v5, -v5, v8, v7
	v_div_fmas_f32 v5, v5, v6, v8
	v_div_fixup_f32 v3, v5, v4, v3
	ds_write_b32 v2, v3
.LBB25_47:
	s_cmp_eq_u32 s14, 0
	s_cbranch_scc1 .LBB25_54
; %bb.48:
	s_mul_i32 s14, s20, 0x50
	s_lshl_b32 s13, s12, 2
	s_add_i32 s15, s14, s13
	v_lshl_add_u32 v2, v0, 2, s14
	s_add_i32 s13, s15, 0xffffffb0
	v_add_u32_e32 v2, 0x5f0, v2
	s_add_i32 s14, s15, 0xffffffac
	s_branch .LBB25_50
.LBB25_49:                              ;   in Loop: Header=BB25_50 Depth=1
	s_mul_i32 s18, s17, 0x50
	s_add_i32 s15, s15, s18
	s_add_i32 s15, s15, -4
	v_mov_b32_e32 v5, s15
	ds_read_b32 v5, v5
	s_add_i32 s12, s12, -2
	s_add_i32 s13, s13, -8
	;; [unrolled: 1-line block ×3, first 2 shown]
	s_cmp_eq_u32 s17, 0
	s_waitcnt lgkmcnt(0)
	v_div_scale_f32 v6, s[18:19], v5, v5, v4
	v_rcp_f32_e32 v7, v6
	v_div_scale_f32 v8, vcc, v4, v5, v4
	v_fma_f32 v9, -v6, v7, 1.0
	v_fmac_f32_e32 v7, v9, v7
	v_mul_f32_e32 v9, v8, v7
	v_fma_f32 v10, -v6, v9, v8
	v_fmac_f32_e32 v9, v10, v7
	v_fma_f32 v6, -v6, v9, v8
	v_div_fmas_f32 v6, v6, v7, v9
	v_div_fixup_f32 v4, v6, v5, v4
	ds_write_b32 v3, v4
	s_cbranch_scc1 .LBB25_54
.LBB25_50:                              ; =>This Loop Header: Depth=1
                                        ;     Child Loop BB25_51 Depth 2
                                        ;     Child Loop BB25_53 Depth 2
	s_mul_i32 s17, s12, 0x50
	v_add_u32_e32 v5, s17, v1
	ds_read_b32 v6, v5
	s_cmp_le_i32 s7, s12
	v_mov_b32_e32 v3, v2
	s_mov_b32 s15, s13
	s_mov_b32 s18, s7
	s_cbranch_scc1 .LBB25_52
.LBB25_51:                              ;   Parent Loop BB25_50 Depth=1
                                        ; =>  This Inner Loop Header: Depth=2
	v_mov_b32_e32 v7, s15
	ds_read_b32 v4, v3
	ds_read_b32 v7, v7
	s_add_i32 s18, s18, -1
	s_addk_i32 s15, 0xffb0
	v_add_u32_e32 v3, 0xffffffb0, v3
	s_cmp_le_u32 s18, s12
	s_waitcnt lgkmcnt(0)
	v_fma_f32 v6, -v4, v7, v6
	s_cbranch_scc0 .LBB25_51
.LBB25_52:                              ;   in Loop: Header=BB25_50 Depth=1
	s_lshl_b32 s15, s12, 2
	s_add_i32 s18, s15, s17
	v_mov_b32_e32 v3, s18
	ds_read_b32 v7, v3
	s_addk_i32 s17, 0xffb0
	v_add_u32_e32 v3, s17, v1
	ds_read_b32 v4, v3
	s_add_i32 s17, s12, -1
	s_waitcnt lgkmcnt(1)
	v_div_scale_f32 v8, s[18:19], v7, v7, v6
	v_rcp_f32_e32 v9, v8
	v_div_scale_f32 v10, vcc, v6, v7, v6
	s_cmp_le_i32 s20, s12
	v_fma_f32 v11, -v8, v9, 1.0
	v_fmac_f32_e32 v9, v11, v9
	v_mul_f32_e32 v11, v10, v9
	v_fma_f32 v12, -v8, v11, v10
	v_fmac_f32_e32 v11, v12, v9
	v_fma_f32 v8, -v8, v11, v10
	v_div_fmas_f32 v8, v8, v9, v11
	v_div_fixup_f32 v6, v8, v7, v6
	ds_write_b32 v5, v6
	v_mov_b32_e32 v5, v2
	s_mov_b32 s18, s14
	s_mov_b32 s19, s7
	s_cbranch_scc1 .LBB25_49
.LBB25_53:                              ;   Parent Loop BB25_50 Depth=1
                                        ; =>  This Inner Loop Header: Depth=2
	v_mov_b32_e32 v7, s18
	ds_read_b32 v6, v5
	ds_read_b32 v7, v7
	s_add_i32 s19, s19, -1
	s_addk_i32 s18, 0xffb0
	v_add_u32_e32 v5, 0xffffffb0, v5
	s_cmp_gt_u32 s19, s17
	s_waitcnt lgkmcnt(0)
	v_fma_f32 v4, -v6, v7, v4
	s_cbranch_scc1 .LBB25_53
	s_branch .LBB25_49
.LBB25_54:
	s_mov_b64 s[18:19], 0
.LBB25_55:
	s_andn2_b64 vcc, exec, s[18:19]
	s_cbranch_vccnz .LBB25_75
; %bb.56:
	s_andn2_b64 vcc, exec, s[4:5]
	s_mov_b32 s12, s7
	s_cbranch_vccnz .LBB25_62
; %bb.57:
	s_mul_i32 s4, s20, 0x50
	v_lshl_add_u32 v2, v0, 2, s4
	s_mul_i32 s4, s20, 0x54
	v_add_u32_e32 v6, 0x5f0, v2
	s_addk_i32 s4, 0xfebc
	s_mov_b32 s5, s7
.LBB25_58:                              ; =>This Loop Header: Depth=1
                                        ;     Child Loop BB25_59 Depth 2
	s_mul_i32 s12, s5, 20
	v_lshl_add_u32 v8, s12, 2, v1
	v_add_u32_e32 v9, 0xffffffb0, v8
	v_add_u32_e32 v10, 0xffffff60, v8
	;; [unrolled: 1-line block ×3, first 2 shown]
	ds_read_b32 v4, v8
	ds_read_b32 v5, v9
	;; [unrolled: 1-line block ×4, first 2 shown]
	s_cmp_le_i32 s7, s5
	s_mov_b32 s13, s4
	v_mov_b32_e32 v11, v6
	s_mov_b32 s14, s7
	s_cbranch_scc1 .LBB25_60
.LBB25_59:                              ;   Parent Loop BB25_58 Depth=1
                                        ; =>  This Inner Loop Header: Depth=2
	v_mov_b32_e32 v13, s13
	ds_read_b32 v12, v11
	ds_read2_b32 v[16:17], v13 offset0:40 offset1:60
	ds_read2_b32 v[18:19], v13 offset1:20
	s_add_i32 s14, s14, -1
	s_add_i32 s13, s13, -4
	v_add_u32_e32 v11, 0xffffffb0, v11
	s_waitcnt lgkmcnt(1)
	v_mov_b32_e32 v14, v17
	v_mov_b32_e32 v15, v16
	s_waitcnt lgkmcnt(0)
	v_mov_b32_e32 v16, v19
	v_mov_b32_e32 v17, v18
	s_cmp_le_i32 s14, s5
	v_pk_fma_f32 v[4:5], v[12:13], v[14:15], v[4:5] op_sel_hi:[0,1,1] neg_lo:[1,0,0] neg_hi:[1,0,0]
	v_pk_fma_f32 v[2:3], v[12:13], v[16:17], v[2:3] op_sel_hi:[0,1,1] neg_lo:[1,0,0] neg_hi:[1,0,0]
	s_cbranch_scc0 .LBB25_59
.LBB25_60:                              ;   in Loop: Header=BB25_58 Depth=1
	s_mul_i32 s13, s5, 0x54
	s_lshl_b32 s12, s12, 2
	v_mov_b32_e32 v11, s13
	s_lshl_b32 s13, s5, 2
	s_add_i32 s14, s12, s13
	s_add_i32 s12, s14, 0xffffffac
	v_mov_b32_e32 v12, s12
	s_add_i32 s12, s14, 0xffffff60
	v_mov_b32_e32 v14, s12
	;; [unrolled: 2-line block ×3, first 2 shown]
	ds_read_b32 v11, v11
	ds_read2_b32 v[12:13], v12 offset1:1
	ds_read_b32 v16, v14
	ds_read2_b32 v[14:15], v15 offset1:1
	s_addk_i32 s4, 0xfec0
	s_waitcnt lgkmcnt(3)
	v_div_scale_f32 v17, s[12:13], v11, v11, v4
	v_rcp_f32_e32 v18, v17
	s_nop 0
	v_fma_f32 v19, -v17, v18, 1.0
	v_fmac_f32_e32 v18, v19, v18
	v_div_scale_f32 v19, vcc, v4, v11, v4
	v_mul_f32_e32 v20, v19, v18
	v_fma_f32 v21, -v17, v20, v19
	v_fmac_f32_e32 v20, v21, v18
	v_fma_f32 v17, -v17, v20, v19
	v_div_fmas_f32 v17, v17, v18, v20
	v_div_fixup_f32 v11, v17, v11, v4
	s_waitcnt lgkmcnt(2)
	v_fma_f32 v4, -v11, v13, v5
	v_div_scale_f32 v5, s[12:13], v12, v12, v4
	v_rcp_f32_e32 v13, v5
	s_waitcnt lgkmcnt(1)
	v_fma_f32 v2, -v11, v16, v2
	v_fma_f32 v17, -v5, v13, 1.0
	v_fmac_f32_e32 v13, v17, v13
	v_div_scale_f32 v17, vcc, v4, v12, v4
	v_mul_f32_e32 v18, v17, v13
	v_fma_f32 v19, -v5, v18, v17
	v_fmac_f32_e32 v18, v19, v13
	v_fma_f32 v5, -v5, v18, v17
	v_div_fmas_f32 v5, v5, v13, v18
	v_div_fixup_f32 v17, v5, v12, v4
	s_waitcnt lgkmcnt(0)
	v_fma_f32 v2, -v17, v15, v2
	v_div_scale_f32 v4, s[12:13], v14, v14, v2
	v_rcp_f32_e32 v15, v4
	s_add_i32 s12, s14, 0xffffff0c
	v_fma_f32 v5, -v4, v15, 1.0
	v_fmac_f32_e32 v15, v5, v15
	v_div_scale_f32 v5, vcc, v2, v14, v2
	v_mul_f32_e32 v16, v5, v15
	v_fma_f32 v12, -v4, v16, v5
	v_fmac_f32_e32 v16, v12, v15
	v_fma_f32 v18, -v4, v16, v5
	v_mov_b32_e32 v4, s12
	s_add_i32 s12, s14, 0xffffff04
	v_mov_b32_e32 v12, s12
	ds_read2_b32 v[4:5], v4 offset1:1
	ds_read2_b32 v[12:13], v12 offset1:1
	v_div_fmas_f32 v15, v18, v15, v16
	v_div_fixup_f32 v2, v15, v14, v2
	ds_write_b32 v8, v11
	ds_write_b32 v9, v17
	;; [unrolled: 1-line block ×3, first 2 shown]
	s_waitcnt lgkmcnt(4)
	v_fma_f32 v3, -v11, v5, v3
	v_fma_f32 v3, -v17, v4, v3
	s_waitcnt lgkmcnt(3)
	v_fma_f32 v3, -v2, v13, v3
	v_div_scale_f32 v4, s[12:13], v12, v12, v3
	v_rcp_f32_e32 v5, v4
	s_add_i32 s12, s5, -4
	s_cmp_lt_i32 s5, 7
	v_fma_f32 v2, -v4, v5, 1.0
	v_fmac_f32_e32 v5, v2, v5
	v_div_scale_f32 v2, vcc, v3, v12, v3
	v_mul_f32_e32 v8, v2, v5
	v_fma_f32 v9, -v4, v8, v2
	v_fmac_f32_e32 v8, v9, v5
	v_fma_f32 v2, -v4, v8, v2
	v_div_fmas_f32 v2, v2, v5, v8
	v_div_fixup_f32 v2, v2, v12, v3
	ds_write_b32 v7, v2
	s_cbranch_scc1 .LBB25_62
; %bb.61:                               ;   in Loop: Header=BB25_58 Depth=1
	s_mov_b32 s5, s12
	s_branch .LBB25_58
.LBB25_62:
	s_cmp_lt_i32 s12, 0
	s_cbranch_scc1 .LBB25_75
; %bb.63:
	s_bitcmp1_b32 s12, 0
	s_cselect_b64 s[4:5], -1, 0
	s_and_b64 vcc, exec, s[4:5]
	s_mov_b32 s4, s12
	s_cbranch_vccnz .LBB25_68
; %bb.64:
	s_mul_i32 s4, s12, 0x50
	v_add_u32_e32 v2, s4, v1
	ds_read_b32 v3, v2
	s_cmp_le_i32 s7, s12
	s_cbranch_scc1 .LBB25_67
; %bb.65:
	s_lshl_b32 s5, s20, 2
	s_add_i32 s4, s4, s5
	s_mul_i32 s5, s20, 0x50
	v_lshl_add_u32 v4, v0, 2, s5
	s_add_i32 s4, s4, -4
	v_add_u32_e32 v4, 0x5f0, v4
	s_mov_b32 s5, s7
.LBB25_66:                              ; =>This Inner Loop Header: Depth=1
	v_mov_b32_e32 v6, s4
	ds_read_b32 v5, v4
	ds_read_b32 v6, v6
	s_add_i32 s5, s5, -1
	s_add_i32 s4, s4, -4
	v_add_u32_e32 v4, 0xffffffb0, v4
	s_cmp_gt_u32 s5, s12
	s_waitcnt lgkmcnt(0)
	v_fma_f32 v3, -v5, v6, v3
	s_cbranch_scc1 .LBB25_66
.LBB25_67:
	s_mul_i32 s4, s12, 0x54
	v_mov_b32_e32 v4, s4
	ds_read_b32 v4, v4
	s_waitcnt lgkmcnt(0)
	v_div_scale_f32 v5, s[4:5], v4, v4, v3
	v_rcp_f32_e32 v6, v5
	v_div_scale_f32 v7, vcc, v3, v4, v3
	s_add_i32 s4, s12, -1
	v_fma_f32 v8, -v5, v6, 1.0
	v_fmac_f32_e32 v6, v8, v6
	v_mul_f32_e32 v8, v7, v6
	v_fma_f32 v9, -v5, v8, v7
	v_fmac_f32_e32 v8, v9, v6
	v_fma_f32 v5, -v5, v8, v7
	v_div_fmas_f32 v5, v5, v6, v8
	v_div_fixup_f32 v3, v5, v4, v3
	ds_write_b32 v2, v3
.LBB25_68:
	s_cmp_eq_u32 s12, 0
	s_cbranch_scc1 .LBB25_75
; %bb.69:
	s_mul_i32 s5, s20, 0x50
	v_lshl_add_u32 v2, v0, 2, s5
	s_mul_i32 s5, s4, 0x50
	s_lshl_b32 s12, s20, 2
	s_add_i32 s12, s5, s12
	v_add_u32_e32 v2, 0x5f0, v2
	s_add_i32 s5, s12, -4
	s_addk_i32 s12, 0xffac
	s_branch .LBB25_71
.LBB25_70:                              ;   in Loop: Header=BB25_71 Depth=1
	s_addk_i32 s14, 0xffac
	v_mov_b32_e32 v5, s14
	ds_read_b32 v5, v5
	s_add_i32 s4, s4, -2
	s_addk_i32 s5, 0xff60
	s_addk_i32 s12, 0xff60
	s_cmp_eq_u32 s13, 0
	s_waitcnt lgkmcnt(0)
	v_div_scale_f32 v6, s[14:15], v5, v5, v4
	v_rcp_f32_e32 v7, v6
	v_div_scale_f32 v8, vcc, v4, v5, v4
	v_fma_f32 v9, -v6, v7, 1.0
	v_fmac_f32_e32 v7, v9, v7
	v_mul_f32_e32 v9, v8, v7
	v_fma_f32 v10, -v6, v9, v8
	v_fmac_f32_e32 v9, v10, v7
	v_fma_f32 v6, -v6, v9, v8
	v_div_fmas_f32 v6, v6, v7, v9
	v_div_fixup_f32 v4, v6, v5, v4
	ds_write_b32 v3, v4
	s_cbranch_scc1 .LBB25_75
.LBB25_71:                              ; =>This Loop Header: Depth=1
                                        ;     Child Loop BB25_72 Depth 2
                                        ;     Child Loop BB25_74 Depth 2
	s_mul_i32 s13, s4, 0x50
	v_add_u32_e32 v5, s13, v1
	ds_read_b32 v6, v5
	s_cmp_le_i32 s7, s4
	s_mov_b32 s13, s5
	v_mov_b32_e32 v3, v2
	s_mov_b32 s14, s7
	s_cbranch_scc1 .LBB25_73
.LBB25_72:                              ;   Parent Loop BB25_71 Depth=1
                                        ; =>  This Inner Loop Header: Depth=2
	v_mov_b32_e32 v7, s13
	ds_read_b32 v4, v3
	ds_read_b32 v7, v7
	s_add_i32 s14, s14, -1
	s_add_i32 s13, s13, -4
	v_add_u32_e32 v3, 0xffffffb0, v3
	s_cmp_le_u32 s14, s4
	s_waitcnt lgkmcnt(0)
	v_fma_f32 v6, -v4, v7, v6
	s_cbranch_scc0 .LBB25_72
.LBB25_73:                              ;   in Loop: Header=BB25_71 Depth=1
	s_mul_i32 s14, s4, 0x54
	v_mov_b32_e32 v3, s14
	ds_read_b32 v7, v3
	v_add_u32_e32 v3, 0xffffffb0, v5
	ds_read_b32 v4, v3
	s_add_i32 s13, s4, -1
	s_cmp_le_i32 s20, s4
	s_waitcnt lgkmcnt(1)
	v_div_scale_f32 v8, s[18:19], v7, v7, v6
	v_rcp_f32_e32 v9, v8
	v_div_scale_f32 v10, vcc, v6, v7, v6
	s_mov_b32 s15, s12
	v_fma_f32 v11, -v8, v9, 1.0
	v_fmac_f32_e32 v9, v11, v9
	v_mul_f32_e32 v11, v10, v9
	v_fma_f32 v12, -v8, v11, v10
	v_fmac_f32_e32 v11, v12, v9
	v_fma_f32 v8, -v8, v11, v10
	v_div_fmas_f32 v8, v8, v9, v11
	v_div_fixup_f32 v6, v8, v7, v6
	ds_write_b32 v5, v6
	v_mov_b32_e32 v5, v2
	s_mov_b32 s17, s7
	s_cbranch_scc1 .LBB25_70
.LBB25_74:                              ;   Parent Loop BB25_71 Depth=1
                                        ; =>  This Inner Loop Header: Depth=2
	v_mov_b32_e32 v7, s15
	ds_read_b32 v6, v5
	ds_read_b32 v7, v7
	s_add_i32 s17, s17, -1
	s_add_i32 s15, s15, -4
	v_add_u32_e32 v5, 0xffffffb0, v5
	s_cmp_gt_u32 s17, s13
	s_waitcnt lgkmcnt(0)
	v_fma_f32 v4, -v6, v7, v4
	s_cbranch_scc1 .LBB25_74
	s_branch .LBB25_70
.LBB25_75:
	s_mov_b64 s[18:19], 0
.LBB25_76:
	s_andn2_b64 vcc, exec, s[18:19]
	s_cbranch_vccnz .LBB25_88
; %bb.77:
	v_mov_b32_e32 v1, 0x640
	v_lshl_add_u32 v1, v0, 2, v1
	s_cmp_lt_i32 s16, 4
	s_mov_b32 s7, 0
	s_cbranch_scc1 .LBB25_83
; %bb.78:
	s_mov_b32 s4, 0
	s_mov_b32 s5, 0
.LBB25_79:                              ; =>This Loop Header: Depth=1
                                        ;     Child Loop BB25_80 Depth 2
	s_mul_i32 s7, s5, 20
	v_lshl_add_u32 v6, s7, 2, v1
	ds_read2_b32 v[4:5], v6 offset1:20
	ds_read2_b32 v[2:3], v6 offset0:40 offset1:60
	s_cmp_eq_u32 s5, 0
	s_mov_b32 s12, s4
	v_mov_b32_e32 v7, v1
	s_mov_b32 s13, s5
	s_cbranch_scc1 .LBB25_81
.LBB25_80:                              ;   Parent Loop BB25_79 Depth=1
                                        ; =>  This Inner Loop Header: Depth=2
	v_mov_b32_e32 v9, s12
	ds_read_b32 v8, v7
	ds_read2_b32 v[10:11], v9 offset1:20
	ds_read2_b32 v[12:13], v9 offset0:40 offset1:60
	s_add_i32 s13, s13, -1
	s_add_i32 s12, s12, 4
	v_add_u32_e32 v7, 0x50, v7
	s_cmp_eq_u32 s13, 0
	s_waitcnt lgkmcnt(1)
	v_pk_fma_f32 v[4:5], v[8:9], v[10:11], v[4:5] op_sel_hi:[0,1,1] neg_lo:[1,0,0] neg_hi:[1,0,0]
	s_waitcnt lgkmcnt(0)
	v_pk_fma_f32 v[2:3], v[8:9], v[12:13], v[2:3] op_sel_hi:[0,1,1] neg_lo:[1,0,0] neg_hi:[1,0,0]
	s_cbranch_scc0 .LBB25_80
.LBB25_81:                              ;   in Loop: Header=BB25_79 Depth=1
	s_mul_i32 s12, s5, 0x54
	v_mov_b32_e32 v7, s12
	ds_read_b32 v7, v7
	s_lshl_b32 s7, s7, 2
	s_lshl_b32 s12, s5, 2
	s_add_i32 s7, s7, s12
	v_mov_b32_e32 v13, s7
	s_waitcnt lgkmcnt(0)
	v_div_scale_f32 v14, s[12:13], v7, v7, v4
	v_rcp_f32_e32 v15, v14
	ds_read_b64 v[8:9], v13 offset:80
	ds_read_b96 v[10:12], v13 offset:160
	s_add_i32 s7, s5, 4
	s_add_i32 s5, s5, 7
	v_fma_f32 v16, -v14, v15, 1.0
	v_fmac_f32_e32 v15, v16, v15
	v_div_scale_f32 v16, vcc, v4, v7, v4
	v_mul_f32_e32 v17, v16, v15
	v_fma_f32 v18, -v14, v17, v16
	v_fmac_f32_e32 v17, v18, v15
	v_fma_f32 v14, -v14, v17, v16
	v_div_fmas_f32 v14, v14, v15, v17
	v_div_fixup_f32 v4, v14, v7, v4
	s_waitcnt lgkmcnt(1)
	v_fma_f32 v5, -v4, v8, v5
	v_div_scale_f32 v7, s[12:13], v9, v9, v5
	v_rcp_f32_e32 v8, v7
	s_waitcnt lgkmcnt(0)
	v_fma_f32 v2, -v4, v10, v2
	s_addk_i32 s4, 0x140
	s_cmp_ge_i32 s5, s20
	v_fma_f32 v14, -v7, v8, 1.0
	v_fmac_f32_e32 v8, v14, v8
	v_div_scale_f32 v14, vcc, v5, v9, v5
	v_mul_f32_e32 v15, v14, v8
	v_fma_f32 v16, -v7, v15, v14
	v_fmac_f32_e32 v15, v16, v8
	v_fma_f32 v7, -v7, v15, v14
	v_div_fmas_f32 v7, v7, v8, v15
	v_div_fixup_f32 v5, v7, v9, v5
	v_fma_f32 v2, -v5, v11, v2
	v_div_scale_f32 v7, s[12:13], v12, v12, v2
	v_rcp_f32_e32 v14, v7
	v_div_scale_f32 v15, vcc, v2, v12, v2
	ds_write2_b32 v6, v4, v5 offset1:20
	v_fma_f32 v8, -v7, v14, 1.0
	v_fmac_f32_e32 v14, v8, v14
	v_mul_f32_e32 v16, v15, v14
	v_fma_f32 v8, -v7, v16, v15
	v_fmac_f32_e32 v16, v8, v14
	ds_read_b128 v[8:11], v13 offset:240
	v_fma_f32 v7, -v7, v16, v15
	v_div_fmas_f32 v7, v7, v14, v16
	v_div_fixup_f32 v2, v7, v12, v2
	s_waitcnt lgkmcnt(0)
	v_fma_f32 v3, -v4, v8, v3
	v_fma_f32 v3, -v5, v9, v3
	;; [unrolled: 1-line block ×3, first 2 shown]
	v_div_scale_f32 v7, s[12:13], v11, v11, v3
	v_rcp_f32_e32 v8, v7
	s_nop 0
	v_fma_f32 v4, -v7, v8, 1.0
	v_fmac_f32_e32 v8, v4, v8
	v_div_scale_f32 v4, vcc, v3, v11, v3
	v_mul_f32_e32 v5, v4, v8
	v_fma_f32 v9, -v7, v5, v4
	v_fmac_f32_e32 v5, v9, v8
	v_fma_f32 v4, -v7, v5, v4
	v_div_fmas_f32 v4, v4, v8, v5
	v_div_fixup_f32 v3, v4, v11, v3
	ds_write2_b32 v6, v2, v3 offset0:40 offset1:60
	s_cbranch_scc1 .LBB25_83
; %bb.82:                               ;   in Loop: Header=BB25_79 Depth=1
	s_mov_b32 s5, s7
	s_branch .LBB25_79
.LBB25_83:
	s_cmp_ge_i32 s7, s20
	s_cbranch_scc1 .LBB25_88
; %bb.84:
	v_mov_b32_e32 v2, 0x640
	v_lshl_add_u32 v2, v0, 2, v2
	s_mul_i32 s4, s7, 0x50
	s_branch .LBB25_86
.LBB25_85:                              ;   in Loop: Header=BB25_86 Depth=1
	s_mul_i32 s5, s7, 0x54
	v_mov_b32_e32 v5, s5
	ds_read_b32 v5, v5
	s_add_i32 s7, s7, 1
	s_addk_i32 s4, 0x50
	s_cmp_ge_i32 s7, s20
	s_waitcnt lgkmcnt(0)
	v_div_scale_f32 v6, s[12:13], v5, v5, v4
	v_rcp_f32_e32 v7, v6
	v_div_scale_f32 v8, vcc, v4, v5, v4
	v_fma_f32 v9, -v6, v7, 1.0
	v_fmac_f32_e32 v7, v9, v7
	v_mul_f32_e32 v9, v8, v7
	v_fma_f32 v10, -v6, v9, v8
	v_fmac_f32_e32 v9, v10, v7
	v_fma_f32 v6, -v6, v9, v8
	v_div_fmas_f32 v6, v6, v7, v9
	v_div_fixup_f32 v4, v6, v5, v4
	ds_write_b32 v3, v4
	s_cbranch_scc1 .LBB25_88
.LBB25_86:                              ; =>This Loop Header: Depth=1
                                        ;     Child Loop BB25_87 Depth 2
	s_mul_i32 s5, s7, 0x50
	v_add_u32_e32 v3, s5, v1
	ds_read_b32 v4, v3
	s_cmp_eq_u32 s7, 0
	s_mov_b32 s5, s4
	v_mov_b32_e32 v5, v2
	s_mov_b32 s12, s7
	s_cbranch_scc1 .LBB25_85
.LBB25_87:                              ;   Parent Loop BB25_86 Depth=1
                                        ; =>  This Inner Loop Header: Depth=2
	v_mov_b32_e32 v7, s5
	ds_read_b32 v6, v5
	ds_read_b32 v7, v7
	s_add_i32 s12, s12, -1
	s_add_i32 s5, s5, 4
	v_add_u32_e32 v5, 0x50, v5
	s_cmp_eq_u32 s12, 0
	s_waitcnt lgkmcnt(0)
	v_fma_f32 v4, -v6, v7, v4
	s_cbranch_scc0 .LBB25_87
	s_branch .LBB25_85
.LBB25_88:
	s_and_saveexec_b64 s[4:5], s[0:1]
	s_cbranch_execz .LBB25_97
; %bb.89:
	s_cmp_lt_i32 s16, 1
	s_cbranch_scc1 .LBB25_97
; %bb.90:
	s_cmp_eq_u32 s16, 1
	s_cselect_b64 s[0:1], -1, 0
	s_cmp_lg_u32 s6, 1
	s_cselect_b64 s[4:5], -1, 0
	s_or_b64 s[0:1], s[0:1], s[4:5]
	v_mov_b32_e32 v3, 0
	s_and_b64 vcc, exec, s[0:1]
	v_lshlrev_b32_e32 v2, 2, v0
	s_cbranch_vccnz .LBB25_94
; %bb.91:
	v_lshl_add_u64 v[4:5], s[2:3], 0, v[2:3]
	v_mov_b32_e32 v1, 0x640
	s_and_b32 s2, s16, 0x7ffffffe
	v_lshl_add_u32 v1, v0, 2, v1
	s_mov_b32 s0, 1
	s_mov_b32 s1, 0
	;; [unrolled: 1-line block ×3, first 2 shown]
.LBB25_92:                              ; =>This Inner Loop Header: Depth=1
	s_mul_i32 s5, s1, 0x50
	s_mul_i32 s4, s0, 0x50
	v_add_u32_e32 v3, s5, v1
	v_add_u32_e32 v6, s4, v1
	ds_read_b32 v8, v3
	ds_read_b32 v9, v6
	s_add_i32 s1, s1, 2
	s_add_i32 s0, s0, 2
	s_add_i32 s3, s3, -2
	s_cmp_lg_u32 s3, 0
	s_waitcnt lgkmcnt(0)
	flat_store_dwordx2 v[4:5], v[8:9]
	v_lshl_add_u64 v[4:5], v[4:5], 0, 8
	s_cbranch_scc1 .LBB25_92
; %bb.93:
	s_cmp_lg_u32 s16, s2
	s_cselect_b64 s[0:1], -1, 0
	s_and_b64 vcc, exec, s[0:1]
	s_cbranch_vccnz .LBB25_95
	s_branch .LBB25_97
.LBB25_94:
	s_mov_b32 s2, 0
	s_cbranch_execz .LBB25_97
.LBB25_95:
	s_mul_hi_i32 s1, s6, s2
	s_mul_i32 s0, s6, s2
	s_ashr_i32 s7, s6, 31
	s_sub_i32 s3, s16, s2
	s_lshl_b64 s[0:1], s[0:1], 2
	s_add_u32 s0, s0, s22
	s_addc_u32 s1, s1, s21
	s_add_u32 s0, s0, s10
	s_addc_u32 s1, s1, s11
	s_add_u32 s0, s8, s0
	s_mulk_i32 s2, 0x50
	v_mov_b32_e32 v3, 0
	s_addc_u32 s1, s9, s1
	v_lshl_add_u32 v0, v0, 2, s2
	v_lshl_add_u64 v[2:3], s[0:1], 0, v[2:3]
	s_lshl_b64 s[0:1], s[6:7], 2
	v_add_u32_e32 v0, 0x640, v0
.LBB25_96:                              ; =>This Inner Loop Header: Depth=1
	ds_read_b32 v1, v0
	s_add_i32 s3, s3, -1
	v_add_u32_e32 v0, 0x50, v0
	s_cmp_lg_u32 s3, 0
	s_waitcnt lgkmcnt(0)
	flat_store_dword v[2:3], v1
	v_lshl_add_u64 v[2:3], v[2:3], 0, s[0:1]
	s_cbranch_scc1 .LBB25_96
.LBB25_97:
	s_endpgm
	.section	.rodata,"a",@progbits
	.p2align	6, 0x0
	.amdhsa_kernel _ZL31rocblas_trsm_small_right_deviceIffPKPKfPKPfLi20EEv13rocblas_fill_18rocblas_operation_17rocblas_diagonal_iiT0_T1_lilT2_lili
		.amdhsa_group_segment_fixed_size 3200
		.amdhsa_private_segment_fixed_size 0
		.amdhsa_kernarg_size 352
		.amdhsa_user_sgpr_count 2
		.amdhsa_user_sgpr_dispatch_ptr 0
		.amdhsa_user_sgpr_queue_ptr 0
		.amdhsa_user_sgpr_kernarg_segment_ptr 1
		.amdhsa_user_sgpr_dispatch_id 0
		.amdhsa_user_sgpr_kernarg_preload_length 0
		.amdhsa_user_sgpr_kernarg_preload_offset 0
		.amdhsa_user_sgpr_private_segment_size 0
		.amdhsa_uses_dynamic_stack 0
		.amdhsa_enable_private_segment 0
		.amdhsa_system_sgpr_workgroup_id_x 1
		.amdhsa_system_sgpr_workgroup_id_y 0
		.amdhsa_system_sgpr_workgroup_id_z 1
		.amdhsa_system_sgpr_workgroup_info 0
		.amdhsa_system_vgpr_workitem_id 0
		.amdhsa_next_free_vgpr 23
		.amdhsa_next_free_sgpr 30
		.amdhsa_accum_offset 24
		.amdhsa_reserve_vcc 1
		.amdhsa_float_round_mode_32 0
		.amdhsa_float_round_mode_16_64 0
		.amdhsa_float_denorm_mode_32 3
		.amdhsa_float_denorm_mode_16_64 3
		.amdhsa_dx10_clamp 1
		.amdhsa_ieee_mode 1
		.amdhsa_fp16_overflow 0
		.amdhsa_tg_split 0
		.amdhsa_exception_fp_ieee_invalid_op 0
		.amdhsa_exception_fp_denorm_src 0
		.amdhsa_exception_fp_ieee_div_zero 0
		.amdhsa_exception_fp_ieee_overflow 0
		.amdhsa_exception_fp_ieee_underflow 0
		.amdhsa_exception_fp_ieee_inexact 0
		.amdhsa_exception_int_div_zero 0
	.end_amdhsa_kernel
	.section	.text._ZL31rocblas_trsm_small_right_deviceIffPKPKfPKPfLi20EEv13rocblas_fill_18rocblas_operation_17rocblas_diagonal_iiT0_T1_lilT2_lili,"axG",@progbits,_ZL31rocblas_trsm_small_right_deviceIffPKPKfPKPfLi20EEv13rocblas_fill_18rocblas_operation_17rocblas_diagonal_iiT0_T1_lilT2_lili,comdat
.Lfunc_end25:
	.size	_ZL31rocblas_trsm_small_right_deviceIffPKPKfPKPfLi20EEv13rocblas_fill_18rocblas_operation_17rocblas_diagonal_iiT0_T1_lilT2_lili, .Lfunc_end25-_ZL31rocblas_trsm_small_right_deviceIffPKPKfPKPfLi20EEv13rocblas_fill_18rocblas_operation_17rocblas_diagonal_iiT0_T1_lilT2_lili
                                        ; -- End function
	.set _ZL31rocblas_trsm_small_right_deviceIffPKPKfPKPfLi20EEv13rocblas_fill_18rocblas_operation_17rocblas_diagonal_iiT0_T1_lilT2_lili.num_vgpr, 23
	.set _ZL31rocblas_trsm_small_right_deviceIffPKPKfPKPfLi20EEv13rocblas_fill_18rocblas_operation_17rocblas_diagonal_iiT0_T1_lilT2_lili.num_agpr, 0
	.set _ZL31rocblas_trsm_small_right_deviceIffPKPKfPKPfLi20EEv13rocblas_fill_18rocblas_operation_17rocblas_diagonal_iiT0_T1_lilT2_lili.numbered_sgpr, 30
	.set _ZL31rocblas_trsm_small_right_deviceIffPKPKfPKPfLi20EEv13rocblas_fill_18rocblas_operation_17rocblas_diagonal_iiT0_T1_lilT2_lili.num_named_barrier, 0
	.set _ZL31rocblas_trsm_small_right_deviceIffPKPKfPKPfLi20EEv13rocblas_fill_18rocblas_operation_17rocblas_diagonal_iiT0_T1_lilT2_lili.private_seg_size, 0
	.set _ZL31rocblas_trsm_small_right_deviceIffPKPKfPKPfLi20EEv13rocblas_fill_18rocblas_operation_17rocblas_diagonal_iiT0_T1_lilT2_lili.uses_vcc, 1
	.set _ZL31rocblas_trsm_small_right_deviceIffPKPKfPKPfLi20EEv13rocblas_fill_18rocblas_operation_17rocblas_diagonal_iiT0_T1_lilT2_lili.uses_flat_scratch, 0
	.set _ZL31rocblas_trsm_small_right_deviceIffPKPKfPKPfLi20EEv13rocblas_fill_18rocblas_operation_17rocblas_diagonal_iiT0_T1_lilT2_lili.has_dyn_sized_stack, 0
	.set _ZL31rocblas_trsm_small_right_deviceIffPKPKfPKPfLi20EEv13rocblas_fill_18rocblas_operation_17rocblas_diagonal_iiT0_T1_lilT2_lili.has_recursion, 0
	.set _ZL31rocblas_trsm_small_right_deviceIffPKPKfPKPfLi20EEv13rocblas_fill_18rocblas_operation_17rocblas_diagonal_iiT0_T1_lilT2_lili.has_indirect_call, 0
	.section	.AMDGPU.csdata,"",@progbits
; Kernel info:
; codeLenInByte = 6200
; TotalNumSgprs: 36
; NumVgprs: 23
; NumAgprs: 0
; TotalNumVgprs: 23
; ScratchSize: 0
; MemoryBound: 0
; FloatMode: 240
; IeeeMode: 1
; LDSByteSize: 3200 bytes/workgroup (compile time only)
; SGPRBlocks: 4
; VGPRBlocks: 2
; NumSGPRsForWavesPerEU: 36
; NumVGPRsForWavesPerEU: 23
; AccumOffset: 24
; Occupancy: 8
; WaveLimiterHint : 0
; COMPUTE_PGM_RSRC2:SCRATCH_EN: 0
; COMPUTE_PGM_RSRC2:USER_SGPR: 2
; COMPUTE_PGM_RSRC2:TRAP_HANDLER: 0
; COMPUTE_PGM_RSRC2:TGID_X_EN: 1
; COMPUTE_PGM_RSRC2:TGID_Y_EN: 0
; COMPUTE_PGM_RSRC2:TGID_Z_EN: 1
; COMPUTE_PGM_RSRC2:TIDIG_COMP_CNT: 0
; COMPUTE_PGM_RSRC3_GFX90A:ACCUM_OFFSET: 5
; COMPUTE_PGM_RSRC3_GFX90A:TG_SPLIT: 0
	.section	.text._ZL38rocblas_trsm_small_left_device_sharedBILi24ELi24ELb0EffPKPKfPKPfEv13rocblas_fill_18rocblas_operation_17rocblas_diagonal_iiT3_T4_lilT5_lili,"axG",@progbits,_ZL38rocblas_trsm_small_left_device_sharedBILi24ELi24ELb0EffPKPKfPKPfEv13rocblas_fill_18rocblas_operation_17rocblas_diagonal_iiT3_T4_lilT5_lili,comdat
	.globl	_ZL38rocblas_trsm_small_left_device_sharedBILi24ELi24ELb0EffPKPKfPKPfEv13rocblas_fill_18rocblas_operation_17rocblas_diagonal_iiT3_T4_lilT5_lili ; -- Begin function _ZL38rocblas_trsm_small_left_device_sharedBILi24ELi24ELb0EffPKPKfPKPfEv13rocblas_fill_18rocblas_operation_17rocblas_diagonal_iiT3_T4_lilT5_lili
	.p2align	8
	.type	_ZL38rocblas_trsm_small_left_device_sharedBILi24ELi24ELb0EffPKPKfPKPfEv13rocblas_fill_18rocblas_operation_17rocblas_diagonal_iiT3_T4_lilT5_lili,@function
_ZL38rocblas_trsm_small_left_device_sharedBILi24ELi24ELb0EffPKPKfPKPfEv13rocblas_fill_18rocblas_operation_17rocblas_diagonal_iiT3_T4_lilT5_lili: ; @_ZL38rocblas_trsm_small_left_device_sharedBILi24ELi24ELb0EffPKPKfPKPfEv13rocblas_fill_18rocblas_operation_17rocblas_diagonal_iiT3_T4_lilT5_lili
; %bb.0:
	s_load_dwordx4 s[8:11], s[0:1], 0x38
	s_load_dwordx4 s[4:7], s[0:1], 0x4
	s_load_dword s16, s[0:1], 0x14
	s_mov_b32 s20, s3
	s_mov_b32 s21, 0
	s_lshl_b64 s[24:25], s[20:21], 3
	s_waitcnt lgkmcnt(0)
	s_add_u32 s8, s8, s24
	s_addc_u32 s9, s9, s25
	s_load_dwordx2 s[8:9], s[8:9], 0x0
	s_min_i32 s26, s6, 24
	v_cmp_gt_i32_e32 vcc, s26, v0
	s_and_saveexec_b64 s[18:19], vcc
	s_cbranch_execz .LBB26_11
; %bb.1:
	s_load_dwordx4 s[12:15], s[0:1], 0x18
	s_load_dword s22, s[0:1], 0x28
	v_lshlrev_b32_e32 v2, 2, v0
	v_mov_b32_e32 v3, 0
	s_mov_b32 s3, 1
	s_waitcnt lgkmcnt(0)
	s_add_u32 s12, s12, s24
	s_addc_u32 s13, s13, s25
	s_load_dwordx2 s[12:13], s[12:13], 0x0
	s_cmp_lt_u32 s26, 2
	s_cselect_b64 s[28:29], -1, 0
	s_cmp_lg_u32 s22, 1
	s_cselect_b64 s[30:31], -1, 0
	s_or_b64 s[28:29], s[28:29], s[30:31]
	s_mov_b64 s[24:25], -1
	s_and_b64 vcc, exec, s[28:29]
	s_cbranch_vccnz .LBB26_5
; %bb.2:
	s_lshl_b64 s[20:21], s[14:15], 2
	s_waitcnt lgkmcnt(0)
	s_add_u32 s20, s12, s20
	s_addc_u32 s21, s13, s21
	v_lshl_add_u64 v[4:5], s[20:21], 0, v[2:3]
	s_and_b32 s21, s26, -2
	s_mov_b32 s17, 0
	s_mov_b32 s20, s21
.LBB26_3:                               ; =>This Inner Loop Header: Depth=1
	flat_load_dwordx2 v[6:7], v[4:5]
	s_mul_i32 s23, s3, 0x60
	s_mul_i32 s24, s17, 0x60
	s_add_i32 s17, s17, 2
	s_add_i32 s3, s3, 2
	s_add_i32 s20, s20, -2
	v_lshl_add_u64 v[4:5], v[4:5], 0, 8
	v_add_u32_e32 v1, s24, v2
	s_cmp_lg_u32 s20, 0
	v_add_u32_e32 v3, s23, v2
	s_waitcnt vmcnt(0) lgkmcnt(0)
	ds_write_b32 v1, v6
	ds_write_b32 v3, v7
	s_cbranch_scc1 .LBB26_3
; %bb.4:
	s_cmp_lg_u32 s26, s21
	s_cselect_b64 s[24:25], -1, 0
.LBB26_5:
	s_and_b64 vcc, exec, s[24:25]
	s_cbranch_vccz .LBB26_8
; %bb.6:
	s_ashr_i32 s23, s22, 31
	s_mul_hi_u32 s3, s22, s21
	s_mul_i32 s17, s23, s21
	s_add_i32 s25, s3, s17
	s_mul_i32 s24, s22, s21
	s_lshl_b64 s[24:25], s[24:25], 2
	s_lshl_b64 s[14:15], s[14:15], 2
	s_add_u32 s3, s24, s14
	s_addc_u32 s14, s25, s15
	s_waitcnt lgkmcnt(0)
	s_add_u32 s12, s12, s3
	v_mov_b32_e32 v3, 0
	s_addc_u32 s13, s13, s14
	s_mul_i32 s14, s21, 0x60
	v_lshl_add_u64 v[4:5], s[12:13], 0, v[2:3]
	s_lshl_b64 s[12:13], s[22:23], 2
	s_sub_i32 s3, s26, s21
	v_lshl_add_u32 v1, v0, 2, s14
.LBB26_7:                               ; =>This Inner Loop Header: Depth=1
	flat_load_dword v3, v[4:5]
	s_add_i32 s3, s3, -1
	v_lshl_add_u64 v[4:5], v[4:5], 0, s[12:13]
	s_cmp_eq_u32 s3, 0
	s_waitcnt vmcnt(0) lgkmcnt(0)
	ds_write_b32 v1, v3
	v_add_u32_e32 v1, 0x60, v1
	s_cbranch_scc0 .LBB26_7
.LBB26_8:
	v_mul_u32_u24_e32 v1, 0x60, v0
	s_cmpk_lg_i32 s5, 0x84
	v_mov_b32_e32 v3, 1.0
	v_add_u32_e32 v1, v2, v1
	s_cbranch_scc0 .LBB26_10
; %bb.9:
	ds_read_b32 v2, v1
	s_waitcnt lgkmcnt(0)
	v_div_scale_f32 v3, s[12:13], v2, v2, 1.0
	v_rcp_f32_e32 v4, v3
	v_div_scale_f32 v5, vcc, 1.0, v2, 1.0
	v_fma_f32 v6, -v3, v4, 1.0
	v_fmac_f32_e32 v4, v6, v4
	v_mul_f32_e32 v6, v5, v4
	v_fma_f32 v7, -v3, v6, v5
	v_fmac_f32_e32 v6, v7, v4
	v_fma_f32 v3, -v3, v6, v5
	v_div_fmas_f32 v3, v3, v4, v6
	v_div_fixup_f32 v3, v3, v2, 1.0
.LBB26_10:
	ds_write_b32 v1, v3
.LBB26_11:
	s_or_b64 exec, exec, s[18:19]
	s_load_dword s3, s[0:1], 0x60
	s_load_dword s22, s[0:1], 0x48
	s_lshl_b64 s[10:11], s[10:11], 2
	s_mul_i32 s0, s2, 0xffffffe8
	s_waitcnt lgkmcnt(0)
	s_ashr_i32 s23, s22, 31
	s_add_u32 s5, s8, s10
	s_addc_u32 s13, s9, s11
	s_add_i32 s3, s3, -1
	s_add_i32 s0, s7, s0
	s_cmp_ge_u32 s2, s3
	s_mul_i32 s2, s2, 24
	s_cselect_b32 s7, s0, 24
	s_mul_hi_i32 s1, s22, s2
	s_mul_i32 s0, s22, s2
	s_ashr_i32 s3, s2, 31
	s_lshl_b64 s[0:1], s[0:1], 2
	s_add_u32 s12, s5, s0
	s_addc_u32 s13, s13, s1
	s_cmp_gt_i32 s6, 0
	v_cmp_gt_i32_e64 s[0:1], s7, v0
	s_cselect_b64 s[14:15], -1, 0
	s_mov_b32 s5, 0
	s_and_b64 s[20:21], s[0:1], s[14:15]
	s_and_saveexec_b64 s[18:19], s[20:21]
	s_cbranch_execz .LBB26_19
; %bb.12:
	s_cmp_lt_i32 s6, 2
	s_mov_b64 s[20:21], -1
	s_cbranch_scc1 .LBB26_16
; %bb.13:
	v_mad_i64_i32 v[2:3], s[20:21], s22, v0, 0
	v_mov_b32_e32 v1, 0x900
	s_and_b32 s5, s26, 30
	v_lshl_add_u64 v[2:3], v[2:3], 2, s[12:13]
	v_lshl_or_b32 v1, v0, 2, v1
	s_mov_b32 s17, s16
	s_mov_b32 s7, 1
	;; [unrolled: 1-line block ×4, first 2 shown]
.LBB26_14:                              ; =>This Inner Loop Header: Depth=1
	flat_load_dwordx2 v[4:5], v[2:3]
	s_mul_i32 s24, s7, 0x60
	s_mul_i32 s25, s20, 0x60
	s_add_i32 s20, s20, 2
	s_add_i32 s7, s7, 2
	s_add_i32 s21, s21, -2
	v_lshl_add_u64 v[2:3], v[2:3], 0, 8
	v_add_u32_e32 v6, s25, v1
	s_cmp_lg_u32 s21, 0
	v_add_u32_e32 v7, s24, v1
	s_waitcnt vmcnt(0) lgkmcnt(0)
	v_pk_mul_f32 v[4:5], s[16:17], v[4:5]
	ds_write_b32 v6, v4
	ds_write_b32 v7, v5
	s_cbranch_scc1 .LBB26_14
; %bb.15:
	s_cmp_lg_u32 s26, s5
	s_cselect_b64 s[20:21], -1, 0
.LBB26_16:
	s_and_b64 vcc, exec, s[20:21]
	s_cbranch_vccz .LBB26_19
; %bb.17:
	s_sub_i32 s7, s26, s5
	s_lshl_b32 s17, s5, 2
	s_add_u32 s17, s8, s17
	s_addc_u32 s21, s9, 0
	s_add_u32 s20, s17, s10
	v_lshlrev_b32_e32 v2, 2, v0
	v_mov_b32_e32 v3, 0
	s_addc_u32 s21, s21, s11
	v_lshl_add_u64 v[4:5], s[2:3], 2, v[2:3]
	v_mov_b64_e32 v[2:3], s[20:21]
	v_mad_u64_u32 v[2:3], s[20:21], v4, s22, v[2:3]
	v_mul_lo_u32 v1, v4, s23
	v_mul_lo_u32 v4, v5, s22
	s_mulk_i32 s5, 0x60
	v_add3_u32 v3, v4, v3, v1
	v_lshl_add_u32 v1, v0, 2, s5
	v_add_u32_e32 v1, 0x900, v1
.LBB26_18:                              ; =>This Inner Loop Header: Depth=1
	flat_load_dword v4, v[2:3]
	s_add_i32 s7, s7, -1
	v_lshl_add_u64 v[2:3], v[2:3], 0, 4
	s_cmp_lg_u32 s7, 0
	s_waitcnt vmcnt(0) lgkmcnt(0)
	v_mul_f32_e32 v4, s16, v4
	ds_write_b32 v1, v4
	v_add_u32_e32 v1, 0x60, v1
	s_cbranch_scc1 .LBB26_18
.LBB26_19:
	s_or_b64 exec, exec, s[18:19]
	v_mov_b32_e32 v1, 0x900
	s_cmpk_eq_i32 s4, 0x6f
	v_lshl_or_b32 v1, v0, 2, v1
	s_mov_b64 s[4:5], -1
	s_waitcnt lgkmcnt(0)
	; wave barrier
	s_cbranch_scc1 .LBB26_34
; %bb.20:
	s_cmp_gt_i32 s6, 23
	s_cselect_b64 s[4:5], -1, 0
	s_mov_b32 s7, 0
	s_and_b64 vcc, exec, s[4:5]
	s_cbranch_vccz .LBB26_22
; %bb.21:
	v_add_u32_e32 v64, 0x200, v1
	ds_read2_b32 v[42:43], v1 offset1:24
	ds_read2_b32 v[14:15], v1 offset0:48 offset1:72
	ds_read2_b32 v[26:27], v1 offset0:96 offset1:120
	;; [unrolled: 1-line block ×5, first 2 shown]
	v_add_u32_e32 v62, 0x400, v1
	v_add_u32_e32 v25, 0x800, v1
	v_mov_b32_e32 v63, 0
	ds_read2_b32 v[20:21], v62 offset0:32 offset1:56
	ds_read2_b32 v[52:53], v62 offset0:80 offset1:104
	;; [unrolled: 1-line block ×6, first 2 shown]
	ds_read_b128 v[2:5], v63 offset:288
	ds_read_b32 v13, v63
	ds_read_b64 v[84:85], v63 offset:96
	ds_read_b96 v[28:30], v63 offset:192
	ds_read_b128 v[16:19], v63 offset:384
	ds_read_b96 v[10:12], v63 offset:480
	ds_read2_b32 v[50:51], v63 offset0:100 offset1:125
	ds_read_b96 v[58:60], v63 offset:672
	ds_read2_b32 v[56:57], v63 offset0:123 offset1:124
	ds_read2_b32 v[54:55], v63 offset0:171 offset1:172
	ds_read_b96 v[66:68], v63 offset:864
	ds_read_b96 v[22:24], v63 offset:992
	;; [unrolled: 1-line block ×3, first 2 shown]
	ds_read2_b32 v[32:33], v63 offset0:175 offset1:200
	ds_read_b128 v[6:9], v63 offset:784
	s_waitcnt lgkmcnt(13)
	v_mul_f32_e32 v42, v42, v13
	ds_read_b128 v[70:73], v63 offset:960
	ds_read_b128 v[74:77], v63 offset:576
	v_mov_b32_e32 v46, v3
	s_waitcnt lgkmcnt(14)
	v_fma_f32 v3, -v42, v84, v43
	s_waitcnt lgkmcnt(6)
	v_mov_b32_e32 v90, v67
	s_waitcnt lgkmcnt(4)
	v_mov_b32_e32 v92, v79
	v_mov_b32_e32 v93, v80
	v_fma_f32 v67, -v42, v78, v83
	v_mul_f32_e32 v43, v3, v85
	ds_read_b128 v[78:81], v63 offset:768
	v_pk_mul_f32 v[16:17], v[42:43], v[16:17]
	v_pk_mul_f32 v[28:29], v[42:43], v[28:29]
	v_sub_f32_e32 v16, v26, v16
	v_mov_b32_e32 v89, v60
	s_waitcnt lgkmcnt(2)
	v_pk_mul_f32 v[60:61], v[42:43], v[70:71]
	v_sub_f32_e32 v14, v14, v28
	v_sub_f32_e32 v71, v16, v17
	s_waitcnt lgkmcnt(1)
	v_pk_mul_f32 v[16:17], v[42:43], v[74:75]
	v_sub_f32_e32 v3, v82, v60
	v_sub_f32_e32 v14, v14, v29
	;; [unrolled: 1-line block ×3, first 2 shown]
	v_mov_b32_e32 v47, v4
	v_mov_b32_e32 v88, v59
	v_fma_f32 v65, -v42, v58, v45
	v_sub_f32_e32 v94, v16, v17
	ds_read2_b32 v[58:59], v63 offset0:173 offset1:174
	s_waitcnt lgkmcnt(1)
	v_pk_mul_f32 v[16:17], v[42:43], v[78:79]
	v_sub_f32_e32 v79, v3, v61
	v_mul_f32_e32 v45, v14, v30
	v_mov_b32_e32 v3, 0x4ec
	v_mov_b32_e32 v44, v43
	v_fma_f32 v4, -v42, v10, v27
	ds_read_b96 v[26:28], v63 offset:592
	ds_read2_b32 v[30:31], v3 offset1:1
	v_fma_f32 v14, -v42, v2, v15
	v_pk_mul_f32 v[2:3], v[44:45], v[46:47]
	v_mov_b32_e32 v86, v11
	v_mov_b32_e32 v87, v12
	v_sub_f32_e32 v16, v38, v16
	v_sub_f32_e32 v2, v14, v2
	;; [unrolled: 1-line block ×4, first 2 shown]
	v_pk_mul_f32 v[2:3], v[44:45], v[86:87]
	v_mov_b32_e32 v91, v68
	v_sub_f32_e32 v2, v4, v2
	v_sub_f32_e32 v70, v2, v3
	v_pk_mul_f32 v[2:3], v[44:45], v[88:89]
	s_movk_i32 s7, 0x200
	v_sub_f32_e32 v2, v65, v2
	v_fma_f32 v66, -v42, v66, v39
	ds_read_b128 v[10:13], v63 offset:976
	ds_read_b96 v[14:16], v63 offset:1248
	v_sub_f32_e32 v69, v2, v3
	v_pk_mul_f32 v[2:3], v[44:45], v[90:91]
	v_add_u32_e64 v29, s7, 0
	v_sub_f32_e32 v2, v66, v2
	ds_read2_b32 v[38:39], v29 offset0:97 offset1:147
	v_sub_f32_e32 v68, v2, v3
	v_mul_f32_e32 v47, v17, v5
	ds_read_b128 v[82:85], v63 offset:1152
	ds_read_b128 v[2:5], v63 offset:1184
	s_waitcnt lgkmcnt(3)
	v_fma_f32 v14, -v42, v14, v21
	v_mov_b32_e32 v46, v45
	v_fma_f32 v17, -v43, v15, v14
	v_pk_mul_f32 v[14:15], v[44:45], v[92:93]
	s_waitcnt lgkmcnt(1)
	v_fma_f32 v20, -v42, v82, v20
	v_pk_mul_f32 v[18:19], v[46:47], v[18:19]
	v_sub_f32_e32 v14, v67, v14
	v_fma_f32 v82, -v43, v83, v20
	v_pk_mul_f32 v[66:67], v[46:47], v[72:73]
	v_pk_mul_f32 v[20:21], v[46:47], v[80:81]
	;; [unrolled: 1-line block ×3, first 2 shown]
	v_sub_f32_e32 v18, v71, v18
	v_sub_f32_e32 v71, v18, v19
	;; [unrolled: 1-line block ×5, first 2 shown]
	v_fma_f32 v44, -v45, v16, v17
	ds_read_b128 v[14:17], v63 offset:1168
	v_pk_mul_f32 v[74:75], v[46:47], v[84:85]
	v_sub_f32_e32 v65, v19, v73
	v_sub_f32_e32 v46, v18, v21
	ds_read_b128 v[18:21], v63 offset:1344
	v_sub_f32_e32 v66, v79, v66
	v_sub_f32_e32 v66, v66, v67
	v_sub_f32_e32 v67, v82, v74
	v_sub_f32_e32 v67, v67, v75
	s_waitcnt lgkmcnt(0)
	v_fma_f32 v18, -v42, v18, v52
	ds_read_b128 v[72:75], v63 offset:1360
	ds_read_b128 v[76:79], v63 offset:1440
	v_fma_f32 v18, -v43, v19, v18
	v_fma_f32 v18, -v45, v20, v18
	v_fma_f32 v83, -v47, v21, v18
	v_mul_f32_e32 v19, v71, v50
	v_mov_b32_e32 v18, v47
	v_pk_mul_f32 v[20:21], v[18:19], v[56:57]
	ds_read2_b32 v[56:57], v63 offset0:219 offset1:220
	ds_read_b96 v[80:82], v63 offset:1456
	v_sub_f32_e32 v20, v70, v20
	v_sub_f32_e32 v50, v20, v21
	s_waitcnt lgkmcnt(2)
	v_fma_f32 v20, -v42, v76, v53
	v_fma_f32 v20, -v43, v77, v20
	;; [unrolled: 1-line block ×4, first 2 shown]
	v_pk_mul_f32 v[20:21], v[18:19], v[54:55]
	s_waitcnt lgkmcnt(0)
	v_fma_f32 v91, -v19, v80, v52
	v_sub_f32_e32 v20, v69, v20
	v_sub_f32_e32 v90, v20, v21
	ds_read_b128 v[52:55], v63 offset:1536
	ds_read2_b32 v[20:21], v63 offset0:223 offset1:224
	ds_read2_b32 v[86:87], v63 offset0:221 offset1:222
	v_mov_b32_e32 v70, 0x42c
	ds_read2_b32 v[88:89], v70 offset1:1
	ds_read_b128 v[76:79], v63 offset:1552
	s_waitcnt lgkmcnt(4)
	v_fma_f32 v48, -v42, v52, v48
	v_pk_mul_f32 v[56:57], v[18:19], v[56:57]
	v_fma_f32 v48, -v43, v53, v48
	v_mul_f32_e32 v51, v50, v51
	v_mov_b32_e32 v50, v19
	v_sub_f32_e32 v56, v68, v56
	ds_read_b128 v[68:71], v63 offset:1632
	v_fma_f32 v48, -v45, v54, v48
	v_pk_mul_f32 v[30:31], v[18:19], v[30:31]
	v_pk_mul_f32 v[6:7], v[50:51], v[6:7]
	v_fma_f32 v93, -v47, v55, v48
	s_waitcnt lgkmcnt(2)
	v_pk_mul_f32 v[54:55], v[18:19], v[88:89]
	v_sub_f32_e32 v18, v44, v30
	v_sub_f32_e32 v6, v46, v6
	;; [unrolled: 1-line block ×4, first 2 shown]
	v_pk_mul_f32 v[6:7], v[50:51], v[10:11]
	v_mov_b32_e32 v84, v81
	v_sub_f32_e32 v6, v66, v6
	v_sub_f32_e32 v44, v6, v7
	v_pk_mul_f32 v[6:7], v[50:51], v[14:15]
	v_mov_b32_e32 v85, v82
	ds_read_b96 v[80:82], v63 offset:1648
	s_waitcnt lgkmcnt(1)
	v_fma_f32 v48, -v42, v68, v49
	v_sub_f32_e32 v6, v67, v6
	v_fma_f32 v48, -v43, v69, v48
	v_sub_f32_e32 v46, v6, v7
	v_pk_mul_f32 v[6:7], v[50:51], v[72:73]
	v_fma_f32 v48, -v45, v70, v48
	v_sub_f32_e32 v6, v83, v6
	v_mov_b32_e32 v29, 0x4f4
	v_mov_b32_e32 v60, 0x4fc
	v_fma_f32 v69, -v47, v71, v48
	v_mov_b32_e32 v48, 0x50c
	v_mov_b32_e32 v52, 0x5bc
	;; [unrolled: 1-line block ×3, first 2 shown]
	v_sub_f32_e32 v54, v61, v54
	v_mov_b32_e32 v30, 0x43c
	v_pk_mul_f32 v[26:27], v[50:51], v[26:27]
	v_sub_f32_e32 v50, v6, v7
	v_mov_b32_e32 v6, 0x434
	v_sub_f32_e32 v92, v56, v57
	ds_read2_b32 v[48:49], v48 offset1:1
	ds_read2_b32 v[56:57], v52 offset1:1
	;; [unrolled: 1-line block ×3, first 2 shown]
	v_sub_f32_e32 v70, v54, v55
	ds_read2_b32 v[54:55], v29 offset1:1
	ds_read2_b32 v[60:61], v60 offset1:1
	ds_read_b32 v68, v63 offset:2300
	ds_read2_b32 v[14:15], v30 offset1:1
	ds_read2_b32 v[6:7], v6 offset1:1
	v_sub_f32_e32 v26, v65, v26
	v_sub_f32_e32 v26, v26, v27
	v_mul_f32_e32 v29, v26, v28
	v_mov_b32_e32 v28, v51
	s_waitcnt lgkmcnt(0)
	v_pk_mul_f32 v[6:7], v[28:29], v[6:7]
	v_pk_mul_f32 v[10:11], v[28:29], v[58:59]
	v_sub_f32_e32 v6, v70, v6
	v_sub_f32_e32 v10, v90, v10
	;; [unrolled: 1-line block ×3, first 2 shown]
	v_pk_mul_f32 v[6:7], v[28:29], v[54:55]
	v_sub_f32_e32 v26, v10, v11
	v_pk_mul_f32 v[10:11], v[28:29], v[86:87]
	v_sub_f32_e32 v6, v18, v6
	v_sub_f32_e32 v10, v92, v10
	;; [unrolled: 1-line block ×3, first 2 shown]
	v_pk_mul_f32 v[6:7], v[28:29], v[84:85]
	v_mul_f32_e32 v55, v26, v32
	v_mov_b32_e32 v54, v29
	v_sub_f32_e32 v58, v10, v11
	v_sub_f32_e32 v6, v91, v6
	v_pk_mul_f32 v[10:11], v[54:55], v[8:9]
	v_sub_f32_e32 v83, v6, v7
	v_fma_f32 v6, -v19, v80, v69
	v_pk_mul_f32 v[12:13], v[54:55], v[12:13]
	v_sub_f32_e32 v10, v31, v10
	v_fma_f32 v6, -v51, v81, v6
	v_sub_f32_e32 v81, v10, v11
	v_sub_f32_e32 v10, v44, v12
	v_fma_f32 v69, -v29, v82, v6
	v_pk_mul_f32 v[16:17], v[54:55], v[16:17]
	v_sub_f32_e32 v82, v10, v13
	v_fma_f32 v10, -v19, v76, v93
	v_fma_f32 v18, -v51, v77, v10
	v_sub_f32_e32 v10, v46, v16
	v_sub_f32_e32 v84, v10, v17
	v_pk_mul_f32 v[10:11], v[54:55], v[74:75]
	ds_write2_b32 v1, v42, v43 offset1:24
	ds_write2_b32 v1, v45, v47 offset0:48 offset1:72
	v_sub_f32_e32 v10, v50, v10
	ds_read_b128 v[6:9], v63 offset:1376
	ds_read_b96 v[26:28], v63 offset:1392
	v_sub_f32_e32 v50, v10, v11
	ds_read_b128 v[10:13], v63 offset:1728
	ds_read_b128 v[70:73], v63 offset:1744
	v_pk_mul_f32 v[16:17], v[54:55], v[78:79]
	ds_write2_b32 v1, v19, v51 offset0:96 offset1:120
	v_sub_f32_e32 v16, v18, v16
	s_waitcnt lgkmcnt(2)
	v_fma_f32 v10, -v42, v10, v40
	v_fma_f32 v10, -v43, v11, v10
	;; [unrolled: 1-line block ×3, first 2 shown]
	v_sub_f32_e32 v54, v16, v17
	v_fma_f32 v16, -v47, v13, v10
	ds_read_b128 v[10:13], v63 offset:1824
	s_waitcnt lgkmcnt(2)
	v_fma_f32 v16, -v19, v70, v16
	v_fma_f32 v16, -v51, v71, v16
	ds_write2_b32 v1, v29, v55 offset0:144 offset1:168
	v_fma_f32 v16, -v29, v72, v16
	v_fma_f32 v89, -v55, v73, v16
	ds_read_b128 v[70:73], v63 offset:1840
	ds_read_b96 v[30:32], v63 offset:1792
	s_waitcnt lgkmcnt(3)
	v_fma_f32 v10, -v42, v10, v41
	v_fma_f32 v10, -v43, v11, v10
	;; [unrolled: 1-line block ×4, first 2 shown]
	ds_read_b96 v[16:18], v63 offset:1856
	s_waitcnt lgkmcnt(2)
	v_fma_f32 v40, -v19, v70, v10
	ds_read_b128 v[10:13], v63 offset:1920
	v_fma_f32 v40, -v51, v71, v40
	v_fma_f32 v40, -v29, v72, v40
	;; [unrolled: 1-line block ×3, first 2 shown]
	ds_read_b128 v[70:73], v63 offset:1936
	ds_read_b128 v[74:77], v63 offset:2016
	s_waitcnt lgkmcnt(2)
	v_fma_f32 v10, -v42, v10, v36
	v_fma_f32 v10, -v43, v11, v10
	v_fma_f32 v10, -v45, v12, v10
	v_fma_f32 v10, -v47, v13, v10
	s_waitcnt lgkmcnt(1)
	v_fma_f32 v10, -v19, v70, v10
	v_fma_f32 v10, -v51, v71, v10
	;; [unrolled: 1-line block ×3, first 2 shown]
	s_waitcnt lgkmcnt(0)
	v_fma_f32 v36, -v42, v74, v37
	v_fma_f32 v86, -v55, v73, v10
	ds_read_b128 v[70:73], v63 offset:2032
	ds_read_b128 v[10:13], v63 offset:1984
	v_fma_f32 v36, -v43, v75, v36
	v_fma_f32 v36, -v45, v76, v36
	;; [unrolled: 1-line block ×3, first 2 shown]
	ds_read_b96 v[78:80], v63 offset:2048
	ds_read_b128 v[74:77], v63 offset:2112
	s_waitcnt lgkmcnt(3)
	v_fma_f32 v36, -v19, v70, v36
	v_fma_f32 v36, -v51, v71, v36
	v_fma_f32 v36, -v29, v72, v36
	v_fma_f32 v87, -v55, v73, v36
	ds_read_b128 v[70:73], v63 offset:2128
	s_waitcnt lgkmcnt(1)
	v_fma_f32 v34, -v42, v74, v34
	v_fma_f32 v34, -v43, v75, v34
	v_fma_f32 v34, -v45, v76, v34
	v_fma_f32 v34, -v47, v77, v34
	ds_read_b128 v[74:77], v63 offset:2208
	s_waitcnt lgkmcnt(1)
	v_fma_f32 v34, -v19, v70, v34
	v_fma_f32 v34, -v51, v71, v34
	v_fma_f32 v34, -v29, v72, v34
	v_fma_f32 v88, -v55, v73, v34
	s_waitcnt lgkmcnt(0)
	v_fma_f32 v34, -v42, v74, v35
	v_mov_b32_e32 v44, 0x67c
	v_fma_f32 v34, -v43, v75, v34
	v_mul_f32_e32 v75, v81, v33
	v_mov_b32_e32 v74, v55
	ds_read2_b32 v[36:37], v44 offset1:1
	ds_read_b128 v[70:73], v63 offset:2224
	v_pk_mul_f32 v[14:15], v[74:75], v[14:15]
	v_fma_f32 v34, -v45, v76, v34
	v_sub_f32_e32 v14, v59, v14
	v_sub_f32_e32 v92, v14, v15
	v_pk_mul_f32 v[14:15], v[74:75], v[60:61]
	v_fma_f32 v34, -v47, v77, v34
	v_sub_f32_e32 v14, v65, v14
	v_sub_f32_e32 v65, v14, v15
	v_pk_mul_f32 v[14:15], v[74:75], v[56:57]
	v_mov_b32_e32 v67, v18
	s_waitcnt lgkmcnt(0)
	v_fma_f32 v70, -v19, v70, v34
	v_pk_mul_f32 v[18:19], v[74:75], v[20:21]
	v_sub_f32_e32 v14, v83, v14
	v_mov_b32_e32 v66, v17
	v_sub_f32_e32 v17, v58, v18
	v_sub_f32_e32 v93, v14, v15
	v_mov_b32_e32 v14, 0x5cc
	v_mov_b32_e32 v15, 0x684
	ds_read_b128 v[40:43], v63 offset:1952
	v_sub_f32_e32 v33, v17, v19
	v_mov_b32_e32 v17, 0x8dc
	ds_read2_b32 v[60:61], v14 offset1:1
	ds_read2_b32 v[90:91], v15 offset1:1
	;; [unrolled: 1-line block ×3, first 2 shown]
	v_pk_mul_f32 v[14:15], v[74:75], v[36:37]
	ds_read_b128 v[44:47], v63 offset:2144
	v_sub_f32_e32 v14, v69, v14
	v_sub_f32_e32 v69, v14, v15
	v_fma_f32 v94, -v75, v16, v85
	ds_read_b128 v[14:17], v63 offset:1968
	ds_read_b128 v[56:59], v63 offset:2240
	;; [unrolled: 1-line block ×3, first 2 shown]
	v_fma_f32 v36, -v51, v71, v70
	v_fma_f32 v29, -v29, v72, v36
	;; [unrolled: 1-line block ×3, first 2 shown]
	ds_read_b128 v[70:73], v63 offset:1568
	v_mul_f32_e32 v37, v33, v38
	v_mov_b32_e32 v36, v75
	v_pk_mul_f32 v[2:3], v[36:37], v[2:3]
	s_waitcnt lgkmcnt(8)
	v_fma_f32 v40, -v75, v40, v86
	v_fma_f32 v78, -v75, v78, v87
	s_waitcnt lgkmcnt(4)
	v_fma_f32 v44, -v75, v44, v88
	s_waitcnt lgkmcnt(2)
	v_fma_f32 v29, -v75, v56, v29
	ds_write2_b32 v1, v75, v37 offset0:192 offset1:216
	v_pk_mul_f32 v[22:23], v[36:37], v[22:23]
	v_sub_f32_e32 v2, v84, v2
	ds_read_b128 v[74:77], v63 offset:1760
	v_sub_f32_e32 v22, v82, v22
	v_sub_f32_e32 v33, v2, v3
	v_pk_mul_f32 v[2:3], v[36:37], v[6:7]
	v_sub_f32_e32 v22, v22, v23
	v_sub_f32_e32 v2, v50, v2
	;; [unrolled: 1-line block ×3, first 2 shown]
	v_mul_f32_e32 v3, v22, v24
	v_fma_f32 v2, -v37, v79, v78
	s_waitcnt lgkmcnt(2)
	v_pk_mul_f32 v[6:7], v[36:37], v[70:71]
	v_fma_f32 v96, -v3, v80, v2
	v_sub_f32_e32 v2, v54, v6
	v_sub_f32_e32 v70, v2, v7
	s_waitcnt lgkmcnt(0)
	v_pk_mul_f32 v[6:7], v[36:37], v[74:75]
	ds_read_b128 v[78:81], v63 offset:1584
	v_sub_f32_e32 v2, v89, v6
	v_mov_b32_e32 v6, 0x444
	v_sub_f32_e32 v71, v2, v7
	ds_read2_b32 v[6:7], v6 offset1:1
	v_mov_b32_e32 v2, v37
	ds_read_b128 v[82:85], v63 offset:1776
	s_movk_i32 s7, 0x400
	v_fma_f32 v74, -v37, v41, v40
	s_waitcnt lgkmcnt(1)
	v_pk_mul_f32 v[6:7], v[2:3], v[6:7]
	v_add_u32_e64 v40, s7, 0
	v_sub_f32_e32 v6, v92, v6
	v_sub_f32_e32 v38, v6, v7
	v_mov_b32_e32 v6, 0x504
	ds_read2_b32 v[6:7], v6 offset1:1
	v_pk_mul_f32 v[22:23], v[2:3], v[66:67]
	ds_read_b96 v[86:88], v63 offset:2256
	s_movk_i32 s7, 0x600
	v_fma_f32 v24, -v37, v45, v44
	s_waitcnt lgkmcnt(1)
	v_pk_mul_f32 v[6:7], v[2:3], v[6:7]
	v_fma_f32 v29, -v37, v57, v29
	v_sub_f32_e32 v6, v65, v6
	v_sub_f32_e32 v75, v6, v7
	v_pk_mul_f32 v[6:7], v[2:3], v[52:53]
	v_mul_f32_e32 v39, v38, v39
	v_sub_f32_e32 v6, v93, v6
	v_sub_f32_e32 v89, v6, v7
	v_pk_mul_f32 v[6:7], v[2:3], v[90:91]
	v_sub_f32_e32 v2, v94, v22
	v_sub_f32_e32 v6, v69, v6
	;; [unrolled: 1-line block ×3, first 2 shown]
	ds_read2_b32 v[6:7], v40 offset0:44 offset1:69
	v_sub_f32_e32 v90, v2, v23
	v_add_u32_e64 v2, s7, 0
	v_mov_b32_e32 v38, v3
	ds_read2_b32 v[36:37], v40 offset0:119 offset1:144
	ds_read2_b32 v[40:41], v40 offset0:169 offset1:219
	ds_read2_b32 v[44:45], v2 offset0:116 offset1:141
	ds_write2_b32 v64, v3, v39 offset0:112 offset1:136
	v_fma_f32 v22, -v3, v46, v24
	v_fma_f32 v29, -v3, v58, v29
	v_pk_mul_f32 v[2:3], v[38:39], v[4:5]
	v_pk_mul_f32 v[8:9], v[38:39], v[8:9]
	v_sub_f32_e32 v2, v33, v2
	v_sub_f32_e32 v33, v2, v3
	s_waitcnt lgkmcnt(5)
	v_mov_b32_e32 v50, v87
	v_fma_f32 v87, -v39, v47, v22
	v_fma_f32 v29, -v39, v59, v29
	s_waitcnt lgkmcnt(4)
	v_mul_f32_e32 v47, v33, v6
	v_pk_mul_f32 v[54:55], v[38:39], v[72:73]
	v_sub_f32_e32 v8, v95, v8
	v_fma_f32 v33, -v47, v86, v29
	v_pk_mul_f32 v[52:53], v[38:39], v[76:77]
	v_sub_f32_e32 v29, v8, v9
	v_sub_f32_e32 v8, v70, v54
	v_pk_mul_f32 v[42:43], v[38:39], v[42:43]
	v_mov_b32_e32 v46, 0x8e4
	v_mov_b32_e32 v58, 0x8ec
	;; [unrolled: 1-line block ×3, first 2 shown]
	ds_read_b96 v[22:24], v63 offset:2192
	ds_read_b128 v[2:5], v63 offset:2176
	v_mov_b32_e32 v6, 0x764
	v_sub_f32_e32 v63, v8, v55
	v_sub_f32_e32 v8, v71, v52
	ds_read2_b32 v[56:57], v46 offset1:1
	ds_read2_b32 v[58:59], v58 offset1:1
	;; [unrolled: 1-line block ×4, first 2 shown]
	v_mov_b32_e32 v6, 0x824
	v_mov_b32_e32 v46, 0x75c
	;; [unrolled: 1-line block ×3, first 2 shown]
	v_sub_f32_e32 v76, v8, v53
	v_sub_f32_e32 v8, v74, v42
	v_mov_b32_e32 v38, 0x69c
	v_sub_f32_e32 v77, v8, v43
	ds_read2_b32 v[8:9], v6 offset1:1
	ds_read2_b32 v[42:43], v38 offset1:1
	;; [unrolled: 1-line block ×4, first 2 shown]
	v_mov_b32_e32 v46, v39
	v_pk_mul_f32 v[38:39], v[46:47], v[48:49]
	v_mov_b32_e32 v70, 0x68c
	v_sub_f32_e32 v38, v75, v38
	v_sub_f32_e32 v86, v38, v39
	ds_read2_b32 v[38:39], v70 offset1:1
	v_pk_mul_f32 v[48:49], v[46:47], v[60:61]
	v_mov_b32_e32 v6, 0x5d4
	v_mov_b32_e32 v71, 0x694
	;; [unrolled: 1-line block ×3, first 2 shown]
	v_sub_f32_e32 v48, v89, v48
	s_waitcnt lgkmcnt(0)
	v_pk_mul_f32 v[38:39], v[46:47], v[38:39]
	v_mov_b32_e32 v51, v88
	v_sub_f32_e32 v88, v48, v49
	ds_read2_b32 v[48:49], v72 offset1:1
	ds_read2_b32 v[60:61], v71 offset1:1
	ds_read2_b32 v[70:71], v6 offset1:1
	v_sub_f32_e32 v6, v69, v38
	v_sub_f32_e32 v69, v6, v39
	v_mov_b32_e32 v6, 0x80c
	ds_read2_b32 v[38:39], v6 offset1:1
	s_waitcnt lgkmcnt(3)
	v_pk_mul_f32 v[48:49], v[46:47], v[48:49]
	v_mov_b32_e32 v72, 0x8f4
	v_sub_f32_e32 v6, v90, v48
	v_sub_f32_e32 v89, v6, v49
	v_mov_b32_e32 v6, 0x754
	v_mov_b32_e32 v48, 0x814
	s_waitcnt lgkmcnt(0)
	v_pk_mul_f32 v[38:39], v[46:47], v[38:39]
	ds_read2_b32 v[48:49], v48 offset1:1
	ds_read2_b32 v[72:73], v72 offset1:1
	;; [unrolled: 1-line block ×3, first 2 shown]
	v_sub_f32_e32 v6, v96, v38
	v_sub_f32_e32 v46, v6, v39
	v_mul_f32_e32 v7, v86, v7
	v_mov_b32_e32 v6, v47
	v_pk_mul_f32 v[26:27], v[6:7], v[26:27]
	ds_write2_b32 v62, v47, v7 offset0:32 offset1:56
	v_sub_f32_e32 v26, v29, v26
	v_sub_f32_e32 v26, v26, v27
	v_mul_f32_e32 v27, v26, v28
	v_pk_mul_f32 v[28:29], v[6:7], v[78:79]
	v_pk_mul_f32 v[18:19], v[6:7], v[18:19]
	v_sub_f32_e32 v26, v63, v28
	v_sub_f32_e32 v47, v26, v29
	v_pk_mul_f32 v[28:29], v[6:7], v[82:83]
	v_sub_f32_e32 v18, v87, v18
	v_sub_f32_e32 v26, v76, v28
	;; [unrolled: 1-line block ×3, first 2 shown]
	v_mov_b32_e32 v26, v7
	v_pk_mul_f32 v[6:7], v[6:7], v[14:15]
	v_pk_mul_f32 v[14:15], v[26:27], v[70:71]
	v_sub_f32_e32 v6, v77, v6
	v_sub_f32_e32 v14, v88, v14
	v_pk_mul_f32 v[28:29], v[26:27], v[60:61]
	s_waitcnt lgkmcnt(1)
	v_pk_mul_f32 v[38:39], v[26:27], v[74:75]
	v_sub_f32_e32 v60, v6, v7
	v_pk_mul_f32 v[6:7], v[26:27], v[48:49]
	v_sub_f32_e32 v14, v14, v15
	v_sub_f32_e32 v38, v89, v38
	;; [unrolled: 1-line block ×3, first 2 shown]
	v_mul_f32_e32 v15, v14, v36
	v_mov_b32_e32 v14, v27
	v_sub_f32_e32 v28, v69, v28
	v_sub_f32_e32 v46, v18, v19
	v_pk_mul_f32 v[18:19], v[14:15], v[80:81]
	v_sub_f32_e32 v38, v38, v39
	v_sub_f32_e32 v39, v6, v7
	v_pk_mul_f32 v[6:7], v[14:15], v[20:21]
	v_pk_mul_f32 v[20:21], v[26:27], v[50:51]
	v_sub_f32_e32 v18, v47, v18
	v_sub_f32_e32 v36, v28, v29
	v_pk_mul_f32 v[28:29], v[14:15], v[84:85]
	v_pk_mul_f32 v[16:17], v[14:15], v[16:17]
	v_sub_f32_e32 v14, v33, v20
	v_sub_f32_e32 v26, v14, v21
	;; [unrolled: 1-line block ×3, first 2 shown]
	v_mul_f32_e32 v19, v14, v37
	v_mov_b32_e32 v18, v15
	ds_write2_b32 v62, v27, v15 offset0:80 offset1:104
	v_pk_mul_f32 v[14:15], v[18:19], v[42:43]
	v_sub_f32_e32 v28, v63, v28
	v_sub_f32_e32 v16, v60, v16
	;; [unrolled: 1-line block ×5, first 2 shown]
	v_pk_mul_f32 v[20:21], v[18:19], v[52:53]
	v_sub_f32_e32 v28, v16, v17
	v_pk_mul_f32 v[16:17], v[18:19], v[54:55]
	v_sub_f32_e32 v29, v6, v7
	v_sub_f32_e32 v6, v14, v15
	;; [unrolled: 1-line block ×4, first 2 shown]
	v_mul_f32_e32 v7, v6, v40
	v_mov_b32_e32 v6, v19
	v_pk_mul_f32 v[14:15], v[6:7], v[30:31]
	v_sub_f32_e32 v20, v20, v21
	v_sub_f32_e32 v21, v16, v17
	v_pk_mul_f32 v[16:17], v[18:19], v[34:35]
	v_sub_f32_e32 v14, v27, v14
	v_pk_mul_f32 v[10:11], v[6:7], v[10:11]
	v_pk_mul_f32 v[2:3], v[6:7], v[2:3]
	v_sub_f32_e32 v6, v26, v16
	v_sub_f32_e32 v16, v6, v17
	;; [unrolled: 1-line block ×3, first 2 shown]
	v_mul_f32_e32 v15, v6, v32
	v_mov_b32_e32 v14, v7
	ds_write2_b32 v62, v19, v7 offset0:128 offset1:152
	v_pk_mul_f32 v[6:7], v[14:15], v[66:67]
	v_sub_f32_e32 v10, v28, v10
	v_sub_f32_e32 v2, v29, v2
	;; [unrolled: 1-line block ×6, first 2 shown]
	v_pk_mul_f32 v[8:9], v[14:15], v[8:9]
	v_mul_f32_e32 v3, v2, v41
	v_mov_b32_e32 v2, v15
	v_sub_f32_e32 v8, v21, v8
	v_pk_mul_f32 v[6:7], v[2:3], v[12:13]
	v_pk_mul_f32 v[4:5], v[2:3], v[4:5]
	v_sub_f32_e32 v6, v10, v6
	v_sub_f32_e32 v10, v8, v9
	v_pk_mul_f32 v[8:9], v[14:15], v[56:57]
	v_sub_f32_e32 v4, v11, v4
	v_sub_f32_e32 v2, v16, v8
	;; [unrolled: 1-line block ×4, first 2 shown]
	v_mul_f32_e32 v7, v2, v44
	v_mov_b32_e32 v6, v3
	ds_write2_b32 v62, v15, v3 offset0:176 offset1:200
	v_pk_mul_f32 v[2:3], v[6:7], v[64:65]
	v_sub_f32_e32 v8, v4, v5
	v_sub_f32_e32 v2, v10, v2
	;; [unrolled: 1-line block ×3, first 2 shown]
	v_mul_f32_e32 v3, v2, v45
	v_mov_b32_e32 v2, v7
	v_pk_mul_f32 v[4:5], v[2:3], v[22:23]
	ds_write2_b32 v62, v7, v3 offset0:224 offset1:248
	v_sub_f32_e32 v2, v8, v4
	v_pk_mul_f32 v[8:9], v[6:7], v[58:59]
	v_sub_f32_e32 v2, v2, v5
	v_sub_f32_e32 v4, v11, v8
	;; [unrolled: 1-line block ×3, first 2 shown]
	v_mul_f32_e32 v5, v2, v24
	v_mov_b32_e32 v4, v3
	v_pk_mul_f32 v[2:3], v[4:5], v[72:73]
	s_mov_b32 s7, 24
	v_sub_f32_e32 v2, v6, v2
	v_sub_f32_e32 v2, v2, v3
	v_mul_f32_e32 v2, v2, v68
	ds_write2_b32 v25, v5, v2 offset0:16 offset1:40
.LBB26_22:
	s_cmp_lt_i32 s7, s26
	s_cbranch_scc0 .LBB26_33
; %bb.23:
	s_add_i32 s16, s7, 19
	s_cmp_ge_u32 s16, s26
	s_cbranch_scc1 .LBB26_28
; %bb.24:
	s_mul_i32 s16, s7, 0x60
	v_add_u32_e32 v66, s16, v1
	v_add_u32_e32 v2, 0x200, v66
	ds_read2_b32 v[18:19], v66 offset1:24
	ds_read2_b32 v[22:23], v66 offset0:48 offset1:72
	ds_read2_b32 v[8:9], v66 offset0:96 offset1:120
	;; [unrolled: 1-line block ×5, first 2 shown]
	v_add_u32_e32 v2, 0x400, v66
	ds_read2_b32 v[42:43], v2 offset0:32 offset1:56
	ds_read2_b32 v[40:41], v2 offset0:80 offset1:104
	;; [unrolled: 1-line block ×4, first 2 shown]
	s_andn2_b64 vcc, exec, s[4:5]
	s_cbranch_vccnz .LBB26_27
; %bb.25:
	v_mov_b32_e32 v2, 0x900
	v_lshl_or_b32 v2, v0, 2, v2
	s_mov_b32 s4, s7
	s_mov_b32 s5, s16
.LBB26_26:                              ; =>This Inner Loop Header: Depth=1
	v_mov_b32_e32 v3, s5
	ds_read2_b32 v[4:5], v2 offset1:24
	ds_read_b128 v[70:73], v3
	ds_read_b128 v[10:13], v3 offset:96
	s_add_i32 s5, s5, 16
	s_add_i32 s4, s4, -4
	s_cmp_lg_u32 s4, 0
	s_waitcnt lgkmcnt(1)
	v_mov_b32_e32 v14, v70
	s_waitcnt lgkmcnt(0)
	v_mov_b32_e32 v15, v10
	v_pk_fma_f32 v[34:35], v[4:5], v[14:15], v[18:19] op_sel_hi:[0,1,1] neg_lo:[1,0,0] neg_hi:[1,0,0]
	ds_read_b128 v[74:77], v3 offset:192
	ds_read_b128 v[14:17], v3 offset:288
	v_mov_b32_e32 v10, v71
	s_waitcnt lgkmcnt(1)
	v_mov_b32_e32 v18, v74
	s_waitcnt lgkmcnt(0)
	v_mov_b32_e32 v19, v14
	v_pk_fma_f32 v[62:63], v[4:5], v[18:19], v[22:23] op_sel_hi:[0,1,1] neg_lo:[1,0,0] neg_hi:[1,0,0]
	ds_read_b128 v[78:81], v3 offset:384
	ds_read_b128 v[18:21], v3 offset:480
	v_mov_b32_e32 v14, v75
	;; [unrolled: 8-line block ×9, first 2 shown]
	s_waitcnt lgkmcnt(1)
	v_mov_b32_e32 v68, v106
	s_waitcnt lgkmcnt(0)
	v_mov_b32_e32 v69, v58
	v_pk_fma_f32 v[36:37], v[4:5], v[68:69], v[36:37] op_sel_hi:[0,1,1] neg_lo:[1,0,0] neg_hi:[1,0,0]
	v_mov_b32_e32 v4, v5
	v_mov_b32_e32 v58, v107
	v_pk_fma_f32 v[10:11], v[4:5], v[10:11], v[34:35] op_sel_hi:[0,1,1] neg_lo:[1,0,0] neg_hi:[1,0,0]
	v_pk_fma_f32 v[14:15], v[4:5], v[14:15], v[62:63] op_sel_hi:[0,1,1] neg_lo:[1,0,0] neg_hi:[1,0,0]
	;; [unrolled: 1-line block ×10, first 2 shown]
	ds_read2_b32 v[36:37], v2 offset0:48 offset1:72
	v_mov_b32_e32 v38, v72
	v_mov_b32_e32 v39, v12
	;; [unrolled: 1-line block ×3, first 2 shown]
	v_add_u32_e32 v2, 0x180, v2
	s_waitcnt lgkmcnt(0)
	v_pk_fma_f32 v[10:11], v[36:37], v[38:39], v[10:11] op_sel_hi:[0,1,1] neg_lo:[1,0,0] neg_hi:[1,0,0]
	v_mov_b32_e32 v38, v76
	v_mov_b32_e32 v39, v16
	v_pk_fma_f32 v[14:15], v[36:37], v[38:39], v[14:15] op_sel_hi:[0,1,1] neg_lo:[1,0,0] neg_hi:[1,0,0]
	v_mov_b32_e32 v38, v80
	v_mov_b32_e32 v39, v20
	;; [unrolled: 3-line block ×10, first 2 shown]
	v_mov_b32_e32 v20, v81
	v_mov_b32_e32 v24, v85
	;; [unrolled: 1-line block ×8, first 2 shown]
	v_pk_fma_f32 v[18:19], v[36:37], v[12:13], v[10:11] op_sel_hi:[0,1,1] neg_lo:[1,0,0] neg_hi:[1,0,0]
	v_pk_fma_f32 v[22:23], v[36:37], v[16:17], v[14:15] op_sel_hi:[0,1,1] neg_lo:[1,0,0] neg_hi:[1,0,0]
	;; [unrolled: 1-line block ×10, first 2 shown]
	s_cbranch_scc1 .LBB26_26
.LBB26_27:
	s_lshl_b32 s18, s7, 2
	s_add_i32 s4, s18, s16
	v_mov_b32_e32 v31, s4
	s_add_i32 s4, s16, 0x60
	s_add_i32 s5, s18, s4
	v_add_u32_e32 v72, s4, v1
	s_add_i32 s4, s16, 0xc0
	v_mov_b32_e32 v2, s5
	s_add_i32 s5, s18, s4
	v_add_u32_e32 v73, s4, v1
	s_add_i32 s4, s16, 0x120
	v_mov_b32_e32 v3, s5
	s_add_i32 s5, s18, s4
	ds_read2_b32 v[50:51], v31 offset1:100
	ds_read_b64 v[24:25], v2
	ds_read_b96 v[32:34], v3
	v_mov_b32_e32 v2, s5
	ds_read_b128 v[2:5], v2
	s_add_i32 s5, s16, 0x1e0
	v_add_u32_e32 v71, s4, v1
	s_add_i32 s4, s16, 0x180
	s_add_i32 s17, s18, s5
	;; [unrolled: 1-line block ×3, first 2 shown]
	v_add_u32_e32 v70, s4, v1
	s_add_i32 s4, s16, 0x240
	v_mov_b32_e32 v35, s17
	s_add_i32 s17, s18, s4
	v_add_u32_e32 v67, s4, v1
	s_add_i32 s4, s16, 0x360
	ds_read_b96 v[74:76], v35
	s_waitcnt lgkmcnt(1)
	v_mov_b32_e32 v58, v3
	v_mov_b32_e32 v3, s17
	s_add_i32 s17, s16, 0x2a0
	v_add_u32_e32 v68, s5, v1
	s_add_i32 s5, s18, s4
	s_add_i32 s20, s18, s17
	v_mov_b32_e32 v69, s5
	s_add_i32 s5, s16, 0x300
	v_mov_b32_e32 v59, v4
	v_mov_b32_e32 v4, s20
	ds_read_b96 v[28:30], v3 offset:16
	ds_read_b96 v[78:80], v4
	s_add_i32 s20, s18, s5
	ds_read_b96 v[82:84], v69
	ds_read2_b32 v[52:53], v69 offset0:3 offset1:4
	v_mov_b32_e32 v77, s20
	ds_read2_b32 v[48:49], v31 offset0:125 offset1:175
	ds_read_b128 v[10:13], v77
	ds_read_b128 v[14:17], v3
	v_mov_b32_e32 v3, s19
	s_add_i32 s19, s16, 0x420
	s_add_i32 s24, s18, s19
	;; [unrolled: 1-line block ×3, first 2 shown]
	v_mul_f32_e32 v54, v18, v50
	v_mov_b32_e32 v50, s24
	s_waitcnt lgkmcnt(7)
	v_mov_b32_e32 v60, v75
	v_mov_b32_e32 v61, v76
	s_waitcnt lgkmcnt(5)
	v_mov_b32_e32 v63, v80
	s_add_i32 s21, s18, s20
	v_fma_f32 v80, -v54, v74, v9
	ds_read_b96 v[74:76], v50
	v_fma_f32 v24, -v54, v24, v19
	s_waitcnt lgkmcnt(5)
	v_fma_f32 v82, -v54, v82, v47
	v_mov_b32_e32 v47, s21
	ds_read_b128 v[18:21], v3
	ds_read2_b32 v[56:57], v50 offset0:3 offset1:4
	v_mul_f32_e32 v55, v24, v25
	ds_read_b128 v[24:27], v47
	v_fma_f32 v81, -v54, v78, v7
	s_waitcnt lgkmcnt(3)
	v_mov_b32_e32 v78, v75
	v_fma_f32 v45, -v54, v74, v45
	v_pk_mul_f32 v[32:33], v[54:55], v[32:33]
	s_waitcnt lgkmcnt(2)
	v_pk_mul_f32 v[74:75], v[54:55], v[18:19]
	v_pk_mul_f32 v[10:11], v[54:55], v[10:11]
	v_sub_f32_e32 v3, v22, v32
	v_sub_f32_e32 v7, v8, v74
	v_pk_mul_f32 v[14:15], v[54:55], v[14:15]
	v_sub_f32_e32 v10, v46, v10
	v_mov_b32_e32 v62, v79
	v_mov_b32_e32 v79, v76
	ds_read2_b32 v[18:19], v35 offset0:3 offset1:4
	v_sub_f32_e32 v14, v6, v14
	v_sub_f32_e32 v3, v3, v33
	;; [unrolled: 1-line block ×3, first 2 shown]
	ds_read_b128 v[6:9], v77 offset:16
	v_sub_f32_e32 v77, v10, v11
	s_waitcnt lgkmcnt(2)
	v_pk_mul_f32 v[10:11], v[54:55], v[24:25]
	v_mul_f32_e32 v35, v3, v34
	v_sub_f32_e32 v10, v44, v10
	v_mov_b32_e32 v34, v55
	v_sub_f32_e32 v44, v10, v11
	v_fma_f32 v10, -v54, v2, v23
	v_pk_mul_f32 v[2:3], v[34:35], v[58:59]
	v_mov_b32_e32 v65, v84
	v_sub_f32_e32 v2, v10, v2
	v_sub_f32_e32 v58, v2, v3
	v_pk_mul_f32 v[2:3], v[34:35], v[60:61]
	v_mov_b32_e32 v64, v83
	v_sub_f32_e32 v2, v80, v2
	v_sub_f32_e32 v84, v2, v3
	v_pk_mul_f32 v[2:3], v[34:35], v[62:63]
	s_add_i32 s21, s16, 0x4e0
	v_sub_f32_e32 v2, v81, v2
	v_sub_f32_e32 v46, v14, v15
	ds_read2_b32 v[14:15], v4 offset0:5 offset1:6
	ds_read2_b32 v[32:33], v4 offset0:3 offset1:4
	ds_write_b32 v66, v54
	v_sub_f32_e32 v66, v2, v3
	v_pk_mul_f32 v[2:3], v[34:35], v[64:65]
	s_add_i32 s24, s18, s21
	v_sub_f32_e32 v2, v82, v2
	v_mov_b32_e32 v86, s24
	s_add_i32 s24, s16, 0x480
	v_sub_f32_e32 v85, v2, v3
	ds_read_b96 v[2:4], v86
	v_pk_mul_f32 v[10:11], v[34:35], v[78:79]
	s_add_i32 s25, s18, s24
	v_sub_f32_e32 v10, v45, v10
	v_mov_b32_e32 v34, s25
	v_mul_f32_e32 v75, v58, v5
	v_mov_b32_e32 v74, v35
	s_add_i32 s25, s16, 0x540
	v_sub_f32_e32 v79, v10, v11
	v_pk_mul_f32 v[10:11], v[74:75], v[20:21]
	ds_read_b128 v[58:61], v34
	v_pk_mul_f32 v[12:13], v[74:75], v[12:13]
	s_add_i32 s27, s18, s25
	v_pk_mul_f32 v[16:17], v[74:75], v[16:17]
	v_sub_f32_e32 v10, v76, v10
	v_sub_f32_e32 v12, v77, v12
	v_mov_b32_e32 v90, s27
	v_sub_f32_e32 v16, v46, v16
	v_sub_f32_e32 v46, v10, v11
	;; [unrolled: 1-line block ×3, first 2 shown]
	ds_read_b128 v[10:13], v90
	ds_read_b128 v[22:25], v34 offset:32
	s_waitcnt lgkmcnt(3)
	v_fma_f32 v2, -v54, v2, v43
	s_add_i32 s27, s16, 0x5a0
	v_fma_f32 v2, -v55, v3, v2
	v_sub_f32_e32 v88, v16, v17
	v_pk_mul_f32 v[16:17], v[74:75], v[26:27]
	s_add_i32 s28, s18, s27
	v_fma_f32 v87, -v35, v4, v2
	ds_read_b128 v[2:5], v34 offset:16
	s_waitcnt lgkmcnt(3)
	v_fma_f32 v20, -v54, v58, v42
	v_sub_f32_e32 v16, v44, v16
	v_mov_b32_e32 v93, s28
	v_fma_f32 v20, -v55, v59, v20
	v_sub_f32_e32 v91, v16, v17
	v_pk_mul_f32 v[16:17], v[74:75], v[60:61]
	ds_read_b128 v[42:45], v93
	v_sub_f32_e32 v16, v20, v16
	ds_read2_b32 v[20:21], v86 offset0:11 offset1:12
	s_waitcnt lgkmcnt(4)
	v_fma_f32 v10, -v54, v10, v40
	s_add_i32 s28, s16, 0x600
	v_fma_f32 v10, -v55, v11, v10
	s_add_i32 s29, s18, s28
	ds_write_b32 v72, v55
	ds_write_b32 v73, v35
	v_fma_f32 v10, -v35, v12, v10
	v_mov_b32_e32 v94, s29
	s_add_i32 s29, s16, 0x660
	v_fma_f32 v13, -v75, v13, v10
	ds_read_b128 v[58:61], v94
	ds_read_b96 v[10:12], v90 offset:48
	s_add_i32 s30, s18, s29
	v_sub_f32_e32 v92, v16, v17
	s_waitcnt lgkmcnt(5)
	v_fma_f32 v16, -v54, v42, v41
	v_mov_b32_e32 v96, s30
	v_fma_f32 v16, -v55, v43, v16
	ds_read_b128 v[40:43], v94 offset:16
	ds_read_b128 v[62:65], v96
	v_fma_f32 v16, -v35, v44, v16
	v_fma_f32 v95, -v75, v45, v16
	s_waitcnt lgkmcnt(3)
	v_fma_f32 v16, -v54, v58, v38
	v_fma_f32 v16, -v55, v59, v16
	s_add_i32 s30, s16, 0x6c0
	v_fma_f32 v16, -v35, v60, v16
	s_add_i32 s31, s18, s30
	v_fma_f32 v97, -v75, v61, v16
	v_mov_b32_e32 v98, s31
	s_waitcnt lgkmcnt(0)
	v_fma_f32 v16, -v54, v62, v39
	s_addk_i32 s16, 0x720
	ds_read_b128 v[58:61], v98
	ds_read_b96 v[72:74], v96 offset:16
	v_fma_f32 v16, -v55, v63, v16
	s_add_i32 s18, s18, s16
	v_fma_f32 v16, -v35, v64, v16
	v_mov_b32_e32 v100, s18
	v_fma_f32 v99, -v75, v65, v16
	ds_read2_b32 v[16:17], v96 offset0:15 offset1:16
	ds_read_b128 v[62:65], v100
	s_waitcnt lgkmcnt(3)
	v_fma_f32 v26, -v54, v58, v36
	v_fma_f32 v26, -v55, v59, v26
	;; [unrolled: 1-line block ×4, first 2 shown]
	s_waitcnt lgkmcnt(0)
	v_fma_f32 v26, -v54, v62, v37
	v_mul_f32_e32 v39, v46, v51
	v_mov_b32_e32 v38, v75
	v_fma_f32 v26, -v55, v63, v26
	v_pk_mul_f32 v[18:19], v[38:39], v[18:19]
	v_fma_f32 v26, -v35, v64, v26
	v_sub_f32_e32 v18, v84, v18
	ds_read_b128 v[58:61], v100 offset:16
	ds_read_b128 v[34:37], v47 offset:16
	ds_read_b96 v[62:64], v47 offset:32
	v_fma_f32 v65, -v75, v65, v26
	ds_read_b96 v[76:78], v93 offset:16
	ds_read2_b32 v[26:27], v86 offset0:3 offset1:4
	v_sub_f32_e32 v51, v18, v19
	v_pk_mul_f32 v[18:19], v[38:39], v[52:53]
	v_pk_mul_f32 v[32:33], v[38:39], v[32:33]
	v_sub_f32_e32 v18, v85, v18
	v_sub_f32_e32 v32, v66, v32
	;; [unrolled: 1-line block ×3, first 2 shown]
	v_pk_mul_f32 v[18:19], v[38:39], v[56:57]
	ds_write_b32 v71, v75
	ds_write_b32 v70, v39
	v_sub_f32_e32 v18, v79, v18
	ds_read2_b32 v[80:81], v93 offset0:7 offset1:8
	v_sub_f32_e32 v75, v18, v19
	ds_read_b128 v[44:47], v98 offset:16
	ds_read2_b32 v[18:19], v86 offset0:5 offset1:6
	ds_read2_b32 v[56:57], v86 offset0:7 offset1:8
	;; [unrolled: 1-line block ×3, first 2 shown]
	s_waitcnt lgkmcnt(7)
	v_pk_mul_f32 v[26:27], v[38:39], v[26:27]
	v_sub_f32_e32 v32, v32, v33
	v_sub_f32_e32 v26, v87, v26
	v_fma_f32 v76, -v39, v76, v95
	v_fma_f32 v40, -v39, v40, v97
	;; [unrolled: 1-line block ×3, first 2 shown]
	s_waitcnt lgkmcnt(3)
	v_fma_f32 v33, -v39, v44, v101
	v_fma_f32 v44, -v39, v58, v65
	v_mov_b32_e32 v38, v39
	v_mul_f32_e32 v39, v51, v48
	v_mov_b32_e32 v82, v77
	v_sub_f32_e32 v77, v26, v27
	v_pk_mul_f32 v[26:27], v[38:39], v[28:29]
	v_pk_mul_f32 v[6:7], v[38:39], v[6:7]
	v_sub_f32_e32 v26, v88, v26
	v_pk_mul_f32 v[2:3], v[38:39], v[2:3]
	v_sub_f32_e32 v26, v26, v27
	v_sub_f32_e32 v6, v89, v6
	;; [unrolled: 1-line block ×3, first 2 shown]
	ds_read_b128 v[52:55], v98 offset:32
	v_sub_f32_e32 v51, v6, v7
	v_pk_mul_f32 v[6:7], v[38:39], v[34:35]
	v_sub_f32_e32 v65, v2, v3
	v_mul_f32_e32 v3, v26, v30
	ds_read_b128 v[26:29], v90 offset:16
	v_sub_f32_e32 v6, v91, v6
	v_mov_b32_e32 v2, v39
	v_sub_f32_e32 v58, v6, v7
	v_pk_mul_f32 v[6:7], v[2:3], v[14:15]
	v_fma_f32 v14, -v39, v45, v33
	v_sub_f32_e32 v6, v32, v6
	v_sub_f32_e32 v6, v6, v7
	v_mul_f32_e32 v7, v6, v49
	v_fma_f32 v6, -v3, v46, v14
	ds_read_b128 v[32:35], v90 offset:32
	s_waitcnt lgkmcnt(1)
	v_pk_mul_f32 v[14:15], v[38:39], v[26:27]
	ds_read2_b32 v[26:27], v69 offset0:5 offset1:6
	v_fma_f32 v30, -v7, v47, v6
	v_sub_f32_e32 v6, v13, v14
	v_sub_f32_e32 v13, v6, v15
	ds_write_b32 v68, v39
	s_waitcnt lgkmcnt(1)
	v_pk_mul_f32 v[26:27], v[2:3], v[26:27]
	v_fma_f32 v68, -v39, v41, v40
	v_sub_f32_e32 v26, v66, v26
	v_fma_f32 v6, -v39, v73, v72
	v_fma_f32 v46, -v39, v59, v44
	ds_read2_b32 v[38:39], v69 offset0:7 offset1:8
	v_sub_f32_e32 v66, v26, v27
	ds_read2_b32 v[26:27], v50 offset0:5 offset1:6
	v_fma_f32 v72, -v3, v74, v6
	v_pk_mul_f32 v[18:19], v[2:3], v[18:19]
	v_mov_b32_e32 v83, v78
	ds_read2_b32 v[14:15], v31 offset0:200 offset1:225
	s_waitcnt lgkmcnt(1)
	v_pk_mul_f32 v[26:27], v[2:3], v[26:27]
	ds_read2_b32 v[40:41], v50 offset0:7 offset1:8
	ds_read2_b32 v[44:45], v50 offset0:9 offset1:10
	v_sub_f32_e32 v6, v75, v26
	v_sub_f32_e32 v73, v6, v27
	;; [unrolled: 1-line block ×4, first 2 shown]
	v_pk_mul_f32 v[18:19], v[2:3], v[82:83]
	v_mov_b32_e32 v6, v3
	v_sub_f32_e32 v2, v76, v18
	v_pk_mul_f32 v[4:5], v[6:7], v[4:5]
	v_pk_mul_f32 v[8:9], v[6:7], v[8:9]
	v_sub_f32_e32 v76, v2, v19
	ds_write_b32 v67, v3
	v_fma_f32 v50, -v3, v60, v46
	v_pk_mul_f32 v[2:3], v[6:7], v[42:43]
	v_pk_mul_f32 v[42:43], v[6:7], v[28:29]
	v_sub_f32_e32 v8, v51, v8
	v_sub_f32_e32 v4, v65, v4
	;; [unrolled: 1-line block ×5, first 2 shown]
	v_add_u32_e32 v78, s17, v1
	v_sub_f32_e32 v13, v4, v43
	v_sub_f32_e32 v2, v68, v2
	s_waitcnt lgkmcnt(3)
	v_mul_f32_e32 v43, v29, v14
	v_mov_b32_e32 v42, v7
	ds_write_b32 v78, v7
	v_sub_f32_e32 v78, v2, v3
	v_pk_mul_f32 v[2:3], v[42:43], v[38:39]
	v_pk_mul_f32 v[8:9], v[6:7], v[36:37]
	v_sub_f32_e32 v2, v66, v2
	v_sub_f32_e32 v14, v2, v3
	s_waitcnt lgkmcnt(3)
	v_pk_mul_f32 v[2:3], v[42:43], v[40:41]
	v_add_u32_e32 v26, 0x400, v31
	v_sub_f32_e32 v6, v58, v8
	v_sub_f32_e32 v2, v73, v2
	ds_read2_b32 v[18:19], v26 offset0:19 offset1:44
	ds_read2_b32 v[46:47], v26 offset0:69 offset1:119
	;; [unrolled: 1-line block ×3, first 2 shown]
	ds_read_b96 v[26:28], v100 offset:32
	v_fma_f32 v67, -v7, v61, v50
	ds_read2_b32 v[50:51], v100 offset0:11 offset1:12
	v_sub_f32_e32 v89, v6, v9
	ds_read2_b32 v[60:61], v100 offset0:13 offset1:14
	v_sub_f32_e32 v39, v2, v3
	ds_read_b128 v[2:5], v94 offset:32
	ds_read_b128 v[6:9], v94 offset:48
	ds_read2_b32 v[40:41], v96 offset0:7 offset1:8
	s_waitcnt lgkmcnt(5)
	v_mov_b32_e32 v59, v28
	v_pk_mul_f32 v[28:29], v[42:43], v[56:57]
	v_mov_b32_e32 v58, v27
	v_sub_f32_e32 v27, v77, v28
	s_waitcnt lgkmcnt(0)
	v_pk_mul_f32 v[40:41], v[42:43], v[40:41]
	v_mul_f32_e32 v15, v14, v15
	v_sub_f32_e32 v40, v72, v40
	v_mov_b32_e32 v14, v43
	v_add_u32_e32 v69, s5, v1
	v_sub_f32_e32 v73, v27, v29
	v_pk_mul_f32 v[28:29], v[42:43], v[80:81]
	v_sub_f32_e32 v72, v40, v41
	v_pk_mul_f32 v[40:41], v[14:15], v[62:63]
	v_pk_mul_f32 v[2:3], v[14:15], v[2:3]
	v_sub_f32_e32 v27, v76, v28
	ds_write_b32 v69, v43
	v_sub_f32_e32 v40, v89, v40
	v_sub_f32_e32 v2, v78, v2
	;; [unrolled: 1-line block ×3, first 2 shown]
	v_fma_f32 v77, -v43, v26, v67
	ds_read_b96 v[36:38], v98 offset:64
	ds_read_b128 v[26:29], v98 offset:48
	ds_read2_b32 v[56:57], v96 offset0:13 offset1:14
	ds_read2_b32 v[66:67], v96 offset0:11 offset1:12
	;; [unrolled: 1-line block ×3, first 2 shown]
	v_sub_f32_e32 v65, v40, v41
	v_sub_f32_e32 v78, v2, v3
	v_pk_mul_f32 v[2:3], v[14:15], v[52:53]
	ds_read2_b32 v[40:41], v93 offset0:13 offset1:14
	ds_read2_b32 v[42:43], v93 offset0:11 offset1:12
	;; [unrolled: 1-line block ×3, first 2 shown]
	v_mul_f32_e32 v65, v65, v64
	v_mov_b32_e32 v64, v15
	v_sub_f32_e32 v2, v30, v2
	v_pk_mul_f32 v[22:23], v[14:15], v[22:23]
	v_sub_f32_e32 v30, v2, v3
	v_pk_mul_f32 v[2:3], v[64:65], v[44:45]
	v_sub_f32_e32 v22, v90, v22
	v_sub_f32_e32 v2, v39, v2
	v_add_u32_e32 v74, s4, v1
	v_sub_f32_e32 v80, v22, v23
	v_pk_mul_f32 v[22:23], v[14:15], v[32:33]
	v_sub_f32_e32 v2, v2, v3
	v_sub_f32_e32 v13, v13, v22
	ds_write_b32 v74, v15
	v_pk_mul_f32 v[14:15], v[64:65], v[70:71]
	s_waitcnt lgkmcnt(4)
	v_pk_mul_f32 v[32:33], v[64:65], v[68:69]
	v_mul_f32_e32 v3, v2, v18
	v_mov_b32_e32 v2, v65
	v_sub_f32_e32 v13, v13, v23
	v_sub_f32_e32 v14, v73, v14
	s_waitcnt lgkmcnt(1)
	v_pk_mul_f32 v[22:23], v[64:65], v[62:63]
	v_sub_f32_e32 v32, v72, v32
	v_pk_mul_f32 v[24:25], v[2:3], v[24:25]
	v_sub_f32_e32 v22, v76, v22
	v_sub_f32_e32 v18, v80, v24
	;; [unrolled: 1-line block ×3, first 2 shown]
	v_pk_mul_f32 v[14:15], v[2:3], v[34:35]
	v_sub_f32_e32 v35, v32, v33
	v_pk_mul_f32 v[32:33], v[64:65], v[58:59]
	v_sub_f32_e32 v34, v22, v23
	v_pk_mul_f32 v[4:5], v[2:3], v[4:5]
	v_pk_mul_f32 v[22:23], v[2:3], v[54:55]
	v_sub_f32_e32 v2, v77, v32
	v_sub_f32_e32 v22, v30, v22
	;; [unrolled: 1-line block ×4, first 2 shown]
	v_add_u32_e32 v79, s19, v1
	v_mul_f32_e32 v19, v2, v19
	v_mov_b32_e32 v18, v3
	ds_write_b32 v79, v3
	v_pk_mul_f32 v[2:3], v[18:19], v[20:21]
	v_sub_f32_e32 v13, v13, v14
	v_sub_f32_e32 v2, v24, v2
	;; [unrolled: 1-line block ×5, first 2 shown]
	v_pk_mul_f32 v[14:15], v[18:19], v[42:43]
	v_mul_f32_e32 v3, v2, v46
	v_mov_b32_e32 v2, v19
	v_sub_f32_e32 v14, v34, v14
	v_sub_f32_e32 v20, v4, v5
	v_pk_mul_f32 v[4:5], v[18:19], v[66:67]
	v_pk_mul_f32 v[10:11], v[2:3], v[10:11]
	v_sub_f32_e32 v4, v35, v4
	v_sub_f32_e32 v10, v13, v10
	;; [unrolled: 1-line block ×3, first 2 shown]
	v_pk_mul_f32 v[6:7], v[2:3], v[6:7]
	v_pk_mul_f32 v[14:15], v[18:19], v[50:51]
	v_sub_f32_e32 v6, v20, v6
	v_sub_f32_e32 v20, v4, v5
	v_pk_mul_f32 v[4:5], v[2:3], v[26:27]
	v_sub_f32_e32 v2, v30, v14
	v_sub_f32_e32 v14, v2, v15
	;; [unrolled: 1-line block ×3, first 2 shown]
	v_add_u32_e32 v75, s20, v1
	v_add_u32_e32 v82, s24, v1
	;; [unrolled: 1-line block ×3, first 2 shown]
	v_mul_f32_e32 v11, v2, v12
	v_mov_b32_e32 v10, v3
	ds_write_b32 v75, v65
	ds_write_b32 v82, v19
	;; [unrolled: 1-line block ×3, first 2 shown]
	v_pk_mul_f32 v[2:3], v[10:11], v[40:41]
	v_sub_f32_e32 v21, v22, v23
	v_sub_f32_e32 v2, v13, v2
	;; [unrolled: 1-line block ×3, first 2 shown]
	v_add_u32_e32 v84, s25, v1
	v_sub_f32_e32 v4, v21, v4
	v_sub_f32_e32 v12, v6, v7
	v_pk_mul_f32 v[6:7], v[10:11], v[56:57]
	v_mul_f32_e32 v3, v2, v47
	v_mov_b32_e32 v2, v11
	v_sub_f32_e32 v6, v20, v6
	v_sub_f32_e32 v13, v4, v5
	ds_write_b32 v84, v11
	v_pk_mul_f32 v[4:5], v[2:3], v[8:9]
	v_pk_mul_f32 v[10:11], v[10:11], v[60:61]
	v_sub_f32_e32 v4, v12, v4
	v_sub_f32_e32 v15, v6, v7
	v_pk_mul_f32 v[6:7], v[2:3], v[28:29]
	v_sub_f32_e32 v2, v14, v10
	v_sub_f32_e32 v10, v2, v11
	;; [unrolled: 1-line block ×3, first 2 shown]
	v_add_u32_e32 v85, s27, v1
	v_mul_f32_e32 v5, v2, v48
	v_mov_b32_e32 v4, v3
	v_sub_f32_e32 v6, v13, v6
	ds_read2_b32 v[8:9], v100 offset0:15 offset1:16
	ds_read2_b32 v[12:13], v100 offset0:17 offset1:18
	ds_write_b32 v85, v3
	v_pk_mul_f32 v[2:3], v[4:5], v[16:17]
	v_add_u32_e32 v86, s28, v1
	v_sub_f32_e32 v2, v15, v2
	v_sub_f32_e32 v2, v2, v3
	v_mul_f32_e32 v3, v2, v49
	v_mov_b32_e32 v2, v5
	v_sub_f32_e32 v11, v6, v7
	v_pk_mul_f32 v[6:7], v[2:3], v[36:37]
	ds_write_b32 v86, v5
	v_sub_f32_e32 v2, v11, v6
	s_waitcnt lgkmcnt(3)
	v_pk_mul_f32 v[4:5], v[4:5], v[8:9]
	v_sub_f32_e32 v2, v2, v7
	v_sub_f32_e32 v4, v10, v4
	ds_read_b32 v7, v31 offset:1900
	v_add_u32_e32 v87, s29, v1
	v_sub_f32_e32 v6, v4, v5
	v_mul_f32_e32 v5, v2, v38
	v_mov_b32_e32 v4, v3
	ds_write_b32 v87, v3
	s_waitcnt lgkmcnt(4)
	v_pk_mul_f32 v[2:3], v[4:5], v[12:13]
	v_add_u32_e32 v88, s30, v1
	v_sub_f32_e32 v2, v6, v2
	v_sub_f32_e32 v2, v2, v3
	s_waitcnt lgkmcnt(1)
	v_mul_f32_e32 v2, v2, v7
	v_add_u32_e32 v3, s16, v1
	s_add_i32 s7, s7, 20
	ds_write_b32 v88, v5
	ds_write_b32 v3, v2
.LBB26_28:
	s_cmp_ge_i32 s7, s26
	s_cbranch_scc1 .LBB26_33
; %bb.29:
	v_mov_b32_e32 v2, 0x900
	s_mul_i32 s4, s7, 0x60
	v_lshl_or_b32 v2, v0, 2, v2
	s_branch .LBB26_31
.LBB26_30:                              ;   in Loop: Header=BB26_31 Depth=1
	s_mul_i32 s5, s7, 0x64
	v_mov_b32_e32 v5, s5
	ds_read_b32 v5, v5
	s_add_i32 s7, s7, 1
	s_addk_i32 s4, 0x60
	s_cmp_ge_i32 s7, s26
	s_waitcnt lgkmcnt(0)
	v_mul_f32_e32 v4, v4, v5
	ds_write_b32 v3, v4
	s_cbranch_scc1 .LBB26_33
.LBB26_31:                              ; =>This Loop Header: Depth=1
                                        ;     Child Loop BB26_32 Depth 2
	s_mul_i32 s5, s7, 0x60
	v_add_u32_e32 v3, s5, v1
	ds_read_b32 v4, v3
	s_cmp_eq_u32 s7, 0
	v_mov_b32_e32 v5, v2
	s_mov_b32 s5, s7
	s_mov_b32 s16, s4
	s_cbranch_scc1 .LBB26_30
.LBB26_32:                              ;   Parent Loop BB26_31 Depth=1
                                        ; =>  This Inner Loop Header: Depth=2
	v_mov_b32_e32 v7, s16
	ds_read_b32 v6, v5
	ds_read_b32 v7, v7
	s_add_i32 s16, s16, 4
	s_add_i32 s5, s5, -1
	v_add_u32_e32 v5, 0x60, v5
	s_cmp_lg_u32 s5, 0
	s_waitcnt lgkmcnt(0)
	v_fma_f32 v4, -v6, v7, v4
	s_cbranch_scc1 .LBB26_32
	s_branch .LBB26_30
.LBB26_33:
	s_mov_b64 s[4:5], 0
.LBB26_34:
	s_and_b64 vcc, exec, s[4:5]
	s_cbranch_vccz .LBB26_60
; %bb.35:
	s_add_i32 s4, s26, -1
	s_cmp_gt_i32 s6, 23
	s_mov_b32 s5, -1
	s_cbranch_scc0 .LBB26_37
; %bb.36:
	s_movk_i32 s16, 0x800
	v_add_u32_e32 v78, 0x800, v1
	v_add_u32_e32 v76, 0x400, v1
	v_add_u32_e32 v75, 0x200, v1
	v_mov_b32_e32 v74, 0
	v_mov_b32_e32 v2, 0x894
	ds_read2_b32 v[28:29], v78 offset0:16 offset1:40
	ds_read2_b32 v[48:49], v76 offset0:224 offset1:248
	ds_read2_b32 v[20:21], v76 offset0:176 offset1:200
	ds_read2_b32 v[52:53], v76 offset0:128 offset1:152
	ds_read2_b32 v[18:19], v76 offset0:80 offset1:104
	ds_read2_b32 v[54:55], v76 offset0:32 offset1:56
	ds_read2_b32 v[22:23], v75 offset0:112 offset1:136
	ds_read2_b32 v[32:33], v1 offset0:192 offset1:216
	ds_read2_b32 v[26:27], v1 offset0:144 offset1:168
	ds_read2_b32 v[16:17], v1 offset0:96 offset1:120
	ds_read2_b32 v[40:41], v1 offset0:48 offset1:72
	ds_read2_b32 v[34:35], v1 offset1:24
	ds_read_b96 v[10:12], v74 offset:2288
	ds_read2_b32 v[42:43], v2 offset1:1
	v_add_u32_e64 v2, s16, 0
	ds_read2_b64 v[6:9], v2 offset0:6 offset1:14
	s_waitcnt lgkmcnt(2)
	ds_read_b96 v[12:14], v74 offset:2272
	v_mov_b32_e32 v3, 0x7cc
	v_mov_b32_e32 v4, 0x8ec
	ds_read_b64 v[58:59], v74 offset:2296
	ds_read2_b32 v[46:47], v3 offset1:1
	ds_read2_b32 v[60:61], v4 offset1:1
	ds_read_b64 v[56:57], v74 offset:2192
	s_waitcnt lgkmcnt(1)
	ds_read_b32 v61, v74 offset:2188
	v_mov_b32_e32 v62, v11
	s_waitcnt lgkmcnt(1)
	v_mov_b32_e32 v57, v6
	v_mov_b32_e32 v6, 0x82c
	ds_read2_b32 v[66:67], v2 offset0:54 offset1:58
	ds_read2_b32 v[92:93], v2 offset0:6 offset1:10
	ds_read_b64 v[14:15], v74 offset:2184
	ds_read_b32 v65, v74 offset:2180
	ds_read_b96 v[84:86], v74 offset:2080
	ds_read_b64 v[44:45], v74 offset:1896
	ds_read_b96 v[80:82], v74 offset:1888
	ds_read2_b64 v[2:5], v74 offset0:212 offset1:220
	ds_read_b64 v[38:39], v74 offset:1992
	ds_read_b32 v11, v74 offset:1988
	ds_read_b64 v[36:37], v74 offset:1984
	v_mov_b32_e32 v9, 0x704
	s_waitcnt lgkmcnt(3)
	v_mov_b32_e32 v5, 0x63c
	v_mov_b32_e32 v15, 0x8dc
	ds_read2_b32 v[50:51], v6 offset1:1
	ds_read2_b32 v[24:25], v9 offset1:1
	ds_read_b128 v[86:89], v74 offset:2240
	ds_read2_b32 v[30:31], v5 offset1:1
	ds_read2_b32 v[70:71], v15 offset1:1
	s_movk_i32 s7, 0x400
	v_mov_b32_e32 v63, v42
	v_mov_b32_e32 v9, 0x81c
	v_mul_f32_e32 v42, v29, v59
	v_add_u32_e64 v77, s7, 0
	s_waitcnt lgkmcnt(2)
	v_fma_f32 v72, -v42, v89, v23
	v_fma_f32 v5, -v42, v88, v22
	v_fma_f32 v6, -v42, v87, v33
	v_fma_f32 v37, -v42, v86, v32
	v_mov_b32_e32 v15, 0x75c
	v_mov_b32_e32 v29, 0x69c
	ds_read_b64 v[22:23], v74 offset:1496
	ds_read2_b32 v[90:91], v77 offset0:210 offset1:214
	ds_read2_b32 v[82:83], v77 offset0:162 offset1:166
	v_fma_f32 v28, -v42, v58, v28
	ds_read2_b32 v[68:69], v9 offset1:1
	ds_read2_b32 v[32:33], v15 offset1:1
	ds_read_b96 v[86:88], v74 offset:2256
	v_mov_b32_e32 v39, 0x574
	v_mul_f32_e32 v43, v28, v43
	ds_read2_b32 v[58:59], v29 offset1:1
	ds_read2_b32 v[28:29], v39 offset1:1
	v_mov_b32_e32 v64, v13
	ds_read_b32 v13, v74 offset:2164
	v_fma_f32 v51, -v42, v67, v20
	s_waitcnt lgkmcnt(2)
	v_fma_f32 v59, -v42, v66, v18
	ds_read_b64 v[66:67], v74 offset:2176
	ds_read_b32 v71, v74 offset:2172
	v_fma_f32 v33, -v42, v12, v52
	v_mov_b32_e32 v12, v87
	s_waitcnt lgkmcnt(2)
	v_pk_mul_f32 v[12:13], v[42:43], v[12:13]
	v_pk_mul_f32 v[62:63], v[42:43], v[62:63]
	v_fma_f32 v10, -v42, v10, v48
	v_fma_f32 v39, -v42, v86, v54
	v_sub_f32_e32 v9, v55, v12
	v_pk_mul_f32 v[54:55], v[42:43], v[64:65]
	v_sub_f32_e32 v15, v49, v62
	v_pk_mul_f32 v[48:49], v[42:43], v[60:61]
	v_sub_f32_e32 v12, v53, v54
	v_sub_f32_e32 v15, v15, v63
	;; [unrolled: 1-line block ×3, first 2 shown]
	s_waitcnt lgkmcnt(0)
	v_pk_mul_f32 v[20:21], v[42:43], v[70:71]
	ds_read_b64 v[52:53], v74 offset:2168
	ds_read_b96 v[98:100], v74 offset:2064
	ds_read_b96 v[86:88], v74 offset:1872
	ds_read_b32 v69, v74 offset:1980
	ds_read_b64 v[64:65], v74 offset:1976
	ds_read_b32 v89, v74 offset:1972
	v_sub_f32_e32 v54, v18, v49
	v_sub_f32_e32 v55, v12, v55
	;; [unrolled: 1-line block ×3, first 2 shown]
	v_mul_f32_e32 v49, v15, v7
	v_mov_b32_e32 v48, v43
	ds_read_b96 v[18:20], v74 offset:2048
	ds_read_b64 v[62:63], v74 offset:1968
	v_sub_f32_e32 v21, v12, v21
	s_waitcnt lgkmcnt(0)
	v_sub_f32_e32 v63, v9, v13
	v_pk_mul_f32 v[12:13], v[48:49], v[56:57]
	v_mov_b32_e32 v15, v93
	v_sub_f32_e32 v7, v10, v12
	v_sub_f32_e32 v7, v7, v13
	v_pk_mul_f32 v[12:13], v[48:49], v[14:15]
	v_mov_b32_e32 v67, v84
	v_sub_f32_e32 v12, v51, v12
	v_sub_f32_e32 v65, v12, v13
	v_pk_mul_f32 v[12:13], v[48:49], v[66:67]
	ds_read_b128 v[94:97], v74 offset:2144
	v_sub_f32_e32 v12, v33, v12
	v_sub_f32_e32 v79, v12, v13
	ds_read_b128 v[12:15], v74 offset:2224
	v_mov_b32_e32 v53, v92
	v_mov_b32_e32 v9, v98
	v_pk_mul_f32 v[52:53], v[48:49], v[52:53]
	v_pk_mul_f32 v[8:9], v[48:49], v[8:9]
	v_sub_f32_e32 v33, v59, v52
	v_mov_b32_e32 v60, 0x4ac
	v_mov_b32_e32 v61, 0x80c
	;; [unrolled: 1-line block ×3, first 2 shown]
	v_sub_f32_e32 v48, v33, v53
	v_sub_f32_e32 v8, v39, v8
	v_mov_b32_e32 v51, v46
	v_mul_f32_e32 v53, v7, v47
	v_mov_b32_e32 v52, v49
	v_mov_b32_e32 v33, 0x68c
	s_waitcnt lgkmcnt(0)
	v_fma_f32 v56, -v42, v15, v27
	v_fma_f32 v59, -v42, v14, v26
	;; [unrolled: 1-line block ×4, first 2 shown]
	ds_read_b128 v[14:17], v74 offset:2112
	ds_read2_b32 v[26:27], v60 offset1:1
	v_sub_f32_e32 v93, v8, v9
	ds_read2_b32 v[8:9], v61 offset1:1
	ds_read2_b32 v[60:61], v10 offset1:1
	v_pk_mul_f32 v[12:13], v[52:53], v[50:51]
	v_mov_b32_e32 v10, v85
	ds_read2_b32 v[46:47], v33 offset1:1
	s_waitcnt lgkmcnt(2)
	ds_read_b32 v9, v74 offset:1964
	v_sub_f32_e32 v7, v54, v12
	v_pk_mul_f32 v[10:11], v[52:53], v[10:11]
	v_sub_f32_e32 v33, v7, v13
	v_sub_f32_e32 v7, v55, v10
	v_pk_mul_f32 v[50:51], v[52:53], v[68:69]
	s_waitcnt lgkmcnt(1)
	v_sub_f32_e32 v47, v7, v11
	v_mov_b32_e32 v88, v99
	v_sub_f32_e32 v7, v21, v50
	v_sub_f32_e32 v54, v7, v51
	v_pk_mul_f32 v[50:51], v[52:53], v[88:89]
	ds_read_b128 v[10:13], v74 offset:1952
	ds_read_b128 v[68:71], v74 offset:2128
	v_sub_f32_e32 v7, v63, v50
	v_sub_f32_e32 v98, v7, v51
	v_fma_f32 v7, -v43, v97, v72
	s_waitcnt lgkmcnt(2)
	v_pk_mul_f32 v[50:51], v[52:53], v[8:9]
	v_fma_f32 v61, -v43, v95, v6
	s_waitcnt lgkmcnt(1)
	v_sub_f32_e32 v13, v7, v50
	ds_read_b128 v[6:9], v74 offset:2208
	v_mul_f32_e32 v57, v33, v45
	ds_read_b64 v[66:67], v74 offset:1792
	ds_read_b32 v33, v74 offset:1788
	v_mov_b32_e32 v39, v44
	s_waitcnt lgkmcnt(1)
	v_fma_f32 v67, -v43, v71, v56
	v_mov_b32_e32 v56, v53
	v_fma_f32 v85, -v43, v94, v37
	v_sub_f32_e32 v94, v13, v51
	v_fma_f32 v13, -v42, v9, v41
	v_fma_f32 v50, -v42, v8, v40
	;; [unrolled: 1-line block ×4, first 2 shown]
	ds_read_b64 v[72:73], v74 offset:1784
	ds_read_b32 v21, v74 offset:1780
	ds_read_b96 v[100:102], v74 offset:1680
	ds_read2_b64 v[6:9], v74 offset0:162 offset1:170
	v_pk_mul_f32 v[34:35], v[56:57], v[38:39]
	v_mov_b32_e32 v37, v80
	s_waitcnt lgkmcnt(0)
	v_sub_f32_e32 v9, v65, v34
	v_sub_f32_e32 v9, v9, v35
	v_pk_mul_f32 v[34:35], v[56:57], v[36:37]
	v_mov_b32_e32 v65, v91
	v_sub_f32_e32 v34, v79, v34
	v_mov_b32_e32 v63, v86
	v_fma_f32 v5, -v43, v96, v5
	v_fma_f32 v59, -v43, v70, v59
	;; [unrolled: 1-line block ×4, first 2 shown]
	v_sub_f32_e32 v80, v34, v35
	v_pk_mul_f32 v[34:35], v[56:57], v[64:65]
	ds_write2_b32 v78, v43, v42 offset0:16 offset1:40
	v_fma_f32 v13, -v43, v17, v13
	v_fma_f32 v38, -v43, v16, v50
	;; [unrolled: 1-line block ×4, first 2 shown]
	v_pk_mul_f32 v[14:15], v[56:57], v[62:63]
	v_sub_f32_e32 v34, v48, v34
	v_sub_f32_e32 v14, v93, v14
	;; [unrolled: 1-line block ×4, first 2 shown]
	ds_read_b128 v[14:17], v74 offset:2032
	ds_read_b128 v[34:37], v74 offset:2016
	ds_read_b64 v[40:41], v74 offset:1592
	ds_read_b32 v55, v74 offset:1588
	ds_read_b64 v[44:45], v74 offset:1584
	ds_read_b96 v[50:52], v74 offset:1856
	v_fma_f32 v5, -v49, v20, v5
	v_fma_f32 v20, -v49, v19, v61
	;; [unrolled: 1-line block ×3, first 2 shown]
	s_waitcnt lgkmcnt(5)
	v_fma_f32 v18, -v49, v17, v67
	v_fma_f32 v48, -v49, v15, v69
	s_waitcnt lgkmcnt(4)
	v_fma_f32 v62, -v49, v36, v38
	v_fma_f32 v63, -v49, v35, v39
	;; [unrolled: 1-line block ×3, first 2 shown]
	ds_read_b64 v[34:35], v74 offset:1096
	s_waitcnt lgkmcnt(2)
	v_fma_f32 v45, -v49, v16, v59
	v_fma_f32 v59, -v49, v37, v13
	ds_read_b128 v[36:39], v74 offset:1840
	s_waitcnt lgkmcnt(2)
	v_fma_f32 v52, -v49, v14, v68
	ds_read_b128 v[14:17], v74 offset:1936
	v_fma_f32 v10, -v53, v10, v19
	v_mov_b32_e32 v13, v90
	v_fma_f32 v90, -v57, v50, v10
	v_pk_mul_f32 v[12:13], v[56:57], v[12:13]
	s_waitcnt lgkmcnt(0)
	v_fma_f32 v17, -v53, v17, v18
	v_fma_f32 v16, -v53, v16, v45
	;; [unrolled: 1-line block ×8, first 2 shown]
	ds_read_b128 v[14:17], v74 offset:1920
	ds_read_b64 v[84:85], v74 offset:1776
	ds_read_b32 v61, v74 offset:1772
	ds_write2_b32 v76, v53, v49 offset0:224 offset1:248
	v_mov_b32_e32 v41, 0x5cc
	v_sub_f32_e32 v5, v5, v12
	s_waitcnt lgkmcnt(3)
	v_fma_f32 v10, -v53, v17, v59
	v_fma_f32 v45, -v53, v16, v62
	v_fma_f32 v48, -v53, v15, v63
	v_fma_f32 v43, -v53, v14, v43
	ds_read_b128 v[14:17], v74 offset:1824
	ds_read_b64 v[88:89], v74 offset:1768
	ds_read_b32 v19, v74 offset:1764
	v_fma_f32 v59, -v53, v11, v20
	v_mul_f32_e32 v11, v9, v25
	s_waitcnt lgkmcnt(1)
	v_mov_b32_e32 v89, v82
	v_fma_f32 v10, -v57, v17, v10
	v_fma_f32 v45, -v57, v16, v45
	;; [unrolled: 1-line block ×4, first 2 shown]
	ds_read_b128 v[14:17], v74 offset:1744
	ds_read2_b32 v[110:111], v77 offset0:110 offset1:114
	v_mov_b32_e32 v42, 0x50c
	v_mov_b32_e32 v18, v51
	ds_read_b64 v[64:65], v74 offset:1576
	ds_read_b32 v25, v74 offset:1572
	s_waitcnt lgkmcnt(3)
	v_fma_f32 v9, -v11, v17, v39
	v_fma_f32 v38, -v11, v16, v38
	;; [unrolled: 1-line block ×4, first 2 shown]
	ds_read_b128 v[14:17], v74 offset:1728
	ds_read2_b32 v[78:79], v77 offset0:62 offset1:66
	ds_read2_b32 v[52:53], v41 offset1:1
	ds_read2_b32 v[36:37], v42 offset1:1
	v_sub_f32_e32 v5, v5, v13
	v_mov_b32_e32 v13, v24
	s_waitcnt lgkmcnt(3)
	v_fma_f32 v93, -v11, v17, v10
	v_mov_b32_e32 v10, 0x67c
	v_fma_f32 v97, -v11, v14, v43
	v_mov_b32_e32 v14, 0x5bc
	ds_read2_b32 v[68:69], v10 offset1:1
	ds_read2_b32 v[50:51], v14 offset1:1
	v_mov_b32_e32 v10, v57
	v_mov_b32_e32 v12, v81
	v_pk_mul_f32 v[12:13], v[10:11], v[12:13]
	v_mov_b32_e32 v20, v87
	v_sub_f32_e32 v12, v47, v12
	v_sub_f32_e32 v14, v12, v13
	v_pk_mul_f32 v[12:13], v[10:11], v[32:33]
	ds_write2_b32 v76, v11, v57 offset0:176 offset1:200
	v_sub_f32_e32 v12, v54, v12
	v_sub_f32_e32 v17, v12, v13
	v_pk_mul_f32 v[12:13], v[10:11], v[20:21]
	ds_read_b64 v[42:43], v74 offset:1392
	s_waitcnt lgkmcnt(5)
	ds_read_b32 v53, v74 offset:1388
	v_sub_f32_e32 v12, v98, v12
	s_waitcnt lgkmcnt(3)
	v_sub_f32_e32 v51, v12, v13
	v_pk_mul_f32 v[12:13], v[10:11], v[60:61]
	v_mov_b32_e32 v67, v2
	v_mov_b32_e32 v70, v11
	v_mul_f32_e32 v71, v14, v3
	ds_read_b96 v[102:104], v74 offset:1488
	s_waitcnt lgkmcnt(2)
	v_mov_b32_e32 v43, v6
	v_sub_f32_e32 v6, v94, v12
	v_pk_mul_f32 v[2:3], v[70:71], v[66:67]
	v_fma_f32 v96, -v11, v15, v48
	ds_read_b64 v[48:49], v74 offset:1384
	v_sub_f32_e32 v6, v6, v13
	v_pk_mul_f32 v[12:13], v[10:11], v[18:19]
	ds_read_b128 v[18:21], v74 offset:1536
	s_waitcnt lgkmcnt(2)
	ds_read_b96 v[104:106], v74 offset:1472
	v_mov_b32_e32 v73, v83
	v_sub_f32_e32 v2, v80, v2
	s_waitcnt lgkmcnt(0)
	ds_read_b96 v[106:108], v74 offset:1664
	v_sub_f32_e32 v14, v2, v3
	v_pk_mul_f32 v[2:3], v[70:71], v[72:73]
	v_mov_b32_e32 v85, v100
	v_sub_f32_e32 v2, v91, v2
	v_mov_b32_e32 v41, v22
	v_sub_f32_e32 v22, v2, v3
	v_pk_mul_f32 v[2:3], v[70:71], v[84:85]
	v_mov_b32_e32 v37, v26
	v_sub_f32_e32 v2, v86, v2
	v_sub_f32_e32 v26, v2, v3
	v_pk_mul_f32 v[2:3], v[70:71], v[88:89]
	v_mov_b32_e32 v49, v79
	v_sub_f32_e32 v2, v5, v2
	s_waitcnt lgkmcnt(0)
	v_mov_b32_e32 v5, v106
	v_sub_f32_e32 v10, v59, v12
	v_sub_f32_e32 v79, v2, v3
	v_pk_mul_f32 v[2:3], v[70:71], v[4:5]
	v_fma_f32 v95, -v11, v16, v45
	v_mov_b32_e32 v63, v28
	v_sub_f32_e32 v28, v10, v13
	v_mov_b32_e32 v59, v30
	ds_read_b32 v39, v74 offset:1188
	ds_read_b128 v[10:13], v74 offset:1152
	v_sub_f32_e32 v2, v90, v2
	v_mul_f32_e32 v61, v14, v31
	v_mov_b32_e32 v60, v71
	s_waitcnt lgkmcnt(0)
	v_sub_f32_e32 v13, v2, v3
	v_pk_mul_f32 v[2:3], v[60:61], v[58:59]
	ds_read_b64 v[32:33], v74 offset:1192
	ds_read_b96 v[86:88], v74 offset:1280
	v_sub_f32_e32 v2, v17, v2
	s_waitcnt lgkmcnt(1)
	v_mov_b32_e32 v33, v34
	ds_read_b96 v[14:16], v74 offset:1648
	v_sub_f32_e32 v34, v2, v3
	ds_read_b128 v[2:5], v74 offset:1632
	v_mov_b32_e32 v54, v101
	ds_read_b32 v57, v74 offset:1380
	s_waitcnt lgkmcnt(2)
	v_fma_f32 v84, -v71, v16, v38
	v_fma_f32 v82, -v71, v15, v82
	v_fma_f32 v85, -v71, v14, v92
	ds_read_b128 v[14:17], v74 offset:1344
	s_waitcnt lgkmcnt(2)
	v_fma_f32 v58, -v71, v5, v93
	v_fma_f32 v59, -v71, v4, v95
	;; [unrolled: 1-line block ×4, first 2 shown]
	ds_read2_b64 v[2:5], v74 offset0:112 offset1:120
	ds_read_b32 v47, v74 offset:1580
	v_pk_mul_f32 v[30:31], v[60:61], v[54:55]
	ds_read_b64 v[80:81], v74 offset:1568
	s_waitcnt lgkmcnt(2)
	v_sub_f32_e32 v5, v51, v30
	ds_read_b64 v[72:73], v74 offset:1376
	ds_read_b32 v51, v74 offset:1372
	ds_read_b32 v69, v74 offset:1564
	v_mov_b32_e32 v24, v107
	v_pk_mul_f32 v[24:25], v[60:61], v[24:25]
	s_waitcnt lgkmcnt(2)
	v_mov_b32_e32 v73, v86
	v_sub_f32_e32 v24, v28, v24
	v_sub_f32_e32 v86, v24, v25
	s_waitcnt lgkmcnt(0)
	v_pk_mul_f32 v[24:25], v[60:61], v[68:69]
	ds_write2_b32 v76, v61, v71 offset0:128 offset1:152
	ds_read_b128 v[68:71], v74 offset:1552
	v_sub_f32_e32 v5, v5, v31
	v_pk_mul_f32 v[30:31], v[60:61], v[46:47]
	v_mov_b32_e32 v45, v102
	v_mov_b32_e32 v38, v87
	v_sub_f32_e32 v6, v6, v30
	v_mov_b32_e32 v28, 0x4fc
	v_sub_f32_e32 v9, v9, v24
	v_fma_f32 v87, -v61, v18, v67
	v_mov_b32_e32 v18, 0x42c
	v_mul_f32_e32 v83, v34, v23
	s_waitcnt lgkmcnt(0)
	v_fma_f32 v34, -v61, v69, v82
	v_mov_b32_e32 v82, v61
	v_sub_f32_e32 v6, v6, v31
	v_sub_f32_e32 v9, v9, v25
	v_mov_b32_e32 v24, 0x43c
	ds_read2_b32 v[98:99], v77 offset0:10 offset1:14
	v_mov_b32_e32 v25, 0x4ec
	v_fma_f32 v60, -v61, v21, v58
	v_fma_f32 v71, -v61, v20, v59
	;; [unrolled: 1-line block ×3, first 2 shown]
	ds_read2_b32 v[66:67], v28 offset1:1
	ds_read2_b32 v[30:31], v24 offset1:1
	;; [unrolled: 1-line block ×4, first 2 shown]
	v_pk_mul_f32 v[18:19], v[82:83], v[40:41]
	v_pk_mul_f32 v[20:21], v[82:83], v[44:45]
	v_sub_f32_e32 v18, v22, v18
	v_sub_f32_e32 v20, v26, v20
	ds_read_b64 v[54:55], v74 offset:1184
	s_waitcnt lgkmcnt(4)
	ds_read_b32 v67, v74 offset:1180
	v_sub_f32_e32 v26, v18, v19
	s_waitcnt lgkmcnt(2)
	v_sub_f32_e32 v47, v20, v21
	ds_read_b128 v[18:21], v74 offset:1440
	v_mov_b32_e32 v65, v111
	v_mov_b32_e32 v81, v104
	v_pk_mul_f32 v[22:23], v[82:83], v[64:65]
	ds_read2_b32 v[40:41], v74 offset0:249 offset1:250
	v_sub_f32_e32 v22, v79, v22
	s_waitcnt lgkmcnt(1)
	v_fma_f32 v77, -v83, v19, v77
	v_fma_f32 v79, -v83, v18, v87
	v_pk_mul_f32 v[18:19], v[82:83], v[80:81]
	v_fma_f32 v59, -v83, v21, v60
	v_sub_f32_e32 v13, v13, v18
	v_fma_f32 v60, -v83, v20, v71
	v_sub_f32_e32 v13, v13, v19
	ds_read_b96 v[18:20], v74 offset:1456
	v_mov_b32_e32 v71, v110
	v_sub_f32_e32 v55, v22, v23
	ds_read_b96 v[22:24], v74 offset:1056
	s_waitcnt lgkmcnt(1)
	v_pk_mul_f32 v[20:21], v[82:83], v[70:71]
	v_mov_b32_e32 v62, v103
	v_fma_f32 v28, -v61, v68, v85
	s_waitcnt lgkmcnt(0)
	ds_read_b64 v[24:25], v74 offset:992
	ds_read_b32 v31, v74 offset:988
	v_sub_f32_e32 v20, v84, v20
	v_mul_f32_e32 v69, v26, v29
	v_mov_b32_e32 v68, v83
	v_mov_b32_e32 v56, v105
	s_waitcnt lgkmcnt(1)
	v_sub_f32_e32 v25, v20, v21
	v_fma_f32 v80, -v83, v18, v28
	v_mov_b32_e32 v64, v19
	ds_read2_b64 v[18:21], v74 offset0:87 offset1:96
	ds_read2_b32 v[100:101], v74 offset0:218 offset1:222
	ds_write2_b32 v76, v69, v83 offset0:80 offset1:104
	v_pk_mul_f32 v[28:29], v[68:69], v[62:63]
	v_pk_mul_f32 v[44:45], v[68:69], v[52:53]
	ds_read_b64 v[70:71], v74 offset:1368
	ds_read_b32 v65, v74 offset:1364
	ds_read_b96 v[82:84], v74 offset:1264
	ds_read_b96 v[88:90], v74 offset:1088
	v_sub_f32_e32 v5, v5, v28
	v_sub_f32_e32 v6, v6, v44
	v_pk_mul_f32 v[52:53], v[68:69], v[56:57]
	v_sub_f32_e32 v5, v5, v29
	ds_read2_b32 v[28:29], v74 offset0:223 offset1:224
	s_waitcnt lgkmcnt(7)
	v_sub_f32_e32 v21, v6, v45
	ds_read_b64 v[44:45], v74 offset:968
	v_sub_f32_e32 v6, v86, v52
	v_pk_mul_f32 v[50:51], v[68:69], v[50:51]
	s_waitcnt lgkmcnt(2)
	ds_read_b96 v[90:92], v74 offset:1072
	s_waitcnt lgkmcnt(2)
	v_sub_f32_e32 v29, v6, v53
	ds_read_b32 v61, v74 offset:964
	ds_read_b96 v[84:86], v74 offset:880
	s_waitcnt lgkmcnt(3)
	v_fma_f32 v45, -v69, v17, v59
	v_fma_f32 v26, -v69, v16, v60
	v_fma_f32 v56, -v69, v15, v77
	v_fma_f32 v60, -v69, v14, v79
	ds_read2_b64 v[14:17], v74 offset0:62 offset1:72
	v_sub_f32_e32 v6, v9, v50
	s_waitcnt lgkmcnt(0)
	v_sub_f32_e32 v17, v6, v51
	v_pk_mul_f32 v[50:51], v[68:69], v[64:65]
	v_mov_b32_e32 v62, v69
	v_sub_f32_e32 v6, v34, v50
	v_mul_f32_e32 v63, v5, v7
	v_sub_f32_e32 v34, v6, v51
	v_pk_mul_f32 v[6:7], v[62:63], v[42:43]
	ds_read2_b32 v[52:53], v74 offset0:199 offset1:200
	ds_read_b64 v[50:51], v74 offset:792
	ds_read_b32 v57, v74 offset:788
	ds_read_b64 v[42:43], v74 offset:784
	v_sub_f32_e32 v5, v47, v6
	v_sub_f32_e32 v5, v5, v7
	v_pk_mul_f32 v[6:7], v[62:63], v[48:49]
	v_mov_b32_e32 v9, v82
	v_sub_f32_e32 v6, v55, v6
	v_pk_mul_f32 v[64:65], v[62:63], v[8:9]
	s_waitcnt lgkmcnt(0)
	v_sub_f32_e32 v43, v6, v7
	ds_read_b96 v[6:8], v74 offset:1248
	v_pk_mul_f32 v[48:49], v[62:63], v[72:73]
	v_mov_b32_e32 v71, v78
	v_sub_f32_e32 v9, v13, v48
	v_pk_mul_f32 v[68:69], v[62:63], v[70:71]
	v_sub_f32_e32 v51, v9, v49
	ds_read_b64 v[48:49], v74 offset:1176
	v_sub_f32_e32 v9, v25, v68
	s_waitcnt lgkmcnt(1)
	v_fma_f32 v77, -v63, v8, v26
	v_mul_f32_e32 v27, v5, v27
	v_mov_b32_e32 v26, v63
	v_sub_f32_e32 v25, v9, v69
	ds_read_b32 v69, v74 offset:1172
	v_sub_f32_e32 v9, v80, v64
	v_fma_f32 v13, -v63, v7, v56
	s_waitcnt lgkmcnt(1)
	v_fma_f32 v49, -v63, v6, v60
	v_pk_mul_f32 v[6:7], v[26:27], v[36:37]
	v_sub_f32_e32 v72, v9, v65
	ds_read_b64 v[64:65], v74 offset:1168
	ds_read_b32 v59, v74 offset:1164
	v_sub_f32_e32 v5, v21, v6
	v_sub_f32_e32 v5, v5, v7
	v_pk_mul_f32 v[6:7], v[26:27], v[38:39]
	ds_write2_b32 v76, v27, v63 offset0:32 offset1:56
	v_sub_f32_e32 v6, v29, v6
	ds_read_b64 v[70:71], v74 offset:984
	ds_read_b32 v73, v74 offset:980
	ds_read_b64 v[62:63], v74 offset:976
	ds_read_b32 v47, v74 offset:972
	v_sub_f32_e32 v21, v6, v7
	ds_read2_b64 v[6:9], v74 offset0:37 offset1:48
	v_pk_mul_f32 v[36:37], v[26:27], v[66:67]
	v_mov_b32_e32 v68, v83
	s_waitcnt lgkmcnt(0)
	v_sub_f32_e32 v9, v17, v36
	v_pk_mul_f32 v[38:39], v[26:27], v[68:69]
	v_sub_f32_e32 v29, v9, v37
	v_sub_f32_e32 v9, v34, v38
	v_pk_mul_f32 v[58:59], v[26:27], v[58:59]
	v_mul_f32_e32 v35, v5, v35
	v_fma_f32 v79, -v27, v11, v13
	v_mov_b32_e32 v34, v27
	v_mov_b32_e32 v13, v98
	v_sub_f32_e32 v78, v9, v39
	v_sub_f32_e32 v9, v45, v58
	v_fma_f32 v5, -v27, v10, v49
	v_pk_mul_f32 v[10:11], v[34:35], v[12:13]
	v_pk_mul_f32 v[12:13], v[34:35], v[32:33]
	v_sub_f32_e32 v58, v9, v59
	v_sub_f32_e32 v9, v43, v12
	v_mov_b32_e32 v55, v88
	v_sub_f32_e32 v9, v9, v13
	v_pk_mul_f32 v[12:13], v[34:35], v[54:55]
	v_mov_b32_e32 v49, v99
	v_sub_f32_e32 v12, v51, v12
	v_sub_f32_e32 v80, v12, v13
	v_pk_mul_f32 v[12:13], v[34:35], v[48:49]
	v_mov_b32_e32 v65, v90
	v_sub_f32_e32 v12, v25, v12
	v_sub_f32_e32 v81, v12, v13
	v_pk_mul_f32 v[12:13], v[34:35], v[64:65]
	v_sub_f32_e32 v10, v77, v10
	v_sub_f32_e32 v12, v72, v12
	;; [unrolled: 1-line block ×3, first 2 shown]
	v_mov_b32_e32 v12, v89
	v_mov_b32_e32 v13, v40
	v_sub_f32_e32 v82, v10, v11
	v_mul_f32_e32 v11, v9, v41
	v_mov_b32_e32 v10, v35
	ds_read2_b32 v[36:37], v74 offset0:219 offset1:220
	ds_read_b96 v[92:94], v74 offset:864
	v_pk_mul_f32 v[12:13], v[10:11], v[12:13]
	s_waitcnt lgkmcnt(0)
	ds_read_b96 v[94:96], v74 offset:688
	ds_read_b32 v37, v74 offset:780
	ds_read_b64 v[38:39], v74 offset:776
	ds_read_b32 v59, v74 offset:772
	v_fma_f32 v22, -v35, v22, v5
	v_sub_f32_e32 v5, v21, v12
	ds_read2_b32 v[66:67], v74 offset0:171 offset1:172
	s_waitcnt lgkmcnt(2)
	ds_read_b32 v39, v74 offset:680
	v_pk_mul_f32 v[30:31], v[10:11], v[30:31]
	v_sub_f32_e32 v5, v5, v13
	ds_read2_b32 v[26:27], v74 offset0:149 offset1:150
	ds_read_b64 v[68:69], v74 offset:592
	s_waitcnt lgkmcnt(3)
	ds_read_b32 v67, v74 offset:588
	ds_read_b64 v[32:33], v74 offset:584
	ds_read2_b32 v[54:55], v74 offset0:99 offset1:100
	ds_read2_b32 v[64:65], v74 offset0:123 offset1:124
	ds_read_b64 v[48:49], v74 offset:392
	v_mul_f32_e32 v77, v5, v3
	v_mov_b32_e32 v76, v11
	v_sub_f32_e32 v3, v29, v30
	v_mov_b32_e32 v25, v2
	s_waitcnt lgkmcnt(0)
	v_mov_b32_e32 v49, v6
	v_sub_f32_e32 v6, v3, v31
	v_pk_mul_f32 v[2:3], v[76:77], v[24:25]
	v_mov_b32_e32 v72, v91
	v_sub_f32_e32 v2, v80, v2
	v_mov_b32_e32 v71, v101
	v_sub_f32_e32 v2, v2, v3
	v_pk_mul_f32 v[72:73], v[10:11], v[72:73]
	v_mov_b32_e32 v29, v52
	v_mov_b32_e32 v63, v84
	v_mov_b32_e32 v45, v100
	v_pk_mul_f32 v[24:25], v[76:77], v[70:71]
	v_mul_f32_e32 v3, v2, v53
	v_mov_b32_e32 v2, v77
	v_pk_mul_f32 v[46:47], v[10:11], v[46:47]
	v_mov_b32_e32 v5, v92
	v_mov_b32_e32 v51, v18
	v_mov_b32_e32 v56, v85
	v_sub_f32_e32 v18, v78, v72
	v_sub_f32_e32 v24, v81, v24
	v_pk_mul_f32 v[62:63], v[76:77], v[62:63]
	v_pk_mul_f32 v[44:45], v[76:77], v[44:45]
	;; [unrolled: 1-line block ×3, first 2 shown]
	v_mov_b32_e32 v69, v14
	v_mov_b32_e32 v31, v26
	v_sub_f32_e32 v14, v58, v46
	v_sub_f32_e32 v18, v18, v73
	;; [unrolled: 1-line block ×6, first 2 shown]
	v_pk_mul_f32 v[24:25], v[2:3], v[56:57]
	v_mov_b32_e32 v58, v93
	v_pk_mul_f32 v[4:5], v[76:77], v[4:5]
	v_sub_f32_e32 v18, v18, v24
	v_sub_f32_e32 v24, v26, v63
	v_pk_mul_f32 v[36:37], v[2:3], v[36:37]
	v_sub_f32_e32 v26, v34, v45
	v_pk_mul_f32 v[44:45], v[2:3], v[58:59]
	v_sub_f32_e32 v2, v22, v4
	ds_read_b96 v[86:88], v74 offset:672
	v_sub_f32_e32 v34, v2, v5
	v_sub_f32_e32 v2, v6, v29
	v_mov_b32_e32 v60, v23
	ds_read_b32 v23, v74 offset:580
	ds_read_b32 v33, v74 offset:488
	s_waitcnt lgkmcnt(2)
	ds_read_b96 v[88:90], v74 offset:480
	ds_write2_b32 v75, v11, v35 offset0:112 offset1:136
	v_mul_f32_e32 v5, v2, v19
	v_mov_b32_e32 v4, v3
	ds_read2_b32 v[40:41], v74 offset0:49 offset1:50
	ds_read_b32 v35, v74 offset:388
	ds_read_b96 v[96:98], v74 offset:288
	ds_write2_b32 v1, v3, v77 offset0:192 offset1:216
	v_pk_mul_f32 v[2:3], v[4:5], v[50:51]
	v_mov_b32_e32 v43, v94
	v_sub_f32_e32 v2, v28, v2
	v_sub_f32_e32 v14, v14, v47
	v_sub_f32_e32 v6, v18, v25
	v_pk_mul_f32 v[18:19], v[4:5], v[42:43]
	v_sub_f32_e32 v2, v2, v3
	v_sub_f32_e32 v14, v14, v36
	;; [unrolled: 1-line block ×3, first 2 shown]
	v_pk_mul_f32 v[24:25], v[4:5], v[38:39]
	v_mul_f32_e32 v3, v2, v27
	v_mov_b32_e32 v2, v5
	v_mov_b32_e32 v21, v86
	;; [unrolled: 1-line block ×3, first 2 shown]
	v_sub_f32_e32 v14, v14, v37
	v_sub_f32_e32 v22, v26, v24
	;; [unrolled: 1-line block ×3, first 2 shown]
	v_pk_mul_f32 v[18:19], v[2:3], v[66:67]
	v_pk_mul_f32 v[26:27], v[2:3], v[30:31]
	v_sub_f32_e32 v14, v14, v18
	v_sub_f32_e32 v18, v22, v25
	v_mov_b32_e32 v22, v87
	v_pk_mul_f32 v[20:21], v[4:5], v[20:21]
	v_sub_f32_e32 v6, v6, v26
	s_waitcnt lgkmcnt(7)
	v_pk_mul_f32 v[22:23], v[2:3], v[22:23]
	v_sub_f32_e32 v2, v34, v20
	v_sub_f32_e32 v20, v2, v21
	v_sub_f32_e32 v2, v6, v27
	v_pk_mul_f32 v[60:61], v[10:11], v[60:61]
	ds_read2_b64 v[10:13], v74 offset0:12 offset1:24
	ds_write2_b32 v1, v3, v5 offset0:144 offset1:168
	v_mul_f32_e32 v5, v2, v15
	v_mov_b32_e32 v4, v3
	s_waitcnt lgkmcnt(1)
	v_sub_f32_e32 v13, v79, v60
	v_pk_mul_f32 v[2:3], v[4:5], v[68:69]
	v_sub_f32_e32 v13, v13, v61
	v_sub_f32_e32 v2, v24, v2
	;; [unrolled: 1-line block ×4, first 2 shown]
	v_mov_b32_e32 v17, v88
	v_mov_b32_e32 v65, v54
	v_sub_f32_e32 v13, v13, v45
	v_sub_f32_e32 v6, v14, v19
	v_pk_mul_f32 v[14:15], v[4:5], v[32:33]
	v_mul_f32_e32 v3, v2, v55
	v_mov_b32_e32 v2, v5
	v_sub_f32_e32 v13, v13, v22
	v_sub_f32_e32 v14, v18, v14
	v_pk_mul_f32 v[18:19], v[2:3], v[64:65]
	v_mov_b32_e32 v34, v89
	v_pk_mul_f32 v[16:17], v[4:5], v[16:17]
	v_sub_f32_e32 v13, v13, v23
	v_sub_f32_e32 v6, v6, v18
	;; [unrolled: 1-line block ×3, first 2 shown]
	v_pk_mul_f32 v[14:15], v[2:3], v[34:35]
	v_sub_f32_e32 v2, v20, v16
	v_sub_f32_e32 v13, v13, v14
	;; [unrolled: 1-line block ×4, first 2 shown]
	ds_write2_b32 v1, v3, v5 offset0:96 offset1:120
	v_mul_f32_e32 v5, v2, v7
	v_mov_b32_e32 v4, v3
	v_pk_mul_f32 v[2:3], v[4:5], v[48:49]
	v_mov_b32_e32 v6, v97
	v_sub_f32_e32 v2, v18, v2
	v_sub_f32_e32 v2, v2, v3
	v_mul_f32_e32 v3, v2, v41
	v_mov_b32_e32 v2, v5
	v_mov_b32_e32 v7, v40
	;; [unrolled: 1-line block ×3, first 2 shown]
	v_sub_f32_e32 v13, v13, v15
	v_pk_mul_f32 v[6:7], v[2:3], v[6:7]
	v_pk_mul_f32 v[8:9], v[4:5], v[8:9]
	v_sub_f32_e32 v2, v13, v6
	ds_read_b32 v15, v74
	v_sub_f32_e32 v4, v14, v8
	v_sub_f32_e32 v2, v2, v7
	;; [unrolled: 1-line block ×3, first 2 shown]
	ds_write2_b32 v1, v3, v5 offset0:48 offset1:72
	v_mul_f32_e32 v5, v2, v11
	v_mov_b32_e32 v4, v3
	v_mov_b32_e32 v13, v10
	v_pk_mul_f32 v[2:3], v[4:5], v[12:13]
	s_nop 0
	v_sub_f32_e32 v2, v6, v2
	v_sub_f32_e32 v2, v2, v3
	s_waitcnt lgkmcnt(1)
	v_mul_f32_e32 v2, v2, v15
	ds_write2_b32 v1, v2, v5 offset1:24
	s_cmp_gt_i32 s5, -1
	s_cbranch_scc1 .LBB26_38
	s_branch .LBB26_60
.LBB26_37:
	s_mov_b32 s5, s4
	s_cmp_gt_i32 s5, -1
	s_cbranch_scc0 .LBB26_60
.LBB26_38:
	s_cmp_lt_u32 s5, 19
	s_cbranch_scc1 .LBB26_43
; %bb.39:
	s_mul_i32 s7, s5, 0x60
	v_add_u32_e32 v34, s7, v1
	v_add_u32_e32 v2, 0xffffffa0, v34
	;; [unrolled: 1-line block ×8, first 2 shown]
	ds_read_b32 v28, v34
	ds_read_b32 v29, v2
	;; [unrolled: 1-line block ×8, first 2 shown]
	v_add_u32_e32 v2, 0xfffffd00, v34
	v_add_u32_e32 v10, 0xfffffb80, v34
	;; [unrolled: 1-line block ×8, first 2 shown]
	ds_read_b32 v22, v2
	ds_read_b32 v23, v3
	;; [unrolled: 1-line block ×8, first 2 shown]
	v_add_u32_e32 v2, 0xfffffa00, v34
	v_add_u32_e32 v3, 0xfffff9a0, v34
	;; [unrolled: 1-line block ×4, first 2 shown]
	ds_read_b32 v6, v2
	ds_read_b32 v7, v3
	;; [unrolled: 1-line block ×4, first 2 shown]
	s_cmp_le_i32 s4, s5
	s_cbranch_scc1 .LBB26_42
; %bb.40:
	s_mul_i32 s16, s26, 0x60
	s_lshl_b32 s17, s5, 2
	v_lshl_add_u32 v12, v0, 2, s16
	s_add_i32 s16, s16, s17
	v_add_u32_e32 v12, 0x8a0, v12
	s_addk_i32 s16, 0xff54
	s_mov_b32 s17, s4
.LBB26_41:                              ; =>This Inner Loop Header: Depth=1
	v_mov_b32_e32 v13, s16
	ds_read_b32 v14, v12
	ds_read2_b32 v[20:21], v13 offset0:18 offset1:19
	ds_read2_b32 v[26:27], v13 offset0:16 offset1:17
	;; [unrolled: 1-line block ×9, first 2 shown]
	ds_read2_b32 v[46:47], v13 offset1:1
	s_add_i32 s17, s17, -1
	s_addk_i32 s16, 0xffa0
	v_add_u32_e32 v12, 0xffffffa0, v12
	s_waitcnt lgkmcnt(9)
	v_pk_mul_f32 v[20:21], v[14:15], v[20:21] op_sel_hi:[0,1]
	s_waitcnt lgkmcnt(8)
	v_pk_mul_f32 v[26:27], v[14:15], v[26:27] op_sel_hi:[0,1]
	;; [unrolled: 2-line block ×10, first 2 shown]
	s_cmp_gt_i32 s17, s5
	v_pk_add_f32 v[28:29], v[28:29], v[20:21] op_sel:[0,1] op_sel_hi:[1,0] neg_lo:[0,1] neg_hi:[0,1]
	v_pk_add_f32 v[8:9], v[8:9], v[26:27] op_sel:[0,1] op_sel_hi:[1,0] neg_lo:[0,1] neg_hi:[0,1]
	v_pk_add_f32 v[24:25], v[24:25], v[30:31] op_sel:[0,1] op_sel_hi:[1,0] neg_lo:[0,1] neg_hi:[0,1]
	v_pk_add_f32 v[4:5], v[4:5], v[32:33] op_sel:[0,1] op_sel_hi:[1,0] neg_lo:[0,1] neg_hi:[0,1]
	v_pk_add_f32 v[22:23], v[22:23], v[36:37] op_sel:[0,1] op_sel_hi:[1,0] neg_lo:[0,1] neg_hi:[0,1]
	v_pk_add_f32 v[18:19], v[18:19], v[38:39] op_sel:[0,1] op_sel_hi:[1,0] neg_lo:[0,1] neg_hi:[0,1]
	v_pk_add_f32 v[16:17], v[16:17], v[40:41] op_sel:[0,1] op_sel_hi:[1,0] neg_lo:[0,1] neg_hi:[0,1]
	v_pk_add_f32 v[10:11], v[10:11], v[42:43] op_sel:[0,1] op_sel_hi:[1,0] neg_lo:[0,1] neg_hi:[0,1]
	v_pk_add_f32 v[6:7], v[6:7], v[44:45] op_sel:[0,1] op_sel_hi:[1,0] neg_lo:[0,1] neg_hi:[0,1]
	v_pk_add_f32 v[2:3], v[2:3], v[14:15] op_sel:[0,1] op_sel_hi:[1,0] neg_lo:[0,1] neg_hi:[0,1]
	s_cbranch_scc1 .LBB26_41
.LBB26_42:
	s_lshl_b32 s30, s5, 2
	s_add_i32 s16, s30, -4
	s_add_i32 s16, s16, s7
	v_mov_b32_e32 v12, s16
	s_addk_i32 s16, 0xffa0
	v_mov_b32_e32 v13, s16
	s_add_i32 s37, s7, 0xffffffa0
	s_add_i32 s16, s30, -12
	s_add_i32 s38, s7, 0xffffff40
	s_add_i32 s17, s16, s7
	;; [unrolled: 1-line block ×4, first 2 shown]
	v_mov_b32_e32 v14, s17
	v_mov_b32_e32 v15, s18
	ds_read2_b32 v[46:47], v12 offset1:1
	ds_read_b32 v35, v13
	ds_read2_b32 v[48:49], v14 offset1:1
	ds_read2_b32 v[50:51], v15 offset1:1
	v_mov_b32_e32 v12, s16
	s_add_i32 s16, s17, 0xfffffee0
	v_mov_b32_e32 v13, s16
	s_sub_i32 s16, s30, 20
	s_add_i32 s18, s16, s37
	s_add_i32 s35, s7, 0xfffffee0
	;; [unrolled: 1-line block ×3, first 2 shown]
	v_mov_b32_e32 v15, s18
	s_add_i32 s18, s16, s38
	s_add_i32 s19, s7, 0xfffffe80
	v_mov_b32_e32 v14, s17
	ds_read2_b32 v[30:31], v12 offset1:1
	ds_read_b32 v38, v13
	ds_read2_b32 v[52:53], v14 offset1:1
	ds_read2_b32 v[54:55], v15 offset1:1
	v_mov_b32_e32 v12, s18
	s_add_i32 s18, s16, s35
	s_add_i32 s16, s16, s19
	v_mov_b32_e32 v14, s16
	s_add_i32 s16, s17, 0xfffffe20
	s_sub_i32 s31, s30, 28
	v_mov_b32_e32 v13, s18
	v_mov_b32_e32 v26, s16
	s_add_i32 s16, s31, s37
	ds_read2_b32 v[40:41], v12 offset1:1
	ds_read2_b32 v[20:21], v13 offset1:1
	;; [unrolled: 1-line block ×3, first 2 shown]
	ds_read_b32 v36, v26
	v_mov_b32_e32 v13, s16
	s_add_i32 s16, s31, s38
	s_add_i32 s28, s31, s7
	v_mov_b32_e32 v26, s16
	s_add_i32 s16, s31, s35
	s_sub_i32 s27, s30, 36
	v_mov_b32_e32 v12, s28
	v_mov_b32_e32 v27, s16
	s_add_i32 s16, s27, s37
	ds_read2_b32 v[56:57], v12 offset1:1
	ds_read2_b32 v[32:33], v13 offset1:1
	;; [unrolled: 1-line block ×4, first 2 shown]
	s_add_i32 s17, s27, s7
	v_mov_b32_e32 v27, s16
	s_add_i32 s16, s27, s38
	v_mov_b32_e32 v26, s17
	v_mov_b32_e32 v44, s16
	s_add_i32 s16, s27, s35
	s_waitcnt lgkmcnt(14)
	v_mul_f32_e32 v28, v28, v47
	v_mov_b32_e32 v62, s16
	ds_read2_b32 v[58:59], v26 offset1:1
	ds_read2_b32 v[60:61], v27 offset1:1
	;; [unrolled: 1-line block ×4, first 2 shown]
	v_fma_f32 v29, -v28, v46, v29
	s_add_i32 s16, s7, 0xfffffd00
	s_waitcnt lgkmcnt(14)
	v_mov_b32_e32 v64, v50
	v_mov_b32_e32 v50, v49
	v_mul_f32_e32 v29, v29, v35
	s_add_i32 s18, s27, s16
	ds_write_b32 v34, v28
	s_addk_i32 s17, 0xfca0
	s_sub_i32 s25, s30, 44
	v_pk_mul_f32 v[34:35], v[28:29], v[50:51]
	v_mov_b32_e32 v67, s18
	s_waitcnt lgkmcnt(12)
	v_mov_b32_e32 v49, v40
	v_fma_f32 v40, -v28, v52, v25
	v_mov_b32_e32 v25, s17
	s_add_i32 s18, s25, s7
	s_add_i32 s17, s25, s37
	v_sub_f32_e32 v8, v8, v34
	s_waitcnt lgkmcnt(2)
	v_mov_b32_e32 v63, v44
	v_mov_b32_e32 v65, v30
	v_fma_f32 v44, -v28, v48, v9
	v_mov_b32_e32 v48, v54
	v_mov_b32_e32 v54, v53
	;; [unrolled: 1-line block ×4, first 2 shown]
	v_fma_f32 v42, -v28, v56, v5
	v_mov_b32_e32 v5, s18
	v_fma_f32 v56, -v28, v58, v23
	v_mov_b32_e32 v23, s17
	v_sub_f32_e32 v30, v8, v35
	ds_read2_b32 v[8:9], v67 offset1:1
	ds_read_b32 v35, v25
	ds_read2_b32 v[50:51], v5 offset1:1
	ds_read2_b32 v[52:53], v23 offset1:1
	v_mov_b32_e32 v46, v57
	s_add_i32 s17, s25, s38
	v_pk_mul_f32 v[54:55], v[28:29], v[54:55]
	v_mov_b32_e32 v23, s17
	s_add_i32 s17, s25, s35
	v_pk_mul_f32 v[46:47], v[28:29], v[46:47]
	s_add_i32 s20, s7, 0xfffffe20
	v_mov_b32_e32 v62, v60
	v_mov_b32_e32 v60, v59
	v_sub_f32_e32 v5, v24, v54
	v_sub_f32_e32 v4, v4, v46
	v_mov_b32_e32 v46, s17
	s_add_i32 s17, s25, s19
	v_sub_f32_e32 v57, v5, v55
	v_sub_f32_e32 v58, v4, v47
	v_mov_b32_e32 v47, s17
	s_add_i32 s17, s25, s20
	v_pk_mul_f32 v[4:5], v[28:29], v[60:61]
	s_waitcnt lgkmcnt(1)
	v_mov_b32_e32 v24, v51
	s_waitcnt lgkmcnt(0)
	v_mov_b32_e32 v25, v53
	v_mov_b32_e32 v53, s17
	s_add_i32 s17, s7, 0xfffffc40
	v_sub_f32_e32 v4, v22, v4
	s_add_i32 s21, s25, s17
	v_sub_f32_e32 v60, v4, v5
	v_pk_mul_f32 v[4:5], v[28:29], v[24:25]
	s_addk_i32 s18, 0xfbe0
	s_sub_i32 s24, s30, 52
	v_fma_f32 v59, -v28, v50, v19
	v_mov_b32_e32 v19, s21
	v_sub_f32_e32 v4, v18, v4
	v_mov_b32_e32 v18, s18
	s_add_i32 s21, s24, s7
	s_add_i32 s18, s24, s37
	v_mov_b32_e32 v22, s21
	v_mov_b32_e32 v24, s18
	v_mul_f32_e32 v31, v30, v31
	v_mov_b32_e32 v30, v29
	v_sub_f32_e32 v61, v4, v5
	ds_read2_b32 v[4:5], v19 offset1:1
	ds_read_b32 v34, v18
	ds_read2_b32 v[50:51], v22 offset1:1
	ds_read2_b32 v[54:55], v24 offset1:1
	;; [unrolled: 1-line block ×6, first 2 shown]
	s_waitcnt lgkmcnt(5)
	v_fma_f32 v16, -v28, v51, v16
	s_add_i32 s18, s24, s38
	v_pk_mul_f32 v[24:25], v[30:31], v[64:65]
	v_pk_mul_f32 v[32:33], v[30:31], v[32:33]
	v_add_u32_e32 v39, s37, v1
	s_waitcnt lgkmcnt(4)
	v_fma_f32 v55, -v29, v55, v16
	v_mov_b32_e32 v16, s18
	v_sub_f32_e32 v24, v44, v24
	v_pk_mul_f32 v[48:49], v[30:31], v[48:49]
	v_sub_f32_e32 v32, v42, v32
	ds_write_b32 v39, v29
	v_sub_f32_e32 v39, v24, v25
	ds_read2_b32 v[24:25], v16 offset1:1
	v_sub_f32_e32 v16, v40, v48
	v_sub_f32_e32 v64, v32, v33
	v_pk_mul_f32 v[32:33], v[30:31], v[62:63]
	s_waitcnt lgkmcnt(5)
	v_mov_b32_e32 v53, v68
	s_add_i32 s18, s24, s35
	v_sub_f32_e32 v42, v16, v49
	v_sub_f32_e32 v16, v56, v32
	v_mov_b32_e32 v44, s18
	v_sub_f32_e32 v56, v16, v33
	v_pk_mul_f32 v[32:33], v[30:31], v[52:53]
	s_add_i32 s18, s24, s19
	s_sub_i32 s34, s30, 60
	v_sub_f32_e32 v16, v59, v32
	v_mov_b32_e32 v40, s18
	s_add_i32 s18, s34, s37
	v_add_u32_e32 v66, s38, v1
	v_sub_f32_e32 v52, v16, v33
	v_fma_f32 v16, -v28, v50, v17
	s_add_i32 s33, s34, s7
	v_mov_b32_e32 v30, s18
	s_add_i32 s18, s34, s38
	ds_write_b32 v66, v31
	v_fma_f32 v53, -v29, v54, v16
	v_mov_b32_e32 v16, s33
	v_mov_b32_e32 v48, s18
	ds_read2_b32 v[16:17], v16 offset1:1
	ds_read2_b32 v[32:33], v30 offset1:1
	;; [unrolled: 1-line block ×3, first 2 shown]
	s_add_i32 s18, s34, s35
	s_add_i32 s36, s30, 0xffffffbc
	s_waitcnt lgkmcnt(2)
	v_fma_f32 v10, -v28, v17, v10
	s_waitcnt lgkmcnt(1)
	v_fma_f32 v10, -v29, v33, v10
	;; [unrolled: 2-line block ×3, first 2 shown]
	v_fma_f32 v10, -v28, v16, v11
	v_mov_b32_e32 v30, s18
	v_fma_f32 v10, -v29, v32, v10
	s_add_i32 s18, s36, s7
	s_add_i32 s29, s36, s37
	v_fma_f32 v59, -v31, v48, v10
	v_mov_b32_e32 v10, s18
	v_mov_b32_e32 v16, s29
	ds_read2_b32 v[50:51], v30 offset1:1
	ds_read2_b32 v[10:11], v10 offset1:1
	;; [unrolled: 1-line block ×3, first 2 shown]
	s_add_i32 s29, s36, s38
	v_mov_b32_e32 v30, s29
	s_add_i32 s29, s36, s35
	v_mov_b32_e32 v48, s29
	s_add_i32 s29, s7, 0xfffffa00
	s_addk_i32 s18, 0xf9a0
	s_addk_i32 s30, 0xffb4
	s_waitcnt lgkmcnt(1)
	v_fma_f32 v6, -v28, v11, v6
	s_add_i32 s39, s36, s29
	v_fma_f32 v7, -v28, v10, v7
	v_mov_b32_e32 v10, s18
	s_add_i32 s18, s30, s7
	s_add_i32 s37, s30, s37
	s_waitcnt lgkmcnt(0)
	v_fma_f32 v62, -v29, v17, v6
	v_mov_b32_e32 v6, s39
	v_fma_f32 v63, -v29, v16, v7
	v_mov_b32_e32 v11, s18
	v_mov_b32_e32 v16, s37
	ds_read2_b32 v[32:33], v30 offset1:1
	ds_read2_b32 v[48:49], v48 offset1:1
	;; [unrolled: 1-line block ×3, first 2 shown]
	ds_read_b32 v30, v10
	ds_read2_b32 v[10:11], v11 offset1:1
	ds_read2_b32 v[16:17], v16 offset1:1
	s_add_i32 s38, s30, s38
	v_add_u32_e32 v37, s35, v1
	s_add_i32 s35, s30, s35
	s_waitcnt lgkmcnt(1)
	v_fma_f32 v2, -v28, v11, v2
	s_waitcnt lgkmcnt(0)
	v_fma_f32 v17, -v29, v17, v2
	v_mov_b32_e32 v2, s38
	v_fma_f32 v10, -v28, v10, v3
	ds_read2_b32 v[2:3], v2 offset1:1
	v_mov_b32_e32 v11, s35
	s_add_i32 s35, s30, s19
	s_add_i32 s37, s24, s20
	v_mov_b32_e32 v28, s35
	s_add_i32 s35, s30, s20
	v_fma_f32 v16, -v29, v16, v10
	v_mov_b32_e32 v29, s35
	s_waitcnt lgkmcnt(0)
	v_fma_f32 v66, -v31, v2, v16
	v_mov_b32_e32 v16, s37
	v_fma_f32 v62, -v31, v33, v62
	v_fma_f32 v63, -v31, v32, v63
	ds_read2_b32 v[10:11], v11 offset1:1
	ds_read2_b32 v[32:33], v28 offset1:1
	;; [unrolled: 1-line block ×3, first 2 shown]
	v_fma_f32 v65, -v31, v3, v17
	ds_read2_b32 v[2:3], v44 offset1:1
	ds_read2_b32 v[70:71], v40 offset1:1
	;; [unrolled: 1-line block ×3, first 2 shown]
	v_fma_f32 v44, -v31, v24, v53
	v_mul_f32_e32 v39, v39, v38
	v_mov_b32_e32 v38, v31
	v_mov_b32_e32 v24, v20
	;; [unrolled: 1-line block ×3, first 2 shown]
	v_pk_mul_f32 v[20:21], v[38:39], v[20:21]
	s_add_i32 s35, s31, s19
	v_sub_f32_e32 v20, v57, v20
	v_sub_f32_e32 v31, v20, v21
	v_mov_b32_e32 v20, v43
	v_mov_b32_e32 v21, v13
	v_pk_mul_f32 v[20:21], v[38:39], v[20:21]
	s_addk_i32 s28, 0xfd60
	v_sub_f32_e32 v13, v58, v20
	v_mov_b32_e32 v20, v26
	v_mov_b32_e32 v26, v45
	v_pk_mul_f32 v[26:27], v[38:39], v[26:27]
	v_sub_f32_e32 v43, v13, v21
	v_sub_f32_e32 v13, v60, v26
	v_sub_f32_e32 v45, v13, v27
	v_mov_b32_e32 v26, v69
	v_mov_b32_e32 v27, v23
	v_pk_mul_f32 v[26:27], v[38:39], v[26:27]
	v_fma_f32 v50, -v39, v50, v59
	v_sub_f32_e32 v13, v61, v26
	v_sub_f32_e32 v53, v13, v27
	v_mov_b32_e32 v26, v25
	s_waitcnt lgkmcnt(2)
	v_mov_b32_e32 v27, v3
	v_pk_mul_f32 v[26:27], v[38:39], v[26:27]
	v_mov_b32_e32 v23, s28
	v_sub_f32_e32 v3, v55, v26
	v_sub_f32_e32 v55, v3, v27
	v_mov_b32_e32 v3, s35
	s_add_i32 s35, s31, s20
	v_mov_b32_e32 v13, s35
	s_add_i32 s35, s7, 0xfffffdc0
	s_add_i32 s31, s31, s35
	v_mov_b32_e32 v21, s31
	s_add_i32 s31, s27, s19
	ds_read2_b32 v[68:69], v3 offset1:1
	ds_read2_b32 v[26:27], v13 offset1:1
	;; [unrolled: 1-line block ×3, first 2 shown]
	ds_read_b32 v59, v23
	s_add_i32 s28, s7, 0xfffffd60
	v_mov_b32_e32 v3, s31
	s_add_i32 s31, s27, s20
	v_fma_f32 v61, -v39, v10, v66
	v_mov_b32_e32 v10, s31
	s_add_i32 s31, s27, s35
	s_add_i32 s27, s27, s28
	v_fma_f32 v60, -v39, v11, v65
	ds_write_b32 v37, v39
	v_mov_b32_e32 v11, s31
	v_mov_b32_e32 v13, s27
	v_fma_f32 v51, -v39, v51, v54
	v_fma_f32 v49, -v39, v49, v62
	v_fma_f32 v48, -v39, v48, v63
	v_mov_b32_e32 v25, v14
	v_mul_f32_e32 v15, v31, v15
	v_mov_b32_e32 v14, v39
	ds_read2_b32 v[66:67], v3 offset1:1
	ds_read2_b32 v[38:39], v10 offset1:1
	;; [unrolled: 1-line block ×4, first 2 shown]
	s_waitcnt lgkmcnt(8)
	v_mov_b32_e32 v13, v68
	v_pk_mul_f32 v[12:13], v[14:15], v[12:13]
	v_add_u32_e32 v57, s19, v1
	s_add_i32 s27, s34, s19
	s_add_i32 s19, s36, s19
	v_sub_f32_e32 v12, v64, v12
	v_mov_b32_e32 v23, v46
	v_sub_f32_e32 v46, v12, v13
	v_mov_b32_e32 v12, s19
	v_pk_mul_f32 v[24:25], v[14:15], v[24:25]
	ds_read2_b32 v[12:13], v12 offset1:1
	s_waitcnt lgkmcnt(4)
	v_mov_b32_e32 v21, v66
	v_sub_f32_e32 v24, v42, v24
	s_add_i32 s19, s36, s20
	v_sub_f32_e32 v37, v24, v25
	v_pk_mul_f32 v[20:21], v[14:15], v[20:21]
	v_mov_b32_e32 v25, s19
	s_add_i32 s19, s36, s35
	v_mov_b32_e32 v3, v70
	v_mov_b32_e32 v24, s27
	s_add_i32 s27, s34, s20
	v_sub_f32_e32 v20, v56, v20
	v_mov_b32_e32 v63, s19
	s_add_i32 s19, s36, s28
	v_mov_b32_e32 v42, s27
	s_add_i32 s27, s34, s35
	v_sub_f32_e32 v56, v20, v21
	v_pk_mul_f32 v[20:21], v[14:15], v[22:23]
	v_mov_b32_e32 v64, s19
	v_pk_mul_f32 v[2:3], v[14:15], v[2:3]
	s_add_i32 s19, s34, s28
	v_sub_f32_e32 v20, v52, v20
	v_sub_f32_e32 v2, v44, v2
	s_waitcnt lgkmcnt(0)
	v_fma_f32 v49, -v15, v13, v49
	v_fma_f32 v48, -v15, v12, v48
	v_mov_b32_e32 v12, s27
	v_mov_b32_e32 v13, s19
	v_sub_f32_e32 v52, v20, v21
	v_sub_f32_e32 v44, v2, v3
	ds_read2_b32 v[20:21], v25 offset1:1
	ds_read2_b32 v[22:23], v63 offset1:1
	;; [unrolled: 1-line block ×3, first 2 shown]
	v_fma_f32 v60, -v15, v33, v60
	v_fma_f32 v61, -v15, v32, v61
	ds_read2_b32 v[24:25], v24 offset1:1
	ds_read2_b32 v[32:33], v42 offset1:1
	;; [unrolled: 1-line block ×4, first 2 shown]
	ds_write_b32 v57, v15
	s_waitcnt lgkmcnt(4)
	v_fma_f32 v50, -v15, v24, v50
	v_mul_f32_e32 v37, v37, v36
	v_mov_b32_e32 v36, v15
	v_mov_b32_e32 v14, v69
	v_mov_b32_e32 v15, v27
	v_pk_mul_f32 v[14:15], v[36:37], v[14:15]
	v_mov_b32_e32 v42, v38
	v_sub_f32_e32 v14, v43, v14
	v_mov_b32_e32 v38, v67
	v_sub_f32_e32 v57, v14, v15
	v_pk_mul_f32 v[14:15], v[36:37], v[38:39]
	s_add_i32 s19, s25, s35
	v_sub_f32_e32 v14, v45, v14
	v_sub_f32_e32 v45, v14, v15
	v_mov_b32_e32 v14, v47
	v_mov_b32_e32 v15, v19
	v_pk_mul_f32 v[14:15], v[36:37], v[14:15]
	v_mov_b32_e32 v39, v11
	v_sub_f32_e32 v14, v53, v14
	v_sub_f32_e32 v47, v14, v15
	v_mov_b32_e32 v14, v71
	v_mov_b32_e32 v15, v17
	v_pk_mul_f32 v[14:15], v[36:37], v[14:15]
	v_mov_b32_e32 v11, v8
	v_sub_f32_e32 v14, v55, v14
	v_sub_f32_e32 v53, v14, v15
	v_mov_b32_e32 v14, v25
	s_waitcnt lgkmcnt(3)
	v_mov_b32_e32 v15, v33
	v_pk_mul_f32 v[14:15], v[36:37], v[14:15]
	v_add_u32_e32 v58, s20, v1
	v_sub_f32_e32 v8, v51, v14
	v_mov_b32_e32 v14, s19
	s_add_i32 s19, s25, s28
	s_add_i32 s20, s7, 0xfffffca0
	v_sub_f32_e32 v8, v8, v15
	v_mov_b32_e32 v15, s19
	s_add_i32 s19, s25, s16
	v_mov_b32_e32 v17, s19
	s_add_i32 s19, s25, s20
	v_fma_f32 v49, -v37, v21, v49
	v_fma_f32 v48, -v37, v20, v48
	v_mov_b32_e32 v19, s19
	ds_read2_b32 v[20:21], v14 offset1:1
	ds_read2_b32 v[24:25], v15 offset1:1
	;; [unrolled: 1-line block ×4, first 2 shown]
	v_mov_b32_e32 v27, v40
	v_mul_f32_e32 v41, v57, v41
	s_add_i32 s25, s24, s35
	v_mov_b32_e32 v40, v37
	v_fma_f32 v51, -v37, v29, v60
	v_fma_f32 v60, -v37, v28, v61
	s_waitcnt lgkmcnt(3)
	v_mov_b32_e32 v28, v21
	v_mov_b32_e32 v19, v20
	;; [unrolled: 1-line block ×3, first 2 shown]
	s_add_i32 s25, s24, s28
	v_pk_mul_f32 v[20:21], v[40:41], v[26:27]
	s_waitcnt lgkmcnt(2)
	v_mov_b32_e32 v29, v25
	v_mov_b32_e32 v25, s25
	s_add_i32 s25, s24, s16
	v_sub_f32_e32 v20, v46, v20
	v_mov_b32_e32 v43, v72
	v_sub_f32_e32 v46, v20, v21
	v_mov_b32_e32 v20, s25
	s_add_i32 s25, s24, s20
	ds_write_b32 v58, v37
	v_mov_b32_e32 v21, s25
	v_pk_mul_f32 v[36:37], v[40:41], v[42:43]
	ds_read2_b32 v[68:69], v17 offset1:1
	ds_read2_b32 v[26:27], v25 offset1:1
	;; [unrolled: 1-line block ×4, first 2 shown]
	s_add_i32 s27, s30, s35
	v_sub_f32_e32 v17, v56, v36
	v_sub_f32_e32 v25, v17, v37
	v_mov_b32_e32 v17, s27
	v_pk_mul_f32 v[18:19], v[40:41], v[18:19]
	ds_read2_b32 v[36:37], v17 offset1:1
	v_sub_f32_e32 v17, v52, v18
	v_sub_f32_e32 v52, v17, v19
	s_waitcnt lgkmcnt(4)
	v_mov_b32_e32 v17, v68
	v_pk_mul_f32 v[16:17], v[40:41], v[16:17]
	s_add_i32 s19, s7, 0xfffffbe0
	s_add_i32 s25, s24, s17
	;; [unrolled: 1-line block ×3, first 2 shown]
	v_sub_f32_e32 v16, v44, v16
	v_mov_b32_e32 v33, v64
	v_mov_b32_e32 v18, s27
	s_add_i32 s27, s30, s16
	v_sub_f32_e32 v44, v16, v17
	v_pk_mul_f32 v[16:17], v[40:41], v[32:33]
	v_mov_b32_e32 v56, s25
	s_add_i32 s25, s24, s19
	v_mov_b32_e32 v38, v73
	v_mov_b32_e32 v42, s27
	s_add_i32 s27, s30, s20
	v_sub_f32_e32 v16, v50, v16
	s_waitcnt lgkmcnt(0)
	v_fma_f32 v50, -v41, v37, v51
	v_fma_f32 v51, -v41, v36, v60
	v_mov_b32_e32 v60, s25
	s_add_i32 s25, s7, 0xfffffb80
	v_mul_f32_e32 v37, v46, v59
	v_mov_b32_e32 v36, v41
	v_add_u32_e32 v54, s35, v1
	v_mov_b32_e32 v43, s27
	v_sub_f32_e32 v40, v16, v17
	s_add_i32 s24, s24, s25
	s_addk_i32 s21, 0xfb20
	v_pk_mul_f32 v[16:17], v[36:37], v[38:39]
	ds_read2_b32 v[18:19], v18 offset1:1
	ds_read2_b32 v[32:33], v42 offset1:1
	;; [unrolled: 1-line block ×3, first 2 shown]
	ds_write_b32 v54, v41
	v_mov_b32_e32 v54, s24
	v_fma_f32 v48, -v41, v22, v48
	v_mov_b32_e32 v22, s21
	v_sub_f32_e32 v16, v45, v16
	v_pk_mul_f32 v[28:29], v[36:37], v[28:29]
	v_sub_f32_e32 v41, v16, v17
	ds_read2_b32 v[72:73], v56 offset1:1
	ds_read2_b32 v[38:39], v60 offset1:1
	;; [unrolled: 1-line block ×3, first 2 shown]
	ds_read_b32 v54, v22
	v_sub_f32_e32 v22, v47, v28
	v_sub_f32_e32 v45, v22, v29
	v_mov_b32_e32 v28, v69
	v_mov_b32_e32 v29, v27
	v_pk_mul_f32 v[28:29], v[36:37], v[28:29]
	s_add_i32 s24, s34, s16
	v_sub_f32_e32 v22, v53, v28
	v_sub_f32_e32 v47, v22, v29
	v_mov_b32_e32 v28, v65
	v_mov_b32_e32 v29, v13
	v_pk_mul_f32 v[28:29], v[36:37], v[28:29]
	v_mov_b32_e32 v22, v23
	v_sub_f32_e32 v8, v8, v28
	v_mov_b32_e32 v23, v3
	v_sub_f32_e32 v53, v8, v29
	v_mov_b32_e32 v8, s24
	s_add_i32 s24, s34, s20
	v_pk_mul_f32 v[22:23], v[36:37], v[22:23]
	v_mov_b32_e32 v13, s24
	s_add_i32 s24, s34, s17
	v_sub_f32_e32 v3, v49, v22
	v_sub_f32_e32 v49, v3, v23
	v_mov_b32_e32 v3, s24
	s_add_i32 s24, s34, s19
	s_add_i32 s21, s7, 0xfffffb20
	v_mov_b32_e32 v27, s24
	s_add_i32 s24, s34, s25
	ds_read2_b32 v[64:65], v8 offset1:1
	ds_read2_b32 v[22:23], v13 offset1:1
	ds_read2_b32 v[68:69], v3 offset1:1
	ds_read2_b32 v[28:29], v27 offset1:1
	v_mov_b32_e32 v3, s24
	s_add_i32 s24, s34, s21
	v_mov_b32_e32 v13, s24
	s_add_i32 s24, s7, 0xfffffac0
	v_add_u32_e32 v62, s28, v1
	s_add_i32 s27, s34, s24
	v_mul_f32_e32 v9, v41, v9
	v_mov_b32_e32 v8, v37
	ds_write_b32 v62, v37
	v_mov_b32_e32 v27, s27
	s_add_i32 s27, s33, 0xfffffa60
	v_pk_mul_f32 v[10:11], v[8:9], v[10:11]
	v_add_u32_e32 v31, s16, v1
	s_waitcnt lgkmcnt(12)
	v_fma_f32 v50, -v37, v19, v50
	v_fma_f32 v51, -v37, v18, v51
	v_mov_b32_e32 v41, s27
	ds_read2_b32 v[74:75], v3 offset1:1
	ds_read2_b32 v[18:19], v13 offset1:1
	;; [unrolled: 1-line block ×3, first 2 shown]
	ds_read_b32 v60, v41
	v_sub_f32_e32 v3, v25, v10
	s_add_i32 s16, s36, s16
	v_mov_b32_e32 v25, v66
	v_sub_f32_e32 v41, v3, v11
	v_mov_b32_e32 v3, s16
	s_add_i32 s16, s36, s20
	v_pk_mul_f32 v[10:11], v[8:9], v[24:25]
	v_mov_b32_e32 v13, s16
	v_sub_f32_e32 v10, v52, v10
	s_add_i32 s16, s36, s17
	v_mov_b32_e32 v27, v70
	v_sub_f32_e32 v52, v10, v11
	v_mov_b32_e32 v24, s16
	s_add_i32 s16, s36, s19
	v_pk_mul_f32 v[10:11], v[8:9], v[26:27]
	v_mov_b32_e32 v25, s16
	v_sub_f32_e32 v10, v44, v10
	v_sub_f32_e32 v62, v10, v11
	ds_read2_b32 v[76:77], v3 offset1:1
	ds_read2_b32 v[10:11], v13 offset1:1
	;; [unrolled: 1-line block ×4, first 2 shown]
	s_waitcnt lgkmcnt(12)
	v_mov_b32_e32 v13, v64
	s_add_i32 s16, s36, s25
	v_pk_mul_f32 v[12:13], v[8:9], v[12:13]
	v_mov_b32_e32 v3, s16
	s_add_i32 s16, s36, s21
	v_sub_f32_e32 v12, v40, v12
	s_add_i32 s27, s7, 0xfffffa60
	v_sub_f32_e32 v63, v12, v13
	v_mov_b32_e32 v12, s16
	s_add_i32 s16, s36, s24
	v_mov_b32_e32 v26, s16
	s_add_i32 s16, s36, s27
	ds_write_b32 v31, v9
	v_mov_b32_e32 v27, s16
	ds_read2_b32 v[80:81], v3 offset1:1
	ds_read2_b32 v[12:13], v12 offset1:1
	;; [unrolled: 1-line block ×4, first 2 shown]
	s_waitcnt lgkmcnt(8)
	v_mov_b32_e32 v3, v76
	v_pk_mul_f32 v[2:3], v[8:9], v[2:3]
	v_mul_f32_e32 v41, v41, v35
	v_sub_f32_e32 v2, v48, v2
	v_sub_f32_e32 v31, v2, v3
	v_mov_b32_e32 v2, v67
	v_mov_b32_e32 v3, v15
	;; [unrolled: 1-line block ×3, first 2 shown]
	v_fma_f32 v48, -v9, v32, v51
	v_mov_b32_e32 v8, v42
	v_mov_b32_e32 v42, v33
	;; [unrolled: 1-line block ×4, first 2 shown]
	v_pk_mul_f32 v[2:3], v[40:41], v[2:3]
	v_pk_mul_f32 v[32:33], v[40:41], v[32:33]
	v_add_u32_e32 v58, s17, v1
	v_sub_f32_e32 v2, v45, v2
	s_add_i32 s17, s30, s17
	v_sub_f32_e32 v9, v47, v32
	v_mov_b32_e32 v15, v4
	v_sub_f32_e32 v4, v2, v3
	v_mov_b32_e32 v2, v65
	v_mov_b32_e32 v3, v23
	v_sub_f32_e32 v47, v9, v33
	v_mov_b32_e32 v9, s17
	s_add_i32 s17, s30, s19
	v_add_u32_e32 v55, s20, v1
	v_mov_b32_e32 v44, v77
	s_waitcnt lgkmcnt(7)
	v_mov_b32_e32 v45, v11
	v_pk_mul_f32 v[2:3], v[40:41], v[2:3]
	v_mov_b32_e32 v11, s17
	s_add_i32 s17, s30, s25
	ds_write_b32 v55, v41
	v_pk_mul_f32 v[44:45], v[40:41], v[44:45]
	v_sub_f32_e32 v2, v53, v2
	v_mov_b32_e32 v21, s17
	s_add_i32 s17, s30, s21
	v_sub_f32_e32 v53, v2, v3
	v_mov_b32_e32 v23, s17
	ds_read2_b32 v[64:65], v9 offset1:1
	ds_read2_b32 v[2:3], v11 offset1:1
	;; [unrolled: 1-line block ×4, first 2 shown]
	s_add_i32 s17, s30, s24
	v_sub_f32_e32 v9, v49, v44
	v_pk_mul_f32 v[42:43], v[40:41], v[42:43]
	v_sub_f32_e32 v49, v9, v45
	v_mov_b32_e32 v9, s17
	s_add_i32 s17, s30, s27
	s_add_i32 s16, s7, 0xfffff9a0
	v_mov_b32_e32 v11, s17
	s_add_i32 s17, s30, s29
	v_sub_f32_e32 v21, v50, v42
	v_add_u32_e32 v55, s16, v1
	v_sub_f32_e32 v50, v21, v43
	v_mov_b32_e32 v21, s17
	s_add_i32 s16, s30, s16
	v_mul_f32_e32 v5, v4, v5
	v_mov_b32_e32 v4, v41
	v_mov_b32_e32 v23, s16
	ds_read2_b32 v[70:71], v9 offset1:1
	ds_read2_b32 v[40:41], v11 offset1:1
	;; [unrolled: 1-line block ×4, first 2 shown]
	v_mov_b32_e32 v21, v72
	s_addk_i32 s7, 0xf940
	v_pk_mul_f32 v[14:15], v[4:5], v[14:15]
	v_pk_mul_f32 v[20:21], v[4:5], v[20:21]
	s_add_i32 s16, s30, s7
	v_sub_f32_e32 v9, v52, v14
	v_sub_f32_e32 v11, v62, v20
	v_mov_b32_e32 v23, v68
	v_sub_f32_e32 v35, v9, v15
	v_mov_b32_e32 v9, s16
	ds_write_b32 v58, v5
	v_sub_f32_e32 v58, v11, v21
	v_pk_mul_f32 v[22:23], v[4:5], v[22:23]
	s_waitcnt lgkmcnt(14)
	v_mov_b32_e32 v11, v78
	ds_read2_b32 v[14:15], v9 offset1:1
	s_waitcnt lgkmcnt(9)
	v_mov_b32_e32 v9, v64
	s_waitcnt lgkmcnt(8)
	v_mov_b32_e32 v20, v2
	v_sub_f32_e32 v2, v63, v22
	v_pk_mul_f32 v[10:11], v[4:5], v[10:11]
	v_sub_f32_e32 v62, v2, v23
	v_sub_f32_e32 v2, v31, v10
	v_mul_f32_e32 v35, v35, v34
	v_mov_b32_e32 v34, v5
	v_pk_mul_f32 v[4:5], v[4:5], v[8:9]
	v_sub_f32_e32 v31, v2, v11
	v_sub_f32_e32 v2, v48, v4
	v_mov_b32_e32 v4, v38
	v_mov_b32_e32 v38, v73
	v_pk_mul_f32 v[38:39], v[34:35], v[38:39]
	v_mov_b32_e32 v9, v27
	v_mov_b32_e32 v27, v6
	v_sub_f32_e32 v6, v2, v5
	v_sub_f32_e32 v2, v47, v38
	;; [unrolled: 1-line block ×3, first 2 shown]
	v_mov_b32_e32 v5, v16
	v_mul_f32_e32 v39, v2, v17
	v_mov_b32_e32 v2, v65
	v_mov_b32_e32 v38, v35
	;; [unrolled: 1-line block ×5, first 2 shown]
	v_pk_mul_f32 v[2:3], v[34:35], v[2:3]
	v_mov_b32_e32 v25, v80
	v_pk_mul_f32 v[4:5], v[38:39], v[4:5]
	v_pk_mul_f32 v[28:29], v[34:35], v[28:29]
	v_sub_f32_e32 v2, v50, v2
	v_sub_f32_e32 v4, v58, v4
	v_pk_mul_f32 v[24:25], v[38:39], v[24:25]
	v_mov_b32_e32 v44, v79
	v_sub_f32_e32 v17, v53, v28
	v_sub_f32_e32 v24, v31, v24
	v_sub_f32_e32 v31, v2, v3
	v_sub_f32_e32 v2, v4, v5
	s_waitcnt lgkmcnt(6)
	v_mov_b32_e32 v22, v32
	v_pk_mul_f32 v[44:45], v[34:35], v[44:45]
	v_mov_b32_e32 v34, v18
	v_mov_b32_e32 v18, v75
	v_sub_f32_e32 v32, v17, v29
	v_mov_b32_e32 v17, v74
	v_mul_f32_e32 v3, v2, v54
	v_mov_b32_e32 v2, v39
	v_mov_b32_e32 v21, v66
	v_pk_mul_f32 v[16:17], v[38:39], v[16:17]
	v_pk_mul_f32 v[4:5], v[2:3], v[18:19]
	v_mov_b32_e32 v28, v81
	v_mov_b32_e32 v29, v13
	v_sub_f32_e32 v16, v62, v16
	v_sub_f32_e32 v4, v32, v4
	v_mov_b32_e32 v32, v67
	v_pk_mul_f32 v[20:21], v[38:39], v[20:21]
	s_waitcnt lgkmcnt(4)
	v_mov_b32_e32 v10, v40
	v_sub_f32_e32 v40, v16, v17
	v_pk_mul_f32 v[16:17], v[2:3], v[28:29]
	v_pk_mul_f32 v[18:19], v[2:3], v[32:33]
	v_sub_f32_e32 v2, v6, v20
	v_add_u32_e32 v57, s19, v1
	v_sub_f32_e32 v6, v2, v21
	v_sub_f32_e32 v2, v4, v5
	v_add_u32_e32 v46, s25, v1
	v_add_u32_e32 v56, s21, v1
	ds_write_b32 v57, v35
	v_mov_b32_e32 v35, v36
	v_mul_f32_e32 v5, v2, v37
	v_mov_b32_e32 v4, v3
	ds_write_b32 v46, v39
	ds_write_b32 v56, v3
	v_pk_mul_f32 v[2:3], v[4:5], v[34:35]
	v_sub_f32_e32 v36, v49, v44
	v_sub_f32_e32 v2, v40, v2
	v_mov_b32_e32 v13, v82
	v_sub_f32_e32 v36, v36, v45
	v_sub_f32_e32 v2, v2, v3
	v_add_u32_e32 v59, s24, v1
	v_mov_b32_e32 v23, v70
	v_mov_b32_e32 v8, v83
	v_sub_f32_e32 v16, v36, v16
	v_sub_f32_e32 v24, v24, v25
	v_pk_mul_f32 v[12:13], v[4:5], v[12:13]
	v_mul_f32_e32 v3, v2, v60
	v_mov_b32_e32 v2, v5
	v_sub_f32_e32 v18, v31, v18
	v_sub_f32_e32 v16, v16, v17
	;; [unrolled: 1-line block ×3, first 2 shown]
	ds_write_b32 v59, v5
	v_pk_mul_f32 v[8:9], v[2:3], v[8:9]
	v_mov_b32_e32 v40, v71
	v_pk_mul_f32 v[4:5], v[4:5], v[22:23]
	v_sub_f32_e32 v17, v18, v19
	v_sub_f32_e32 v8, v16, v8
	v_sub_f32_e32 v16, v12, v13
	v_pk_mul_f32 v[12:13], v[2:3], v[40:41]
	v_sub_f32_e32 v2, v6, v4
	v_sub_f32_e32 v12, v17, v12
	;; [unrolled: 1-line block ×4, first 2 shown]
	v_add_u32_e32 v61, s27, v1
	v_mul_f32_e32 v5, v2, v7
	v_mov_b32_e32 v4, v3
	ds_write_b32 v61, v3
	v_pk_mul_f32 v[2:3], v[4:5], v[26:27]
	v_add_u32_e32 v51, s29, v1
	v_sub_f32_e32 v2, v16, v2
	s_waitcnt lgkmcnt(8)
	v_mov_b32_e32 v11, v76
	v_sub_f32_e32 v2, v2, v3
	ds_write_b32 v51, v5
	v_mul_f32_e32 v3, v2, v30
	v_mov_b32_e32 v2, v5
	v_mov_b32_e32 v6, v77
	s_waitcnt lgkmcnt(8)
	v_mov_b32_e32 v7, v43
	v_pk_mul_f32 v[4:5], v[4:5], v[10:11]
	v_add_u32_e32 v52, s7, v1
	v_sub_f32_e32 v8, v12, v13
	v_pk_mul_f32 v[6:7], v[2:3], v[6:7]
	v_sub_f32_e32 v4, v17, v4
	s_add_i32 s7, s18, 0xfffff8e0
	v_sub_f32_e32 v2, v8, v6
	v_sub_f32_e32 v6, v4, v5
	v_mov_b32_e32 v4, s7
	v_sub_f32_e32 v2, v2, v7
	ds_read_b32 v7, v4
	s_waitcnt lgkmcnt(7)
	v_mul_f32_e32 v5, v2, v15
	v_mov_b32_e32 v4, v3
	v_mov_b32_e32 v43, v14
	ds_write_b32 v55, v3
	v_pk_mul_f32 v[2:3], v[4:5], v[42:43]
	s_sub_i32 s5, s5, 20
	v_sub_f32_e32 v2, v6, v2
	v_sub_f32_e32 v2, v2, v3
	s_waitcnt lgkmcnt(1)
	v_mul_f32_e32 v2, v2, v7
	v_add_u32_e32 v3, 0xffffffa0, v52
	ds_write_b32 v52, v5
	ds_write_b32 v3, v2
.LBB26_43:
	s_cmp_lt_i32 s5, 0
	s_cbranch_scc1 .LBB26_60
; %bb.44:
	s_and_b32 s7, s5, 3
	s_cmp_eq_u32 s7, 3
	s_mul_i32 s16, s26, 0x60
	s_mov_b32 s7, s5
	s_cbranch_scc1 .LBB26_49
; %bb.45:
	s_add_i32 s7, s5, 1
	s_and_b32 s17, s7, 3
	s_lshl_b32 s7, s5, 2
	s_add_i32 s7, s16, s7
	v_lshl_add_u32 v2, v0, 2, s16
	s_add_i32 s18, s7, 0xffffffa0
	v_add_u32_e32 v3, 0x8a0, v2
	s_mov_b32 s19, 0
	s_mov_b32 s7, s5
	s_branch .LBB26_47
.LBB26_46:                              ;   in Loop: Header=BB26_47 Depth=1
	s_mul_i32 s20, s7, 0x64
	v_mov_b32_e32 v5, s20
	ds_read_b32 v5, v5
	s_add_i32 s7, s7, -1
	s_add_i32 s19, s19, 1
	s_add_i32 s18, s18, -4
	s_cmp_lg_u32 s19, s17
	s_waitcnt lgkmcnt(0)
	v_mul_f32_e32 v2, v2, v5
	ds_write_b32 v4, v2
	s_cbranch_scc0 .LBB26_49
.LBB26_47:                              ; =>This Loop Header: Depth=1
                                        ;     Child Loop BB26_48 Depth 2
	s_mul_i32 s20, s7, 0x60
	v_add_u32_e32 v4, s20, v1
	ds_read_b32 v2, v4
	s_cmp_le_i32 s4, s7
	v_mov_b32_e32 v5, v3
	s_mov_b32 s20, s18
	s_mov_b32 s21, s4
	s_cbranch_scc1 .LBB26_46
.LBB26_48:                              ;   Parent Loop BB26_47 Depth=1
                                        ; =>  This Inner Loop Header: Depth=2
	v_mov_b32_e32 v7, s20
	ds_read_b32 v6, v5
	ds_read_b32 v7, v7
	s_add_i32 s21, s21, -1
	s_addk_i32 s20, 0xffa0
	v_add_u32_e32 v5, 0xffffffa0, v5
	s_cmp_gt_i32 s21, s7
	s_waitcnt lgkmcnt(0)
	v_fma_f32 v2, -v6, v7, v2
	s_cbranch_scc1 .LBB26_48
	s_branch .LBB26_46
.LBB26_49:
	s_cmp_lt_u32 s5, 3
	s_cbranch_scc1 .LBB26_60
; %bb.50:
	s_lshl_b32 s5, s7, 2
	s_add_i32 s18, s16, s5
	v_lshl_add_u32 v2, v0, 2, s16
	s_add_i32 s5, s18, 0xffffffa0
	v_add_u32_e32 v3, 0x8a0, v2
	s_add_i32 s16, s18, 0xffffff9c
	s_add_i32 s17, s18, 0xffffff98
	s_addk_i32 s18, 0xff94
	s_branch .LBB26_52
.LBB26_51:                              ;   in Loop: Header=BB26_52 Depth=1
	s_add_i32 s19, s20, 0xffffff9c
	v_mov_b32_e32 v2, s19
	ds_read_b32 v2, v2
	s_add_i32 s19, s7, -4
	s_add_i32 s5, s5, -16
	;; [unrolled: 1-line block ×5, first 2 shown]
	s_waitcnt lgkmcnt(0)
	v_mul_f32_e32 v2, v4, v2
	s_cmp_lt_i32 s7, 4
	s_mov_b32 s7, s19
	ds_write_b32 v5, v2
	s_cbranch_scc1 .LBB26_60
.LBB26_52:                              ; =>This Loop Header: Depth=1
                                        ;     Child Loop BB26_53 Depth 2
                                        ;     Child Loop BB26_55 Depth 2
	;; [unrolled: 1-line block ×4, first 2 shown]
	s_mul_i32 s19, s7, 0x60
	v_add_u32_e32 v6, s19, v1
	ds_read_b32 v2, v6
	s_cmp_le_i32 s4, s7
	v_mov_b32_e32 v4, v3
	s_mov_b32 s20, s5
	s_mov_b32 s21, s4
	s_cbranch_scc1 .LBB26_54
.LBB26_53:                              ;   Parent Loop BB26_52 Depth=1
                                        ; =>  This Inner Loop Header: Depth=2
	v_mov_b32_e32 v7, s20
	ds_read_b32 v5, v4
	ds_read_b32 v7, v7
	s_add_i32 s21, s21, -1
	s_addk_i32 s20, 0xffa0
	v_add_u32_e32 v4, 0xffffffa0, v4
	s_cmp_gt_i32 s21, s7
	s_waitcnt lgkmcnt(0)
	v_fma_f32 v2, -v5, v7, v2
	s_cbranch_scc1 .LBB26_53
.LBB26_54:                              ;   in Loop: Header=BB26_52 Depth=1
	s_mul_i32 s20, s7, 0x64
	v_mov_b32_e32 v4, s20
	ds_read_b32 v7, v4
	s_addk_i32 s19, 0xffa0
	v_add_u32_e32 v5, s19, v1
	ds_read_b32 v4, v5
	s_cmp_le_i32 s26, s7
	s_waitcnt lgkmcnt(1)
	v_mul_f32_e32 v2, v2, v7
	ds_write_b32 v6, v2
	v_mov_b32_e32 v2, v3
	s_mov_b32 s21, s16
	s_mov_b32 s24, s26
	s_cbranch_scc1 .LBB26_56
.LBB26_55:                              ;   Parent Loop BB26_52 Depth=1
                                        ; =>  This Inner Loop Header: Depth=2
	v_mov_b32_e32 v7, s21
	ds_read_b32 v6, v2
	ds_read_b32 v7, v7
	s_add_i32 s24, s24, -1
	s_addk_i32 s21, 0xffa0
	v_add_u32_e32 v2, 0xffffffa0, v2
	s_cmp_gt_i32 s24, s7
	s_waitcnt lgkmcnt(0)
	v_fma_f32 v4, -v6, v7, v4
	s_cbranch_scc1 .LBB26_55
.LBB26_56:                              ;   in Loop: Header=BB26_52 Depth=1
	s_addk_i32 s20, 0xff9c
	v_mov_b32_e32 v2, s20
	ds_read_b32 v7, v2
	s_addk_i32 s19, 0xffa0
	v_add_u32_e32 v6, s19, v1
	ds_read_b32 v2, v6
	s_add_i32 s21, s7, -2
	s_waitcnt lgkmcnt(1)
	v_mul_f32_e32 v4, v4, v7
	ds_write_b32 v5, v4
	s_cmp_le_i32 s4, s21
	v_mov_b32_e32 v4, v3
	s_mov_b32 s24, s17
	s_mov_b32 s25, s4
	s_cbranch_scc1 .LBB26_58
.LBB26_57:                              ;   Parent Loop BB26_52 Depth=1
                                        ; =>  This Inner Loop Header: Depth=2
	v_mov_b32_e32 v7, s24
	ds_read_b32 v5, v4
	ds_read_b32 v7, v7
	s_add_i32 s25, s25, -1
	s_addk_i32 s24, 0xffa0
	v_add_u32_e32 v4, 0xffffffa0, v4
	s_cmp_gt_i32 s25, s21
	s_waitcnt lgkmcnt(0)
	v_fma_f32 v2, -v5, v7, v2
	s_cbranch_scc1 .LBB26_57
.LBB26_58:                              ;   in Loop: Header=BB26_52 Depth=1
	s_addk_i32 s20, 0xff9c
	v_mov_b32_e32 v4, s20
	ds_read_b32 v7, v4
	s_addk_i32 s19, 0xffa0
	v_add_u32_e32 v5, s19, v1
	ds_read_b32 v4, v5
	s_add_i32 s21, s7, -3
	s_waitcnt lgkmcnt(1)
	v_mul_f32_e32 v2, v2, v7
	ds_write_b32 v6, v2
	s_cmp_le_i32 s4, s21
	v_mov_b32_e32 v2, v3
	s_mov_b32 s19, s18
	s_mov_b32 s24, s4
	s_cbranch_scc1 .LBB26_51
.LBB26_59:                              ;   Parent Loop BB26_52 Depth=1
                                        ; =>  This Inner Loop Header: Depth=2
	v_mov_b32_e32 v7, s19
	ds_read_b32 v6, v2
	ds_read_b32 v7, v7
	s_add_i32 s24, s24, -1
	s_addk_i32 s19, 0xffa0
	v_add_u32_e32 v2, 0xffffffa0, v2
	s_cmp_gt_i32 s24, s21
	s_waitcnt lgkmcnt(0)
	v_fma_f32 v4, -v6, v7, v4
	s_cbranch_scc1 .LBB26_59
	s_branch .LBB26_51
.LBB26_60:
	s_waitcnt lgkmcnt(0)
	; wave barrier
	s_and_saveexec_b64 s[4:5], s[0:1]
	s_cbranch_execz .LBB26_69
; %bb.61:
	s_andn2_b64 vcc, exec, s[14:15]
	s_cbranch_vccnz .LBB26_69
; %bb.62:
	s_cmp_eq_u32 s6, 1
	s_cbranch_scc1 .LBB26_66
; %bb.63:
	v_mad_i64_i32 v[2:3], s[0:1], s22, v0, 0
	s_and_b32 s4, s26, 30
	v_lshl_add_u64 v[2:3], v[2:3], 2, s[12:13]
	s_mov_b32 s0, 1
	s_mov_b32 s1, 0
	;; [unrolled: 1-line block ×3, first 2 shown]
.LBB26_64:                              ; =>This Inner Loop Header: Depth=1
	s_mul_i32 s6, s0, 0x60
	s_mul_i32 s7, s1, 0x60
	v_add_u32_e32 v4, s7, v1
	v_add_u32_e32 v5, s6, v1
	ds_read_b32 v4, v4
	ds_read_b32 v5, v5
	s_add_i32 s1, s1, 2
	s_add_i32 s0, s0, 2
	s_add_i32 s5, s5, -2
	s_cmp_lg_u32 s5, 0
	s_waitcnt lgkmcnt(0)
	flat_store_dwordx2 v[2:3], v[4:5]
	v_lshl_add_u64 v[2:3], v[2:3], 0, 8
	s_cbranch_scc1 .LBB26_64
; %bb.65:
	s_cmp_lg_u32 s26, s4
	s_cselect_b64 s[0:1], -1, 0
	s_and_b64 vcc, exec, s[0:1]
	s_cbranch_vccnz .LBB26_67
	s_branch .LBB26_69
.LBB26_66:
	s_mov_b32 s4, 0
	s_cbranch_execz .LBB26_69
.LBB26_67:
	s_sub_i32 s0, s26, s4
	s_lshl_b32 s1, s4, 2
	v_lshlrev_b32_e32 v2, 2, v0
	v_mov_b32_e32 v3, 0
	s_add_u32 s1, s8, s1
	v_lshl_add_u64 v[4:5], s[2:3], 2, v[2:3]
	s_addc_u32 s3, s9, 0
	s_add_u32 s2, s1, s10
	s_addc_u32 s3, s3, s11
	v_mov_b64_e32 v[2:3], s[2:3]
	s_mul_i32 s1, s4, 0x60
	v_mad_u64_u32 v[2:3], s[2:3], v4, s22, v[2:3]
	v_mul_lo_u32 v1, v4, s23
	v_mul_lo_u32 v4, v5, s22
	v_lshl_add_u32 v0, v0, 2, s1
	v_add3_u32 v3, v4, v3, v1
	v_add_u32_e32 v0, 0x900, v0
.LBB26_68:                              ; =>This Inner Loop Header: Depth=1
	ds_read_b32 v1, v0
	s_add_i32 s0, s0, -1
	v_add_u32_e32 v0, 0x60, v0
	s_cmp_lg_u32 s0, 0
	s_waitcnt lgkmcnt(0)
	flat_store_dword v[2:3], v1
	v_lshl_add_u64 v[2:3], v[2:3], 0, 4
	s_cbranch_scc1 .LBB26_68
.LBB26_69:
	s_endpgm
	.section	.rodata,"a",@progbits
	.p2align	6, 0x0
	.amdhsa_kernel _ZL38rocblas_trsm_small_left_device_sharedBILi24ELi24ELb0EffPKPKfPKPfEv13rocblas_fill_18rocblas_operation_17rocblas_diagonal_iiT3_T4_lilT5_lili
		.amdhsa_group_segment_fixed_size 4608
		.amdhsa_private_segment_fixed_size 0
		.amdhsa_kernarg_size 352
		.amdhsa_user_sgpr_count 2
		.amdhsa_user_sgpr_dispatch_ptr 0
		.amdhsa_user_sgpr_queue_ptr 0
		.amdhsa_user_sgpr_kernarg_segment_ptr 1
		.amdhsa_user_sgpr_dispatch_id 0
		.amdhsa_user_sgpr_kernarg_preload_length 0
		.amdhsa_user_sgpr_kernarg_preload_offset 0
		.amdhsa_user_sgpr_private_segment_size 0
		.amdhsa_uses_dynamic_stack 0
		.amdhsa_enable_private_segment 0
		.amdhsa_system_sgpr_workgroup_id_x 1
		.amdhsa_system_sgpr_workgroup_id_y 0
		.amdhsa_system_sgpr_workgroup_id_z 1
		.amdhsa_system_sgpr_workgroup_info 0
		.amdhsa_system_vgpr_workitem_id 0
		.amdhsa_next_free_vgpr 112
		.amdhsa_next_free_sgpr 40
		.amdhsa_accum_offset 112
		.amdhsa_reserve_vcc 1
		.amdhsa_float_round_mode_32 0
		.amdhsa_float_round_mode_16_64 0
		.amdhsa_float_denorm_mode_32 3
		.amdhsa_float_denorm_mode_16_64 3
		.amdhsa_dx10_clamp 1
		.amdhsa_ieee_mode 1
		.amdhsa_fp16_overflow 0
		.amdhsa_tg_split 0
		.amdhsa_exception_fp_ieee_invalid_op 0
		.amdhsa_exception_fp_denorm_src 0
		.amdhsa_exception_fp_ieee_div_zero 0
		.amdhsa_exception_fp_ieee_overflow 0
		.amdhsa_exception_fp_ieee_underflow 0
		.amdhsa_exception_fp_ieee_inexact 0
		.amdhsa_exception_int_div_zero 0
	.end_amdhsa_kernel
	.section	.text._ZL38rocblas_trsm_small_left_device_sharedBILi24ELi24ELb0EffPKPKfPKPfEv13rocblas_fill_18rocblas_operation_17rocblas_diagonal_iiT3_T4_lilT5_lili,"axG",@progbits,_ZL38rocblas_trsm_small_left_device_sharedBILi24ELi24ELb0EffPKPKfPKPfEv13rocblas_fill_18rocblas_operation_17rocblas_diagonal_iiT3_T4_lilT5_lili,comdat
.Lfunc_end26:
	.size	_ZL38rocblas_trsm_small_left_device_sharedBILi24ELi24ELb0EffPKPKfPKPfEv13rocblas_fill_18rocblas_operation_17rocblas_diagonal_iiT3_T4_lilT5_lili, .Lfunc_end26-_ZL38rocblas_trsm_small_left_device_sharedBILi24ELi24ELb0EffPKPKfPKPfEv13rocblas_fill_18rocblas_operation_17rocblas_diagonal_iiT3_T4_lilT5_lili
                                        ; -- End function
	.set _ZL38rocblas_trsm_small_left_device_sharedBILi24ELi24ELb0EffPKPKfPKPfEv13rocblas_fill_18rocblas_operation_17rocblas_diagonal_iiT3_T4_lilT5_lili.num_vgpr, 112
	.set _ZL38rocblas_trsm_small_left_device_sharedBILi24ELi24ELb0EffPKPKfPKPfEv13rocblas_fill_18rocblas_operation_17rocblas_diagonal_iiT3_T4_lilT5_lili.num_agpr, 0
	.set _ZL38rocblas_trsm_small_left_device_sharedBILi24ELi24ELb0EffPKPKfPKPfEv13rocblas_fill_18rocblas_operation_17rocblas_diagonal_iiT3_T4_lilT5_lili.numbered_sgpr, 40
	.set _ZL38rocblas_trsm_small_left_device_sharedBILi24ELi24ELb0EffPKPKfPKPfEv13rocblas_fill_18rocblas_operation_17rocblas_diagonal_iiT3_T4_lilT5_lili.num_named_barrier, 0
	.set _ZL38rocblas_trsm_small_left_device_sharedBILi24ELi24ELb0EffPKPKfPKPfEv13rocblas_fill_18rocblas_operation_17rocblas_diagonal_iiT3_T4_lilT5_lili.private_seg_size, 0
	.set _ZL38rocblas_trsm_small_left_device_sharedBILi24ELi24ELb0EffPKPKfPKPfEv13rocblas_fill_18rocblas_operation_17rocblas_diagonal_iiT3_T4_lilT5_lili.uses_vcc, 1
	.set _ZL38rocblas_trsm_small_left_device_sharedBILi24ELi24ELb0EffPKPKfPKPfEv13rocblas_fill_18rocblas_operation_17rocblas_diagonal_iiT3_T4_lilT5_lili.uses_flat_scratch, 0
	.set _ZL38rocblas_trsm_small_left_device_sharedBILi24ELi24ELb0EffPKPKfPKPfEv13rocblas_fill_18rocblas_operation_17rocblas_diagonal_iiT3_T4_lilT5_lili.has_dyn_sized_stack, 0
	.set _ZL38rocblas_trsm_small_left_device_sharedBILi24ELi24ELb0EffPKPKfPKPfEv13rocblas_fill_18rocblas_operation_17rocblas_diagonal_iiT3_T4_lilT5_lili.has_recursion, 0
	.set _ZL38rocblas_trsm_small_left_device_sharedBILi24ELi24ELb0EffPKPKfPKPfEv13rocblas_fill_18rocblas_operation_17rocblas_diagonal_iiT3_T4_lilT5_lili.has_indirect_call, 0
	.section	.AMDGPU.csdata,"",@progbits
; Kernel info:
; codeLenInByte = 20300
; TotalNumSgprs: 46
; NumVgprs: 112
; NumAgprs: 0
; TotalNumVgprs: 112
; ScratchSize: 0
; MemoryBound: 0
; FloatMode: 240
; IeeeMode: 1
; LDSByteSize: 4608 bytes/workgroup (compile time only)
; SGPRBlocks: 5
; VGPRBlocks: 13
; NumSGPRsForWavesPerEU: 46
; NumVGPRsForWavesPerEU: 112
; AccumOffset: 112
; Occupancy: 4
; WaveLimiterHint : 0
; COMPUTE_PGM_RSRC2:SCRATCH_EN: 0
; COMPUTE_PGM_RSRC2:USER_SGPR: 2
; COMPUTE_PGM_RSRC2:TRAP_HANDLER: 0
; COMPUTE_PGM_RSRC2:TGID_X_EN: 1
; COMPUTE_PGM_RSRC2:TGID_Y_EN: 0
; COMPUTE_PGM_RSRC2:TGID_Z_EN: 1
; COMPUTE_PGM_RSRC2:TIDIG_COMP_CNT: 0
; COMPUTE_PGM_RSRC3_GFX90A:ACCUM_OFFSET: 27
; COMPUTE_PGM_RSRC3_GFX90A:TG_SPLIT: 0
	.section	.text._ZL30rocblas_trsm_small_left_deviceILi24ELi24ELb0EffPKPKfPKPfEv13rocblas_fill_18rocblas_operation_17rocblas_diagonal_iiT3_T4_lilT5_lili,"axG",@progbits,_ZL30rocblas_trsm_small_left_deviceILi24ELi24ELb0EffPKPKfPKPfEv13rocblas_fill_18rocblas_operation_17rocblas_diagonal_iiT3_T4_lilT5_lili,comdat
	.globl	_ZL30rocblas_trsm_small_left_deviceILi24ELi24ELb0EffPKPKfPKPfEv13rocblas_fill_18rocblas_operation_17rocblas_diagonal_iiT3_T4_lilT5_lili ; -- Begin function _ZL30rocblas_trsm_small_left_deviceILi24ELi24ELb0EffPKPKfPKPfEv13rocblas_fill_18rocblas_operation_17rocblas_diagonal_iiT3_T4_lilT5_lili
	.p2align	8
	.type	_ZL30rocblas_trsm_small_left_deviceILi24ELi24ELb0EffPKPKfPKPfEv13rocblas_fill_18rocblas_operation_17rocblas_diagonal_iiT3_T4_lilT5_lili,@function
_ZL30rocblas_trsm_small_left_deviceILi24ELi24ELb0EffPKPKfPKPfEv13rocblas_fill_18rocblas_operation_17rocblas_diagonal_iiT3_T4_lilT5_lili: ; @_ZL30rocblas_trsm_small_left_deviceILi24ELi24ELb0EffPKPKfPKPfEv13rocblas_fill_18rocblas_operation_17rocblas_diagonal_iiT3_T4_lilT5_lili
; %bb.0:
	s_load_dwordx4 s[8:11], s[0:1], 0x38
	s_load_dwordx4 s[4:7], s[0:1], 0x4
	s_load_dword s16, s[0:1], 0x14
	s_mov_b32 s20, s3
	s_mov_b32 s21, 0
	s_lshl_b64 s[24:25], s[20:21], 3
	s_waitcnt lgkmcnt(0)
	s_add_u32 s8, s8, s24
	s_addc_u32 s9, s9, s25
	s_load_dwordx2 s[8:9], s[8:9], 0x0
	s_min_i32 s17, s6, 24
	v_cmp_gt_i32_e32 vcc, s17, v0
	s_and_saveexec_b64 s[18:19], vcc
	s_cbranch_execz .LBB27_11
; %bb.1:
	s_load_dwordx4 s[12:15], s[0:1], 0x18
	s_load_dword s22, s[0:1], 0x28
	v_lshlrev_b32_e32 v2, 2, v0
	v_mov_b32_e32 v3, 0
	s_mov_b32 s3, 1
	s_waitcnt lgkmcnt(0)
	s_add_u32 s12, s12, s24
	s_addc_u32 s13, s13, s25
	s_load_dwordx2 s[12:13], s[12:13], 0x0
	s_cmp_lt_u32 s17, 2
	s_cselect_b64 s[26:27], -1, 0
	s_cmp_lg_u32 s22, 1
	s_cselect_b64 s[28:29], -1, 0
	s_or_b64 s[26:27], s[26:27], s[28:29]
	s_mov_b64 s[24:25], -1
	s_and_b64 vcc, exec, s[26:27]
	s_cbranch_vccnz .LBB27_5
; %bb.2:
	s_lshl_b64 s[20:21], s[14:15], 2
	s_waitcnt lgkmcnt(0)
	s_add_u32 s20, s12, s20
	s_addc_u32 s21, s13, s21
	v_lshl_add_u64 v[4:5], s[20:21], 0, v[2:3]
	s_and_b32 s21, s17, -2
	s_mov_b32 s20, 0
	s_mov_b32 s23, s21
.LBB27_3:                               ; =>This Inner Loop Header: Depth=1
	flat_load_dwordx2 v[6:7], v[4:5]
	s_mul_i32 s24, s3, 0x60
	s_mul_i32 s25, s20, 0x60
	s_add_i32 s20, s20, 2
	s_add_i32 s3, s3, 2
	s_add_i32 s23, s23, -2
	v_lshl_add_u64 v[4:5], v[4:5], 0, 8
	v_add_u32_e32 v1, s25, v2
	s_cmp_lg_u32 s23, 0
	v_add_u32_e32 v3, s24, v2
	s_waitcnt vmcnt(0) lgkmcnt(0)
	ds_write_b32 v1, v6
	ds_write_b32 v3, v7
	s_cbranch_scc1 .LBB27_3
; %bb.4:
	s_cmp_lg_u32 s17, s21
	s_cselect_b64 s[24:25], -1, 0
.LBB27_5:
	s_and_b64 vcc, exec, s[24:25]
	s_cbranch_vccz .LBB27_8
; %bb.6:
	s_ashr_i32 s23, s22, 31
	s_mul_hi_u32 s3, s22, s21
	s_mul_i32 s20, s23, s21
	s_add_i32 s25, s3, s20
	s_mul_i32 s24, s22, s21
	s_lshl_b64 s[24:25], s[24:25], 2
	s_lshl_b64 s[14:15], s[14:15], 2
	s_add_u32 s3, s24, s14
	s_addc_u32 s14, s25, s15
	s_waitcnt lgkmcnt(0)
	s_add_u32 s12, s12, s3
	v_mov_b32_e32 v3, 0
	s_addc_u32 s13, s13, s14
	s_mul_i32 s14, s21, 0x60
	v_lshl_add_u64 v[4:5], s[12:13], 0, v[2:3]
	s_lshl_b64 s[12:13], s[22:23], 2
	s_sub_i32 s3, s17, s21
	v_lshl_add_u32 v1, v0, 2, s14
.LBB27_7:                               ; =>This Inner Loop Header: Depth=1
	flat_load_dword v3, v[4:5]
	s_add_i32 s3, s3, -1
	v_lshl_add_u64 v[4:5], v[4:5], 0, s[12:13]
	s_cmp_eq_u32 s3, 0
	s_waitcnt vmcnt(0) lgkmcnt(0)
	ds_write_b32 v1, v3
	v_add_u32_e32 v1, 0x60, v1
	s_cbranch_scc0 .LBB27_7
.LBB27_8:
	v_mul_u32_u24_e32 v1, 0x60, v0
	s_cmpk_lg_i32 s5, 0x84
	v_mov_b32_e32 v3, 1.0
	v_add_u32_e32 v1, v2, v1
	s_cbranch_scc0 .LBB27_10
; %bb.9:
	ds_read_b32 v2, v1
	s_waitcnt lgkmcnt(0)
	v_div_scale_f32 v3, s[12:13], v2, v2, 1.0
	v_rcp_f32_e32 v4, v3
	v_div_scale_f32 v5, vcc, 1.0, v2, 1.0
	v_fma_f32 v6, -v3, v4, 1.0
	v_fmac_f32_e32 v4, v6, v4
	v_mul_f32_e32 v6, v5, v4
	v_fma_f32 v7, -v3, v6, v5
	v_fmac_f32_e32 v6, v7, v4
	v_fma_f32 v3, -v3, v6, v5
	v_div_fmas_f32 v3, v3, v4, v6
	v_div_fixup_f32 v3, v3, v2, 1.0
.LBB27_10:
	ds_write_b32 v1, v3
.LBB27_11:
	s_or_b64 exec, exec, s[18:19]
	s_load_dword s3, s[0:1], 0x60
	s_mul_i32 s5, s2, 0xffffffe8
	s_add_i32 s5, s7, s5
	s_waitcnt lgkmcnt(0)
	; wave barrier
	s_add_i32 s3, s3, -1
	s_cmp_ge_u32 s2, s3
	s_cselect_b32 s3, s5, 24
	v_cmp_gt_i32_e32 vcc, s3, v0
	s_and_saveexec_b64 s[12:13], vcc
	s_cbranch_execz .LBB27_56
; %bb.12:
	s_load_dword s5, s[0:1], 0x48
	s_lshl_b64 s[0:1], s[10:11], 2
	s_add_u32 s0, s8, s0
	v_mad_u64_u32 v[0:1], s[2:3], s2, 24, v[0:1]
	s_addc_u32 s1, s9, s1
	s_waitcnt lgkmcnt(0)
	v_mad_i64_i32 v[0:1], s[2:3], s5, v0, 0
	v_lshl_add_u64 v[24:25], v[0:1], 2, s[0:1]
	s_cmpk_eq_i32 s4, 0x6f
	s_mov_b64 s[0:1], -1
	s_cbranch_scc1 .LBB27_30
; %bb.13:
	s_cmp_lt_i32 s6, 24
	s_cselect_b64 s[2:3], -1, 0
	s_cmp_gt_i32 s6, 23
	s_cbranch_scc0 .LBB27_15
; %bb.14:
	flat_load_dwordx4 v[4:7], v[24:25]
	flat_load_dwordx4 v[38:41], v[24:25] offset:16
	flat_load_dwordx4 v[42:45], v[24:25] offset:32
	;; [unrolled: 1-line block ×5, first 2 shown]
	v_mov_b32_e32 v68, 0
	s_movk_i32 s0, 0x200
	ds_read_b32 v37, v68
	ds_read_b64 v[28:29], v68 offset:96
	ds_read_b96 v[80:82], v68 offset:192
	ds_read2_b32 v[62:63], v68 offset0:100 offset1:125
	ds_read_b128 v[54:57], v68 offset:288
	ds_read_b128 v[64:67], v68 offset:384
	ds_read_b96 v[92:94], v68 offset:480
	ds_read2_b32 v[84:85], v68 offset0:123 offset1:124
	ds_read_b96 v[20:22], v68 offset:592
	ds_read_b128 v[70:73], v68 offset:576
	ds_read_b96 v[96:98], v68 offset:672
	ds_read2_b32 v[86:87], v68 offset0:171 offset1:172
	ds_read2_b32 v[30:31], v68 offset0:175 offset1:200
	;; [unrolled: 1-line block ×3, first 2 shown]
	ds_read_b128 v[74:77], v68 offset:768
	ds_read_b96 v[104:106], v68 offset:864
	ds_read_b128 v[12:15], v68 offset:784
	ds_read2_b32 v[88:89], v68 offset0:219 offset1:220
	ds_read2_b32 v[50:51], v68 offset0:221 offset1:222
	ds_read_b32 v126, v68 offset:900
	ds_read2_b32 v[32:33], v68 offset0:223 offset1:224
	v_add_u32_e64 v26, s0, 0
	v_mov_b32_e32 v36, s16
	ds_read_b64 v[46:47], v68 offset:960
	ds_read2_b32 v[26:27], v26 offset0:122 offset1:136
	s_waitcnt lgkmcnt(0)
	v_mov_b32_e32 v35, v28
	v_mov_b32_e32 v49, v54
	;; [unrolled: 1-line block ×18, first 2 shown]
	s_movk_i32 s0, 0x400
	v_mov_b32_e32 v118, 0x68c
	v_mov_b32_e32 v120, 0x744
	s_waitcnt vmcnt(0)
	v_mul_f32_e32 v4, s16, v4
	v_mov_b32_e32 v34, v5
	v_mul_f32_e32 v37, v4, v37
	v_pk_mul_f32 v[4:5], v[36:37], v[34:35]
	v_mov_b32_e32 v48, v7
	v_sub_f32_e32 v4, v4, v5
	v_mov_b32_e32 v54, v39
	v_pk_mul_f32 v[96:97], v[36:37], v[48:49]
	v_mov_b32_e32 v48, v37
	v_mul_f32_e32 v49, v4, v29
	v_pk_mul_f32 v[98:99], v[36:37], v[54:55]
	v_pk_mul_f32 v[28:29], v[48:49], v[46:47]
	v_pk_mul_f32 v[46:47], v[48:49], v[74:75]
	v_pk_mul_f32 v[54:55], v[48:49], v[70:71]
	v_pk_mul_f32 v[64:65], v[48:49], v[64:65]
	v_pk_mul_f32 v[70:71], v[48:49], v[80:81]
	v_mov_b32_e32 v60, v41
	v_mov_b32_e32 v78, v43
	v_mul_f32_e32 v7, v37, v27
	flat_store_dwordx2 v[24:25], v[48:49]
	v_fma_f32 v27, s16, v44, -v28
	v_fma_f32 v28, s16, v42, -v46
	;; [unrolled: 1-line block ×5, first 2 shown]
	v_pk_mul_f32 v[60:61], v[36:37], v[60:61]
	v_pk_mul_f32 v[34:35], v[36:37], v[78:79]
	v_fma_f32 v36, s16, v45, -v7
	ds_read2_b64 v[78:81], v68 offset0:121 offset1:122
	ds_read2_b64 v[4:7], v68 offset0:123 offset1:124
	v_sub_f32_e32 v48, v40, v71
	v_sub_f32_e32 v74, v38, v65
	;; [unrolled: 1-line block ×5, first 2 shown]
	ds_read2_b32 v[100:101], v69 offset1:1
	ds_read2_b32 v[64:65], v83 offset1:1
	;; [unrolled: 1-line block ×4, first 2 shown]
	ds_read_b128 v[40:43], v68 offset:1152
	ds_read2_b32 v[70:71], v23 offset1:1
	ds_read_b96 v[44:46], v68 offset:1248
	ds_read_b32 v69, v68 offset:1100
	ds_read_b32 v27, v68 offset:1200
	s_waitcnt lgkmcnt(0)
	v_mul_f32_e32 v23, v37, v40
	v_fma_f32 v16, s16, v16, -v23
	v_fma_f32 v23, -v49, v41, v16
	v_mul_f32_e32 v16, v37, v44
	v_fma_f32 v16, s16, v17, -v16
	v_mul_f32_e32 v55, v48, v82
	v_mov_b32_e32 v54, v49
	v_fma_f32 v40, -v49, v45, v16
	v_pk_mul_f32 v[16:17], v[54:55], v[58:59]
	v_sub_f32_e32 v41, v96, v97
	v_sub_f32_e32 v16, v41, v16
	v_sub_f32_e32 v41, v16, v17
	v_pk_mul_f32 v[16:17], v[54:55], v[70:71]
	v_mul_f32_e32 v59, v41, v57
	v_sub_f32_e32 v16, v36, v16
	v_mov_b32_e32 v58, v55
	v_sub_f32_e32 v36, v16, v17
	v_pk_mul_f32 v[16:17], v[58:59], v[42:43]
	v_pk_mul_f32 v[42:43], v[58:59], v[76:77]
	v_sub_f32_e32 v16, v23, v16
	v_fma_f32 v23, -v55, v46, v40
	v_pk_mul_f32 v[40:41], v[58:59], v[78:79]
	v_sub_f32_e32 v42, v47, v42
	v_sub_f32_e32 v40, v75, v40
	v_pk_mul_f32 v[46:47], v[58:59], v[72:73]
	v_pk_mul_f32 v[82:83], v[54:55], v[90:91]
	v_sub_f32_e32 v46, v56, v46
	v_pk_mul_f32 v[56:57], v[58:59], v[66:67]
	flat_store_dwordx2 v[24:25], v[58:59] offset:8
	v_sub_f32_e32 v90, v40, v41
	v_mov_b32_e32 v40, 0x4fc
	v_mov_b32_e32 v41, 0x504
	v_pk_mul_f32 v[104:105], v[54:55], v[92:93]
	v_pk_mul_f32 v[44:45], v[54:55], v[94:95]
	v_sub_f32_e32 v48, v74, v56
	v_sub_f32_e32 v54, v46, v47
	;; [unrolled: 1-line block ×4, first 2 shown]
	v_mov_b32_e32 v16, 0x4ec
	ds_read_b128 v[70:73], v68 offset:1168
	ds_read_b64 v[42:43], v68 offset:1184
	v_mov_b32_e32 v17, 0x4f4
	ds_read_b32 v127, v68 offset:1300
	ds_read_b128 v[74:77], v68 offset:1344
	ds_read2_b32 v[66:67], v16 offset1:1
	ds_read2_b32 v[106:107], v17 offset1:1
	;; [unrolled: 1-line block ×4, first 2 shown]
	s_waitcnt lgkmcnt(0)
	v_mul_f32_e32 v16, v37, v74
	v_fma_f32 v16, s16, v18, -v16
	v_fma_f32 v16, -v49, v75, v16
	v_fma_f32 v16, -v55, v76, v16
	;; [unrolled: 1-line block ×3, first 2 shown]
	ds_read_b128 v[74:77], v68 offset:1440
	v_sub_f32_e32 v48, v48, v57
	v_mul_f32_e32 v103, v48, v62
	v_sub_f32_e32 v48, v98, v99
	v_mov_b32_e32 v102, v59
	s_waitcnt lgkmcnt(0)
	v_mul_f32_e32 v18, v37, v74
	v_fma_f32 v18, s16, v19, -v18
	v_fma_f32 v18, -v49, v75, v18
	v_fma_f32 v18, -v55, v76, v18
	v_sub_f32_e32 v48, v48, v82
	v_add_u32_e64 v93, s0, 0
	v_fma_f32 v74, -v59, v77, v18
	v_pk_mul_f32 v[18:19], v[102:103], v[84:85]
	v_sub_f32_e32 v48, v48, v83
	ds_read2_b32 v[16:17], v93 offset0:94 offset1:108
	ds_read_b64 v[78:79], v68 offset:1360
	v_sub_f32_e32 v18, v48, v18
	v_sub_f32_e32 v48, v18, v19
	v_pk_mul_f32 v[18:19], v[102:103], v[100:101]
	v_mul_f32_e32 v111, v48, v63
	v_sub_f32_e32 v18, v36, v18
	v_sub_f32_e32 v36, v18, v19
	v_pk_mul_f32 v[18:19], v[102:103], v[66:67]
	v_mov_b32_e32 v110, v103
	v_sub_f32_e32 v18, v23, v18
	v_sub_f32_e32 v114, v18, v19
	s_waitcnt lgkmcnt(0)
	v_pk_mul_f32 v[18:19], v[110:111], v[78:79]
	v_pk_mul_f32 v[20:21], v[110:111], v[20:21]
	v_sub_f32_e32 v18, v92, v18
	v_sub_f32_e32 v20, v54, v20
	flat_store_dwordx2 v[24:25], v[110:111] offset:16
	v_sub_f32_e32 v54, v20, v21
	v_sub_f32_e32 v115, v18, v19
	ds_read_b32 v128, v68 offset:1500
	ds_read_b128 v[18:21], v68 offset:1536
	v_pk_mul_f32 v[12:13], v[110:111], v[12:13]
	v_pk_mul_f32 v[62:63], v[110:111], v[70:71]
	v_sub_f32_e32 v12, v58, v12
	v_sub_f32_e32 v23, v91, v62
	;; [unrolled: 1-line block ×3, first 2 shown]
	v_mov_b32_e32 v12, 0x5b4
	v_fma_f32 v17, -v103, v17, v74
	v_pk_mul_f32 v[66:67], v[110:111], v[80:81]
	v_sub_f32_e32 v110, v23, v63
	v_mov_b32_e32 v13, 0x5bc
	ds_read2_b32 v[70:71], v12 offset1:1
	ds_read2_b32 v[62:63], v13 offset1:1
	s_waitcnt lgkmcnt(0)
	v_mul_f32_e32 v12, v37, v18
	ds_read_b128 v[74:77], v68 offset:1552
	ds_read_b128 v[78:81], v68 offset:1632
	v_fma_f32 v8, s16, v8, -v12
	v_fma_f32 v8, -v49, v19, v8
	v_fma_f32 v8, -v55, v20, v8
	;; [unrolled: 1-line block ×3, first 2 shown]
	s_waitcnt lgkmcnt(0)
	v_fma_f32 v8, -v103, v74, v8
	v_pk_mul_f32 v[108:109], v[102:103], v[86:87]
	v_pk_mul_f32 v[56:57], v[102:103], v[88:89]
	v_fma_f32 v74, -v111, v75, v8
	v_mul_f32_e32 v8, v37, v78
	ds_read_b96 v[100:102], v68 offset:1648
	ds_read_b128 v[18:21], v68 offset:1728
	v_fma_f32 v8, s16, v9, -v8
	v_fma_f32 v8, -v49, v79, v8
	v_fma_f32 v8, -v55, v80, v8
	;; [unrolled: 1-line block ×3, first 2 shown]
	s_waitcnt lgkmcnt(0)
	v_fma_f32 v8, -v103, v100, v8
	v_fma_f32 v75, -v111, v101, v8
	v_mul_f32_e32 v8, v37, v18
	ds_read_b128 v[78:81], v68 offset:1744
	ds_read_b128 v[82:85], v68 offset:1824
	v_fma_f32 v8, s16, v10, -v8
	v_fma_f32 v8, -v49, v19, v8
	v_fma_f32 v8, -v55, v20, v8
	;; [unrolled: 1-line block ×3, first 2 shown]
	s_waitcnt lgkmcnt(0)
	v_fma_f32 v8, -v103, v78, v8
	v_fma_f32 v78, -v111, v79, v8
	v_mul_f32_e32 v8, v37, v82
	v_fma_f32 v8, s16, v11, -v8
	v_fma_f32 v8, -v49, v83, v8
	v_fma_f32 v8, -v55, v84, v8
	ds_read2_b32 v[12:13], v93 offset0:144 offset1:169
	ds_read2_b32 v[18:19], v93 offset0:194 offset1:208
	ds_read_b128 v[86:89], v68 offset:1840
	v_fma_f32 v20, -v59, v85, v8
	ds_read_b128 v[8:11], v68 offset:1920
	ds_read_b32 v129, v68 offset:1900
	ds_read_b128 v[82:85], v68 offset:1936
	s_movk_i32 s0, 0x600
	s_waitcnt lgkmcnt(0)
	v_fma_f32 v20, -v103, v86, v20
	v_mul_f32_e32 v8, v37, v8
	v_fma_f32 v0, s16, v0, -v8
	v_fma_f32 v0, -v49, v9, v0
	v_fma_f32 v0, -v55, v10, v0
	;; [unrolled: 1-line block ×3, first 2 shown]
	ds_read_b64 v[112:113], v68 offset:1952
	ds_read_b128 v[8:11], v68 offset:2016
	v_fma_f32 v0, -v103, v82, v0
	v_fma_f32 v82, -v111, v83, v0
	v_add_u32_e64 v0, s0, 0
	v_fma_f32 v79, -v111, v87, v20
	ds_read2_b32 v[20:21], v0 offset0:116 offset1:141
	s_waitcnt lgkmcnt(0)
	v_mul_f32_e32 v0, v37, v8
	v_sub_f32_e32 v48, v90, v66
	v_fma_f32 v0, s16, v1, -v0
	ds_read_b128 v[90:93], v68 offset:2032
	v_fma_f32 v0, -v49, v9, v0
	v_fma_f32 v0, -v55, v10, v0
	ds_read_b128 v[94:97], v68 offset:2112
	ds_read_b96 v[8:10], v68 offset:2048
	v_fma_f32 v0, -v59, v11, v0
	s_waitcnt lgkmcnt(0)
	v_fma_f32 v0, -v103, v90, v0
	v_fma_f32 v11, -v111, v91, v0
	ds_read_b128 v[98:101], v68 offset:2128
	v_mul_f32_e32 v0, v37, v94
	v_fma_f32 v0, s16, v2, -v0
	v_fma_f32 v0, -v49, v95, v0
	v_fma_f32 v0, -v55, v96, v0
	;; [unrolled: 1-line block ×3, first 2 shown]
	s_waitcnt lgkmcnt(0)
	v_fma_f32 v0, -v103, v98, v0
	v_mul_f32_e32 v23, v54, v22
	v_mov_b32_e32 v22, v111
	v_fma_f32 v2, -v111, v99, v0
	v_pk_mul_f32 v[0:1], v[22:23], v[52:53]
	v_sub_f32_e32 v52, v60, v61
	v_sub_f32_e32 v52, v52, v104
	;; [unrolled: 1-line block ×5, first 2 shown]
	ds_read2_b64 v[94:97], v68 offset0:171 offset1:172
	ds_read_b64 v[66:67], v68 offset:1192
	v_sub_f32_e32 v52, v52, v109
	v_sub_f32_e32 v0, v52, v0
	;; [unrolled: 1-line block ×3, first 2 shown]
	v_pk_mul_f32 v[0:1], v[22:23], v[64:65]
	v_mul_f32_e32 v65, v52, v30
	v_mov_b32_e32 v64, v23
	v_pk_mul_f32 v[98:99], v[22:23], v[50:51]
	v_sub_f32_e32 v0, v36, v0
	s_waitcnt lgkmcnt(0)
	v_pk_mul_f32 v[50:51], v[64:65], v[94:95]
	v_pk_mul_f32 v[52:53], v[64:65], v[72:73]
	v_sub_f32_e32 v130, v0, v1
	v_pk_mul_f32 v[0:1], v[22:23], v[106:107]
	v_sub_f32_e32 v50, v115, v50
	v_sub_f32_e32 v52, v110, v52
	flat_store_dwordx2 v[24:25], v[64:65] offset:24
	v_sub_f32_e32 v0, v114, v0
	v_sub_f32_e32 v134, v52, v53
	v_sub_f32_e32 v135, v50, v51
	ds_read_b32 v140, v68 offset:2200
	ds_read_b128 v[50:53], v68 offset:2208
	v_sub_f32_e32 v131, v0, v1
	v_pk_mul_f32 v[0:1], v[22:23], v[70:71]
	v_pk_mul_f32 v[14:15], v[64:65], v[14:15]
	v_sub_f32_e32 v0, v17, v0
	v_sub_f32_e32 v17, v0, v1
	v_pk_mul_f32 v[0:1], v[64:65], v[76:77]
	v_fma_f32 v2, -v23, v100, v2
	v_sub_f32_e32 v0, v74, v0
	v_sub_f32_e32 v14, v58, v14
	v_sub_f32_e32 v136, v0, v1
	s_waitcnt lgkmcnt(0)
	v_mul_f32_e32 v0, v37, v50
	v_pk_mul_f32 v[4:5], v[64:65], v[4:5]
	v_sub_f32_e32 v64, v14, v15
	v_fma_f32 v141, -v65, v101, v2
	v_fma_f32 v15, s16, v3, -v0
	ds_read_b128 v[0:3], v68 offset:2224
	v_fma_f32 v15, -v49, v51, v15
	v_fma_f32 v15, -v55, v52, v15
	;; [unrolled: 1-line block ×3, first 2 shown]
	v_sub_f32_e32 v4, v48, v4
	ds_read_b128 v[50:53], v68 offset:2240
	s_waitcnt lgkmcnt(0)
	v_fma_f32 v0, -v103, v0, v15
	v_fma_f32 v22, -v23, v80, v78
	v_sub_f32_e32 v133, v4, v5
	v_mov_b32_e32 v5, 0x5c4
	v_fma_f32 v0, -v111, v1, v0
	v_fma_f32 v132, -v23, v102, v75
	;; [unrolled: 1-line block ×3, first 2 shown]
	v_mov_b32_e32 v4, 0x67c
	v_fma_f32 v137, -v65, v81, v22
	v_mov_b32_e32 v14, 0x50c
	v_mov_b32_e32 v15, 0x5cc
	;; [unrolled: 1-line block ×3, first 2 shown]
	ds_read2_b32 v[54:55], v5 offset1:1
	ds_read2_b32 v[94:95], v14 offset1:1
	;; [unrolled: 1-line block ×5, first 2 shown]
	ds_read_b96 v[90:92], v68 offset:2256
	ds_read2_b64 v[58:61], v68 offset0:173 offset1:174
	ds_read_b128 v[70:73], v68 offset:1568
	v_fma_f32 v0, -v23, v2, v0
	v_sub_f32_e32 v34, v34, v35
	v_fma_f32 v30, -v23, v88, v79
	v_fma_f32 v142, -v65, v3, v0
	v_mov_b32_e32 v0, 0x8dc
	v_sub_f32_e32 v34, v34, v44
	v_fma_f32 v36, -v23, v84, v82
	v_fma_f32 v138, -v65, v89, v30
	v_mov_b32_e32 v1, 0x8e4
	v_mov_b32_e32 v2, 0x8ec
	ds_read2_b32 v[48:49], v0 offset1:1
	ds_read2_b32 v[22:23], v1 offset1:1
	;; [unrolled: 1-line block ×3, first 2 shown]
	v_mov_b32_e32 v0, 0x888
	v_mov_b32_e32 v14, 0x82c
	;; [unrolled: 1-line block ×4, first 2 shown]
	v_sub_f32_e32 v34, v34, v45
	v_fma_f32 v139, -v65, v85, v36
	v_fma_f32 v11, -v65, v93, v11
	s_waitcnt lgkmcnt(0)
	v_mov_b32_e32 v107, v92
	ds_read2_b64 v[0:3], v0 offset1:1
	ds_read2_b32 v[14:15], v14 offset1:1
	ds_read_b128 v[74:77], v68 offset:2144
	ds_read_b64 v[36:37], v68 offset:1992
	ds_read2_b32 v[92:93], v30 offset1:1
	ds_read2_b32 v[108:109], v78 offset1:1
	ds_read2_b64 v[78:81], v68 offset0:223 offset1:224
	ds_read2_b64 v[82:85], v68 offset0:247 offset1:248
	v_mov_b32_e32 v30, 0x878
	v_sub_f32_e32 v34, v34, v56
	v_mov_b32_e32 v106, v91
	v_mov_b32_e32 v91, 0x69c
	ds_read2_b64 v[86:89], v30 offset1:1
	ds_read2_b32 v[110:111], v91 offset1:1
	v_mov_b32_e32 v30, 0x75c
	v_sub_f32_e32 v34, v34, v57
	v_mov_b32_e32 v91, 0x81c
	ds_read2_b32 v[114:115], v30 offset1:1
	ds_read2_b32 v[116:117], v91 offset1:1
	;; [unrolled: 1-line block ×4, first 2 shown]
	ds_read_b64 v[122:123], v68 offset:1592
	ds_read_b64 v[124:125], v68 offset:1760
	v_mul_f32_e32 v31, v64, v31
	v_mov_b32_e32 v30, v65
	v_sub_f32_e32 v34, v34, v98
	v_pk_mul_f32 v[32:33], v[30:31], v[32:33]
	v_sub_f32_e32 v34, v34, v99
	v_sub_f32_e32 v32, v34, v32
	;; [unrolled: 1-line block ×3, first 2 shown]
	v_pk_mul_f32 v[32:33], v[30:31], v[38:39]
	v_pk_mul_f32 v[64:65], v[30:31], v[104:105]
	v_sub_f32_e32 v32, v130, v32
	v_sub_f32_e32 v91, v32, v33
	v_pk_mul_f32 v[32:33], v[30:31], v[46:47]
	v_sub_f32_e32 v64, v132, v64
	v_sub_f32_e32 v32, v131, v32
	;; [unrolled: 1-line block ×3, first 2 shown]
	v_pk_mul_f32 v[32:33], v[30:31], v[62:63]
	v_fma_f32 v19, -v31, v19, v138
	v_sub_f32_e32 v17, v17, v32
	v_sub_f32_e32 v17, v17, v33
	v_mul_f32_e32 v33, v34, v126
	v_mov_b32_e32 v32, v31
	v_pk_mul_f32 v[6:7], v[32:33], v[6:7]
	s_waitcnt lgkmcnt(0)
	v_pk_mul_f32 v[34:35], v[32:33], v[124:125]
	v_pk_mul_f32 v[38:39], v[32:33], v[96:97]
	;; [unrolled: 1-line block ×3, first 2 shown]
	v_sub_f32_e32 v6, v133, v6
	v_sub_f32_e32 v34, v137, v34
	v_fma_f32 v44, -v31, v112, v139
	v_fma_f32 v8, -v31, v8, v11
	;; [unrolled: 1-line block ×4, first 2 shown]
	v_pk_mul_f32 v[30:31], v[32:33], v[70:71]
	v_sub_f32_e32 v38, v135, v38
	v_sub_f32_e32 v42, v134, v42
	flat_store_dwordx2 v[24:25], v[32:33] offset:32
	v_sub_f32_e32 v32, v6, v7
	v_sub_f32_e32 v64, v64, v65
	;; [unrolled: 1-line block ×6, first 2 shown]
	v_fma_f32 v96, -v33, v113, v44
	v_mov_b32_e32 v42, 0x5d4
	v_mov_b32_e32 v44, 0x694
	;; [unrolled: 1-line block ×5, first 2 shown]
	v_mul_f32_e32 v57, v32, v26
	v_mov_b32_e32 v56, v33
	v_sub_f32_e32 v71, v30, v31
	v_fma_f32 v97, -v33, v9, v8
	v_fma_f32 v11, -v33, v75, v11
	;; [unrolled: 1-line block ×3, first 2 shown]
	ds_read_b64 v[30:31], v68 offset:1584
	ds_read2_b64 v[6:9], v68 offset0:221 offset1:222
	ds_read2_b32 v[34:35], v34 offset1:1
	ds_read2_b32 v[38:39], v38 offset1:1
	;; [unrolled: 1-line block ×5, first 2 shown]
	ds_read_b64 v[50:51], v68 offset:1960
	v_pk_mul_f32 v[28:29], v[56:57], v[28:29]
	v_pk_mul_f32 v[32:33], v[56:57], v[120:121]
	v_sub_f32_e32 v28, v91, v28
	v_sub_f32_e32 v19, v19, v32
	;; [unrolled: 1-line block ×3, first 2 shown]
	v_pk_mul_f32 v[28:29], v[56:57], v[40:41]
	v_pk_mul_f32 v[54:55], v[56:57], v[54:55]
	v_sub_f32_e32 v28, v98, v28
	v_sub_f32_e32 v17, v17, v54
	;; [unrolled: 1-line block ×3, first 2 shown]
	v_mul_f32_e32 v29, v32, v69
	v_mov_b32_e32 v28, v57
	v_pk_mul_f32 v[62:63], v[56:57], v[102:103]
	v_sub_f32_e32 v19, v19, v33
	s_waitcnt lgkmcnt(0)
	v_pk_mul_f32 v[32:33], v[28:29], v[50:51]
	v_pk_mul_f32 v[50:51], v[28:29], v[66:67]
	v_sub_f32_e32 v26, v64, v62
	v_pk_mul_f32 v[6:7], v[28:29], v[6:7]
	v_sub_f32_e32 v50, v65, v50
	v_sub_f32_e32 v17, v17, v55
	;; [unrolled: 1-line block ×4, first 2 shown]
	v_fma_f32 v56, -v57, v10, v97
	v_fma_f32 v32, -v57, v76, v11
	v_sub_f32_e32 v6, v74, v6
	v_pk_mul_f32 v[10:11], v[28:29], v[72:73]
	v_pk_mul_f32 v[40:41], v[28:29], v[58:59]
	flat_store_dwordx2 v[24:25], v[28:29] offset:40
	v_sub_f32_e32 v28, v50, v51
	v_fma_f32 v52, -v57, v52, v75
	v_sub_f32_e32 v10, v71, v10
	v_sub_f32_e32 v40, v70, v40
	;; [unrolled: 1-line block ×4, first 2 shown]
	v_mov_b32_e32 v6, 0x814
	v_mul_f32_e32 v27, v28, v27
	v_mov_b32_e32 v26, v29
	v_sub_f32_e32 v57, v40, v41
	v_sub_f32_e32 v58, v10, v11
	v_fma_f32 v63, -v29, v77, v32
	v_fma_f32 v52, -v29, v53, v52
	ds_read2_b32 v[10:11], v6 offset1:1
	ds_read_b64 v[32:33], v68 offset:1968
	ds_read_b64 v[40:41], v68 offset:2160
	v_pk_mul_f32 v[28:29], v[26:27], v[38:39]
	v_pk_mul_f32 v[6:7], v[26:27], v[46:47]
	;; [unrolled: 1-line block ×4, first 2 shown]
	v_sub_f32_e32 v6, v19, v6
	v_sub_f32_e32 v19, v55, v38
	;; [unrolled: 1-line block ×3, first 2 shown]
	v_pk_mul_f32 v[50:51], v[26:27], v[100:101]
	v_sub_f32_e32 v26, v38, v47
	v_sub_f32_e32 v47, v6, v7
	v_mul_f32_e32 v7, v26, v127
	v_mov_b32_e32 v6, v27
	v_sub_f32_e32 v28, v56, v28
	v_sub_f32_e32 v19, v19, v39
	s_waitcnt lgkmcnt(0)
	v_pk_mul_f32 v[32:33], v[6:7], v[32:33]
	v_pk_mul_f32 v[38:39], v[6:7], v[60:61]
	v_sub_f32_e32 v26, v62, v32
	v_sub_f32_e32 v32, v28, v29
	v_pk_mul_f32 v[28:29], v[6:7], v[40:41]
	v_pk_mul_f32 v[8:9], v[6:7], v[8:9]
	;; [unrolled: 1-line block ×3, first 2 shown]
	v_sub_f32_e32 v6, v57, v38
	v_sub_f32_e32 v17, v17, v50
	;; [unrolled: 1-line block ×4, first 2 shown]
	v_mul_f32_e32 v17, v6, v16
	v_mov_b32_e32 v16, v7
	v_pk_mul_f32 v[38:39], v[16:17], v[42:43]
	v_sub_f32_e32 v8, v59, v8
	v_sub_f32_e32 v6, v46, v38
	;; [unrolled: 1-line block ×6, first 2 shown]
	v_pk_mul_f32 v[34:35], v[16:17], v[34:35]
	v_mul_f32_e32 v9, v6, v128
	v_mov_b32_e32 v8, v17
	v_sub_f32_e32 v38, v30, v31
	v_sub_f32_e32 v34, v47, v34
	;; [unrolled: 1-line block ×3, first 2 shown]
	v_pk_mul_f32 v[28:29], v[8:9], v[122:123]
	v_fma_f32 v40, -v27, v90, v52
	v_pk_mul_f32 v[10:11], v[16:17], v[10:11]
	v_sub_f32_e32 v28, v38, v28
	v_sub_f32_e32 v38, v34, v35
	v_pk_mul_f32 v[34:35], v[16:17], v[106:107]
	v_sub_f32_e32 v26, v26, v33
	v_sub_f32_e32 v10, v32, v10
	;; [unrolled: 3-line block ×3, first 2 shown]
	v_sub_f32_e32 v32, v10, v11
	v_pk_mul_f32 v[10:11], v[8:9], v[86:87]
	v_sub_f32_e32 v34, v6, v35
	v_mov_b32_e32 v6, v27
	v_pk_mul_f32 v[30:31], v[16:17], v[44:45]
	v_sub_f32_e32 v10, v42, v10
	flat_store_dwordx4 v[24:25], v[6:9] offset:48
	v_sub_f32_e32 v19, v19, v30
	v_sub_f32_e32 v19, v19, v31
	;; [unrolled: 1-line block ×4, first 2 shown]
	v_mul_f32_e32 v11, v6, v12
	v_mov_b32_e32 v10, v9
	v_pk_mul_f32 v[6:7], v[10:11], v[110:111]
	v_pk_mul_f32 v[30:31], v[8:9], v[78:79]
	v_sub_f32_e32 v6, v19, v6
	v_sub_f32_e32 v6, v6, v7
	;; [unrolled: 1-line block ×3, first 2 shown]
	v_mul_f32_e32 v7, v6, v13
	v_mov_b32_e32 v6, v11
	v_sub_f32_e32 v27, v30, v31
	v_pk_mul_f32 v[8:9], v[10:11], v[114:115]
	v_pk_mul_f32 v[12:13], v[6:7], v[80:81]
	v_sub_f32_e32 v8, v38, v8
	v_sub_f32_e32 v12, v27, v12
	;; [unrolled: 1-line block ×4, first 2 shown]
	v_pk_mul_f32 v[8:9], v[6:7], v[84:85]
	v_sub_f32_e32 v12, v12, v13
	v_pk_mul_f32 v[16:17], v[10:11], v[116:117]
	v_sub_f32_e32 v8, v26, v8
	v_pk_mul_f32 v[26:27], v[10:11], v[48:49]
	v_mul_f32_e32 v13, v12, v18
	v_mov_b32_e32 v12, v7
	v_sub_f32_e32 v16, v32, v16
	v_sub_f32_e32 v10, v34, v26
	;; [unrolled: 1-line block ×3, first 2 shown]
	v_pk_mul_f32 v[8:9], v[12:13], v[92:93]
	v_sub_f32_e32 v29, v16, v17
	v_pk_mul_f32 v[16:17], v[6:7], v[88:89]
	v_sub_f32_e32 v8, v19, v8
	v_sub_f32_e32 v6, v28, v16
	v_sub_f32_e32 v8, v8, v9
	v_sub_f32_e32 v6, v6, v17
	v_pk_mul_f32 v[16:17], v[12:13], v[108:109]
	v_mul_f32_e32 v9, v8, v129
	v_mov_b32_e32 v8, v13
	v_sub_f32_e32 v16, v29, v16
	v_pk_mul_f32 v[18:19], v[8:9], v[36:37]
	v_sub_f32_e32 v10, v10, v27
	v_sub_f32_e32 v18, v26, v18
	;; [unrolled: 1-line block ×3, first 2 shown]
	v_pk_mul_f32 v[0:1], v[8:9], v[0:1]
	v_pk_mul_f32 v[16:17], v[12:13], v[22:23]
	v_sub_f32_e32 v0, v6, v0
	v_sub_f32_e32 v6, v10, v16
	;; [unrolled: 1-line block ×3, first 2 shown]
	v_mov_b32_e32 v6, v11
	flat_store_dwordx4 v[24:25], v[6:9] offset:64
	s_mov_b32 s0, 24
	s_nop 0
	v_sub_f32_e32 v6, v18, v19
	v_sub_f32_e32 v8, v0, v1
	v_mul_f32_e32 v1, v6, v20
	v_mov_b32_e32 v0, v9
	v_pk_mul_f32 v[6:7], v[0:1], v[14:15]
	s_nop 0
	v_sub_f32_e32 v6, v26, v6
	v_sub_f32_e32 v6, v6, v7
	v_mul_f32_e32 v7, v6, v21
	v_mov_b32_e32 v6, v1
	v_pk_mul_f32 v[0:1], v[0:1], v[4:5]
	flat_store_dwordx2 v[24:25], v[6:7] offset:80
	v_sub_f32_e32 v0, v10, v0
	v_sub_f32_e32 v4, v0, v1
	v_mov_b32_e32 v0, 0x8f4
	ds_read2_b32 v[0:1], v0 offset1:1
	ds_read_b32 v5, v68 offset:2300
	v_pk_mul_f32 v[2:3], v[6:7], v[2:3]
	s_nop 0
	v_sub_f32_e32 v2, v8, v2
	v_sub_f32_e32 v2, v2, v3
	v_mul_f32_e32 v3, v2, v140
	v_mov_b32_e32 v2, v7
	s_waitcnt lgkmcnt(0)
	v_pk_mul_f32 v[0:1], v[2:3], v[0:1]
	s_nop 0
	v_sub_f32_e32 v0, v4, v0
	v_sub_f32_e32 v0, v0, v1
	v_mul_f32_e32 v1, v0, v5
	v_mov_b32_e32 v0, v3
	flat_store_dwordx2 v[24:25], v[0:1] offset:88
	s_cmp_lt_i32 s0, s17
	s_cbranch_scc1 .LBB27_16
	s_branch .LBB27_29
.LBB27_15:
	s_mov_b32 s0, 0
	s_cmp_lt_i32 s0, s17
	s_cbranch_scc0 .LBB27_29
.LBB27_16:
	s_add_i32 s1, s0, 19
	s_cmp_ge_u32 s1, s17
	s_cbranch_scc1 .LBB27_24
; %bb.17:
	s_lshl_b32 s4, s0, 2
	s_mov_b32 s5, 0
	v_lshl_add_u64 v[12:13], v[24:25], 0, s[4:5]
	flat_load_dwordx4 v[0:3], v[12:13]
	flat_load_dwordx4 v[4:7], v[12:13] offset:16
	flat_load_dwordx4 v[8:11], v[12:13] offset:32
	;; [unrolled: 1-line block ×4, first 2 shown]
	s_andn2_b64 vcc, exec, s[2:3]
	s_waitcnt vmcnt(0) lgkmcnt(0)
	v_pk_mul_f32 v[30:31], s[16:17], v[0:1] op_sel_hi:[0,1]
	v_pk_mul_f32 v[18:19], s[16:17], v[2:3] op_sel_hi:[0,1]
	;; [unrolled: 1-line block ×10, first 2 shown]
	s_cbranch_vccnz .LBB27_19
; %bb.18:
	s_mul_i32 s1, s0, 0x60
	s_mov_b64 s[2:3], 0
	s_branch .LBB27_20
.LBB27_19:
	s_mov_b64 s[2:3], -1
                                        ; implicit-def: $sgpr1
.LBB27_20:
	s_andn2_b64 vcc, exec, s[2:3]
	s_cbranch_vccnz .LBB27_23
; %bb.21:
	s_mul_i32 s1, s0, 0x60
	v_mov_b64_e32 v[8:9], v[24:25]
	s_mov_b32 s2, s0
	s_mov_b32 s3, s1
.LBB27_22:                              ; =>This Inner Loop Header: Depth=1
	flat_load_dwordx4 v[0:3], v[8:9]
	v_mov_b32_e32 v10, s3
	ds_read_b128 v[108:111], v10
	ds_read_b128 v[32:35], v10 offset:96
	ds_read_b128 v[112:115], v10 offset:192
	;; [unrolled: 1-line block ×19, first 2 shown]
	s_waitcnt lgkmcnt(0)
	v_mov_b32_e32 v10, v108
	v_mov_b32_e32 v11, v32
	;; [unrolled: 1-line block ×50, first 2 shown]
	s_add_i32 s3, s3, 16
	s_add_i32 s2, s2, -4
	v_mov_b32_e32 v34, v111
	v_mov_b32_e32 v38, v115
	v_mov_b32_e32 v42, v119
	v_mov_b32_e32 v46, v123
	v_mov_b32_e32 v50, v127
	v_mov_b32_e32 v54, v131
	v_mov_b32_e32 v58, v135
	v_mov_b32_e32 v62, v139
	v_mov_b32_e32 v66, v143
	v_mov_b32_e32 v70, v147
	v_lshl_add_u64 v[8:9], v[8:9], 0, 16
	s_cmp_lg_u32 s2, 0
	s_waitcnt vmcnt(0)
	v_pk_fma_f32 v[10:11], v[0:1], v[10:11], v[30:31] op_sel_hi:[0,1,1] neg_lo:[1,0,0] neg_hi:[1,0,0]
	v_pk_fma_f32 v[18:19], v[0:1], v[72:73], v[18:19] op_sel_hi:[0,1,1] neg_lo:[1,0,0] neg_hi:[1,0,0]
	;; [unrolled: 1-line block ×10, first 2 shown]
	v_pk_fma_f32 v[10:11], v[0:1], v[32:33], v[10:11] op_sel:[1,0,0] neg_lo:[1,0,0] neg_hi:[1,0,0]
	v_pk_fma_f32 v[18:19], v[0:1], v[36:37], v[18:19] op_sel:[1,0,0] neg_lo:[1,0,0] neg_hi:[1,0,0]
	;; [unrolled: 1-line block ×10, first 2 shown]
	v_mov_b32_e32 v72, v3
	v_pk_fma_f32 v[4:5], v[2:3], v[90:91], v[10:11] op_sel_hi:[0,1,1] neg_lo:[1,0,0] neg_hi:[1,0,0]
	v_pk_fma_f32 v[10:11], v[2:3], v[92:93], v[18:19] op_sel_hi:[0,1,1] neg_lo:[1,0,0] neg_hi:[1,0,0]
	;; [unrolled: 1-line block ×20, first 2 shown]
	s_cbranch_scc1 .LBB27_22
.LBB27_23:
	s_or_b32 s2, s0, 1
	s_mulk_i32 s2, 0x60
	s_add_i32 s2, s4, s2
	s_add_i32 s1, s4, s1
	v_mov_b32_e32 v97, s2
	v_mov_b32_e32 v11, s1
	ds_read_b96 v[90:92], v97 offset:96
	ds_read_b128 v[44:47], v97 offset:192
	ds_read2_b32 v[38:39], v11 offset1:100
	ds_read2_b64 v[0:3], v97 offset1:86
	ds_read_b96 v[60:62], v97 offset:384
	ds_read_b96 v[8:10], v97 offset:496
	;; [unrolled: 1-line block ×3, first 2 shown]
	ds_read_b128 v[48:51], v97 offset:288
	ds_read2_b32 v[34:35], v11 offset0:125 offset1:175
	s_waitcnt lgkmcnt(6)
	v_mul_f32_e32 v106, v30, v38
	v_mov_b32_e32 v98, v45
	s_waitcnt lgkmcnt(2)
	v_mov_b32_e32 v103, v66
	ds_read2_b32 v[40:41], v97 offset0:99 offset1:100
	ds_read_b128 v[52:55], v97 offset:480
	ds_read_b96 v[66:68], v97 offset:768
	ds_read2_b32 v[42:43], v97 offset0:147 offset1:148
	ds_read2_b32 v[36:37], v97 offset0:149 offset1:150
	;; [unrolled: 1-line block ×3, first 2 shown]
	ds_read_b128 v[56:59], v97 offset:672
	ds_read_b32 v122, v11 offset:1000
	v_fma_f32 v0, -v106, v0, v31
	v_fma_f32 v38, -v106, v44, v19
	ds_read2_b32 v[108:109], v97 offset0:195 offset1:196
	ds_read2_b32 v[30:31], v97 offset0:197 offset1:198
	ds_read_b32 v19, v97 offset:960
	ds_read_b64 v[44:45], v97 offset:864
	v_mul_f32_e32 v107, v0, v1
	s_waitcnt lgkmcnt(9)
	v_fma_f32 v115, -v106, v66, v27
	v_fma_f32 v114, -v106, v64, v23
	s_waitcnt lgkmcnt(1)
	v_fma_f32 v116, -v106, v19, v29
	s_waitcnt lgkmcnt(0)
	v_pk_mul_f32 v[0:1], v[106:107], v[44:45]
	v_fma_f32 v93, -v106, v60, v21
	v_sub_f32_e32 v0, v28, v0
	v_pk_mul_f32 v[28:29], v[106:107], v[56:57]
	flat_store_dwordx2 v[12:13], v[106:107]
	v_sub_f32_e32 v19, v26, v28
	v_pk_mul_f32 v[26:27], v[106:107], v[52:53]
	v_mov_b32_e32 v99, v46
	v_sub_f32_e32 v26, v22, v26
	v_pk_mul_f32 v[22:23], v[106:107], v[48:49]
	v_sub_f32_e32 v56, v26, v27
	v_sub_f32_e32 v22, v20, v22
	v_pk_mul_f32 v[20:21], v[106:107], v[90:91]
	v_sub_f32_e32 v53, v22, v23
	v_sub_f32_e32 v18, v18, v20
	;; [unrolled: 1-line block ×3, first 2 shown]
	ds_read_b128 v[20:23], v97 offset:1056
	ds_read2_b32 v[48:49], v97 offset0:241 offset1:242
	ds_read2_b32 v[110:111], v97 offset0:243 offset1:244
	ds_read_b96 v[44:46], v97 offset:1152
	v_sub_f32_e32 v57, v19, v29
	ds_read_b128 v[26:29], v97 offset:1248
	v_mov_b32_e32 v100, v61
	v_mov_b32_e32 v101, v62
	ds_read_b128 v[60:63], v97 offset:1344
	v_sub_f32_e32 v117, v0, v1
	s_waitcnt lgkmcnt(0)
	v_fma_f32 v1, -v106, v20, v16
	v_fma_f32 v20, -v107, v21, v1
	;; [unrolled: 1-line block ×3, first 2 shown]
	v_add_u32_e32 v0, 0x400, v11
	v_fma_f32 v21, -v107, v45, v1
	v_fma_f32 v1, -v106, v26, v14
	v_mov_b32_e32 v102, v65
	v_mov_b32_e32 v104, v67
	;; [unrolled: 1-line block ×3, first 2 shown]
	ds_read2_b32 v[18:19], v0 offset0:19 offset1:44
	ds_read2_b32 v[16:17], v0 offset0:69 offset1:94
	v_fma_f32 v26, -v107, v27, v1
	v_fma_f32 v1, -v106, v60, v15
	ds_read_b32 v123, v97 offset:1360
	ds_read_b128 v[64:67], v97 offset:1440
	ds_read_b64 v[112:113], v97 offset:1456
	ds_read_b128 v[68:71], v97 offset:1536
	ds_read2_b32 v[14:15], v0 offset0:119 offset1:144
	ds_read_b96 v[94:96], v97 offset:1552
	ds_read_b128 v[72:75], v97 offset:1632
	ds_read_b128 v[76:79], v97 offset:1648
	;; [unrolled: 1-line block ×3, first 2 shown]
	v_fma_f32 v27, -v107, v61, v1
	s_waitcnt lgkmcnt(0)
	v_fma_f32 v1, -v106, v64, v6
	v_fma_f32 v4, -v106, v72, v4
	v_fma_f32 v60, -v107, v73, v4
	v_fma_f32 v4, -v106, v80, v5
	v_fma_f32 v61, -v107, v81, v4
	v_mul_f32_e32 v5, v52, v92
	v_mov_b32_e32 v4, v107
	v_fma_f32 v44, -v107, v65, v1
	v_fma_f32 v1, -v106, v68, v7
	v_pk_mul_f32 v[6:7], v[4:5], v[98:99]
	v_fma_f32 v45, -v107, v69, v1
	v_sub_f32_e32 v6, v38, v6
	v_sub_f32_e32 v38, v6, v7
	v_pk_mul_f32 v[6:7], v[4:5], v[100:101]
	ds_read2_b32 v[0:1], v0 offset0:169 offset1:194
	v_sub_f32_e32 v6, v93, v6
	v_sub_f32_e32 v125, v6, v7
	v_pk_mul_f32 v[6:7], v[4:5], v[102:103]
	ds_read_b128 v[84:87], v97 offset:1744
	ds_read_b32 v124, v97 offset:1760
	v_sub_f32_e32 v6, v114, v6
	ds_read2_b64 v[88:91], v97 offset0:109 offset1:110
	ds_read_b64 v[68:69], v97 offset:696
	v_sub_f32_e32 v126, v6, v7
	v_pk_mul_f32 v[6:7], v[4:5], v[104:105]
	v_mul_f32_e32 v73, v38, v47
	v_sub_f32_e32 v6, v115, v6
	v_sub_f32_e32 v127, v6, v7
	v_pk_mul_f32 v[6:7], v[4:5], v[48:49]
	v_mov_b32_e32 v72, v5
	v_sub_f32_e32 v4, v116, v6
	v_sub_f32_e32 v128, v4, v7
	v_fma_f32 v129, -v5, v46, v21
	v_fma_f32 v28, -v5, v28, v26
	;; [unrolled: 1-line block ×7, first 2 shown]
	s_waitcnt lgkmcnt(0)
	v_pk_mul_f32 v[4:5], v[72:73], v[88:89]
	s_add_i32 s1, s2, 0x48c
	v_pk_mul_f32 v[6:7], v[72:73], v[22:23]
	v_sub_f32_e32 v4, v117, v4
	v_sub_f32_e32 v6, v20, v6
	;; [unrolled: 1-line block ×3, first 2 shown]
	v_mov_b32_e32 v4, s1
	s_add_i32 s1, s2, 0x6ec
	s_add_i32 s8, s2, 0x494
	;; [unrolled: 1-line block ×3, first 2 shown]
	flat_store_dwordx2 v[12:13], v[72:73] offset:8
	v_sub_f32_e32 v133, v6, v7
	v_mov_b32_e32 v7, s1
	s_add_i32 s1, s2, 0x6f4
	s_add_i32 s10, s2, 0x4ac
	;; [unrolled: 1-line block ×7, first 2 shown]
	v_pk_mul_f32 v[20:21], v[72:73], v[58:59]
	v_pk_mul_f32 v[22:23], v[72:73], v[54:55]
	;; [unrolled: 1-line block ×3, first 2 shown]
	v_fma_f32 v134, -v73, v29, v28
	v_fma_f32 v136, -v73, v67, v44
	;; [unrolled: 1-line block ×5, first 2 shown]
	ds_read2_b32 v[28:29], v97 offset0:199 offset1:200
	ds_read2_b64 v[44:47], v97 offset0:111 offset1:112
	v_mov_b32_e32 v5, s8
	ds_read2_b64 v[48:51], v97 offset0:137 offset1:158
	v_mov_b32_e32 v6, s20
	ds_read2_b32 v[70:71], v4 offset1:1
	ds_read2_b32 v[74:75], v5 offset1:1
	;; [unrolled: 1-line block ×4, first 2 shown]
	v_mov_b32_e32 v4, s1
	s_add_i32 s1, s2, 0x6fc
	s_add_i32 s9, s2, 0x49c
	s_add_i32 s11, s2, 0x554
	v_sub_f32_e32 v20, v57, v20
	v_sub_f32_e32 v22, v56, v22
	;; [unrolled: 1-line block ×3, first 2 shown]
	v_fma_f32 v135, -v73, v63, v38
	v_mov_b32_e32 v5, s1
	v_mov_b32_e32 v6, s19
	;; [unrolled: 1-line block ×7, first 2 shown]
	v_sub_f32_e32 v72, v26, v27
	v_sub_f32_e32 v130, v22, v23
	;; [unrolled: 1-line block ×3, first 2 shown]
	ds_read2_b32 v[26:27], v4 offset1:1
	ds_read2_b32 v[20:21], v5 offset1:1
	;; [unrolled: 1-line block ×4, first 2 shown]
	ds_read_b128 v[52:55], v97 offset:1072
	ds_read2_b64 v[56:59], v97 offset0:161 offset1:162
	ds_read_b64 v[92:93], v97 offset:1496
	ds_read2_b64 v[60:63], v97 offset0:185 offset1:186
	ds_read2_b64 v[4:7], v97 offset0:211 offset1:212
	;; [unrolled: 1-line block ×3, first 2 shown]
	ds_read2_b32 v[98:99], v38 offset1:1
	ds_read2_b32 v[100:101], v100 offset1:1
	;; [unrolled: 1-line block ×4, first 2 shown]
	ds_read2_b32 v[106:107], v97 offset0:245 offset1:246
	ds_read2_b32 v[114:115], v97 offset0:247 offset1:248
	;; [unrolled: 1-line block ×3, first 2 shown]
	v_mov_b32_e32 v38, s9
	v_mov_b32_e32 v120, s11
	ds_read2_b32 v[118:119], v38 offset1:1
	ds_read2_b32 v[120:121], v120 offset1:1
	v_mul_f32_e32 v39, v72, v39
	v_mov_b32_e32 v38, v73
	v_pk_mul_f32 v[40:41], v[38:39], v[40:41]
	s_waitcnt lgkmcnt(0)
	v_pk_mul_f32 v[70:71], v[38:39], v[70:71]
	v_sub_f32_e32 v40, v125, v40
	v_sub_f32_e32 v72, v40, v41
	v_pk_mul_f32 v[40:41], v[38:39], v[42:43]
	v_mul_f32_e32 v43, v72, v34
	v_sub_f32_e32 v40, v126, v40
	v_sub_f32_e32 v125, v40, v41
	v_pk_mul_f32 v[40:41], v[38:39], v[108:109]
	v_mov_b32_e32 v42, v39
	v_sub_f32_e32 v40, v127, v40
	v_sub_f32_e32 v108, v40, v41
	v_pk_mul_f32 v[40:41], v[38:39], v[110:111]
	v_pk_mul_f32 v[8:9], v[42:43], v[8:9]
	v_sub_f32_e32 v38, v128, v40
	v_sub_f32_e32 v70, v129, v70
	;; [unrolled: 1-line block ×3, first 2 shown]
	v_pk_mul_f32 v[40:41], v[42:43], v[50:51]
	v_sub_f32_e32 v8, v130, v8
	s_add_i32 s7, s2, 0x55c
	s_add_i32 s5, s2, 0x564
	;; [unrolled: 1-line block ×3, first 2 shown]
	v_sub_f32_e32 v110, v70, v71
	v_sub_f32_e32 v34, v134, v40
	v_fma_f32 v111, -v39, v123, v135
	v_fma_f32 v40, -v39, v112, v136
	;; [unrolled: 1-line block ×5, first 2 shown]
	v_pk_mul_f32 v[38:39], v[42:43], v[52:53]
	v_pk_mul_f32 v[50:51], v[42:43], v[90:91]
	;; [unrolled: 1-line block ×3, first 2 shown]
	flat_store_dwordx2 v[12:13], v[42:43] offset:16
	v_sub_f32_e32 v42, v8, v9
	s_add_i32 s4, s2, 0x4a4
	v_sub_f32_e32 v38, v133, v38
	v_sub_f32_e32 v50, v132, v50
	v_sub_f32_e32 v2, v131, v2
	v_fma_f32 v95, -v43, v95, v70
	v_fma_f32 v123, -v43, v77, v71
	v_mov_b32_e32 v52, s7
	v_mov_b32_e32 v70, s5
	;; [unrolled: 1-line block ×3, first 2 shown]
	v_mul_f32_e32 v77, v42, v10
	v_mov_b32_e32 v76, v43
	v_sub_f32_e32 v90, v2, v3
	v_sub_f32_e32 v91, v50, v51
	;; [unrolled: 1-line block ×4, first 2 shown]
	v_fma_f32 v113, -v43, v113, v40
	v_fma_f32 v126, -v43, v85, v72
	v_mov_b32_e32 v34, s4
	ds_read_b64 v[2:3], v97 offset:1088
	ds_read2_b64 v[38:41], v97 offset0:159 offset1:160
	ds_read2_b32 v[8:9], v8 offset1:1
	ds_read2_b32 v[50:51], v34 offset1:1
	;; [unrolled: 1-line block ×4, first 2 shown]
	ds_read_b64 v[72:73], v97 offset:1464
	v_pk_mul_f32 v[36:37], v[76:77], v[36:37]
	v_pk_mul_f32 v[30:31], v[76:77], v[30:31]
	v_sub_f32_e32 v36, v125, v36
	v_pk_mul_f32 v[42:43], v[76:77], v[120:121]
	v_pk_mul_f32 v[74:75], v[76:77], v[74:75]
	v_pk_mul_f32 v[84:85], v[76:77], v[106:107]
	v_sub_f32_e32 v36, v36, v37
	v_sub_f32_e32 v30, v108, v30
	;; [unrolled: 1-line block ×6, first 2 shown]
	v_mul_f32_e32 v31, v36, v35
	v_mov_b32_e32 v30, v77
	v_sub_f32_e32 v76, v42, v85
	v_sub_f32_e32 v10, v10, v43
	v_pk_mul_f32 v[42:43], v[30:31], v[44:45]
	v_pk_mul_f32 v[44:45], v[30:31], v[68:69]
	v_sub_f32_e32 v75, v34, v75
	s_waitcnt lgkmcnt(0)
	v_pk_mul_f32 v[34:35], v[30:31], v[72:73]
	v_sub_f32_e32 v44, v90, v44
	s_add_i32 s3, s2, 0x624
	v_sub_f32_e32 v34, v113, v34
	v_pk_mul_f32 v[36:37], v[30:31], v[38:39]
	v_pk_mul_f32 v[38:39], v[30:31], v[54:55]
	v_sub_f32_e32 v42, v91, v42
	flat_store_dwordx2 v[12:13], v[30:31] offset:24
	v_sub_f32_e32 v30, v44, v45
	v_sub_f32_e32 v36, v112, v36
	;; [unrolled: 1-line block ×5, first 2 shown]
	v_mov_b32_e32 v34, s3
	v_mul_f32_e32 v43, v30, v32
	v_mov_b32_e32 v42, v31
	v_sub_f32_e32 v55, v38, v39
	v_sub_f32_e32 v68, v36, v37
	ds_read2_b32 v[34:35], v34 offset1:1
	ds_read_b64 v[36:37], v97 offset:1472
	ds_read_b64 v[38:39], v97 offset:1664
	v_pk_mul_f32 v[28:29], v[42:43], v[28:29]
	v_fma_f32 v72, -v77, v96, v95
	v_fma_f32 v73, -v77, v78, v123
	;; [unrolled: 1-line block ×3, first 2 shown]
	v_sub_f32_e32 v28, v74, v28
	v_fma_f32 v73, -v31, v79, v73
	v_fma_f32 v77, -v31, v87, v77
	v_pk_mul_f32 v[30:31], v[42:43], v[52:53]
	v_pk_mul_f32 v[44:45], v[42:43], v[118:119]
	v_sub_f32_e32 v28, v28, v29
	v_pk_mul_f32 v[8:9], v[42:43], v[8:9]
	v_sub_f32_e32 v10, v10, v30
	v_sub_f32_e32 v30, v75, v44
	v_pk_mul_f32 v[52:53], v[42:43], v[114:115]
	v_mul_f32_e32 v29, v28, v33
	v_mov_b32_e32 v28, v43
	v_sub_f32_e32 v8, v72, v8
	v_sub_f32_e32 v32, v76, v52
	;; [unrolled: 1-line block ×4, first 2 shown]
	s_waitcnt lgkmcnt(0)
	v_pk_mul_f32 v[30:31], v[28:29], v[36:37]
	v_pk_mul_f32 v[36:37], v[28:29], v[46:47]
	v_sub_f32_e32 v42, v32, v53
	v_sub_f32_e32 v45, v8, v9
	v_pk_mul_f32 v[8:9], v[28:29], v[38:39]
	v_pk_mul_f32 v[32:33], v[28:29], v[40:41]
	;; [unrolled: 1-line block ×3, first 2 shown]
	v_sub_f32_e32 v28, v54, v36
	v_sub_f32_e32 v28, v28, v37
	v_mul_f32_e32 v37, v28, v122
	v_mov_b32_e32 v36, v29
	v_pk_mul_f32 v[38:39], v[36:37], v[116:117]
	v_sub_f32_e32 v8, v73, v8
	v_sub_f32_e32 v28, v42, v38
	;; [unrolled: 1-line block ×7, first 2 shown]
	v_pk_mul_f32 v[2:3], v[36:37], v[50:51]
	v_sub_f32_e32 v41, v30, v31
	v_mul_f32_e32 v31, v8, v18
	v_mov_b32_e32 v30, v37
	v_sub_f32_e32 v32, v68, v32
	v_sub_f32_e32 v2, v44, v2
	v_pk_mul_f32 v[8:9], v[30:31], v[48:49]
	v_sub_f32_e32 v40, v32, v33
	v_sub_f32_e32 v8, v38, v8
	;; [unrolled: 1-line block ×3, first 2 shown]
	v_pk_mul_f32 v[2:3], v[30:31], v[56:57]
	v_sub_f32_e32 v8, v8, v9
	v_sub_f32_e32 v2, v40, v2
	v_pk_mul_f32 v[32:33], v[36:37], v[70:71]
	v_pk_mul_f32 v[34:35], v[36:37], v[34:35]
	;; [unrolled: 1-line block ×3, first 2 shown]
	v_sub_f32_e32 v37, v2, v3
	v_mul_f32_e32 v3, v8, v19
	v_mov_b32_e32 v2, v31
	v_fma_f32 v52, -v43, v124, v77
	v_pk_mul_f32 v[8:9], v[2:3], v[100:101]
	v_sub_f32_e32 v28, v52, v38
	v_sub_f32_e32 v8, v18, v8
	v_sub_f32_e32 v36, v28, v39
	v_mov_b32_e32 v28, v43
	v_sub_f32_e32 v8, v8, v9
	v_sub_f32_e32 v10, v10, v32
	flat_store_dwordx4 v[12:13], v[28:31] offset:32
	v_sub_f32_e32 v10, v10, v33
	v_pk_mul_f32 v[32:33], v[30:31], v[60:61]
	v_mul_f32_e32 v29, v8, v16
	v_mov_b32_e32 v28, v3
	v_pk_mul_f32 v[18:19], v[2:3], v[102:103]
	v_pk_mul_f32 v[8:9], v[28:29], v[58:59]
	v_sub_f32_e32 v34, v45, v34
	v_sub_f32_e32 v32, v41, v32
	;; [unrolled: 1-line block ×5, first 2 shown]
	v_pk_mul_f32 v[34:35], v[30:31], v[64:65]
	v_sub_f32_e32 v32, v32, v33
	v_pk_mul_f32 v[30:31], v[2:3], v[104:105]
	v_sub_f32_e32 v10, v10, v19
	;; [unrolled: 2-line block ×3, first 2 shown]
	v_sub_f32_e32 v34, v42, v34
	v_sub_f32_e32 v30, v40, v30
	;; [unrolled: 1-line block ×3, first 2 shown]
	v_mul_f32_e32 v9, v8, v17
	v_mov_b32_e32 v8, v29
	v_sub_f32_e32 v33, v34, v35
	v_sub_f32_e32 v34, v30, v31
	v_pk_mul_f32 v[30:31], v[28:29], v[66:67]
	v_sub_f32_e32 v28, v16, v19
	v_pk_mul_f32 v[16:17], v[8:9], v[88:89]
	v_sub_f32_e32 v18, v33, v30
	v_pk_mul_f32 v[32:33], v[2:3], v[82:83]
	v_sub_f32_e32 v10, v10, v16
	v_sub_f32_e32 v2, v36, v32
	;; [unrolled: 1-line block ×3, first 2 shown]
	v_pk_mul_f32 v[18:19], v[8:9], v[98:99]
	v_sub_f32_e32 v10, v10, v17
	v_sub_f32_e32 v18, v34, v18
	v_mul_f32_e32 v31, v10, v14
	v_mov_b32_e32 v30, v9
	v_sub_f32_e32 v2, v2, v33
	v_pk_mul_f32 v[16:17], v[30:31], v[92:93]
	v_sub_f32_e32 v14, v18, v19
	v_pk_mul_f32 v[18:19], v[8:9], v[26:27]
	v_sub_f32_e32 v10, v28, v16
	v_sub_f32_e32 v2, v2, v18
	v_pk_mul_f32 v[4:5], v[30:31], v[4:5]
	v_sub_f32_e32 v8, v2, v19
	v_sub_f32_e32 v2, v10, v17
	;; [unrolled: 1-line block ×3, first 2 shown]
	v_mov_b32_e32 v28, v3
	v_mul_f32_e32 v3, v2, v15
	v_mov_b32_e32 v2, v31
	v_sub_f32_e32 v9, v4, v5
	v_pk_mul_f32 v[4:5], v[2:3], v[22:23]
	s_add_i32 s1, s2, 0x704
	v_sub_f32_e32 v4, v14, v4
	v_sub_f32_e32 v4, v4, v5
	v_mul_f32_e32 v5, v4, v0
	v_mov_b32_e32 v4, v3
	v_pk_mul_f32 v[2:3], v[2:3], v[20:21]
	v_pk_mul_f32 v[6:7], v[4:5], v[6:7]
	v_sub_f32_e32 v2, v8, v2
	flat_store_dwordx4 v[12:13], v[28:31] offset:48
	v_sub_f32_e32 v0, v9, v6
	v_sub_f32_e32 v6, v2, v3
	flat_store_dwordx2 v[12:13], v[4:5] offset:64
	v_mov_b32_e32 v2, s1
	ds_read2_b32 v[2:3], v2 offset1:1
	v_sub_f32_e32 v0, v0, v7
	ds_read_b32 v4, v11 offset:1900
	v_mul_f32_e32 v1, v0, v1
	v_mov_b32_e32 v0, v5
	s_waitcnt lgkmcnt(0)
	v_pk_mul_f32 v[2:3], v[0:1], v[2:3]
	s_add_i32 s0, s0, 20
	v_sub_f32_e32 v0, v6, v2
	v_sub_f32_e32 v0, v0, v3
	v_mul_f32_e32 v3, v0, v4
	v_mov_b32_e32 v2, v1
	flat_store_dwordx2 v[12:13], v[2:3] offset:72
.LBB27_24:
	s_cmp_ge_i32 s0, s17
	s_cbranch_scc1 .LBB27_29
; %bb.25:
	s_mul_i32 s2, s0, 0x60
	s_mov_b32 s1, 0
	s_branch .LBB27_27
.LBB27_26:                              ;   in Loop: Header=BB27_27 Depth=1
	s_mul_i32 s3, s0, 0x64
	v_mov_b32_e32 v2, s3
	ds_read_b32 v2, v2
	s_add_i32 s0, s0, 1
	s_addk_i32 s2, 0x60
	s_cmp_ge_i32 s0, s17
	s_waitcnt lgkmcnt(0)
	v_mul_f32_e32 v2, v4, v2
	flat_store_dword v[0:1], v2
	s_cbranch_scc1 .LBB27_29
.LBB27_27:                              ; =>This Loop Header: Depth=1
                                        ;     Child Loop BB27_28 Depth 2
	v_lshl_add_u64 v[0:1], s[0:1], 2, v[24:25]
	flat_load_dword v4, v[0:1]
	s_cmp_eq_u32 s0, 0
	v_mov_b64_e32 v[2:3], v[24:25]
	s_mov_b32 s3, s0
	s_mov_b32 s4, s2
	s_waitcnt vmcnt(0) lgkmcnt(0)
	v_mul_f32_e32 v4, s16, v4
	s_cbranch_scc1 .LBB27_26
.LBB27_28:                              ;   Parent Loop BB27_27 Depth=1
                                        ; =>  This Inner Loop Header: Depth=2
	flat_load_dword v5, v[2:3]
	v_mov_b32_e32 v6, s4
	ds_read_b32 v6, v6
	s_add_i32 s4, s4, 4
	s_add_i32 s3, s3, -1
	v_lshl_add_u64 v[2:3], v[2:3], 0, 4
	s_cmp_lg_u32 s3, 0
	s_waitcnt vmcnt(0) lgkmcnt(0)
	v_fma_f32 v4, -v5, v6, v4
	s_cbranch_scc1 .LBB27_28
	s_branch .LBB27_26
.LBB27_29:
	s_mov_b64 s[0:1], 0
.LBB27_30:
	s_and_b64 vcc, exec, s[0:1]
	s_cbranch_vccz .LBB27_56
; %bb.31:
	s_add_i32 s22, s17, -1
	s_cmp_gt_i32 s6, 23
	s_mov_b32 s0, -1
	s_cbranch_scc0 .LBB27_33
; %bb.32:
	flat_load_dwordx4 v[20:23], v[24:25] offset:80
	flat_load_dwordx4 v[16:19], v[24:25] offset:64
	flat_load_dwordx4 v[12:15], v[24:25] offset:48
	flat_load_dwordx4 v[8:11], v[24:25] offset:32
	flat_load_dwordx4 v[4:7], v[24:25] offset:16
	flat_load_dwordx4 v[0:3], v[24:25]
	v_mov_b32_e32 v120, 0
	v_mov_b32_e32 v30, 0x8ec
	s_movk_i32 s1, 0x800
	v_mov_b32_e32 v28, 0x894
	v_mov_b32_e32 v29, 0x7cc
	v_mov_b32_e32 v31, 0x82c
	v_mov_b32_e32 v34, 0x704
	v_mov_b32_e32 v44, 0x75c
	v_mov_b32_e32 v45, 0x69c
	ds_read_b64 v[26:27], v120 offset:2296
	ds_read_b96 v[58:60], v120 offset:2288
	ds_read2_b32 v[32:33], v28 offset1:1
	ds_read2_b32 v[48:49], v29 offset1:1
	;; [unrolled: 1-line block ×4, first 2 shown]
	v_add_u32_e64 v30, s1, 0
	v_mov_b32_e32 v35, 0x63c
	v_mov_b32_e32 v38, 0x8dc
	;; [unrolled: 1-line block ×4, first 2 shown]
	ds_read2_b32 v[46:47], v34 offset1:1
	ds_read2_b32 v[42:43], v35 offset1:1
	;; [unrolled: 1-line block ×4, first 2 shown]
	ds_read_b64 v[28:29], v120 offset:1496
	ds_read2_b32 v[50:51], v44 offset1:1
	ds_read2_b32 v[44:45], v45 offset1:1
	ds_read2_b32 v[66:67], v52 offset1:1
	ds_read_b64 v[84:85], v120 offset:2192
	ds_read_b96 v[72:74], v120 offset:2272
	s_waitcnt lgkmcnt(0)
	ds_read_b32 v37, v120 offset:2188
	ds_read2_b32 v[82:83], v30 offset0:54 offset1:58
	ds_read2_b32 v[30:31], v30 offset0:6 offset1:10
	ds_read_b64 v[86:87], v120 offset:2096
	ds_read_b64 v[90:91], v120 offset:2168
	ds_read_b32 v67, v120 offset:2164
	ds_read_b96 v[76:78], v120 offset:2080
	ds_read_b64 v[92:93], v120 offset:2184
	ds_read_b32 v95, v120 offset:2180
	ds_read_b64 v[96:97], v120 offset:2176
	ds_read_b32 v41, v120 offset:2172
	;; [unrolled: 2-line block ×4, first 2 shown]
	ds_read_b64 v[74:75], v120 offset:1896
	ds_read_b64 v[60:61], v120 offset:1976
	v_mov_b32_e32 v99, v32
	s_waitcnt lgkmcnt(0)
	ds_read_b96 v[78:80], v120 offset:1888
	ds_read_b32 v61, v120 offset:1880
	ds_read_b64 v[68:69], v120 offset:1696
	ds_read_b64 v[62:63], v120 offset:1792
	ds_read_b32 v51, v120 offset:1788
	ds_read_b64 v[54:55], v120 offset:1784
	v_mov_b32_e32 v35, v58
	v_mov_b32_e32 v94, v73
	s_waitcnt lgkmcnt(0)
	v_mov_b32_e32 v58, v79
	v_mov_b32_e32 v39, v72
	;; [unrolled: 1-line block ×7, first 2 shown]
	ds_read_b32 v55, v120 offset:1688
	ds_read_b64 v[30:31], v120 offset:1592
	ds_read_b32 v112, v120 offset:1400
	v_mov_b32_e32 v80, v77
	v_mov_b32_e32 v97, v76
	;; [unrolled: 1-line block ×3, first 2 shown]
	s_waitcnt lgkmcnt(0)
	v_mov_b32_e32 v31, v28
	v_mov_b32_e32 v45, v42
	v_mov_b32_e32 v59, v46
	v_mov_b32_e32 v63, v68
	v_mov_b32_e32 v65, v74
	v_mov_b32_e32 v85, v86
	v_mov_b32_e32 v71, v48
	s_movk_i32 s1, 0x400
	s_waitcnt vmcnt(0)
	v_mul_f32_e32 v32, s16, v23
	v_mul_f32_e32 v27, v32, v27
	v_mov_b32_e32 v23, v26
	v_mov_b32_e32 v34, v20
	;; [unrolled: 1-line block ×5, first 2 shown]
	flat_store_dword v[24:25], v27 offset:92
	v_mov_b32_e32 v26, s16
	v_mov_b32_e32 v14, 0x8cc
	v_pk_mul_f32 v[22:23], v[26:27], v[22:23]
	v_pk_mul_f32 v[100:101], v[26:27], v[34:35]
	v_pk_mul_f32 v[88:89], v[26:27], v[72:73]
	v_pk_mul_f32 v[76:77], v[26:27], v[38:39]
	v_pk_mul_f32 v[34:35], v[26:27], v[78:79]
	ds_read_b96 v[114:116], v120 offset:2064
	ds_read2_b32 v[102:103], v14 offset1:1
	ds_read_b64 v[104:105], v120 offset:2160
	ds_read_b32 v26, v120 offset:2156
	v_sub_f32_e32 v16, v22, v23
	v_mul_f32_e32 v33, v16, v33
	v_mov_b32_e32 v32, v27
	s_waitcnt lgkmcnt(0)
	v_mul_f32_e32 v18, v27, v103
	v_pk_mul_f32 v[98:99], v[32:33], v[98:99]
	v_fma_f32 v28, s16, v12, -v18
	v_fma_f32 v12, s16, v21, -v98
	v_pk_mul_f32 v[20:21], v[32:33], v[36:37]
	v_sub_f32_e32 v42, v12, v99
	v_fma_f32 v12, s16, v19, -v20
	v_pk_mul_f32 v[18:19], v[32:33], v[94:95]
	v_sub_f32_e32 v46, v12, v21
	;; [unrolled: 3-line block ×3, first 2 shown]
	v_fma_f32 v12, s16, v15, -v16
	v_sub_f32_e32 v74, v12, v17
	v_pk_mul_f32 v[16:17], v[32:33], v[66:67]
	v_mul_f32_e32 v32, v42, v87
	v_fma_f32 v12, s16, v13, -v16
	v_mul_f32_e32 v16, v27, v102
	v_sub_f32_e32 v113, v12, v17
	v_fma_f32 v11, s16, v11, -v16
	v_mov_b32_e32 v16, v33
	v_mov_b32_e32 v17, v32
	;; [unrolled: 1-line block ×3, first 2 shown]
	v_fma_f32 v26, -v33, v26, v11
	v_pk_mul_f32 v[18:19], v[16:17], v[84:85]
	v_sub_f32_e32 v11, v100, v101
	v_mov_b32_e32 v14, 0x80c
	v_sub_f32_e32 v11, v11, v18
	v_pk_mul_f32 v[92:93], v[16:17], v[92:93]
	v_pk_mul_f32 v[86:87], v[16:17], v[96:97]
	;; [unrolled: 1-line block ×4, first 2 shown]
	ds_read_b96 v[116:118], v120 offset:1872
	ds_read_b96 v[122:124], v120 offset:1680
	ds_read2_b32 v[108:109], v14 offset1:1
	ds_read_b32 v107, v120 offset:1972
	ds_read_b64 v[110:111], v120 offset:1968
	v_sub_f32_e32 v42, v11, v19
	v_sub_f32_e32 v11, v28, v16
	s_waitcnt lgkmcnt(0)
	ds_read_b32 v109, v120 offset:1964
	ds_read_b96 v[124:126], v120 offset:1488
	ds_read_b32 v79, v120 offset:1780
	ds_read_b64 v[82:83], v120 offset:1776
	ds_read_b64 v[22:23], v120 offset:1296
	ds_read_b32 v73, v120 offset:1588
	ds_read_b64 v[38:39], v120 offset:1584
	ds_read_b32 v15, v120 offset:1396
	;; [unrolled: 2-line block ×3, first 2 shown]
	flat_store_dwordx2 v[24:25], v[32:33] offset:84
	v_sub_f32_e32 v28, v11, v17
	v_mov_b32_e32 v11, 0x8c4
	ds_read2_b32 v[90:91], v11 offset1:1
	v_mov_b32_e32 v16, 0x50c
	v_mov_b32_e32 v20, 0x864
	ds_read2_b32 v[16:17], v16 offset1:1
	v_mov_b32_e32 v21, 0x804
	ds_read2_b32 v[94:95], v20 offset1:1
	ds_read2_b32 v[96:97], v21 offset1:1
	s_waitcnt lgkmcnt(0)
	v_mul_f32_e32 v17, v27, v91
	v_mov_b32_e32 v18, 0x68c
	v_fma_f32 v10, s16, v10, -v17
	v_mov_b32_e32 v17, 0x744
	v_mov_b32_e32 v11, 0x74c
	;; [unrolled: 1-line block ×3, first 2 shown]
	ds_read2_b32 v[98:99], v17 offset1:1
	ds_read2_b32 v[84:85], v18 offset1:1
	ds_read_b64 v[100:101], v120 offset:1960
	ds_read2_b32 v[102:103], v11 offset1:1
	ds_read2_b32 v[36:37], v19 offset1:1
	v_fma_f32 v10, -v33, v95, v10
	s_waitcnt lgkmcnt(0)
	ds_read_b32 v101, v120 offset:1864
	ds_read_b64 v[104:105], v120 offset:1768
	ds_read_b64 v[66:67], v120 offset:1576
	ds_read_b32 v95, v120 offset:1956
	s_waitcnt lgkmcnt(0)
	ds_read_b32 v105, v120 offset:1672
	ds_read_b32 v37, v120 offset:1388
	ds_read_b32 v85, v120 offset:1580
	ds_read_b32 v99, v120 offset:1764
	ds_read_b32 v67, v120 offset:1480
	ds_read_b64 v[20:21], v120 offset:1384
	ds_read_b32 v103, v120 offset:1772
	v_mov_b32_e32 v13, v22
	v_fma_f32 v91, -v32, v97, v10
	s_waitcnt lgkmcnt(0)
	ds_read_b32 v21, v120 offset:1288
	ds_read_b32 v17, v120 offset:1196
	ds_read_b64 v[18:19], v120 offset:1096
	ds_read_b64 v[10:11], v120 offset:1192
	ds_read_b32 v22, v120 offset:1000
	v_mul_f32_e32 v49, v42, v49
	v_mov_b32_e32 v48, v32
	s_waitcnt lgkmcnt(0)
	v_mul_f32_e32 v11, v27, v90
	v_pk_mul_f32 v[70:71], v[48:49], v[70:71]
	v_pk_mul_f32 v[56:57], v[48:49], v[56:57]
	v_mov_b32_e32 v106, v115
	v_fma_f32 v9, s16, v9, -v11
	v_sub_f32_e32 v11, v46, v70
	v_sub_f32_e32 v46, v74, v56
	;; [unrolled: 1-line block ×3, first 2 shown]
	v_pk_mul_f32 v[56:57], v[48:49], v[106:107]
	v_sub_f32_e32 v11, v11, v71
	v_pk_mul_f32 v[70:71], v[48:49], v[80:81]
	v_sub_f32_e32 v56, v113, v56
	v_sub_f32_e32 v42, v68, v70
	;; [unrolled: 1-line block ×3, first 2 shown]
	v_pk_mul_f32 v[56:57], v[48:49], v[108:109]
	v_fma_f32 v9, -v33, v94, v9
	v_sub_f32_e32 v26, v26, v56
	v_fma_f32 v9, -v32, v96, v9
	v_sub_f32_e32 v26, v26, v57
	v_mul_f32_e32 v57, v11, v75
	v_mov_b32_e32 v56, v49
	v_fma_f32 v113, -v49, v95, v9
	v_mov_b32_e32 v48, v57
	v_sub_f32_e32 v9, v88, v89
	v_mov_b32_e32 v111, v116
	v_pk_mul_f32 v[74:75], v[56:57], v[100:101]
	flat_store_dwordx2 v[24:25], v[48:49] offset:76
	v_sub_f32_e32 v9, v9, v92
	v_mov_b32_e32 v48, 0x8bc
	v_mov_b32_e32 v78, v117
	;; [unrolled: 1-line block ×5, first 2 shown]
	v_sub_f32_e32 v42, v42, v71
	v_sub_f32_e32 v11, v91, v74
	v_pk_mul_f32 v[64:65], v[56:57], v[64:65]
	v_sub_f32_e32 v9, v9, v93
	v_pk_mul_f32 v[88:89], v[56:57], v[52:53]
	v_pk_mul_f32 v[70:71], v[56:57], v[60:61]
	;; [unrolled: 1-line block ×3, first 2 shown]
	ds_read_b96 v[116:118], v120 offset:1664
	ds_read2_b32 v[90:91], v48 offset1:1
	ds_read_b64 v[92:93], v120 offset:1760
	ds_read_b32 v56, v120 offset:1756
	ds_read_b96 v[122:124], v120 offset:1472
	v_mov_b32_e32 v48, 0x67c
	v_mov_b32_e32 v14, v125
	v_sub_f32_e32 v9, v9, v64
	v_sub_f32_e32 v28, v28, v52
	s_waitcnt lgkmcnt(0)
	ds_read_b96 v[124:126], v120 offset:1280
	ds_read2_b32 v[110:111], v48 offset1:1
	ds_read_b32 v97, v120 offset:1572
	ds_read_b64 v[80:81], v120 offset:1568
	v_sub_f32_e32 v9, v9, v65
	v_sub_f32_e32 v28, v28, v53
	s_waitcnt lgkmcnt(0)
	ds_read_b32 v111, v120 offset:1564
	ds_read_b32 v65, v120 offset:1380
	ds_read_b64 v[60:61], v120 offset:1376
	v_mov_b32_e32 v53, 0x85c
	v_sub_f32_e32 v11, v11, v75
	v_mul_f32_e32 v48, v27, v91
	s_waitcnt lgkmcnt(0)
	v_mov_b32_e32 v61, 0x7fc
	v_mov_b32_e32 v74, 0x79c
	;; [unrolled: 1-line block ×3, first 2 shown]
	ds_read2_b32 v[94:95], v53 offset1:1
	ds_read2_b32 v[100:101], v61 offset1:1
	;; [unrolled: 1-line block ×4, first 2 shown]
	v_fma_f32 v8, s16, v8, -v48
	s_waitcnt lgkmcnt(0)
	v_fma_f32 v8, -v33, v95, v8
	v_fma_f32 v8, -v32, v101, v8
	;; [unrolled: 1-line block ×3, first 2 shown]
	v_mul_f32_e32 v75, v9, v47
	v_mov_b32_e32 v74, v57
	v_fma_f32 v91, -v57, v109, v8
	v_pk_mul_f32 v[8:9], v[74:75], v[58:59]
	v_mov_b32_e32 v93, v116
	v_sub_f32_e32 v8, v42, v8
	v_sub_f32_e32 v42, v8, v9
	v_pk_mul_f32 v[8:9], v[74:75], v[50:51]
	v_mov_b32_e32 v64, v123
	v_sub_f32_e32 v8, v46, v8
	v_sub_f32_e32 v50, v8, v9
	v_pk_mul_f32 v[8:9], v[74:75], v[78:79]
	v_mul_f32_e32 v79, v42, v69
	v_sub_f32_e32 v8, v68, v8
	v_sub_f32_e32 v114, v8, v9
	v_pk_mul_f32 v[8:9], v[74:75], v[102:103]
	v_mov_b32_e32 v78, v75
	v_sub_f32_e32 v8, v26, v8
	v_sub_f32_e32 v26, v8, v9
	v_pk_mul_f32 v[8:9], v[74:75], v[98:99]
	v_pk_mul_f32 v[68:69], v[78:79], v[104:105]
	v_sub_f32_e32 v8, v113, v8
	v_sub_f32_e32 v98, v8, v9
	ds_read_b32 v53, v120 offset:1188
	ds_read_b96 v[160:162], v120 offset:1088
	ds_read_b64 v[58:59], v120 offset:1184
	ds_read_b32 v51, v120 offset:996
	ds_read_b64 v[46:47], v120 offset:896
	ds_read_b64 v[8:9], v120 offset:992
	ds_read_b32 v48, v120 offset:800
	s_waitcnt lgkmcnt(0)
	v_mul_f32_e32 v9, v27, v90
	v_fma_f32 v7, s16, v7, -v9
	v_fma_f32 v7, -v33, v94, v7
	v_fma_f32 v7, -v32, v100, v7
	;; [unrolled: 1-line block ×5, first 2 shown]
	v_sub_f32_e32 v7, v11, v68
	v_sub_f32_e32 v11, v76, v77
	;; [unrolled: 1-line block ×3, first 2 shown]
	v_pk_mul_f32 v[100:101], v[78:79], v[54:55]
	v_pk_mul_f32 v[54:55], v[78:79], v[82:83]
	v_sub_f32_e32 v11, v11, v87
	v_sub_f32_e32 v28, v28, v54
	v_mov_b32_e32 v74, v79
	v_sub_f32_e32 v11, v11, v88
	v_sub_f32_e32 v56, v28, v55
	v_pk_mul_f32 v[54:55], v[78:79], v[92:93]
	flat_store_dwordx2 v[24:25], v[74:75] offset:68
	v_pk_mul_f32 v[62:63], v[78:79], v[62:63]
	v_sub_f32_e32 v11, v11, v89
	v_sub_f32_e32 v74, v7, v69
	;; [unrolled: 1-line block ×5, first 2 shown]
	v_mov_b32_e32 v7, 0x5bc
	v_sub_f32_e32 v11, v11, v63
	v_mov_b32_e32 v28, 0x4fc
	v_mov_b32_e32 v42, 0x43c
	ds_read_b32 v59, v120 offset:2232
	ds_read2_b32 v[76:77], v7 offset1:1
	ds_read2_b32 v[68:69], v28 offset1:1
	;; [unrolled: 1-line block ×3, first 2 shown]
	ds_read_b32 v7, v120 offset:2136
	ds_read2_b32 v[54:55], v120 offset0:175 offset1:194
	s_waitcnt lgkmcnt(0)
	v_mul_f32_e32 v28, v27, v59
	ds_read_b32 v42, v120 offset:2040
	v_fma_f32 v6, s16, v6, -v28
	v_fma_f32 v6, -v33, v7, v6
	ds_read_b32 v7, v120 offset:1944
	ds_read2_b64 v[92:95], v120 offset0:253 offset1:254
	ds_read_b32 v28, v120 offset:1848
	ds_read2_b64 v[104:107], v120 offset0:241 offset1:242
	s_waitcnt lgkmcnt(0)
	v_fma_f32 v6, -v32, v42, v6
	v_mov_b32_e32 v52, v125
	v_mov_b32_e32 v81, v122
	;; [unrolled: 1-line block ×3, first 2 shown]
	v_fma_f32 v6, -v49, v7, v6
	ds_read_b32 v7, v120 offset:1752
	ds_read_b32 v42, v120 offset:1656
	ds_read2_b64 v[122:125], v120 offset0:229 offset1:230
	v_fma_f32 v6, -v57, v28, v6
	v_mul_f32_e32 v109, v11, v43
	s_waitcnt lgkmcnt(0)
	v_fma_f32 v6, -v75, v7, v6
	v_mov_b32_e32 v108, v79
	v_fma_f32 v118, -v79, v42, v6
	v_pk_mul_f32 v[6:7], v[108:109], v[44:45]
	v_mov_b32_e32 v96, v117
	v_sub_f32_e32 v6, v50, v6
	v_sub_f32_e32 v28, v6, v7
	v_pk_mul_f32 v[6:7], v[108:109], v[72:73]
	ds_read2_b64 v[126:129], v120 offset0:217 offset1:218
	v_sub_f32_e32 v6, v114, v6
	v_sub_f32_e32 v150, v6, v7
	v_pk_mul_f32 v[6:7], v[108:109], v[84:85]
	ds_read_b32 v77, v120 offset:1372
	ds_read_b96 v[144:146], v120 offset:1456
	v_sub_f32_e32 v6, v26, v6
	v_sub_f32_e32 v151, v6, v7
	v_pk_mul_f32 v[6:7], v[108:109], v[96:97]
	v_mov_b32_e32 v59, v160
	v_sub_f32_e32 v6, v98, v6
	v_sub_f32_e32 v152, v6, v7
	v_pk_mul_f32 v[6:7], v[108:109], v[110:111]
	s_waitcnt lgkmcnt(0)
	ds_read_b64 v[146:147], v120 offset:1448
	ds_read_b64 v[98:99], v120 offset:1368
	v_sub_f32_e32 v6, v9, v6
	v_sub_f32_e32 v153, v6, v7
	v_add_u32_e64 v6, s1, 0
	ds_read2_b32 v[96:97], v6 offset0:58 offset1:62
	ds_read2_b32 v[174:175], v6 offset0:10 offset1:14
	ds_read_b32 v63, v120 offset:988
	ds_read_b96 v[162:164], v120 offset:1072
	ds_read_b64 v[90:91], v120 offset:1160
	ds_read_b64 v[84:85], v120 offset:984
	v_mov_b32_e32 v6, 0x8a8
	ds_read2_b64 v[114:117], v6 offset1:1
	v_mov_b32_e32 v6, 0x848
	ds_read2_b64 v[130:133], v6 offset1:1
	ds_read2_b32 v[72:73], v120 offset0:199 offset1:200
	ds_read_b32 v9, v120 offset:792
	ds_read_b64 v[148:149], v120 offset:1560
	ds_read2_b64 v[134:137], v120 offset0:205 offset1:206
	s_waitcnt lgkmcnt(0)
	ds_read_b32 v149, v120 offset:1464
	ds_read2_b64 v[138:141], v120 offset0:193 offset1:194
	v_mul_f32_e32 v11, v27, v116
	v_fma_f32 v4, s16, v4, -v11
	v_mul_f32_e32 v11, v27, v115
	v_mul_f32_e32 v6, v27, v117
	v_fma_f32 v3, s16, v3, -v11
	v_fma_f32 v5, s16, v5, -v6
	v_fma_f32 v3, -v33, v131, v3
	v_fma_f32 v5, -v33, v133, v5
	;; [unrolled: 1-line block ×17, first 2 shown]
	ds_read_b32 v69, v120 offset:1180
	ds_read_b96 v[164:166], v120 offset:1264
	ds_read_b64 v[176:177], v120 offset:888
	ds_read2_b64 v[156:159], v120 offset0:109 offset1:110
	ds_read_b64 v[42:43], v120 offset:696
	v_fma_f32 v4, -v79, v136, v4
	s_waitcnt lgkmcnt(0)
	v_fma_f32 v26, -v109, v139, v3
	v_mov_b32_e32 v3, 0x4ec
	v_fma_f32 v85, -v109, v141, v5
	ds_read_b96 v[166:168], v120 offset:784
	ds_read2_b32 v[86:87], v120 offset0:195 offset1:196
	ds_read_b32 v5, v120 offset:692
	ds_read2_b32 v[6:7], v120 offset0:125 offset1:146
	v_fma_f32 v4, -v109, v140, v4
	ds_read_b32 v125, v120 offset:1364
	ds_read2_b64 v[140:143], v120 offset0:169 offset1:170
	v_mov_b32_e32 v11, 0x42c
	ds_read2_b32 v[116:117], v3 offset1:1
	ds_read2_b32 v[102:103], v11 offset1:1
	v_mul_f32_e32 v3, v27, v114
	v_fma_f32 v2, s16, v2, -v3
	v_fma_f32 v2, -v33, v130, v2
	v_fma_f32 v11, -v32, v92, v2
	;; [unrolled: 1-line block ×5, first 2 shown]
	v_mul_f32_e32 v123, v28, v29
	v_mov_b32_e32 v122, v109
	v_fma_f32 v11, -v79, v134, v11
	v_pk_mul_f32 v[28:29], v[122:123], v[66:67]
	v_fma_f32 v43, -v109, v138, v11
	v_mov_b32_e32 v11, v18
	v_sub_f32_e32 v18, v74, v28
	v_sub_f32_e32 v28, v34, v35
	;; [unrolled: 1-line block ×7, first 2 shown]
	v_pk_mul_f32 v[30:31], v[122:123], v[30:31]
	v_sub_f32_e32 v28, v28, v101
	v_sub_f32_e32 v28, v28, v30
	;; [unrolled: 1-line block ×3, first 2 shown]
	v_pk_mul_f32 v[30:31], v[122:123], v[38:39]
	ds_read_b64 v[110:111], v120 offset:1176
	ds_read_b32 v119, v120 offset:1172
	ds_read_b64 v[114:115], v120 offset:1168
	s_waitcnt lgkmcnt(0)
	ds_read_b32 v117, v120 offset:1164
	ds_read_b96 v[168:170], v120 offset:592
	ds_read_b64 v[2:3], v120 offset:496
	ds_read2_b32 v[88:89], v120 offset0:147 offset1:148
	v_mov_b32_e32 v108, v123
	v_sub_f32_e32 v28, v56, v30
	s_waitcnt lgkmcnt(0)
	ds_read_b32 v3, v120 offset:492
	ds_read_b32 v139, v120 offset:400
	ds_read_b64 v[82:83], v120 offset:488
	ds_read2_b32 v[44:45], v120 offset0:99 offset1:100
	ds_read_b32 v154, v120 offset:300
	ds_read_b32 v113, v120 offset:980
	ds_read_b64 v[106:107], v120 offset:976
	ds_read_b32 v103, v120 offset:972
	ds_read_b64 v[104:105], v120 offset:968
	;; [unrolled: 2-line block ×4, first 2 shown]
	v_mov_b32_e32 v99, v97
	flat_store_dwordx2 v[24:25], v[108:109] offset:60
	v_sub_f32_e32 v97, v28, v31
	v_sub_f32_e32 v18, v18, v29
	v_pk_mul_f32 v[28:29], v[122:123], v[80:81]
	ds_read_b64 v[30:31], v120 offset:2208
	v_sub_f32_e32 v28, v78, v28
	s_waitcnt lgkmcnt(0)
	v_sub_f32_e32 v105, v28, v29
	v_pk_mul_f32 v[28:29], v[122:123], v[148:149]
	v_fma_f32 v108, -v123, v144, v4
	v_sub_f32_e32 v28, v118, v28
	v_sub_f32_e32 v107, v28, v29
	ds_read2_b32 v[28:29], v120 offset0:25 offset1:50
	ds_read_b64 v[34:35], v120 offset:2112
	ds_read_b64 v[66:67], v120 offset:2016
	;; [unrolled: 1-line block ×4, first 2 shown]
	v_mul_f32_e32 v4, v27, v31
	v_fma_f32 v1, s16, v1, -v4
	s_waitcnt lgkmcnt(0)
	v_fma_f32 v1, -v33, v35, v1
	v_fma_f32 v1, -v32, v67, v1
	ds_read_b64 v[100:101], v120 offset:1728
	ds_read_b64 v[126:127], v120 offset:1632
	;; [unrolled: 1-line block ×3, first 2 shown]
	v_fma_f32 v1, -v49, v71, v1
	ds_read_b64 v[130:131], v120 offset:1440
	ds_read_b64 v[132:133], v120 offset:1344
	;; [unrolled: 1-line block ×3, first 2 shown]
	v_fma_f32 v1, -v57, v81, v1
	s_waitcnt lgkmcnt(0)
	v_fma_f32 v1, -v75, v101, v1
	v_fma_f32 v1, -v79, v127, v1
	;; [unrolled: 1-line block ×4, first 2 shown]
	v_mul_f32_e32 v1, v27, v30
	ds_read_b64 v[136:137], v120 offset:1152
	ds_read_b96 v[38:40], v120 offset:1056
	v_mov_b32_e32 v124, v145
	v_fma_f32 v122, -v123, v146, v43
	v_fma_f32 v0, s16, v0, -v1
	s_waitcnt lgkmcnt(0)
	ds_read_b64 v[40:41], v120 offset:960
	ds_read_b32 v35, v120 offset:868
	ds_read_b96 v[144:146], v120 offset:576
	v_fma_f32 v115, -v123, v147, v26
	s_waitcnt lgkmcnt(0)
	ds_read_b96 v[146:148], v120 offset:384
	v_fma_f32 v4, -v33, v34, v0
	ds_read_b96 v[170:172], v120 offset:192
	ds_read_b64 v[0:1], v120 offset:96
	s_waitcnt lgkmcnt(0)
	v_fma_f32 v1, -v32, v66, v4
	v_fma_f32 v1, -v49, v70, v1
	;; [unrolled: 1-line block ×3, first 2 shown]
	v_mul_f32_e32 v81, v91, v112
	v_mov_b32_e32 v80, v123
	v_fma_f32 v1, -v75, v100, v1
	v_pk_mul_f32 v[14:15], v[80:81], v[14:15]
	v_fma_f32 v1, -v79, v126, v1
	v_sub_f32_e32 v14, v150, v14
	v_fma_f32 v1, -v109, v128, v1
	v_sub_f32_e32 v30, v14, v15
	v_pk_mul_f32 v[14:15], v[80:81], v[36:37]
	v_fma_f32 v1, -v123, v130, v1
	ds_read_b96 v[128:130], v120 offset:768
	ds_read_b64 v[56:57], v120 offset:864
	v_sub_f32_e32 v14, v151, v14
	s_waitcnt lgkmcnt(0)
	v_mov_b32_e32 v57, v40
	v_sub_f32_e32 v40, v14, v15
	v_pk_mul_f32 v[14:15], v[80:81], v[64:65]
	v_mov_b32_e32 v43, v9
	v_sub_f32_e32 v14, v152, v14
	v_mov_b32_e32 v9, v46
	v_sub_f32_e32 v46, v14, v15
	v_pk_mul_f32 v[14:15], v[80:81], v[76:77]
	v_mov_b32_e32 v93, v55
	v_sub_f32_e32 v14, v153, v14
	v_sub_f32_e32 v55, v14, v15
	v_mul_f32_e32 v15, v30, v23
	v_mov_b32_e32 v14, v81
	v_pk_mul_f32 v[12:13], v[14:15], v[12:13]
	v_pk_mul_f32 v[20:21], v[14:15], v[20:21]
	v_sub_f32_e32 v12, v97, v12
	v_mov_b32_e32 v143, v164
	v_pk_mul_f32 v[64:65], v[14:15], v[98:99]
	v_sub_f32_e32 v18, v18, v20
	v_sub_f32_e32 v20, v12, v13
	v_pk_mul_f32 v[100:101], v[80:81], v[124:125]
	v_pk_mul_f32 v[36:37], v[14:15], v[142:143]
	v_sub_f32_e32 v30, v107, v64
	v_sub_f32_e32 v64, v18, v21
	v_pk_mul_f32 v[12:13], v[14:15], v[60:61]
	v_mul_f32_e32 v21, v20, v121
	v_mov_b32_e32 v20, v15
	v_mov_b32_e32 v83, v7
	;; [unrolled: 1-line block ×3, first 2 shown]
	v_sub_f32_e32 v7, v85, v100
	v_fma_f32 v76, -v81, v140, v122
	v_fma_f32 v77, -v81, v133, v127
	;; [unrolled: 1-line block ×3, first 2 shown]
	v_sub_f32_e32 v23, v108, v36
	v_sub_f32_e32 v12, v105, v12
	v_pk_mul_f32 v[16:17], v[20:21], v[16:17]
	v_sub_f32_e32 v7, v7, v101
	v_fma_f32 v70, -v81, v141, v115
	v_mov_b32_e32 v80, v15
	v_sub_f32_e32 v60, v12, v13
	v_sub_f32_e32 v18, v23, v37
	v_fma_f32 v23, -v15, v96, v76
	v_fma_f32 v61, -v15, v135, v77
	;; [unrolled: 1-line block ×3, first 2 shown]
	v_pk_mul_f32 v[12:13], v[20:21], v[116:117]
	v_pk_mul_f32 v[14:15], v[20:21], v[118:119]
	;; [unrolled: 1-line block ×3, first 2 shown]
	v_sub_f32_e32 v16, v40, v16
	v_sub_f32_e32 v12, v70, v12
	;; [unrolled: 1-line block ×5, first 2 shown]
	v_pk_mul_f32 v[16:17], v[20:21], v[52:53]
	v_sub_f32_e32 v52, v12, v13
	v_mul_f32_e32 v13, v36, v19
	v_mov_b32_e32 v12, v21
	v_mov_b32_e32 v91, v174
	v_pk_mul_f32 v[10:11], v[12:13], v[10:11]
	v_sub_f32_e32 v16, v46, v16
	v_sub_f32_e32 v46, v14, v37
	;; [unrolled: 1-line block ×3, first 2 shown]
	v_pk_mul_f32 v[14:15], v[12:13], v[90:91]
	v_sub_f32_e32 v10, v64, v10
	v_sub_f32_e32 v14, v23, v14
	;; [unrolled: 1-line block ×3, first 2 shown]
	v_mov_b32_e32 v50, v161
	v_pk_mul_f32 v[36:37], v[12:13], v[58:59]
	v_sub_f32_e32 v59, v14, v15
	v_mul_f32_e32 v15, v10, v22
	v_mov_b32_e32 v14, v13
	v_sub_f32_e32 v20, v16, v17
	v_pk_mul_f32 v[10:11], v[14:15], v[50:51]
	v_mov_b32_e32 v115, v162
	v_sub_f32_e32 v10, v20, v10
	v_mov_b32_e32 v111, v175
	v_pk_mul_f32 v[16:17], v[12:13], v[114:115]
	v_sub_f32_e32 v10, v10, v11
	v_sub_f32_e32 v30, v30, v65
	;; [unrolled: 1-line block ×3, first 2 shown]
	v_pk_mul_f32 v[18:19], v[12:13], v[110:111]
	v_sub_f32_e32 v12, v60, v36
	v_mul_f32_e32 v11, v10, v47
	v_mov_b32_e32 v10, v15
	v_mov_b32_e32 v112, v163
	v_sub_f32_e32 v18, v30, v18
	v_sub_f32_e32 v30, v12, v37
	v_pk_mul_f32 v[8:9], v[10:11], v[8:9]
	v_sub_f32_e32 v55, v18, v19
	v_mov_b32_e32 v40, v39
	v_pk_mul_f32 v[18:19], v[14:15], v[102:103]
	v_pk_mul_f32 v[22:23], v[14:15], v[112:113]
	;; [unrolled: 1-line block ×3, first 2 shown]
	v_sub_f32_e32 v8, v30, v8
	v_mov_b32_e32 v85, v176
	v_mov_b32_e32 v107, v158
	v_fma_f32 v1, -v21, v136, v1
	v_mov_b32_e32 v105, v156
	v_sub_f32_e32 v58, v16, v17
	v_pk_mul_f32 v[16:17], v[14:15], v[40:41]
	v_sub_f32_e32 v18, v52, v18
	v_sub_f32_e32 v7, v7, v22
	;; [unrolled: 1-line block ×3, first 2 shown]
	v_mov_b32_e32 v12, v15
	v_mov_b32_e32 v14, v21
	v_sub_f32_e32 v8, v8, v9
	ds_read_b32 v49, v120 offset:676
	ds_read_b64 v[66:67], v120 offset:672
	ds_read_b32 v4, v120 offset:392
	ds_read_b32 v71, v120 offset:484
	ds_read_b64 v[74:75], v120 offset:480
	ds_read_b64 v[32:33], v120 offset:296
	ds_read_b32 v31, v120 offset:292
	ds_read_b64 v[26:27], v120 offset:288
	v_mov_b32_e32 v73, v177
	v_fma_f32 v53, -v21, v137, v61
	v_fma_f32 v1, -v13, v38, v1
	flat_store_dwordx3 v[24:25], v[12:14] offset:40
	v_pk_mul_f32 v[20:21], v[10:11], v[106:107]
	v_mov_b32_e32 v78, v167
	v_sub_f32_e32 v14, v22, v37
	v_pk_mul_f32 v[12:13], v[10:11], v[84:85]
	v_sub_f32_e32 v22, v18, v19
	v_pk_mul_f32 v[18:19], v[10:11], v[104:105]
	v_mul_f32_e32 v10, v8, v48
	v_mov_b32_e32 v79, v159
	v_mov_b32_e32 v87, v157
	v_sub_f32_e32 v16, v53, v16
	v_sub_f32_e32 v12, v55, v12
	v_pk_mul_f32 v[8:9], v[10:11], v[72:73]
	v_mov_b32_e32 v34, v129
	v_sub_f32_e32 v7, v7, v23
	v_sub_f32_e32 v20, v58, v20
	;; [unrolled: 1-line block ×6, first 2 shown]
	v_pk_mul_f32 v[12:13], v[10:11], v[78:79]
	v_pk_mul_f32 v[16:17], v[10:11], v[86:87]
	v_sub_f32_e32 v7, v7, v13
	v_sub_f32_e32 v20, v20, v21
	;; [unrolled: 1-line block ×4, first 2 shown]
	v_pk_mul_f32 v[18:19], v[10:11], v[34:35]
	v_sub_f32_e32 v8, v9, v8
	v_sub_f32_e32 v17, v23, v19
	;; [unrolled: 1-line block ×4, first 2 shown]
	v_mul_f32_e32 v12, v8, v54
	v_mov_b32_e32 v13, v10
	v_mov_b32_e32 v14, v11
	v_pk_mul_f32 v[8:9], v[12:13], v[42:43]
	v_pk_mul_f32 v[14:15], v[14:15], v[56:57]
	v_sub_f32_e32 v9, v30, v9
	v_mov_b32_e32 v95, v166
	v_sub_f32_e32 v1, v1, v15
	v_sub_f32_e32 v8, v9, v8
	s_waitcnt lgkmcnt(0)
	v_mov_b32_e32 v33, v4
	v_mov_b32_e32 v4, v169
	v_sub_f32_e32 v1, v1, v14
	v_pk_mul_f32 v[14:15], v[12:13], v[94:95]
	v_mul_f32_e32 v8, v8, v138
	v_mov_b32_e32 v9, v12
	v_sub_f32_e32 v15, v20, v15
	v_pk_mul_f32 v[4:5], v[8:9], v[4:5]
	v_sub_f32_e32 v20, v15, v14
	v_sub_f32_e32 v5, v7, v5
	v_pk_mul_f32 v[14:15], v[8:9], v[88:89]
	v_sub_f32_e32 v4, v5, v4
	v_sub_f32_e32 v7, v19, v15
	v_mov_b32_e32 v45, v3
	v_mov_b32_e32 v3, v168
	flat_store_dwordx4 v[24:25], v[8:11] offset:24
	v_mul_f32_e32 v6, v4, v6
	v_sub_f32_e32 v18, v17, v18
	v_sub_f32_e32 v10, v7, v14
	v_mov_b32_e32 v7, v8
	v_pk_mul_f32 v[2:3], v[6:7], v[2:3]
	v_pk_mul_f32 v[16:17], v[12:13], v[92:93]
	v_sub_f32_e32 v3, v20, v3
	v_mov_b32_e32 v48, v145
	v_sub_f32_e32 v17, v21, v17
	v_sub_f32_e32 v2, v3, v2
	v_sub_f32_e32 v15, v17, v16
	v_pk_mul_f32 v[16:17], v[8:9], v[48:49]
	v_pk_mul_f32 v[8:9], v[6:7], v[82:83]
	v_mul_f32_e32 v4, v2, v139
	v_mov_b32_e32 v5, v6
	v_mov_b32_e32 v67, v128
	v_sub_f32_e32 v17, v18, v17
	v_mov_b32_e32 v70, v147
	v_sub_f32_e32 v9, v15, v9
	v_pk_mul_f32 v[2:3], v[4:5], v[44:45]
	v_pk_mul_f32 v[18:19], v[12:13], v[66:67]
	v_sub_f32_e32 v11, v17, v16
	v_sub_f32_e32 v3, v10, v3
	;; [unrolled: 1-line block ×3, first 2 shown]
	v_pk_mul_f32 v[8:9], v[4:5], v[70:71]
	v_sub_f32_e32 v2, v3, v2
	v_sub_f32_e32 v5, v11, v9
	;; [unrolled: 1-line block ×3, first 2 shown]
	v_mul_f32_e32 v8, v2, v154
	v_mov_b32_e32 v9, v4
	v_pk_mul_f32 v[2:3], v[8:9], v[32:33]
	v_mov_b32_e32 v75, v144
	v_sub_f32_e32 v1, v1, v19
	v_sub_f32_e32 v3, v12, v3
	;; [unrolled: 1-line block ×3, first 2 shown]
	v_pk_mul_f32 v[10:11], v[6:7], v[74:75]
	v_sub_f32_e32 v2, v3, v2
	v_sub_f32_e32 v1, v1, v11
	v_mov_b32_e32 v30, v171
	v_mul_f32_e32 v2, v2, v29
	v_mov_b32_e32 v3, v8
	v_sub_f32_e32 v1, v1, v10
	v_pk_mul_f32 v[10:11], v[2:3], v[30:31]
	v_mov_b32_e32 v27, v146
	v_sub_f32_e32 v7, v5, v11
	v_mov_b32_e32 v5, v6
	flat_store_dwordx2 v[24:25], v[80:81] offset:52
	v_pk_mul_f32 v[12:13], v[8:9], v[26:27]
	flat_store_dwordx4 v[24:25], v[2:5] offset:8
	v_sub_f32_e32 v1, v1, v13
	ds_read_b32 v6, v120
	v_sub_f32_e32 v3, v7, v10
	v_sub_f32_e32 v9, v1, v12
	v_mov_b32_e32 v1, v170
	v_mul_f32_e32 v4, v3, v28
	v_mov_b32_e32 v5, v2
	v_pk_mul_f32 v[0:1], v[4:5], v[0:1]
	s_nop 0
	v_sub_f32_e32 v1, v9, v1
	v_sub_f32_e32 v0, v1, v0
	s_waitcnt lgkmcnt(0)
	v_mul_f32_e32 v0, v0, v6
	v_mov_b32_e32 v1, v4
	flat_store_dwordx2 v[24:25], v[0:1]
	s_cmp_gt_i32 s0, -1
	s_cbranch_scc1 .LBB27_34
	s_branch .LBB27_56
.LBB27_33:
	s_mov_b32 s0, s22
	s_cmp_gt_i32 s0, -1
	s_cbranch_scc0 .LBB27_56
.LBB27_34:
	s_cmp_lt_u32 s0, 19
	s_cbranch_scc1 .LBB27_39
; %bb.35:
	s_mov_b32 s3, 0
	s_mov_b32 s1, s3
	v_lshl_add_u64 v[20:21], s[0:1], 2, v[24:25]
	v_add_co_u32_e32 v0, vcc, -12, v20
	s_cmp_le_i32 s22, s0
	s_nop 0
	v_addc_co_u32_e32 v1, vcc, -1, v21, vcc
	v_add_co_u32_e32 v4, vcc, 0xffffffe4, v20
	flat_load_dwordx4 v[0:3], v[0:1]
	s_nop 0
	v_addc_co_u32_e32 v5, vcc, -1, v21, vcc
	v_add_co_u32_e32 v8, vcc, 0xffffffd4, v20
	flat_load_dwordx4 v[4:7], v[4:5]
	;; [unrolled: 4-line block ×3, first 2 shown]
	s_nop 0
	v_addc_co_u32_e32 v13, vcc, -1, v21, vcc
	flat_load_dwordx4 v[30:33], v[12:13]
	v_add_co_u32_e32 v12, vcc, 0xffffffb4, v20
	s_waitcnt vmcnt(0) lgkmcnt(0)
	v_pk_mul_f32 v[2:3], s[16:17], v[2:3] op_sel_hi:[0,1]
	v_addc_co_u32_e32 v13, vcc, -1, v21, vcc
	flat_load_dwordx4 v[36:39], v[12:13]
	v_pk_mul_f32 v[0:1], s[16:17], v[0:1] op_sel_hi:[0,1]
	v_pk_mul_f32 v[6:7], s[16:17], v[6:7] op_sel_hi:[0,1]
	;; [unrolled: 1-line block ×3, first 2 shown]
	v_mov_b32_e32 v28, v3
	v_mov_b32_e32 v29, v2
	;; [unrolled: 1-line block ×4, first 2 shown]
	v_pk_mul_f32 v[0:1], s[16:17], v[10:11] op_sel_hi:[0,1]
	v_pk_mul_f32 v[2:3], s[16:17], v[8:9] op_sel_hi:[0,1]
	v_mov_b32_e32 v16, v7
	v_mov_b32_e32 v17, v6
	;; [unrolled: 1-line block ×4, first 2 shown]
	v_pk_mul_f32 v[4:5], s[16:17], v[32:33] op_sel_hi:[0,1]
	v_pk_mul_f32 v[8:9], s[16:17], v[30:31] op_sel_hi:[0,1]
	v_mov_b32_e32 v10, v1
	v_mov_b32_e32 v11, v0
	v_mov_b32_e32 v6, v3
	v_mov_b32_e32 v7, v2
	v_mov_b32_e32 v14, v5
	v_mov_b32_e32 v15, v4
	v_mov_b32_e32 v26, v9
	v_mov_b32_e32 v27, v8
	s_waitcnt vmcnt(0) lgkmcnt(0)
	v_pk_mul_f32 v[0:1], s[16:17], v[38:39] op_sel_hi:[0,1]
	v_pk_mul_f32 v[2:3], s[16:17], v[36:37] op_sel_hi:[0,1]
	v_mov_b32_e32 v22, v1
	v_mov_b32_e32 v23, v0
	;; [unrolled: 1-line block ×4, first 2 shown]
	s_cbranch_scc1 .LBB27_38
; %bb.36:
	s_mul_i32 s1, s17, 0x60
	s_lshl_b32 s2, s0, 2
	s_add_i32 s1, s1, s2
	s_addk_i32 s1, 0xff54
	s_mov_b32 s2, s22
.LBB27_37:                              ; =>This Inner Loop Header: Depth=1
	v_lshl_add_u64 v[0:1], s[2:3], 2, v[24:25]
	flat_load_dword v0, v[0:1]
	v_mov_b32_e32 v1, s1
	ds_read2_b32 v[2:3], v1 offset0:18 offset1:19
	ds_read2_b32 v[4:5], v1 offset0:16 offset1:17
	;; [unrolled: 1-line block ×9, first 2 shown]
	ds_read2_b32 v[44:45], v1 offset1:1
	s_add_i32 s2, s2, -1
	s_addk_i32 s1, 0xffa0
	s_cmp_gt_i32 s2, s0
	s_waitcnt vmcnt(0) lgkmcnt(0)
	v_pk_mul_f32 v[2:3], v[0:1], v[2:3] op_sel_hi:[0,1]
	v_pk_mul_f32 v[4:5], v[0:1], v[4:5] op_sel_hi:[0,1]
	;; [unrolled: 1-line block ×10, first 2 shown]
	v_pk_add_f32 v[28:29], v[28:29], v[2:3] op_sel:[0,1] op_sel_hi:[1,0] neg_lo:[0,1] neg_hi:[0,1]
	v_pk_add_f32 v[34:35], v[34:35], v[4:5] op_sel:[0,1] op_sel_hi:[1,0] neg_lo:[0,1] neg_hi:[0,1]
	;; [unrolled: 1-line block ×10, first 2 shown]
	s_cbranch_scc1 .LBB27_37
.LBB27_38:
	s_mul_i32 s23, s0, 0x60
	s_add_i32 s14, s0, -2
	s_lshl_b32 s3, s14, 2
	s_add_i32 s21, s23, 0xffffffa0
	s_add_i32 s4, s3, s23
	;; [unrolled: 1-line block ×3, first 2 shown]
	s_add_i32 s2, s0, -1
	v_mov_b32_e32 v2, s3
	s_mov_b32 s3, 0
	v_lshl_add_u64 v[38:39], s[2:3], 2, v[24:25]
	s_add_i32 s2, s0, -3
	v_mov_b32_e32 v1, s4
	s_lshl_b32 s4, s2, 2
	s_add_i32 s11, s23, 0xffffff40
	s_mul_i32 s1, s0, 0x64
	s_add_i32 s5, s4, s11
	s_add_i32 s12, s0, -4
	s_add_i32 s13, s23, 0xfffffee0
	v_mov_b32_e32 v0, s1
	v_mov_b32_e32 v3, s5
	s_lshl_b32 s5, s12, 2
	s_add_i32 s4, s4, s13
	v_lshl_add_u64 v[42:43], s[2:3], 2, v[24:25]
	s_add_i32 s2, s0, -5
	ds_read_b32 v40, v0
	ds_read2_b32 v[30:31], v1 offset1:1
	ds_read2_b32 v[32:33], v2 offset1:1
	;; [unrolled: 1-line block ×3, first 2 shown]
	s_add_i32 s6, s5, s23
	s_add_i32 s5, s5, s21
	v_mov_b32_e32 v2, s4
	s_lshl_b32 s4, s2, 2
	v_mov_b32_e32 v1, s5
	s_add_i32 s5, s4, s11
	v_mov_b32_e32 v0, s6
	v_mov_b32_e32 v3, s5
	s_add_i32 s5, s4, s13
	s_add_i32 s19, s23, 0xfffffe80
	ds_read2_b32 v[62:63], v0 offset1:1
	ds_read2_b32 v[112:113], v1 offset1:1
	ds_read_b32 v58, v2
	ds_read2_b32 v[100:101], v3 offset1:1
	v_mov_b32_e32 v0, s5
	s_add_i32 s5, s4, s19
	s_add_i32 s6, s0, -6
	v_mov_b32_e32 v1, s5
	s_lshl_b32 s5, s6, 2
	s_add_i32 s7, s5, s23
	s_add_i32 s5, s5, s21
	v_mov_b32_e32 v3, s5
	s_add_i32 s5, s23, 0xfffffe20
	v_lshl_add_u64 v[8:9], s[2:3], 2, v[24:25]
	s_add_i32 s2, s0, -7
	s_add_i32 s4, s4, s5
	s_lshl_b32 s8, s2, 2
	v_mov_b32_e32 v2, s7
	ds_read2_b32 v[56:57], v0 offset1:1
	ds_read2_b32 v[50:51], v1 offset1:1
	;; [unrolled: 1-line block ×4, first 2 shown]
	v_mov_b32_e32 v0, s4
	s_add_i32 s4, s8, s11
	v_mov_b32_e32 v1, s4
	s_add_i32 s4, s8, s13
	;; [unrolled: 2-line block ×4, first 2 shown]
	s_add_i32 s7, s23, 0xfffffdc0
	ds_read_b32 v104, v0
	ds_read2_b32 v[102:103], v1 offset1:1
	ds_read2_b32 v[36:37], v2 offset1:1
	;; [unrolled: 1-line block ×3, first 2 shown]
	v_mov_b32_e32 v0, s4
	s_add_i32 s4, s8, s7
	v_mov_b32_e32 v1, s4
	s_add_i32 s4, s0, -8
	s_lshl_b32 s9, s4, 2
	s_add_i32 s10, s9, s23
	s_add_i32 s9, s9, s21
	v_mov_b32_e32 v41, s10
	v_mov_b32_e32 v46, s9
	ds_read2_b32 v[2:3], v0 offset1:1
	ds_read2_b32 v[4:5], v1 offset1:1
	;; [unrolled: 1-line block ×4, first 2 shown]
	s_add_i32 s9, s23, 0xfffffd60
	v_lshl_add_u64 v[0:1], s[2:3], 2, v[24:25]
	s_add_i32 s2, s0, -9
	s_add_i32 s8, s8, s9
	s_lshl_b32 s10, s2, 2
	v_mov_b32_e32 v41, s8
	s_add_i32 s8, s10, s11
	v_mov_b32_e32 v46, s8
	s_add_i32 s8, s10, s13
	;; [unrolled: 2-line block ×3, first 2 shown]
	s_waitcnt lgkmcnt(14)
	v_mul_f32_e32 v72, v28, v40
	v_fma_f32 v28, -v72, v31, v29
	v_mov_b32_e32 v29, s8
	s_add_i32 s8, s0, -10
	s_lshl_b32 s25, s8, 2
	s_add_i32 s26, s25, s23
	v_mul_f32_e32 v73, v28, v33
	v_mov_b32_e32 v28, s26
	s_add_i32 s26, s25, s21
	s_add_i32 s15, s10, s7
	ds_read2_b32 v[122:123], v46 offset1:1
	ds_read2_b32 v[118:119], v29 offset1:1
	ds_read2_b32 v[70:71], v47 offset1:1
	ds_read_b32 v105, v41
	s_add_i32 s24, s23, 0xfffffd00
	v_mov_b32_e32 v29, s26
	s_add_i32 s26, s23, 0xfffffca0
	v_mov_b32_e32 v48, s15
	s_add_i32 s15, s10, s5
	s_add_i32 s18, s10, s9
	;; [unrolled: 1-line block ×4, first 2 shown]
	v_mov_b32_e32 v46, v30
	v_mov_b32_e32 v30, s10
	ds_read2_b32 v[130:131], v29 offset1:1
	ds_read_b32 v106, v30
	ds_read2_b32 v[78:79], v28 offset1:1
	v_mov_b32_e32 v28, s18
	v_mov_b32_e32 v47, v32
	;; [unrolled: 1-line block ×4, first 2 shown]
	ds_read2_b32 v[116:117], v48 offset1:1
	ds_read2_b32 v[28:29], v28 offset1:1
	;; [unrolled: 1-line block ×4, first 2 shown]
	flat_store_dword v[20:21], v72
	v_lshl_add_u64 v[20:21], s[2:3], 2, v[24:25]
	s_add_i32 s2, s0, -11
	s_lshl_b32 s18, s2, 2
	s_add_i32 s10, s18, s11
	v_mov_b32_e32 v30, s10
	s_add_i32 s10, s25, s19
	s_add_i32 s15, s25, s5
	v_mov_b32_e32 v31, s10
	v_mov_b32_e32 v40, s15
	s_add_i32 s10, s25, s7
	s_add_i32 s15, s25, s9
	v_mov_b32_e32 v41, s10
	v_mov_b32_e32 v52, s15
	s_add_i32 s10, s25, s24
	s_add_i32 s15, s25, s26
	;; [unrolled: 1-line block ×3, first 2 shown]
	v_mov_b32_e32 v53, s10
	v_mov_b32_e32 v59, s15
	s_add_i32 s10, s25, s13
	s_add_i32 s15, s25, s27
	v_mov_b32_e32 v60, s15
	s_add_i32 s15, s18, s23
	v_mov_b32_e32 v64, s10
	s_add_i32 s10, s0, -12
	v_mov_b32_e32 v61, s15
	s_add_i32 s15, s18, s21
	s_lshl_b32 s20, s10, 2
	s_add_i32 s25, s18, s7
	ds_read2_b32 v[128:129], v30 offset1:1
	ds_read_b32 v54, v31
	ds_read_b32 v55, v40
	;; [unrolled: 1-line block ×7, first 2 shown]
	v_mov_b32_e32 v52, s15
	ds_read_b32 v107, v60
	ds_read_b32 v74, v61
	;; [unrolled: 1-line block ×3, first 2 shown]
	flat_store_dword v[38:39], v73
	v_pk_mul_f32 v[38:39], v[72:73], v[46:47]
	s_add_i32 s15, s20, s13
	v_mov_b32_e32 v46, s25
	s_add_i32 s25, s18, s24
	v_sub_f32_e32 v34, v34, v38
	v_mov_b32_e32 v38, s15
	s_add_i32 s15, s18, s5
	v_mov_b32_e32 v52, s25
	s_add_i32 s25, s18, s27
	v_sub_f32_e32 v34, v34, v39
	v_mov_b32_e32 v39, s15
	s_add_i32 s15, s18, s9
	v_mov_b32_e32 v59, s25
	s_add_i32 s25, s23, 0xfffffbe0
	;; [unrolled: 2-line block ×3, first 2 shown]
	s_add_i32 s28, s18, s19
	s_add_i32 s18, s18, s25
	v_mov_b32_e32 v64, s18
	s_add_i32 s18, s20, s23
	v_mov_b32_e32 v65, s18
	;; [unrolled: 2-line block ×4, first 2 shown]
	v_mul_f32_e32 v93, v34, v45
	v_fma_f32 v45, -v72, v63, v35
	v_mov_b32_e32 v35, v44
	v_mov_b32_e32 v34, v113
	;; [unrolled: 1-line block ×4, first 2 shown]
	s_mov_b32 s15, s3
	ds_read2_b32 v[126:127], v38 offset1:1
	ds_read_b32 v60, v39
	ds_read_b32 v61, v46
	;; [unrolled: 1-line block ×7, first 2 shown]
	v_mov_b32_e32 v52, s18
	v_pk_mul_f32 v[34:35], v[92:93], v[34:35]
	ds_read_b32 v108, v64
	ds_read_b32 v81, v65
	;; [unrolled: 1-line block ×4, first 2 shown]
	v_lshl_add_u64 v[52:53], s[14:15], 2, v[24:25]
	v_sub_f32_e32 v34, v45, v34
	s_add_i32 s18, s20, s9
	flat_store_dword v[52:53], v93
	v_sub_f32_e32 v44, v34, v35
	v_lshl_add_u64 v[34:35], s[2:3], 2, v[24:25]
	s_add_i32 s2, s0, -13
	v_mov_b32_e32 v53, s18
	s_add_i32 s18, s20, s26
	s_lshl_b32 s15, s2, 2
	v_mov_b32_e32 v63, s18
	s_add_i32 s18, s20, s25
	s_add_i32 s14, s15, s19
	v_mov_b32_e32 v83, s18
	s_add_i32 s18, s1, 0xfffffb50
	v_mov_b32_e32 v45, s14
	;; [unrolled: 2-line block ×9, first 2 shown]
	s_add_i32 s18, s15, s13
	s_waitcnt lgkmcnt(0)
	v_mul_f32_e32 v99, v44, v58
	v_mov_b32_e32 v89, s14
	ds_read2_b32 v[124:125], v45 offset1:1
	ds_read_b32 v64, v52
	ds_read_b32 v65, v53
	;; [unrolled: 1-line block ×7, first 2 shown]
	v_mov_b32_e32 v52, s18
	ds_read_b32 v109, v85
	ds_read_b32 v98, v86
	ds_read_b32 v85, v87
	ds_read_b32 v83, v88
	ds_read_b32 v82, v52
	flat_store_dword v[42:43], v99
	v_lshl_add_u64 v[42:43], s[2:3], 2, v[24:25]
	s_add_i32 s2, s0, -15
	s_lshl_b32 s28, s2, 2
	s_add_i32 s14, s28, s23
	v_mov_b32_e32 v52, s14
	ds_read2_b32 v[86:87], v52 offset1:1
	v_lshl_add_u64 v[52:53], s[2:3], 2, v[24:25]
	s_sub_i32 s2, s0, 17
	s_lshl_b32 s29, s2, 2
	s_add_i32 s14, s29, s23
	v_mov_b32_e32 v88, s14
	s_add_i32 s14, s0, -14
	s_add_i32 s18, s28, s21
	s_lshl_b32 s37, s14, 2
	s_add_i32 s31, s23, 0xfffffb80
	v_mov_b32_e32 v90, s18
	s_add_i32 s18, s37, s31
	s_add_i32 s30, s23, 0xfffffb20
	v_mov_b32_e32 v91, s18
	s_add_i32 s18, s0, -16
	s_add_i32 s20, s37, s30
	s_lshl_b32 s38, s18, 2
	v_mov_b32_e32 v94, s20
	s_add_i32 s20, s38, s30
	s_add_i32 s33, s23, 0xfffffa60
	;; [unrolled: 1-line block ×3, first 2 shown]
	ds_read2_b32 v[88:89], v88 offset1:1
	s_waitcnt lgkmcnt(0)
	v_fma_f32 v113, -v72, v87, v26
	v_mov_b32_e32 v26, s20
	s_add_i32 s20, s38, s34
	s_add_i32 s35, s38, s33
	v_fma_f32 v140, -v72, v86, v27
	v_mov_b32_e32 v27, s20
	v_mov_b32_e32 v86, s35
	ds_read2_b32 v[134:135], v90 offset1:1
	ds_read2_b32 v[96:97], v91 offset1:1
	;; [unrolled: 1-line block ×6, first 2 shown]
	v_lshl_add_u64 v[26:27], s[2:3], 2, v[24:25]
	s_sub_i32 s2, s0, 19
	s_lshl_b32 s35, s2, 2
	s_add_i32 s20, s35, s23
	v_fma_f32 v141, -v72, v89, v22
	v_mov_b32_e32 v22, s20
	ds_read2_b32 v[136:137], v22 offset1:1
	s_add_i32 s20, s35, s21
	v_mov_b32_e32 v22, s20
	s_sub_i32 s20, s0, 18
	s_lshl_b32 s39, s20, 2
	s_waitcnt lgkmcnt(0)
	v_fma_f32 v137, -v72, v137, v18
	v_fma_f32 v136, -v72, v136, v19
	v_mov_b32_e32 v18, v62
	v_mov_b32_e32 v19, v112
	v_pk_mul_f32 v[18:19], v[72:73], v[18:19]
	v_fma_f32 v112, -v72, v67, v17
	v_sub_f32_e32 v16, v16, v18
	v_mov_b32_e32 v67, v110
	v_sub_f32_e32 v62, v16, v19
	v_pk_mul_f32 v[16:17], v[72:73], v[66:67]
	s_add_i32 s36, s23, 0xfffffa00
	s_addk_i32 s23, 0xf9a0
	v_sub_f32_e32 v12, v12, v16
	v_fma_f32 v66, -v72, v69, v13
	v_mov_b32_e32 v69, v120
	s_add_i32 s40, s39, s36
	s_add_i32 s41, s39, s23
	v_sub_f32_e32 v110, v12, v17
	v_pk_mul_f32 v[12:13], v[72:73], v[68:69]
	s_add_i32 s21, s29, s21
	v_fma_f32 v142, -v72, v88, v23
	v_mov_b32_e32 v23, s40
	v_mov_b32_e32 v88, s41
	v_sub_f32_e32 v10, v10, v12
	v_mov_b32_e32 v12, s21
	ds_read2_b32 v[138:139], v22 offset1:1
	ds_read2_b32 v[22:23], v23 offset1:1
	;; [unrolled: 1-line block ×3, first 2 shown]
	v_sub_f32_e32 v120, v10, v13
	ds_read2_b32 v[12:13], v12 offset1:1
	v_fma_f32 v10, -v72, v81, v14
	v_fma_f32 v81, -v72, v79, v11
	v_mov_b32_e32 v79, v130
	v_fma_f32 v69, -v73, v134, v140
	v_fma_f32 v134, -v73, v76, v10
	v_pk_mul_f32 v[10:11], v[72:73], v[78:79]
	v_fma_f32 v67, -v72, v98, v15
	v_sub_f32_e32 v6, v6, v10
	v_fma_f32 v68, -v73, v135, v113
	s_waitcnt lgkmcnt(0)
	v_fma_f32 v13, -v73, v13, v141
	v_fma_f32 v12, -v73, v12, v142
	;; [unrolled: 1-line block ×6, first 2 shown]
	v_sub_f32_e32 v73, v6, v11
	v_mov_b32_e32 v6, v111
	v_mov_b32_e32 v7, v100
	v_pk_mul_f32 v[6:7], v[92:93], v[6:7]
	s_add_i32 s40, s29, s11
	v_sub_f32_e32 v6, v112, v6
	v_sub_f32_e32 v74, v6, v7
	v_mov_b32_e32 v6, v121
	v_mov_b32_e32 v7, v102
	v_pk_mul_f32 v[6:7], v[92:93], v[6:7]
	s_add_i32 s41, s29, s13
	v_sub_f32_e32 v6, v66, v6
	;; [unrolled: 6-line block ×3, first 2 shown]
	v_mov_b32_e32 v81, v128
	v_sub_f32_e32 v141, v6, v7
	v_pk_mul_f32 v[6:7], v[92:93], v[80:81]
	s_add_i32 s21, s28, s11
	v_sub_f32_e32 v6, v67, v6
	v_mov_b32_e32 v14, s40
	v_mov_b32_e32 v16, s41
	;; [unrolled: 1-line block ×3, first 2 shown]
	v_sub_f32_e32 v142, v6, v7
	v_mov_b32_e32 v6, s21
	ds_read2_b32 v[14:15], v14 offset1:1
	ds_read2_b32 v[16:17], v16 offset1:1
	;; [unrolled: 1-line block ×4, first 2 shown]
	s_add_i32 s40, s28, s13
	s_add_i32 s41, s28, s19
	;; [unrolled: 1-line block ×4, first 2 shown]
	v_mov_b32_e32 v10, s40
	v_mov_b32_e32 v66, s41
	v_mov_b32_e32 v67, s42
	s_waitcnt lgkmcnt(0)
	v_fma_f32 v100, -v93, v6, v69
	v_mov_b32_e32 v6, s11
	ds_read2_b32 v[10:11], v10 offset1:1
	ds_read2_b32 v[78:79], v66 offset1:1
	;; [unrolled: 1-line block ×3, first 2 shown]
	v_fma_f32 v92, -v93, v7, v68
	ds_read2_b32 v[6:7], v6 offset1:1
	s_add_i32 s13, s35, s13
	s_add_i32 s19, s35, s19
	;; [unrolled: 1-line block ×3, first 2 shown]
	v_fma_f32 v14, -v93, v14, v12
	v_mov_b32_e32 v12, s13
	v_mov_b32_e32 v68, s19
	;; [unrolled: 1-line block ×3, first 2 shown]
	v_fma_f32 v15, -v93, v15, v13
	ds_read2_b32 v[12:13], v12 offset1:1
	ds_read2_b32 v[68:69], v68 offset1:1
	;; [unrolled: 1-line block ×3, first 2 shown]
	s_waitcnt lgkmcnt(0)
	v_fma_f32 v102, -v93, v7, v98
	v_mov_b32_e32 v98, v93
	v_mov_b32_e32 v72, v56
	v_mov_b32_e32 v56, v101
	v_fma_f32 v111, -v93, v6, v113
	v_pk_mul_f32 v[6:7], v[98:99], v[56:57]
	v_mov_b32_e32 v128, v70
	v_sub_f32_e32 v6, v62, v6
	v_sub_f32_e32 v56, v6, v7
	v_mov_b32_e32 v6, v103
	v_mov_b32_e32 v7, v37
	v_pk_mul_f32 v[6:7], v[98:99], v[6:7]
	v_mov_b32_e32 v70, v123
	v_sub_f32_e32 v6, v110, v6
	v_sub_f32_e32 v62, v6, v7
	v_pk_mul_f32 v[6:7], v[98:99], v[70:71]
	v_fma_f32 v113, -v93, v83, v76
	v_sub_f32_e32 v6, v120, v6
	v_mov_b32_e32 v76, v129
	v_sub_f32_e32 v143, v6, v7
	v_pk_mul_f32 v[6:7], v[98:99], v[76:77]
	v_mov_b32_e32 v85, v126
	v_sub_f32_e32 v6, v73, v6
	v_sub_f32_e32 v144, v6, v7
	v_pk_mul_f32 v[6:7], v[98:99], v[84:85]
	s_add_i32 s11, s15, s5
	v_sub_f32_e32 v6, v134, v6
	v_sub_f32_e32 v126, v6, v7
	v_mov_b32_e32 v6, s11
	s_add_i32 s11, s15, s9
	v_fma_f32 v146, -v99, v10, v100
	v_mov_b32_e32 v10, s11
	s_add_i32 s11, s15, s26
	v_fma_f32 v150, -v99, v12, v111
	;; [unrolled: 3-line block ×3, first 2 shown]
	s_add_i32 s13, s15, s7
	v_mov_b32_e32 v16, s11
	s_add_i32 s11, s28, s7
	v_mov_b32_e32 v7, s13
	;; [unrolled: 2-line block ×3, first 2 shown]
	s_add_i32 s11, s28, s24
	v_fma_f32 v145, -v99, v11, v92
	v_mul_f32_e32 v131, v56, v51
	v_mov_b32_e32 v11, s13
	s_add_i32 s13, s15, s27
	v_mov_b32_e32 v56, s11
	s_add_i32 s11, s28, s27
	v_fma_f32 v147, -v99, v17, v15
	v_fma_f32 v149, -v99, v13, v102
	v_mov_b32_e32 v73, v50
	v_mov_b32_e32 v130, v99
	v_mov_b32_e32 v13, s13
	ds_read_b32 v98, v6
	ds_read_b32 v99, v7
	ds_read_b32 v50, v10
	ds_read_b32 v51, v11
	ds_read_b32 v14, v12
	ds_read_b32 v15, v13
	ds_read2_b32 v[120:121], v16 offset1:1
	v_mov_b32_e32 v6, s11
	s_add_i32 s11, s38, s25
	v_mov_b32_e32 v7, s11
	s_add_i32 s11, s29, s24
	v_mov_b32_e32 v12, s11
	s_add_i32 s11, s29, s27
	v_mov_b32_e32 v13, s11
	s_add_i32 s11, s39, s25
	v_mov_b32_e32 v16, s11
	s_add_i32 s11, s39, s30
	v_mov_b32_e32 v57, s11
	s_add_i32 s11, s39, s33
	v_mov_b32_e32 v70, s11
	s_add_i32 s11, s35, s27
	v_mov_b32_e32 v17, s11
	s_add_i32 s11, s1, 0xfffffa88
	v_mov_b32_e32 v71, s11
	s_add_i32 s11, s38, s31
	v_mov_b32_e32 v10, s11
	s_add_i32 s37, s1, 0xfffff8f8
	ds_read2_b32 v[152:153], v6 offset1:1
	ds_read2_b32 v[154:155], v7 offset1:1
	;; [unrolled: 1-line block ×3, first 2 shown]
	ds_read_b32 v111, v71
	s_add_i32 s11, s1, 0xfffff9c0
	s_add_i32 s5, s29, s5
	;; [unrolled: 1-line block ×3, first 2 shown]
	v_mov_b32_e32 v7, s37
	v_mov_b32_e32 v6, s11
	s_add_i32 s11, s28, s9
	s_add_i32 s15, s28, s26
	;; [unrolled: 1-line block ×6, first 2 shown]
	ds_read2_b32 v[156:157], v17 offset1:1
	ds_read_b32 v110, v7
	v_mov_b32_e32 v7, s5
	v_mov_b32_e32 v17, s19
	;; [unrolled: 1-line block ×3, first 2 shown]
	ds_read2_b32 v[158:159], v12 offset1:1
	ds_read2_b32 v[134:135], v7 offset1:1
	;; [unrolled: 1-line block ×4, first 2 shown]
	v_mov_b32_e32 v7, s27
	ds_read2_b32 v[160:161], v13 offset1:1
	ds_read2_b32 v[162:163], v16 offset1:1
	ds_read_b32 v112, v6
	ds_read2_b32 v[16:17], v7 offset1:1
	v_mov_b32_e32 v12, s28
	v_mov_b32_e32 v6, s29
	s_add_i32 s7, s35, s7
	s_add_i32 s9, s35, s9
	;; [unrolled: 1-line block ×3, first 2 shown]
	ds_read2_b32 v[164:165], v57 offset1:1
	ds_read2_b32 v[122:123], v70 offset1:1
	;; [unrolled: 1-line block ×4, first 2 shown]
	v_mov_b32_e32 v70, s11
	v_mov_b32_e32 v57, s15
	s_add_i32 s26, s35, s26
	ds_read2_b32 v[166:167], v37 offset1:1
	ds_read2_b32 v[168:169], v56 offset1:1
	;; [unrolled: 1-line block ×4, first 2 shown]
	v_mov_b32_e32 v37, s7
	v_mov_b32_e32 v70, s9
	;; [unrolled: 1-line block ×3, first 2 shown]
	v_pk_mul_f32 v[72:73], v[130:131], v[72:73]
	v_mov_b32_e32 v83, s26
	ds_read2_b32 v[136:137], v37 offset1:1
	ds_read2_b32 v[102:103], v70 offset1:1
	ds_read2_b32 v[84:85], v71 offset1:1
	ds_read2_b32 v[70:71], v83 offset1:1
	v_sub_f32_e32 v37, v74, v72
	v_sub_f32_e32 v72, v37, v73
	v_mov_b32_e32 v37, v114
	v_pk_mul_f32 v[36:37], v[130:131], v[36:37]
	v_mov_b32_e32 v129, v118
	v_sub_f32_e32 v36, v140, v36
	v_sub_f32_e32 v114, v36, v37
	v_pk_mul_f32 v[36:37], v[130:131], v[128:129]
	v_mov_b32_e32 v74, v127
	v_sub_f32_e32 v36, v141, v36
	v_sub_f32_e32 v118, v36, v37
	;; [unrolled: 4-line block ×3, first 2 shown]
	v_pk_mul_f32 v[36:37], v[130:131], v[82:83]
	s_add_i32 s5, s35, s25
	v_sub_f32_e32 v36, v113, v36
	v_fma_f32 v113, -v131, v18, v148
	s_add_i32 s7, s35, s31
	v_mov_b32_e32 v18, s5
	s_add_i32 s5, s35, s30
	s_mov_b32 s13, s3
	v_sub_f32_e32 v82, v36, v37
	v_fma_f32 v83, -v131, v19, v147
	v_mov_b32_e32 v19, s7
	s_add_i32 s7, s35, s34
	v_mov_b32_e32 v36, s5
	s_add_i32 s5, s35, s33
	v_lshl_add_u64 v[138:139], s[12:13], 2, v[24:25]
	v_mul_f32_e32 v75, v72, v104
	v_mov_b32_e32 v37, s7
	s_add_i32 s7, s35, s36
	v_mov_b32_e32 v104, s5
	s_add_i32 s5, s35, s23
	flat_store_dword v[138:139], v131
	v_mov_b32_e32 v129, s7
	s_add_i32 s7, s5, 0xffffffa0
	v_fma_f32 v124, -v131, v69, v149
	v_fma_f32 v128, -v131, v68, v150
	;; [unrolled: 1-line block ×3, first 2 shown]
	v_mov_b32_e32 v74, v131
	v_mov_b32_e32 v130, s5
	;; [unrolled: 1-line block ×3, first 2 shown]
	ds_read_b32 v72, v18
	ds_read_b32 v73, v19
	;; [unrolled: 1-line block ×8, first 2 shown]
	flat_store_dword v[8:9], v75
	v_mov_b32_e32 v8, v115
	v_mov_b32_e32 v9, v3
	v_pk_mul_f32 v[8:9], v[74:75], v[8:9]
	s_mov_b32 s7, s3
	v_sub_f32_e32 v3, v62, v8
	v_mov_b32_e32 v8, v48
	v_mov_b32_e32 v48, v119
	v_pk_mul_f32 v[48:49], v[74:75], v[48:49]
	v_sub_f32_e32 v9, v3, v9
	v_sub_f32_e32 v3, v143, v48
	;; [unrolled: 1-line block ×3, first 2 shown]
	v_pk_mul_f32 v[48:49], v[74:75], v[54:55]
	v_mov_b32_e32 v62, v125
	v_sub_f32_e32 v3, v144, v48
	v_sub_f32_e32 v54, v3, v49
	v_pk_mul_f32 v[48:49], v[74:75], v[62:63]
	v_mul_f32_e32 v5, v9, v5
	v_sub_f32_e32 v3, v126, v48
	v_sub_f32_e32 v55, v3, v49
	v_mov_b32_e32 v48, v79
	v_mov_b32_e32 v49, v67
	v_pk_mul_f32 v[48:49], v[74:75], v[48:49]
	v_mov_b32_e32 v9, v116
	v_sub_f32_e32 v3, v145, v48
	v_sub_f32_e32 v62, v3, v49
	v_mov_b32_e32 v3, v4
	v_mov_b32_e32 v4, v75
	v_pk_mul_f32 v[2:3], v[4:5], v[2:3]
	v_lshl_add_u64 v[48:49], s[6:7], 2, v[24:25]
	v_sub_f32_e32 v2, v114, v2
	flat_store_dword v[48:49], v5
	v_sub_f32_e32 v48, v2, v3
	v_pk_mul_f32 v[2:3], v[4:5], v[8:9]
	s_waitcnt lgkmcnt(0)
	v_mov_b32_e32 v67, v166
	v_sub_f32_e32 v2, v118, v2
	v_sub_f32_e32 v8, v2, v3
	v_pk_mul_f32 v[2:3], v[4:5], v[60:61]
	v_fma_f32 v74, -v75, v134, v113
	v_sub_f32_e32 v2, v127, v2
	v_sub_f32_e32 v9, v2, v3
	v_pk_mul_f32 v[2:3], v[4:5], v[98:99]
	v_fma_f32 v79, -v75, v81, v124
	;; [unrolled: 4-line block ×3, first 2 shown]
	v_sub_f32_e32 v2, v78, v2
	v_sub_f32_e32 v4, v2, v3
	v_mul_f32_e32 v3, v48, v105
	v_mov_b32_e32 v2, v5
	flat_store_dword v[0:1], v3
	v_mov_b32_e32 v0, v117
	v_mov_b32_e32 v1, v29
	v_pk_mul_f32 v[0:1], v[2:3], v[0:1]
	v_fma_f32 v60, -v5, v137, v79
	v_sub_f32_e32 v0, v104, v0
	v_fma_f32 v61, -v5, v136, v80
	v_fma_f32 v66, -v5, v100, v74
	v_sub_f32_e32 v5, v0, v1
	v_pk_mul_f32 v[0:1], v[2:3], v[40:41]
	v_fma_f32 v63, -v75, v135, v83
	v_sub_f32_e32 v0, v54, v0
	v_sub_f32_e32 v40, v0, v1
	v_pk_mul_f32 v[0:1], v[2:3], v[64:65]
	s_mov_b32 s5, s3
	v_sub_f32_e32 v0, v55, v0
	v_sub_f32_e32 v41, v0, v1
	v_mov_b32_e32 v0, v167
	v_mov_b32_e32 v1, v93
	v_pk_mul_f32 v[0:1], v[2:3], v[0:1]
	v_fma_f32 v55, -v3, v103, v60
	v_sub_f32_e32 v0, v62, v0
	v_sub_f32_e32 v48, v0, v1
	v_mov_b32_e32 v0, v101
	v_mov_b32_e32 v1, v77
	v_pk_mul_f32 v[0:1], v[2:3], v[0:1]
	v_fma_f32 v60, -v3, v102, v61
	v_sub_f32_e32 v0, v63, v0
	v_sub_f32_e32 v54, v0, v1
	v_mov_b32_e32 v29, v32
	v_mul_f32_e32 v1, v5, v33
	v_mov_b32_e32 v0, v3
	v_lshl_add_u64 v[2:3], s[4:5], 2, v[24:25]
	flat_store_dword v[2:3], v1
	v_pk_mul_f32 v[2:3], v[0:1], v[28:29]
	v_mov_b32_e32 v93, v168
	v_sub_f32_e32 v2, v8, v2
	v_sub_f32_e32 v5, v2, v3
	v_pk_mul_f32 v[2:3], v[0:1], v[46:47]
	v_mov_b32_e32 v77, v158
	v_sub_f32_e32 v2, v9, v2
	v_sub_f32_e32 v32, v2, v3
	;; [unrolled: 4-line block ×3, first 2 shown]
	v_pk_mul_f32 v[2:3], v[0:1], v[92:93]
	v_fma_f32 v49, -v1, v84, v60
	v_sub_f32_e32 v2, v4, v2
	v_sub_f32_e32 v46, v2, v3
	v_pk_mul_f32 v[2:3], v[0:1], v[76:77]
	v_mov_b32_e32 v9, v17
	v_sub_f32_e32 v0, v66, v2
	v_sub_f32_e32 v47, v0, v3
	v_mul_f32_e32 v3, v5, v106
	v_mov_b32_e32 v2, v1
	v_pk_mul_f32 v[4:5], v[2:3], v[30:31]
	v_pk_mul_f32 v[28:29], v[2:3], v[58:59]
	v_sub_f32_e32 v1, v40, v4
	v_sub_f32_e32 v1, v1, v5
	v_mov_b32_e32 v4, v169
	v_mov_b32_e32 v5, v57
	v_pk_mul_f32 v[4:5], v[2:3], v[4:5]
	v_mul_f32_e32 v31, v1, v107
	v_sub_f32_e32 v1, v41, v28
	v_mov_b32_e32 v0, v70
	v_mov_b32_e32 v70, v85
	v_pk_mul_f32 v[8:9], v[2:3], v[8:9]
	v_sub_f32_e32 v28, v1, v29
	v_sub_f32_e32 v1, v48, v4
	s_mov_b32 s9, s3
	flat_store_dword v[20:21], v3
	v_pk_mul_f32 v[20:21], v[2:3], v[70:71]
	v_mov_b32_e32 v30, v3
	v_sub_f32_e32 v40, v1, v5
	v_sub_f32_e32 v1, v54, v8
	v_lshl_add_u64 v[2:3], s[8:9], 2, v[24:25]
	v_sub_f32_e32 v41, v1, v9
	v_sub_f32_e32 v1, v55, v20
	flat_store_dword v[2:3], v31
	v_pk_mul_f32 v[2:3], v[30:31], v[38:39]
	v_sub_f32_e32 v48, v1, v21
	v_sub_f32_e32 v1, v32, v2
	;; [unrolled: 1-line block ×3, first 2 shown]
	v_mul_f32_e32 v9, v8, v108
	v_mov_b32_e32 v8, v31
	v_pk_mul_f32 v[2:3], v[30:31], v[14:15]
	v_pk_mul_f32 v[20:21], v[8:9], v[44:45]
	v_sub_f32_e32 v1, v33, v2
	v_mov_b32_e32 v57, v152
	v_mov_b32_e32 v17, v160
	v_sub_f32_e32 v20, v28, v20
	v_sub_f32_e32 v32, v1, v3
	v_pk_mul_f32 v[2:3], v[30:31], v[56:57]
	v_pk_mul_f32 v[4:5], v[30:31], v[16:17]
	v_mov_b32_e32 v16, v161
	v_mov_b32_e32 v17, v154
	v_sub_f32_e32 v28, v20, v21
	v_mov_b32_e32 v20, v157
	v_mov_b32_e32 v21, v162
	v_sub_f32_e32 v1, v46, v2
	v_pk_mul_f32 v[16:17], v[8:9], v[16:17]
	v_pk_mul_f32 v[20:21], v[8:9], v[20:21]
	v_sub_f32_e32 v33, v1, v3
	v_sub_f32_e32 v1, v47, v4
	;; [unrolled: 1-line block ×4, first 2 shown]
	s_mov_b32 s11, s3
	v_sub_f32_e32 v38, v1, v5
	v_mov_b32_e32 v1, v156
	flat_store_dword v[34:35], v9
	v_mul_f32_e32 v29, v28, v109
	v_mov_b32_e32 v28, v9
	v_sub_f32_e32 v35, v16, v17
	v_mov_b32_e32 v17, v23
	v_sub_f32_e32 v23, v20, v21
	v_mov_b32_e32 v20, v96
	v_mov_b32_e32 v96, v121
	v_lshl_add_u64 v[2:3], s[10:11], 2, v[24:25]
	v_pk_mul_f32 v[0:1], v[30:31], v[0:1]
	v_pk_mul_f32 v[30:31], v[28:29], v[96:97]
	flat_store_dword v[2:3], v29
	v_mov_b32_e32 v2, v10
	v_sub_f32_e32 v10, v32, v30
	v_sub_f32_e32 v32, v10, v31
	v_mov_b32_e32 v10, v155
	v_sub_f32_e32 v0, v49, v0
	v_pk_mul_f32 v[10:11], v[28:29], v[10:11]
	v_sub_f32_e32 v39, v0, v1
	v_mov_b32_e32 v0, v153
	v_mov_b32_e32 v1, v120
	;; [unrolled: 1-line block ×3, first 2 shown]
	v_sub_f32_e32 v7, v33, v10
	v_pk_mul_f32 v[0:1], v[8:9], v[0:1]
	v_sub_f32_e32 v7, v7, v11
	v_mov_b32_e32 v10, v163
	v_mov_b32_e32 v11, v13
	v_sub_f32_e32 v0, v40, v0
	v_mov_b32_e32 v21, v94
	v_pk_mul_f32 v[10:11], v[28:29], v[10:11]
	v_mul_f32_e32 v33, v32, v95
	v_mov_b32_e32 v32, v29
	v_sub_f32_e32 v34, v0, v1
	v_sub_f32_e32 v10, v38, v10
	v_pk_mul_f32 v[20:21], v[32:33], v[20:21]
	v_mov_b32_e32 v13, v164
	v_sub_f32_e32 v20, v34, v20
	v_sub_f32_e32 v34, v10, v11
	v_pk_mul_f32 v[10:11], v[32:33], v[12:13]
	v_pk_mul_f32 v[12:13], v[28:29], v[72:73]
	v_sub_f32_e32 v10, v23, v10
	v_sub_f32_e32 v12, v39, v12
	;; [unrolled: 1-line block ×4, first 2 shown]
	v_mov_b32_e32 v0, v90
	v_mov_b32_e32 v90, v133
	v_mul_f32_e32 v13, v12, v111
	v_mov_b32_e32 v12, v33
	s_mov_b32 s15, s3
	v_pk_mul_f32 v[20:21], v[12:13], v[90:91]
	v_lshl_add_u64 v[4:5], s[14:15], 2, v[24:25]
	v_mov_b32_e32 v3, v132
	v_sub_f32_e32 v7, v7, v20
	v_pk_mul_f32 v[2:3], v[32:33], v[2:3]
	flat_store_dword v[4:5], v13
	v_sub_f32_e32 v4, v7, v21
	v_mov_b32_e32 v1, v86
	v_mov_b32_e32 v30, v165
	v_sub_f32_e32 v2, v35, v2
	v_mul_f32_e32 v5, v4, v87
	v_mov_b32_e32 v4, v13
	v_sub_f32_e32 v20, v2, v3
	v_pk_mul_f32 v[2:3], v[12:13], v[30:31]
	v_pk_mul_f32 v[0:1], v[4:5], v[0:1]
	v_sub_f32_e32 v2, v34, v2
	v_sub_f32_e32 v0, v20, v0
	v_mov_b32_e32 v7, v122
	v_sub_f32_e32 v10, v10, v11
	v_sub_f32_e32 v11, v2, v3
	v_pk_mul_f32 v[2:3], v[4:5], v[6:7]
	v_pk_mul_f32 v[6:7], v[12:13], v[68:69]
	v_sub_f32_e32 v0, v0, v1
	v_mov_b32_e32 v16, v123
	v_sub_f32_e32 v4, v23, v6
	v_mul_f32_e32 v1, v0, v112
	v_mov_b32_e32 v0, v5
	v_sub_f32_e32 v6, v4, v7
	flat_store_dword v[52:53], v5
	v_pk_mul_f32 v[4:5], v[0:1], v[16:17]
	v_sub_f32_e32 v2, v10, v2
	v_sub_f32_e32 v4, v11, v4
	s_mov_b32 s19, s3
	v_sub_f32_e32 v7, v2, v3
	v_sub_f32_e32 v2, v4, v5
	v_lshl_add_u64 v[14:15], s[18:19], 2, v[24:25]
	v_mul_f32_e32 v3, v2, v89
	v_mov_b32_e32 v2, v1
	v_mov_b32_e32 v23, v88
	flat_store_dword v[14:15], v1
	v_pk_mul_f32 v[4:5], v[2:3], v[22:23]
	v_pk_mul_f32 v[0:1], v[0:1], v[36:37]
	v_sub_f32_e32 v2, v7, v4
	v_sub_f32_e32 v0, v6, v0
	s_mov_b32 s21, s3
	v_sub_f32_e32 v4, v0, v1
	v_sub_f32_e32 v0, v2, v5
	v_lshl_add_u64 v[8:9], s[20:21], 2, v[24:25]
	v_mul_f32_e32 v1, v0, v110
	s_addk_i32 s1, 0xf894
	flat_store_dword v[42:43], v33
	flat_store_dword v[26:27], v3
	;; [unrolled: 1-line block ×3, first 2 shown]
	v_mov_b32_e32 v0, s1
	ds_read_b32 v2, v0
	v_mov_b32_e32 v0, v3
	v_pk_mul_f32 v[0:1], v[0:1], v[18:19]
	s_sub_i32 s0, s0, 20
	v_sub_f32_e32 v0, v4, v0
	v_sub_f32_e32 v0, v0, v1
	s_waitcnt lgkmcnt(0)
	v_mul_f32_e32 v2, v0, v2
	v_lshl_add_u64 v[0:1], s[2:3], 2, v[24:25]
	flat_store_dword v[0:1], v2
.LBB27_39:
	s_cmp_lt_i32 s0, 0
	s_cbranch_scc1 .LBB27_56
; %bb.40:
	s_and_b32 s1, s0, 3
	s_cmp_eq_u32 s1, 3
	s_mul_i32 s1, s17, 0x60
	s_mov_b32 s2, s0
	s_cbranch_scc1 .LBB27_45
; %bb.41:
	s_add_i32 s2, s0, 1
	s_and_b32 s6, s2, 3
	s_lshl_b32 s2, s0, 2
	s_add_i32 s2, s1, s2
	s_add_i32 s7, s2, 0xffffffa0
	s_mov_b32 s5, 0
	s_mov_b32 s2, s0
	;; [unrolled: 1-line block ×3, first 2 shown]
	s_branch .LBB27_43
.LBB27_42:                              ;   in Loop: Header=BB27_43 Depth=1
	s_mul_i32 s3, s2, 0x64
	v_mov_b32_e32 v1, s3
	ds_read_b32 v1, v1
	s_add_i32 s2, s2, -1
	s_add_i32 s8, s8, 1
	s_add_i32 s7, s7, -4
	s_cmp_lg_u32 s8, s6
	s_waitcnt lgkmcnt(0)
	v_mul_f32_e32 v0, v0, v1
	flat_store_dword v[2:3], v0
	s_cbranch_scc0 .LBB27_45
.LBB27_43:                              ; =>This Loop Header: Depth=1
                                        ;     Child Loop BB27_44 Depth 2
	s_mov_b32 s3, s5
	v_lshl_add_u64 v[2:3], s[2:3], 2, v[24:25]
	flat_load_dword v0, v[2:3]
	s_cmp_le_i32 s22, s2
	s_mov_b32 s3, s7
	s_mov_b32 s4, s22
	s_waitcnt vmcnt(0) lgkmcnt(0)
	v_mul_f32_e32 v0, s16, v0
	s_cbranch_scc1 .LBB27_42
.LBB27_44:                              ;   Parent Loop BB27_43 Depth=1
                                        ; =>  This Inner Loop Header: Depth=2
	v_lshl_add_u64 v[4:5], s[4:5], 2, v[24:25]
	flat_load_dword v1, v[4:5]
	v_mov_b32_e32 v4, s3
	ds_read_b32 v4, v4
	s_add_i32 s4, s4, -1
	s_addk_i32 s3, 0xffa0
	s_cmp_gt_i32 s4, s2
	s_waitcnt vmcnt(0) lgkmcnt(0)
	v_fma_f32 v0, -v1, v4, v0
	s_cbranch_scc1 .LBB27_44
	s_branch .LBB27_42
.LBB27_45:
	s_cmp_lt_u32 s0, 3
	s_cbranch_scc1 .LBB27_56
; %bb.46:
	s_lshl_b32 s0, s2, 2
	s_add_i32 s0, s1, s0
	s_add_i32 s6, s0, 0xffffffa0
	;; [unrolled: 1-line block ×5, first 2 shown]
	s_mov_b32 s1, 0
	s_branch .LBB27_48
.LBB27_47:                              ;   in Loop: Header=BB27_48 Depth=1
	s_add_i32 s0, s3, 0xffffff9c
	v_mov_b32_e32 v1, s0
	ds_read_b32 v1, v1
	s_add_i32 s0, s2, -4
	s_add_i32 s6, s6, -16
	;; [unrolled: 1-line block ×5, first 2 shown]
	s_waitcnt lgkmcnt(0)
	v_mul_f32_e32 v0, v0, v1
	s_cmp_lt_i32 s2, 4
	s_mov_b32 s2, s0
	flat_store_dword v[2:3], v0
	s_cbranch_scc1 .LBB27_56
.LBB27_48:                              ; =>This Loop Header: Depth=1
                                        ;     Child Loop BB27_49 Depth 2
                                        ;     Child Loop BB27_51 Depth 2
                                        ;     Child Loop BB27_53 Depth 2
                                        ;     Child Loop BB27_55 Depth 2
	s_mov_b32 s3, s1
	v_lshl_add_u64 v[4:5], s[2:3], 2, v[24:25]
	flat_load_dword v0, v[4:5]
	s_cmp_le_i32 s22, s2
	s_mov_b32 s3, s6
	s_mov_b32 s0, s22
	s_waitcnt vmcnt(0) lgkmcnt(0)
	v_mul_f32_e32 v0, s16, v0
	s_cbranch_scc1 .LBB27_50
.LBB27_49:                              ;   Parent Loop BB27_48 Depth=1
                                        ; =>  This Inner Loop Header: Depth=2
	v_lshl_add_u64 v[2:3], s[0:1], 2, v[24:25]
	flat_load_dword v1, v[2:3]
	v_mov_b32_e32 v2, s3
	ds_read_b32 v2, v2
	s_add_i32 s0, s0, -1
	s_addk_i32 s3, 0xffa0
	s_cmp_gt_i32 s0, s2
	s_waitcnt vmcnt(0) lgkmcnt(0)
	v_fma_f32 v0, -v1, v2, v0
	s_cbranch_scc1 .LBB27_49
.LBB27_50:                              ;   in Loop: Header=BB27_48 Depth=1
	s_add_i32 s0, s2, -1
	v_lshl_add_u64 v[2:3], s[0:1], 2, v[24:25]
	flat_load_dword v1, v[2:3]
	s_mul_i32 s3, s2, 0x64
	v_mov_b32_e32 v6, s3
	ds_read_b32 v6, v6
	s_mov_b32 s4, s7
	s_cmp_le_i32 s17, s2
	s_mov_b32 s0, s17
	s_waitcnt lgkmcnt(0)
	v_mul_f32_e32 v0, v0, v6
	flat_store_dword v[4:5], v0
	s_waitcnt vmcnt(0)
	v_mul_f32_e32 v0, s16, v1
	s_cbranch_scc1 .LBB27_52
.LBB27_51:                              ;   Parent Loop BB27_48 Depth=1
                                        ; =>  This Inner Loop Header: Depth=2
	s_add_i32 s0, s0, -1
	v_lshl_add_u64 v[4:5], s[0:1], 2, v[24:25]
	flat_load_dword v1, v[4:5]
	v_mov_b32_e32 v4, s4
	ds_read_b32 v4, v4
	s_addk_i32 s4, 0xffa0
	s_cmp_gt_i32 s0, s2
	s_waitcnt vmcnt(0) lgkmcnt(0)
	v_fma_f32 v0, -v1, v4, v0
	s_cbranch_scc1 .LBB27_51
.LBB27_52:                              ;   in Loop: Header=BB27_48 Depth=1
	s_add_i32 s4, s2, -2
	s_mov_b32 s5, s1
	v_lshl_add_u64 v[4:5], s[4:5], 2, v[24:25]
	flat_load_dword v1, v[4:5]
	s_addk_i32 s3, 0xff9c
	v_mov_b32_e32 v6, s3
	ds_read_b32 v6, v6
	s_mov_b32 s5, s8
	s_cmp_le_i32 s22, s4
	s_mov_b32 s0, s22
	s_waitcnt lgkmcnt(0)
	v_mul_f32_e32 v0, v0, v6
	flat_store_dword v[2:3], v0
	s_waitcnt vmcnt(0)
	v_mul_f32_e32 v0, s16, v1
	s_cbranch_scc1 .LBB27_54
.LBB27_53:                              ;   Parent Loop BB27_48 Depth=1
                                        ; =>  This Inner Loop Header: Depth=2
	v_lshl_add_u64 v[2:3], s[0:1], 2, v[24:25]
	flat_load_dword v1, v[2:3]
	v_mov_b32_e32 v2, s5
	ds_read_b32 v2, v2
	s_add_i32 s0, s0, -1
	s_addk_i32 s5, 0xffa0
	s_cmp_gt_i32 s0, s4
	s_waitcnt vmcnt(0) lgkmcnt(0)
	v_fma_f32 v0, -v1, v2, v0
	s_cbranch_scc1 .LBB27_53
.LBB27_54:                              ;   in Loop: Header=BB27_48 Depth=1
	s_add_i32 s4, s2, -3
	s_mov_b32 s5, s1
	v_lshl_add_u64 v[2:3], s[4:5], 2, v[24:25]
	flat_load_dword v1, v[2:3]
	s_addk_i32 s3, 0xff9c
	v_mov_b32_e32 v6, s3
	ds_read_b32 v6, v6
	s_mov_b32 s5, s9
	s_cmp_le_i32 s22, s4
	s_mov_b32 s0, s22
	s_waitcnt lgkmcnt(0)
	v_mul_f32_e32 v0, v0, v6
	flat_store_dword v[4:5], v0
	s_waitcnt vmcnt(0)
	v_mul_f32_e32 v0, s16, v1
	s_cbranch_scc1 .LBB27_47
.LBB27_55:                              ;   Parent Loop BB27_48 Depth=1
                                        ; =>  This Inner Loop Header: Depth=2
	v_lshl_add_u64 v[4:5], s[0:1], 2, v[24:25]
	flat_load_dword v1, v[4:5]
	v_mov_b32_e32 v4, s5
	ds_read_b32 v4, v4
	s_add_i32 s0, s0, -1
	s_addk_i32 s5, 0xffa0
	s_cmp_gt_i32 s0, s4
	s_waitcnt vmcnt(0) lgkmcnt(0)
	v_fma_f32 v0, -v1, v4, v0
	s_cbranch_scc1 .LBB27_55
	s_branch .LBB27_47
.LBB27_56:
	s_endpgm
	.section	.rodata,"a",@progbits
	.p2align	6, 0x0
	.amdhsa_kernel _ZL30rocblas_trsm_small_left_deviceILi24ELi24ELb0EffPKPKfPKPfEv13rocblas_fill_18rocblas_operation_17rocblas_diagonal_iiT3_T4_lilT5_lili
		.amdhsa_group_segment_fixed_size 2304
		.amdhsa_private_segment_fixed_size 0
		.amdhsa_kernarg_size 352
		.amdhsa_user_sgpr_count 2
		.amdhsa_user_sgpr_dispatch_ptr 0
		.amdhsa_user_sgpr_queue_ptr 0
		.amdhsa_user_sgpr_kernarg_segment_ptr 1
		.amdhsa_user_sgpr_dispatch_id 0
		.amdhsa_user_sgpr_kernarg_preload_length 0
		.amdhsa_user_sgpr_kernarg_preload_offset 0
		.amdhsa_user_sgpr_private_segment_size 0
		.amdhsa_uses_dynamic_stack 0
		.amdhsa_enable_private_segment 0
		.amdhsa_system_sgpr_workgroup_id_x 1
		.amdhsa_system_sgpr_workgroup_id_y 0
		.amdhsa_system_sgpr_workgroup_id_z 1
		.amdhsa_system_sgpr_workgroup_info 0
		.amdhsa_system_vgpr_workitem_id 0
		.amdhsa_next_free_vgpr 178
		.amdhsa_next_free_sgpr 43
		.amdhsa_accum_offset 180
		.amdhsa_reserve_vcc 1
		.amdhsa_float_round_mode_32 0
		.amdhsa_float_round_mode_16_64 0
		.amdhsa_float_denorm_mode_32 3
		.amdhsa_float_denorm_mode_16_64 3
		.amdhsa_dx10_clamp 1
		.amdhsa_ieee_mode 1
		.amdhsa_fp16_overflow 0
		.amdhsa_tg_split 0
		.amdhsa_exception_fp_ieee_invalid_op 0
		.amdhsa_exception_fp_denorm_src 0
		.amdhsa_exception_fp_ieee_div_zero 0
		.amdhsa_exception_fp_ieee_overflow 0
		.amdhsa_exception_fp_ieee_underflow 0
		.amdhsa_exception_fp_ieee_inexact 0
		.amdhsa_exception_int_div_zero 0
	.end_amdhsa_kernel
	.section	.text._ZL30rocblas_trsm_small_left_deviceILi24ELi24ELb0EffPKPKfPKPfEv13rocblas_fill_18rocblas_operation_17rocblas_diagonal_iiT3_T4_lilT5_lili,"axG",@progbits,_ZL30rocblas_trsm_small_left_deviceILi24ELi24ELb0EffPKPKfPKPfEv13rocblas_fill_18rocblas_operation_17rocblas_diagonal_iiT3_T4_lilT5_lili,comdat
.Lfunc_end27:
	.size	_ZL30rocblas_trsm_small_left_deviceILi24ELi24ELb0EffPKPKfPKPfEv13rocblas_fill_18rocblas_operation_17rocblas_diagonal_iiT3_T4_lilT5_lili, .Lfunc_end27-_ZL30rocblas_trsm_small_left_deviceILi24ELi24ELb0EffPKPKfPKPfEv13rocblas_fill_18rocblas_operation_17rocblas_diagonal_iiT3_T4_lilT5_lili
                                        ; -- End function
	.set _ZL30rocblas_trsm_small_left_deviceILi24ELi24ELb0EffPKPKfPKPfEv13rocblas_fill_18rocblas_operation_17rocblas_diagonal_iiT3_T4_lilT5_lili.num_vgpr, 178
	.set _ZL30rocblas_trsm_small_left_deviceILi24ELi24ELb0EffPKPKfPKPfEv13rocblas_fill_18rocblas_operation_17rocblas_diagonal_iiT3_T4_lilT5_lili.num_agpr, 0
	.set _ZL30rocblas_trsm_small_left_deviceILi24ELi24ELb0EffPKPKfPKPfEv13rocblas_fill_18rocblas_operation_17rocblas_diagonal_iiT3_T4_lilT5_lili.numbered_sgpr, 43
	.set _ZL30rocblas_trsm_small_left_deviceILi24ELi24ELb0EffPKPKfPKPfEv13rocblas_fill_18rocblas_operation_17rocblas_diagonal_iiT3_T4_lilT5_lili.num_named_barrier, 0
	.set _ZL30rocblas_trsm_small_left_deviceILi24ELi24ELb0EffPKPKfPKPfEv13rocblas_fill_18rocblas_operation_17rocblas_diagonal_iiT3_T4_lilT5_lili.private_seg_size, 0
	.set _ZL30rocblas_trsm_small_left_deviceILi24ELi24ELb0EffPKPKfPKPfEv13rocblas_fill_18rocblas_operation_17rocblas_diagonal_iiT3_T4_lilT5_lili.uses_vcc, 1
	.set _ZL30rocblas_trsm_small_left_deviceILi24ELi24ELb0EffPKPKfPKPfEv13rocblas_fill_18rocblas_operation_17rocblas_diagonal_iiT3_T4_lilT5_lili.uses_flat_scratch, 0
	.set _ZL30rocblas_trsm_small_left_deviceILi24ELi24ELb0EffPKPKfPKPfEv13rocblas_fill_18rocblas_operation_17rocblas_diagonal_iiT3_T4_lilT5_lili.has_dyn_sized_stack, 0
	.set _ZL30rocblas_trsm_small_left_deviceILi24ELi24ELb0EffPKPKfPKPfEv13rocblas_fill_18rocblas_operation_17rocblas_diagonal_iiT3_T4_lilT5_lili.has_recursion, 0
	.set _ZL30rocblas_trsm_small_left_deviceILi24ELi24ELb0EffPKPKfPKPfEv13rocblas_fill_18rocblas_operation_17rocblas_diagonal_iiT3_T4_lilT5_lili.has_indirect_call, 0
	.section	.AMDGPU.csdata,"",@progbits
; Kernel info:
; codeLenInByte = 20064
; TotalNumSgprs: 49
; NumVgprs: 178
; NumAgprs: 0
; TotalNumVgprs: 178
; ScratchSize: 0
; MemoryBound: 0
; FloatMode: 240
; IeeeMode: 1
; LDSByteSize: 2304 bytes/workgroup (compile time only)
; SGPRBlocks: 6
; VGPRBlocks: 22
; NumSGPRsForWavesPerEU: 49
; NumVGPRsForWavesPerEU: 178
; AccumOffset: 180
; Occupancy: 2
; WaveLimiterHint : 1
; COMPUTE_PGM_RSRC2:SCRATCH_EN: 0
; COMPUTE_PGM_RSRC2:USER_SGPR: 2
; COMPUTE_PGM_RSRC2:TRAP_HANDLER: 0
; COMPUTE_PGM_RSRC2:TGID_X_EN: 1
; COMPUTE_PGM_RSRC2:TGID_Y_EN: 0
; COMPUTE_PGM_RSRC2:TGID_Z_EN: 1
; COMPUTE_PGM_RSRC2:TIDIG_COMP_CNT: 0
; COMPUTE_PGM_RSRC3_GFX90A:ACCUM_OFFSET: 44
; COMPUTE_PGM_RSRC3_GFX90A:TG_SPLIT: 0
	.section	.text._ZL38rocblas_trsm_small_left_device_sharedBILi24ELi24ELb1EffPKPKfPKPfEv13rocblas_fill_18rocblas_operation_17rocblas_diagonal_iiT3_T4_lilT5_lili,"axG",@progbits,_ZL38rocblas_trsm_small_left_device_sharedBILi24ELi24ELb1EffPKPKfPKPfEv13rocblas_fill_18rocblas_operation_17rocblas_diagonal_iiT3_T4_lilT5_lili,comdat
	.globl	_ZL38rocblas_trsm_small_left_device_sharedBILi24ELi24ELb1EffPKPKfPKPfEv13rocblas_fill_18rocblas_operation_17rocblas_diagonal_iiT3_T4_lilT5_lili ; -- Begin function _ZL38rocblas_trsm_small_left_device_sharedBILi24ELi24ELb1EffPKPKfPKPfEv13rocblas_fill_18rocblas_operation_17rocblas_diagonal_iiT3_T4_lilT5_lili
	.p2align	8
	.type	_ZL38rocblas_trsm_small_left_device_sharedBILi24ELi24ELb1EffPKPKfPKPfEv13rocblas_fill_18rocblas_operation_17rocblas_diagonal_iiT3_T4_lilT5_lili,@function
_ZL38rocblas_trsm_small_left_device_sharedBILi24ELi24ELb1EffPKPKfPKPfEv13rocblas_fill_18rocblas_operation_17rocblas_diagonal_iiT3_T4_lilT5_lili: ; @_ZL38rocblas_trsm_small_left_device_sharedBILi24ELi24ELb1EffPKPKfPKPfEv13rocblas_fill_18rocblas_operation_17rocblas_diagonal_iiT3_T4_lilT5_lili
; %bb.0:
	s_load_dwordx4 s[8:11], s[0:1], 0x38
	s_load_dwordx4 s[4:7], s[0:1], 0x4
	s_load_dword s16, s[0:1], 0x14
	s_mov_b32 s20, s3
	s_mov_b32 s21, 0
	s_lshl_b64 s[24:25], s[20:21], 3
	s_waitcnt lgkmcnt(0)
	s_add_u32 s8, s8, s24
	s_addc_u32 s9, s9, s25
	s_load_dwordx2 s[8:9], s[8:9], 0x0
	s_min_i32 s26, s6, 24
	v_cmp_gt_i32_e32 vcc, s26, v0
	s_and_saveexec_b64 s[18:19], vcc
	s_cbranch_execz .LBB28_11
; %bb.1:
	s_load_dwordx4 s[12:15], s[0:1], 0x18
	s_load_dword s22, s[0:1], 0x28
	v_lshlrev_b32_e32 v2, 2, v0
	v_mov_b32_e32 v3, 0
	s_mov_b32 s3, 1
	s_waitcnt lgkmcnt(0)
	s_add_u32 s12, s12, s24
	s_addc_u32 s13, s13, s25
	s_load_dwordx2 s[12:13], s[12:13], 0x0
	s_cmp_lt_u32 s26, 2
	s_cselect_b64 s[28:29], -1, 0
	s_cmp_lg_u32 s22, 1
	s_cselect_b64 s[30:31], -1, 0
	s_or_b64 s[28:29], s[28:29], s[30:31]
	s_mov_b64 s[24:25], -1
	s_and_b64 vcc, exec, s[28:29]
	s_cbranch_vccnz .LBB28_5
; %bb.2:
	s_lshl_b64 s[20:21], s[14:15], 2
	s_waitcnt lgkmcnt(0)
	s_add_u32 s20, s12, s20
	s_addc_u32 s21, s13, s21
	v_lshl_add_u64 v[4:5], s[20:21], 0, v[2:3]
	s_and_b32 s21, s26, -2
	s_mov_b32 s17, 0
	s_mov_b32 s20, s21
.LBB28_3:                               ; =>This Inner Loop Header: Depth=1
	flat_load_dwordx2 v[6:7], v[4:5]
	s_mul_i32 s23, s3, 0x60
	s_mul_i32 s24, s17, 0x60
	s_add_i32 s17, s17, 2
	s_add_i32 s3, s3, 2
	s_add_i32 s20, s20, -2
	v_lshl_add_u64 v[4:5], v[4:5], 0, 8
	v_add_u32_e32 v1, s24, v2
	s_cmp_lg_u32 s20, 0
	v_add_u32_e32 v3, s23, v2
	s_waitcnt vmcnt(0) lgkmcnt(0)
	ds_write_b32 v1, v6
	ds_write_b32 v3, v7
	s_cbranch_scc1 .LBB28_3
; %bb.4:
	s_cmp_lg_u32 s26, s21
	s_cselect_b64 s[24:25], -1, 0
.LBB28_5:
	s_and_b64 vcc, exec, s[24:25]
	s_cbranch_vccz .LBB28_8
; %bb.6:
	s_ashr_i32 s23, s22, 31
	s_mul_hi_u32 s3, s22, s21
	s_mul_i32 s17, s23, s21
	s_add_i32 s25, s3, s17
	s_mul_i32 s24, s22, s21
	s_lshl_b64 s[24:25], s[24:25], 2
	s_lshl_b64 s[14:15], s[14:15], 2
	s_add_u32 s3, s24, s14
	s_addc_u32 s14, s25, s15
	s_waitcnt lgkmcnt(0)
	s_add_u32 s12, s12, s3
	v_mov_b32_e32 v3, 0
	s_addc_u32 s13, s13, s14
	s_mul_i32 s14, s21, 0x60
	v_lshl_add_u64 v[4:5], s[12:13], 0, v[2:3]
	s_lshl_b64 s[12:13], s[22:23], 2
	s_sub_i32 s3, s26, s21
	v_lshl_add_u32 v1, v0, 2, s14
.LBB28_7:                               ; =>This Inner Loop Header: Depth=1
	flat_load_dword v3, v[4:5]
	s_add_i32 s3, s3, -1
	v_lshl_add_u64 v[4:5], v[4:5], 0, s[12:13]
	s_cmp_eq_u32 s3, 0
	s_waitcnt vmcnt(0) lgkmcnt(0)
	ds_write_b32 v1, v3
	v_add_u32_e32 v1, 0x60, v1
	s_cbranch_scc0 .LBB28_7
.LBB28_8:
	v_mul_u32_u24_e32 v1, 0x60, v0
	s_cmpk_lg_i32 s5, 0x84
	v_mov_b32_e32 v3, 1.0
	v_add_u32_e32 v1, v2, v1
	s_cbranch_scc0 .LBB28_10
; %bb.9:
	ds_read_b32 v2, v1
	s_waitcnt lgkmcnt(0)
	v_div_scale_f32 v3, s[12:13], v2, v2, 1.0
	v_rcp_f32_e32 v4, v3
	v_div_scale_f32 v5, vcc, 1.0, v2, 1.0
	v_fma_f32 v6, -v3, v4, 1.0
	v_fmac_f32_e32 v4, v6, v4
	v_mul_f32_e32 v6, v5, v4
	v_fma_f32 v7, -v3, v6, v5
	v_fmac_f32_e32 v6, v7, v4
	v_fma_f32 v3, -v3, v6, v5
	v_div_fmas_f32 v3, v3, v4, v6
	v_div_fixup_f32 v3, v3, v2, 1.0
.LBB28_10:
	ds_write_b32 v1, v3
.LBB28_11:
	s_or_b64 exec, exec, s[18:19]
	s_load_dword s3, s[0:1], 0x60
	s_load_dword s22, s[0:1], 0x48
	s_lshl_b64 s[10:11], s[10:11], 2
	s_mul_i32 s0, s2, 0xffffffe8
	s_waitcnt lgkmcnt(0)
	s_ashr_i32 s23, s22, 31
	s_add_u32 s5, s8, s10
	s_addc_u32 s13, s9, s11
	s_add_i32 s3, s3, -1
	s_add_i32 s0, s7, s0
	s_cmp_ge_u32 s2, s3
	s_mul_i32 s2, s2, 24
	s_cselect_b32 s7, s0, 24
	s_mul_hi_i32 s1, s22, s2
	s_mul_i32 s0, s22, s2
	s_ashr_i32 s3, s2, 31
	s_lshl_b64 s[0:1], s[0:1], 2
	s_add_u32 s12, s5, s0
	s_addc_u32 s13, s13, s1
	s_cmp_gt_i32 s6, 0
	v_cmp_gt_i32_e64 s[0:1], s7, v0
	s_cselect_b64 s[14:15], -1, 0
	s_mov_b32 s5, 0
	s_and_b64 s[20:21], s[0:1], s[14:15]
	s_and_saveexec_b64 s[18:19], s[20:21]
	s_cbranch_execz .LBB28_19
; %bb.12:
	s_cmp_lt_i32 s6, 2
	s_mov_b64 s[20:21], -1
	s_cbranch_scc1 .LBB28_16
; %bb.13:
	v_mad_i64_i32 v[2:3], s[20:21], s22, v0, 0
	v_mov_b32_e32 v1, 0x900
	s_and_b32 s5, s26, 30
	v_lshl_add_u64 v[2:3], v[2:3], 2, s[12:13]
	v_lshl_or_b32 v1, v0, 2, v1
	s_mov_b32 s17, s16
	s_mov_b32 s7, 1
	s_mov_b32 s20, 0
	s_mov_b32 s21, s5
.LBB28_14:                              ; =>This Inner Loop Header: Depth=1
	flat_load_dwordx2 v[4:5], v[2:3]
	s_mul_i32 s24, s7, 0x60
	s_mul_i32 s25, s20, 0x60
	s_add_i32 s20, s20, 2
	s_add_i32 s7, s7, 2
	s_add_i32 s21, s21, -2
	v_lshl_add_u64 v[2:3], v[2:3], 0, 8
	v_add_u32_e32 v6, s25, v1
	s_cmp_lg_u32 s21, 0
	v_add_u32_e32 v7, s24, v1
	s_waitcnt vmcnt(0) lgkmcnt(0)
	v_pk_mul_f32 v[4:5], s[16:17], v[4:5]
	ds_write_b32 v6, v4
	ds_write_b32 v7, v5
	s_cbranch_scc1 .LBB28_14
; %bb.15:
	s_cmp_lg_u32 s26, s5
	s_cselect_b64 s[20:21], -1, 0
.LBB28_16:
	s_and_b64 vcc, exec, s[20:21]
	s_cbranch_vccz .LBB28_19
; %bb.17:
	s_sub_i32 s7, s26, s5
	s_lshl_b32 s17, s5, 2
	s_add_u32 s17, s8, s17
	s_addc_u32 s21, s9, 0
	s_add_u32 s20, s17, s10
	v_lshlrev_b32_e32 v2, 2, v0
	v_mov_b32_e32 v3, 0
	s_addc_u32 s21, s21, s11
	v_lshl_add_u64 v[4:5], s[2:3], 2, v[2:3]
	v_mov_b64_e32 v[2:3], s[20:21]
	v_mad_u64_u32 v[2:3], s[20:21], v4, s22, v[2:3]
	v_mul_lo_u32 v1, v4, s23
	v_mul_lo_u32 v4, v5, s22
	s_mulk_i32 s5, 0x60
	v_add3_u32 v3, v4, v3, v1
	v_lshl_add_u32 v1, v0, 2, s5
	v_add_u32_e32 v1, 0x900, v1
.LBB28_18:                              ; =>This Inner Loop Header: Depth=1
	flat_load_dword v4, v[2:3]
	s_add_i32 s7, s7, -1
	v_lshl_add_u64 v[2:3], v[2:3], 0, 4
	s_cmp_lg_u32 s7, 0
	s_waitcnt vmcnt(0) lgkmcnt(0)
	v_mul_f32_e32 v4, s16, v4
	ds_write_b32 v1, v4
	v_add_u32_e32 v1, 0x60, v1
	s_cbranch_scc1 .LBB28_18
.LBB28_19:
	s_or_b64 exec, exec, s[18:19]
	v_mov_b32_e32 v1, 0x900
	s_cmpk_eq_i32 s4, 0x6f
	v_lshl_or_b32 v1, v0, 2, v1
	s_mov_b64 s[4:5], -1
	s_waitcnt lgkmcnt(0)
	; wave barrier
	s_cbranch_scc1 .LBB28_42
; %bb.20:
	s_add_i32 s4, s26, -1
	s_cmp_gt_i32 s6, 23
	s_mov_b32 s5, -1
	s_cbranch_scc0 .LBB28_22
; %bb.21:
	s_movk_i32 s16, 0x800
	v_add_u32_e64 v2, s16, 0
	s_movk_i32 s16, 0x600
	v_add_u32_e32 v79, 0x800, v1
	v_add_u32_e32 v78, 0x400, v1
	;; [unrolled: 1-line block ×3, first 2 shown]
	v_mov_b32_e32 v76, 0
	v_add_u32_e64 v8, s16, 0
	ds_read2_b32 v[6:7], v79 offset0:16 offset1:40
	ds_read2_b32 v[52:53], v78 offset0:224 offset1:248
	;; [unrolled: 1-line block ×11, first 2 shown]
	ds_read2_b32 v[38:39], v1 offset1:24
	ds_read2_b64 v[2:5], v2 offset0:7 offset1:19
	ds_read_b128 v[22:25], v76 offset:2000
	ds_read2_b32 v[60:61], v8 offset0:91 offset1:141
	ds_read_b128 v[18:21], v76 offset:1904
	ds_read_b32 v80, v76 offset:1700
	ds_read_b96 v[30:32], v76 offset:1600
	s_movk_i32 s17, 0x400
	v_add_u32_e64 v8, s17, 0
	ds_read2_b32 v[50:51], v8 offset0:194 offset1:199
	ds_read2_b32 v[36:37], v8 offset0:119 offset1:151
	v_mov_b32_e32 v9, 0x714
	s_waitcnt lgkmcnt(2)
	v_mov_b32_e32 v49, v32
	ds_read2_b32 v[34:35], v8 offset0:94 offset1:103
	ds_read2_b32 v[32:33], v8 offset0:19 offset1:55
	v_mov_b32_e32 v8, 0x414
	v_mov_b32_e32 v10, 0x40c
	ds_read_b32 v11, v76 offset:2300
	ds_read2_b32 v[70:71], v8 offset1:1
	ds_read2_b32 v[74:75], v9 offset1:1
	;; [unrolled: 1-line block ×3, first 2 shown]
	ds_read_b64 v[8:9], v76 offset:1720
	ds_read_b128 v[26:29], v76 offset:1520
	s_waitcnt lgkmcnt(5)
	v_mul_f32_e32 v45, v7, v11
	v_fma_f32 v5, -v45, v5, v6
	v_mul_f32_e32 v44, v5, v4
	v_pk_mul_f32 v[2:3], v[44:45], v[2:3]
	v_mov_b32_e32 v72, v23
	v_sub_f32_e32 v3, v53, v3
	v_sub_f32_e32 v23, v3, v2
	v_pk_mul_f32 v[2:3], v[44:45], v[20:21]
	s_waitcnt lgkmcnt(1)
	v_pk_mul_f32 v[6:7], v[44:45], v[8:9]
	v_sub_f32_e32 v3, v69, v3
	v_sub_f32_e32 v7, v67, v7
	v_mov_b32_e32 v48, v31
	ds_read_b64 v[10:11], v76 offset:1336
	v_sub_f32_e32 v31, v3, v2
	ds_read2_b64 v[2:5], v76 offset0:213 offset1:214
	v_sub_f32_e32 v81, v7, v6
	ds_read_b128 v[6:9], v76 offset:1504
	ds_read_b64 v[20:21], v76 offset:952
	ds_read2_b64 v[14:17], v76 offset0:165 offset1:166
	v_mov_b32_e32 v73, v24
	v_fma_f32 v24, -v45, v25, v52
	v_mul_f32_e32 v52, v23, v61
	s_waitcnt lgkmcnt(1)
	v_fma_f32 v21, -v45, v21, v63
	v_mov_b32_e32 v53, v44
	v_fma_f32 v63, -v44, v20, v21
	v_pk_mul_f32 v[20:21], v[52:53], v[72:73]
	v_pk_mul_f32 v[12:13], v[44:45], v[28:29]
	v_sub_f32_e32 v21, v24, v21
	v_sub_f32_e32 v20, v21, v20
	v_mul_f32_e32 v28, v20, v22
	v_fma_f32 v22, -v45, v51, v68
	v_pk_mul_f32 v[20:21], v[52:53], v[74:75]
	v_mov_b32_e32 v24, 0x70c
	v_sub_f32_e32 v21, v22, v21
	v_sub_f32_e32 v51, v21, v20
	v_mov_b32_e32 v20, 0x654
	ds_read2_b32 v[20:21], v20 offset1:1
	ds_read2_b32 v[24:25], v24 offset1:1
	v_mov_b32_e32 v22, 0x594
	ds_read2_b32 v[22:23], v22 offset1:1
	v_fma_f32 v37, -v45, v37, v66
	s_waitcnt lgkmcnt(2)
	v_pk_mul_f32 v[20:21], v[52:53], v[20:21]
	v_pk_mul_f32 v[10:11], v[44:45], v[10:11]
	v_sub_f32_e32 v21, v37, v21
	v_sub_f32_e32 v13, v59, v13
	;; [unrolled: 1-line block ×4, first 2 shown]
	v_mov_b32_e32 v20, 0x4d4
	v_sub_f32_e32 v86, v13, v12
	v_sub_f32_e32 v87, v11, v10
	ds_read2_b64 v[10:13], v76 offset0:117 offset1:118
	ds_read_b128 v[82:85], v76 offset:1136
	v_fma_f32 v35, -v45, v35, v58
	v_mov_b32_e32 v57, 0x64c
	v_mov_b32_e32 v58, 0x58c
	ds_read2_b32 v[20:21], v20 offset1:1
	ds_read2_b32 v[66:67], v58 offset1:1
	;; [unrolled: 1-line block ×3, first 2 shown]
	s_movk_i32 s7, 0x200
	s_waitcnt lgkmcnt(5)
	v_pk_mul_f32 v[22:23], v[52:53], v[22:23]
	v_add_u32_e64 v29, s7, 0
	v_sub_f32_e32 v23, v35, v23
	v_sub_f32_e32 v35, v23, v22
	ds_read2_b32 v[22:23], v29 offset0:122 offset1:135
	v_fma_f32 v29, -v45, v33, v56
	s_waitcnt lgkmcnt(3)
	v_pk_mul_f32 v[20:21], v[52:53], v[20:21]
	v_mov_b32_e32 v57, 0x404
	v_sub_f32_e32 v21, v29, v21
	v_mov_b32_e32 v29, v52
	v_pk_mul_f32 v[4:5], v[28:29], v[4:5]
	v_pk_mul_f32 v[26:27], v[28:29], v[26:27]
	;; [unrolled: 1-line block ×3, first 2 shown]
	v_sub_f32_e32 v5, v81, v5
	v_sub_f32_e32 v19, v31, v19
	;; [unrolled: 1-line block ×5, first 2 shown]
	v_fma_f32 v20, -v45, v85, v55
	v_sub_f32_e32 v74, v4, v26
	v_pk_mul_f32 v[4:5], v[28:29], v[16:17]
	v_fma_f32 v61, -v44, v84, v20
	v_pk_mul_f32 v[72:73], v[28:29], v[82:83]
	v_sub_f32_e32 v18, v19, v18
	v_sub_f32_e32 v5, v87, v5
	s_waitcnt lgkmcnt(0)
	v_fma_f32 v21, -v45, v23, v54
	v_sub_f32_e32 v29, v5, v4
	v_sub_f32_e32 v4, v61, v73
	v_mul_f32_e32 v60, v18, v60
	v_mov_b32_e32 v61, v28
	v_mov_b32_e32 v33, 0x3fc
	;; [unrolled: 1-line block ×4, first 2 shown]
	v_fma_f32 v20, -v44, v71, v21
	v_sub_f32_e32 v72, v4, v72
	v_pk_mul_f32 v[4:5], v[60:61], v[24:25]
	v_fma_f32 v70, -v52, v70, v20
	ds_read2_b32 v[20:21], v57 offset1:1
	ds_read2_b32 v[54:55], v33 offset1:1
	;; [unrolled: 1-line block ×4, first 2 shown]
	v_mov_b32_e32 v23, 0x584
	v_mov_b32_e32 v33, 0x4c4
	v_sub_f32_e32 v5, v51, v5
	ds_read2_b32 v[18:19], v23 offset1:1
	ds_read2_b32 v[16:17], v33 offset1:1
	v_sub_f32_e32 v33, v5, v4
	v_mov_b32_e32 v4, 0x4cc
	ds_read2_b32 v[4:5], v4 offset1:1
	v_pk_mul_f32 v[24:25], v[60:61], v[68:69]
	v_pk_mul_f32 v[26:27], v[60:61], v[66:67]
	v_sub_f32_e32 v23, v37, v25
	v_sub_f32_e32 v25, v35, v27
	s_waitcnt lgkmcnt(0)
	v_pk_mul_f32 v[4:5], v[60:61], v[4:5]
	v_sub_f32_e32 v35, v23, v24
	v_sub_f32_e32 v5, v53, v5
	;; [unrolled: 1-line block ×4, first 2 shown]
	v_pk_mul_f32 v[26:27], v[60:61], v[64:65]
	ds_read2_b32 v[24:25], v76 offset0:175 offset1:215
	ds_read2_b32 v[4:5], v76 offset0:213 offset1:214
	v_sub_f32_e32 v23, v70, v27
	v_sub_f32_e32 v53, v23, v26
	ds_read2_b32 v[26:27], v76 offset0:211 offset1:212
	ds_read_b32 v23, v76 offset:900
	ds_read2_b32 v[66:67], v76 offset0:209 offset1:210
	s_waitcnt lgkmcnt(4)
	v_fma_f32 v25, -v45, v25, v62
	s_waitcnt lgkmcnt(3)
	v_fma_f32 v5, -v44, v5, v25
	v_fma_f32 v4, -v52, v4, v5
	v_mul_f32_e32 v64, v33, v50
	v_mov_b32_e32 v65, v60
	ds_read_b128 v[68:71], v76 offset:1120
	s_waitcnt lgkmcnt(3)
	v_fma_f32 v4, -v28, v27, v4
	v_pk_mul_f32 v[2:3], v[64:65], v[2:3]
	v_fma_f32 v25, -v60, v26, v4
	v_pk_mul_f32 v[14:15], v[64:65], v[14:15]
	v_fma_f32 v4, -v52, v13, v63
	v_sub_f32_e32 v3, v31, v3
	v_fma_f32 v26, -v28, v12, v4
	v_sub_f32_e32 v27, v3, v2
	v_pk_mul_f32 v[2:3], v[64:65], v[8:9]
	v_sub_f32_e32 v12, v29, v15
	v_sub_f32_e32 v3, v74, v3
	;; [unrolled: 1-line block ×3, first 2 shown]
	ds_read_b128 v[12:15], v76 offset:752
	v_sub_f32_e32 v29, v3, v2
	ds_read_b128 v[2:5], v76 offset:1104
	s_waitcnt lgkmcnt(2)
	v_pk_mul_f32 v[8:9], v[64:65], v[70:71]
	v_mul_f32_e32 v62, v27, v80
	v_sub_f32_e32 v9, v72, v9
	v_sub_f32_e32 v61, v9, v8
	v_pk_mul_f32 v[8:9], v[64:65], v[10:11]
	ds_read_b128 v[70:73], v76 offset:736
	v_sub_f32_e32 v9, v26, v9
	v_sub_f32_e32 v65, v9, v8
	s_waitcnt lgkmcnt(2)
	v_fma_f32 v8, -v45, v15, v47
	v_fma_f32 v8, -v44, v14, v8
	;; [unrolled: 1-line block ×3, first 2 shown]
	v_mov_b32_e32 v63, v64
	v_fma_f32 v92, -v28, v12, v8
	v_pk_mul_f32 v[8:9], v[62:63], v[48:49]
	v_pk_mul_f32 v[10:11], v[62:63], v[16:17]
	v_sub_f32_e32 v9, v35, v9
	v_sub_f32_e32 v14, v9, v8
	v_pk_mul_f32 v[8:9], v[62:63], v[18:19]
	v_sub_f32_e32 v11, v51, v11
	v_sub_f32_e32 v9, v37, v9
	;; [unrolled: 1-line block ×3, first 2 shown]
	v_pk_mul_f32 v[8:9], v[62:63], v[20:21]
	v_sub_f32_e32 v93, v11, v10
	v_sub_f32_e32 v9, v53, v9
	ds_read2_b32 v[74:75], v76 offset0:207 offset1:208
	ds_read2_b32 v[26:27], v76 offset0:150 offset1:167
	ds_read2_b32 v[10:11], v76 offset0:165 offset1:166
	v_sub_f32_e32 v21, v9, v8
	v_pk_mul_f32 v[8:9], v[62:63], v[66:67]
	v_mul_f32_e32 v66, v14, v30
	v_sub_f32_e32 v9, v25, v9
	v_sub_f32_e32 v25, v9, v8
	ds_read2_b32 v[8:9], v76 offset0:163 offset1:164
	s_waitcnt lgkmcnt(2)
	v_fma_f32 v12, -v45, v27, v46
	s_waitcnt lgkmcnt(1)
	v_fma_f32 v11, -v44, v11, v12
	ds_read2_b32 v[12:13], v76 offset0:161 offset1:162
	v_fma_f32 v10, -v52, v10, v11
	s_waitcnt lgkmcnt(1)
	v_fma_f32 v9, -v28, v9, v10
	v_fma_f32 v8, -v60, v8, v9
	v_mov_b32_e32 v67, v62
	s_waitcnt lgkmcnt(0)
	v_fma_f32 v8, -v64, v13, v8
	v_fma_f32 v27, -v62, v12, v8
	ds_read_b64 v[12:13], v76 offset:568
	v_pk_mul_f32 v[10:11], v[66:67], v[6:7]
	ds_read2_b64 v[6:9], v76 offset0:69 offset1:70
	v_sub_f32_e32 v11, v29, v11
	v_sub_f32_e32 v37, v11, v10
	s_waitcnt lgkmcnt(1)
	v_fma_f32 v10, -v45, v13, v43
	v_fma_f32 v10, -v44, v12, v10
	s_waitcnt lgkmcnt(0)
	v_fma_f32 v9, -v52, v9, v10
	ds_read2_b32 v[90:91], v76 offset0:159 offset1:160
	v_fma_f32 v12, -v28, v8, v9
	ds_read_b128 v[8:11], v76 offset:368
	v_fma_f32 v7, -v60, v7, v12
	v_fma_f32 v63, -v64, v6, v7
	ds_read_b128 v[46:49], v76 offset:352
	ds_read_b96 v[18:20], v76 offset:400
	ds_read_b128 v[14:17], v76 offset:336
	s_waitcnt lgkmcnt(3)
	v_fma_f32 v6, -v45, v11, v41
	v_fma_f32 v6, -v44, v10, v6
	;; [unrolled: 1-line block ×4, first 2 shown]
	s_waitcnt lgkmcnt(2)
	v_fma_f32 v6, -v60, v49, v6
	v_fma_f32 v6, -v64, v48, v6
	;; [unrolled: 1-line block ×4, first 2 shown]
	ds_read_b64 v[10:11], v76 offset:184
	ds_read2_b64 v[6:9], v76 offset0:21 offset1:22
	ds_read2_b32 v[30:31], v76 offset0:51 offset1:52
	ds_read2_b32 v[46:47], v76 offset0:53 offset1:54
	ds_read2_b32 v[50:51], v76 offset0:55 offset1:56
	s_waitcnt lgkmcnt(4)
	v_fma_f32 v11, -v45, v11, v39
	ds_read2_b64 v[80:83], v76 offset0:19 offset1:20
	ds_read2_b64 v[84:87], v76 offset0:163 offset1:164
	v_fma_f32 v10, -v44, v10, v11
	s_waitcnt lgkmcnt(5)
	v_fma_f32 v9, -v52, v9, v10
	v_fma_f32 v8, -v28, v8, v9
	;; [unrolled: 1-line block ×4, first 2 shown]
	s_waitcnt lgkmcnt(0)
	v_pk_mul_f32 v[6:7], v[66:67], v[86:87]
	ds_read2_b64 v[86:89], v76 offset0:115 offset1:116
	ds_read2_b64 v[10:13], v76 offset0:113 offset1:114
	v_pk_mul_f32 v[68:69], v[66:67], v[68:69]
	v_sub_f32_e32 v7, v33, v7
	ds_read2_b32 v[48:49], v76 offset0:75 offset1:119
	v_sub_f32_e32 v33, v7, v6
	v_sub_f32_e32 v6, v61, v69
	;; [unrolled: 1-line block ×3, first 2 shown]
	s_waitcnt lgkmcnt(2)
	v_pk_mul_f32 v[6:7], v[66:67], v[88:89]
	v_pk_mul_f32 v[68:69], v[66:67], v[70:71]
	v_sub_f32_e32 v7, v65, v7
	v_sub_f32_e32 v88, v7, v6
	v_fma_f32 v6, -v60, v73, v92
	v_fma_f32 v29, -v64, v72, v6
	s_waitcnt lgkmcnt(0)
	v_fma_f32 v8, -v45, v49, v42
	ds_read2_b32 v[6:7], v76 offset0:117 offset1:118
	ds_read2_b32 v[70:71], v76 offset0:115 offset1:116
	ds_read2_b32 v[42:43], v76 offset0:50 offset1:71
	v_sub_f32_e32 v29, v29, v69
	s_waitcnt lgkmcnt(2)
	v_fma_f32 v7, -v44, v7, v8
	v_fma_f32 v49, -v52, v6, v7
	s_waitcnt lgkmcnt(0)
	v_fma_f32 v8, -v45, v43, v40
	ds_read2_b32 v[6:7], v76 offset0:69 offset1:70
	ds_read2_b32 v[72:73], v76 offset0:67 offset1:68
	;; [unrolled: 1-line block ×3, first 2 shown]
	ds_write2_b32 v79, v44, v45 offset0:16 offset1:40
	v_sub_f32_e32 v79, v29, v68
	s_waitcnt lgkmcnt(3)
	v_fma_f32 v7, -v44, v7, v8
	v_fma_f32 v43, -v52, v6, v7
	s_waitcnt lgkmcnt(1)
	v_fma_f32 v40, -v45, v40, v38
	ds_read2_b32 v[38:39], v76 offset0:21 offset1:22
	ds_read2_b64 v[6:9], v76 offset0:13 offset1:14
	v_fma_f32 v29, -v28, v71, v49
	v_fma_f32 v49, -v60, v70, v29
	;; [unrolled: 1-line block ×3, first 2 shown]
	s_waitcnt lgkmcnt(1)
	v_fma_f32 v39, -v44, v39, v40
	v_fma_f32 v40, -v52, v38, v39
	ds_read2_b32 v[38:39], v76 offset0:113 offset1:114
	ds_read2_b32 v[44:45], v76 offset0:65 offset1:66
	v_fma_f32 v43, -v60, v72, v29
	ds_write2_b32 v78, v28, v52 offset0:224 offset1:248
	ds_read2_b32 v[52:53], v76 offset0:19 offset1:20
	ds_read2_b32 v[68:69], v76 offset0:17 offset1:18
	s_waitcnt lgkmcnt(4)
	v_fma_f32 v39, -v64, v39, v49
	v_fma_f32 v38, -v62, v38, v39
	s_waitcnt lgkmcnt(3)
	v_fma_f32 v39, -v64, v45, v43
	v_fma_f32 v43, -v62, v44, v39
	v_mul_f32_e32 v44, v37, v36
	v_mov_b32_e32 v45, v66
	v_pk_mul_f32 v[36:37], v[44:45], v[58:59]
	s_waitcnt lgkmcnt(1)
	v_fma_f32 v28, -v28, v53, v40
	v_sub_f32_e32 v35, v35, v37
	v_sub_f32_e32 v35, v35, v36
	v_pk_mul_f32 v[36:37], v[44:45], v[56:57]
	v_fma_f32 v40, -v60, v52, v28
	v_sub_f32_e32 v37, v93, v37
	v_sub_f32_e32 v49, v37, v36
	v_pk_mul_f32 v[36:37], v[44:45], v[54:55]
	ds_read2_b32 v[28:29], v76 offset0:111 offset1:112
	ds_read2_b64 v[52:55], v76 offset0:65 offset1:66
	v_sub_f32_e32 v21, v21, v37
	v_sub_f32_e32 v21, v21, v36
	v_pk_mul_f32 v[36:37], v[44:45], v[74:75]
	s_waitcnt lgkmcnt(1)
	v_fma_f32 v29, -v66, v29, v38
	v_sub_f32_e32 v25, v25, v37
	v_sub_f32_e32 v25, v25, v36
	ds_read2_b32 v[36:37], v76 offset0:63 offset1:64
	ds_read2_b32 v[56:57], v76 offset0:15 offset1:16
	v_pk_mul_f32 v[38:39], v[44:45], v[90:91]
	v_fma_f32 v74, -v44, v28, v29
	v_sub_f32_e32 v27, v27, v39
	ds_read2_b32 v[28:29], v76 offset0:61 offset1:62
	s_waitcnt lgkmcnt(2)
	v_fma_f32 v37, -v66, v37, v43
	ds_read2_b32 v[70:71], v76 offset0:205 offset1:206
	v_sub_f32_e32 v27, v27, v38
	v_fma_f32 v43, -v44, v36, v37
	ds_read2_b64 v[36:39], v76 offset0:67 offset1:68
	v_fma_f32 v40, -v64, v69, v40
	v_fma_f32 v40, -v62, v68, v40
	ds_write2_b32 v78, v64, v60 offset0:176 offset1:200
	v_fma_f32 v45, -v62, v83, v95
	s_waitcnt lgkmcnt(1)
	v_fma_f32 v39, -v62, v39, v63
	v_fma_f32 v72, -v66, v38, v39
	ds_read2_b32 v[64:65], v76 offset0:13 offset1:14
	v_fma_f32 v38, -v66, v57, v40
	v_mul_f32_e32 v60, v35, v34
	v_mov_b32_e32 v61, v44
	v_fma_f32 v45, -v66, v82, v45
	v_fma_f32 v73, -v44, v56, v38
	ds_read_b96 v[38:40], v76 offset:1200
	ds_read_b32 v75, v76 offset:1300
	v_pk_mul_f32 v[34:35], v[60:61], v[84:85]
	ds_write2_b32 v78, v66, v62 offset0:128 offset1:152
	v_pk_mul_f32 v[62:63], v[60:61], v[36:37]
	v_fma_f32 v36, -v44, v81, v45
	ds_write2_b32 v78, v60, v44 offset0:80 offset1:104
	v_sub_f32_e32 v33, v33, v35
	v_fma_f32 v17, -v44, v17, v94
	ds_read2_b32 v[44:45], v76 offset0:253 offset1:254
	ds_read2_b32 v[68:69], v76 offset0:251 offset1:252
	v_sub_f32_e32 v33, v33, v34
	v_fma_f32 v80, -v60, v80, v36
	ds_read_b128 v[34:37], v76 offset:720
	v_pk_mul_f32 v[4:5], v[60:61], v[4:5]
	s_waitcnt lgkmcnt(6)
	v_mov_b32_e32 v67, v40
	v_sub_f32_e32 v5, v96, v5
	v_sub_f32_e32 v40, v5, v4
	v_pk_mul_f32 v[4:5], v[60:61], v[86:87]
	v_mov_b32_e32 v66, v39
	v_sub_f32_e32 v5, v88, v5
	v_sub_f32_e32 v81, v5, v4
	s_waitcnt lgkmcnt(0)
	v_pk_mul_f32 v[4:5], v[60:61], v[36:37]
	v_fma_f32 v39, -v60, v65, v73
	v_sub_f32_e32 v5, v79, v5
	v_sub_f32_e32 v79, v5, v4
	;; [unrolled: 1-line block ×3, first 2 shown]
	v_mul_f32_e32 v72, v33, v75
	v_mov_b32_e32 v73, v60
	v_sub_f32_e32 v82, v4, v62
	v_pk_mul_f32 v[4:5], v[72:73], v[66:67]
	ds_read_b128 v[56:59], v76 offset:704
	v_sub_f32_e32 v5, v49, v5
	v_fma_f32 v83, -v60, v16, v17
	v_sub_f32_e32 v33, v5, v4
	ds_read2_b32 v[4:5], v76 offset0:157 offset1:158
	v_pk_mul_f32 v[16:17], v[72:73], v[44:45]
	v_fma_f32 v29, -v60, v29, v43
	ds_read_b96 v[60:62], v76 offset:800
	v_sub_f32_e32 v17, v21, v17
	v_sub_f32_e32 v43, v17, v16
	ds_read2_b32 v[16:17], v76 offset0:109 offset1:110
	ds_read2_b32 v[36:37], v76 offset0:59 offset1:60
	v_pk_mul_f32 v[44:45], v[72:73], v[70:71]
	s_waitcnt lgkmcnt(3)
	v_pk_mul_f32 v[4:5], v[72:73], v[4:5]
	v_sub_f32_e32 v21, v25, v45
	v_sub_f32_e32 v25, v21, v44
	ds_read2_b32 v[44:45], v76 offset0:155 offset1:156
	ds_read2_b32 v[66:67], v76 offset0:107 offset1:108
	v_sub_f32_e32 v5, v27, v5
	ds_read2_b32 v[70:71], v76 offset0:203 offset1:204
	v_fma_f32 v84, -v72, v28, v29
	s_waitcnt lgkmcnt(5)
	v_mov_b32_e32 v28, v61
	v_fma_f32 v61, -v72, v64, v39
	v_mul_f32_e32 v38, v33, v38
	v_mov_b32_e32 v39, v72
	v_sub_f32_e32 v27, v5, v4
	s_waitcnt lgkmcnt(4)
	v_pk_mul_f32 v[4:5], v[72:73], v[16:17]
	v_pk_mul_f32 v[64:65], v[38:39], v[14:15]
	ds_read2_b64 v[14:17], v76 offset0:17 offset1:18
	v_mov_b32_e32 v63, v20
	v_pk_mul_f32 v[20:21], v[38:39], v[34:35]
	v_pk_mul_f32 v[34:35], v[38:39], v[2:3]
	v_mov_b32_e32 v29, v62
	v_mov_b32_e32 v62, v19
	v_sub_f32_e32 v19, v40, v35
	v_sub_f32_e32 v19, v19, v34
	;; [unrolled: 1-line block ×3, first 2 shown]
	v_pk_mul_f32 v[12:13], v[38:39], v[12:13]
	v_sub_f32_e32 v33, v83, v65
	v_mul_f32_e32 v74, v19, v32
	v_mov_b32_e32 v75, v38
	v_sub_f32_e32 v13, v81, v13
	v_sub_f32_e32 v83, v33, v64
	s_waitcnt lgkmcnt(3)
	v_pk_mul_f32 v[32:33], v[74:75], v[44:45]
	v_sub_f32_e32 v49, v5, v4
	ds_read2_b64 v[2:5], v76 offset0:15 offset1:16
	s_waitcnt lgkmcnt(1)
	v_fma_f32 v17, -v72, v17, v80
	v_sub_f32_e32 v40, v13, v12
	v_pk_mul_f32 v[12:13], v[38:39], v[54:55]
	v_sub_f32_e32 v27, v27, v33
	ds_write2_b32 v78, v38, v72 offset0:32 offset1:56
	v_sub_f32_e32 v13, v82, v13
	v_sub_f32_e32 v21, v79, v21
	v_fma_f32 v19, -v38, v16, v17
	v_pk_mul_f32 v[16:17], v[74:75], v[68:69]
	v_sub_f32_e32 v27, v27, v32
	v_pk_mul_f32 v[32:33], v[74:75], v[66:67]
	v_sub_f32_e32 v82, v21, v20
	v_sub_f32_e32 v85, v13, v12
	ds_read2_b32 v[12:13], v76 offset0:11 offset1:12
	ds_read2_b32 v[20:21], v76 offset0:9 offset1:10
	ds_read2_b32 v[54:55], v76 offset0:7 offset1:8
	ds_read2_b32 v[72:73], v76 offset0:5 offset1:6
	v_sub_f32_e32 v17, v43, v17
	v_sub_f32_e32 v33, v49, v33
	v_sub_f32_e32 v34, v17, v16
	v_pk_mul_f32 v[16:17], v[74:75], v[70:71]
	v_sub_f32_e32 v43, v33, v32
	v_pk_mul_f32 v[32:33], v[74:75], v[36:37]
	s_waitcnt lgkmcnt(3)
	v_fma_f32 v13, -v38, v13, v61
	v_sub_f32_e32 v17, v25, v17
	v_sub_f32_e32 v33, v84, v33
	v_mul_f32_e32 v78, v34, v22
	v_mov_b32_e32 v79, v74
	ds_read2_b32 v[64:65], v76 offset0:3 offset1:4
	v_sub_f32_e32 v25, v17, v16
	ds_read2_b32 v[16:17], v76 offset0:151 offset1:152
	ds_read2_b32 v[68:69], v76 offset0:153 offset1:154
	;; [unrolled: 1-line block ×5, first 2 shown]
	v_sub_f32_e32 v49, v33, v32
	v_pk_mul_f32 v[80:81], v[78:79], v[14:15]
	v_fma_f32 v61, -v74, v12, v13
	ds_read_b128 v[12:15], v76 offset:304
	ds_read_b128 v[32:35], v76 offset:320
	v_pk_mul_f32 v[10:11], v[78:79], v[10:11]
	v_pk_mul_f32 v[52:53], v[78:79], v[52:53]
	v_sub_f32_e32 v11, v40, v11
	v_sub_f32_e32 v22, v11, v10
	v_pk_mul_f32 v[10:11], v[78:79], v[58:59]
	ds_write2_b32 v77, v78, v74 offset0:112 offset1:136
	v_sub_f32_e32 v11, v82, v11
	v_sub_f32_e32 v40, v11, v10
	;; [unrolled: 1-line block ×4, first 2 shown]
	v_mul_f32_e32 v10, v22, v23
	s_waitcnt lgkmcnt(1)
	v_pk_mul_f32 v[22:23], v[78:79], v[34:35]
	v_mov_b32_e32 v11, v78
	v_sub_f32_e32 v23, v83, v23
	v_sub_f32_e32 v59, v23, v22
	v_pk_mul_f32 v[22:23], v[10:11], v[28:29]
	ds_read_b32 v74, v76 offset:500
	ds_read2_b64 v[36:39], v76 offset0:63 offset1:64
	v_sub_f32_e32 v23, v25, v23
	v_sub_f32_e32 v22, v23, v22
	v_mul_f32_e32 v22, v22, v60
	v_mov_b32_e32 v23, v10
	v_pk_mul_f32 v[56:57], v[22:23], v[56:57]
	v_sub_f32_e32 v19, v19, v81
	v_sub_f32_e32 v40, v40, v57
	v_pk_mul_f32 v[20:21], v[10:11], v[20:21]
	v_pk_mul_f32 v[28:29], v[10:11], v[68:69]
	;; [unrolled: 1-line block ×4, first 2 shown]
	v_sub_f32_e32 v19, v19, v80
	v_pk_mul_f32 v[4:5], v[22:23], v[4:5]
	v_sub_f32_e32 v11, v61, v21
	ds_write2_b32 v1, v22, v10 offset0:192 offset1:216
	v_sub_f32_e32 v10, v40, v56
	v_sub_f32_e32 v25, v27, v29
	;; [unrolled: 1-line block ×4, first 2 shown]
	v_mul_f32_e32 v10, v10, v24
	v_mov_b32_e32 v11, v22
	v_sub_f32_e32 v27, v43, v35
	v_sub_f32_e32 v25, v25, v28
	v_pk_mul_f32 v[16:17], v[10:11], v[16:17]
	v_sub_f32_e32 v27, v27, v34
	v_sub_f32_e32 v17, v25, v17
	v_pk_mul_f32 v[20:21], v[10:11], v[44:45]
	s_waitcnt lgkmcnt(1)
	v_pk_mul_f32 v[28:29], v[22:23], v[38:39]
	v_sub_f32_e32 v21, v27, v21
	v_sub_f32_e32 v27, v5, v4
	;; [unrolled: 1-line block ×4, first 2 shown]
	v_mul_f32_e32 v4, v4, v26
	v_mov_b32_e32 v5, v10
	v_sub_f32_e32 v24, v29, v28
	v_pk_mul_f32 v[16:17], v[4:5], v[36:37]
	v_pk_mul_f32 v[14:15], v[4:5], v[14:15]
	v_sub_f32_e32 v17, v24, v17
	v_sub_f32_e32 v24, v21, v20
	v_pk_mul_f32 v[20:21], v[10:11], v[54:55]
	v_pk_mul_f32 v[2:3], v[4:5], v[2:3]
	v_sub_f32_e32 v5, v19, v21
	v_sub_f32_e32 v19, v5, v20
	;; [unrolled: 1-line block ×3, first 2 shown]
	v_pk_mul_f32 v[32:33], v[22:23], v[32:33]
	v_pk_mul_f32 v[22:23], v[10:11], v[50:51]
	ds_write2_b32 v1, v4, v10 offset0:144 offset1:168
	v_mul_f32_e32 v10, v5, v74
	v_mov_b32_e32 v11, v4
	v_pk_mul_f32 v[4:5], v[10:11], v[62:63]
	v_sub_f32_e32 v35, v49, v53
	v_sub_f32_e32 v33, v59, v33
	;; [unrolled: 1-line block ×10, first 2 shown]
	v_mul_f32_e32 v2, v2, v18
	v_mov_b32_e32 v3, v10
	v_sub_f32_e32 v22, v23, v22
	v_sub_f32_e32 v16, v15, v14
	v_pk_mul_f32 v[14:15], v[10:11], v[46:47]
	v_pk_mul_f32 v[4:5], v[2:3], v[12:13]
	v_pk_mul_f32 v[12:13], v[10:11], v[72:73]
	v_sub_f32_e32 v15, v22, v15
	v_sub_f32_e32 v5, v16, v5
	v_pk_mul_f32 v[8:9], v[2:3], v[8:9]
	v_sub_f32_e32 v3, v19, v13
	v_sub_f32_e32 v14, v15, v14
	;; [unrolled: 1-line block ×4, first 2 shown]
	ds_write2_b32 v1, v2, v10 offset0:96 offset1:120
	v_mul_f32_e32 v10, v3, v48
	v_mov_b32_e32 v11, v2
	v_pk_mul_f32 v[2:3], v[10:11], v[30:31]
	v_sub_f32_e32 v9, v17, v9
	v_sub_f32_e32 v3, v14, v3
	;; [unrolled: 1-line block ×4, first 2 shown]
	v_mul_f32_e32 v8, v2, v42
	v_mov_b32_e32 v9, v10
	v_pk_mul_f32 v[6:7], v[8:9], v[6:7]
	v_pk_mul_f32 v[12:13], v[10:11], v[64:65]
	v_sub_f32_e32 v5, v4, v7
	ds_read_b96 v[2:4], v76
	v_sub_f32_e32 v7, v15, v13
	v_sub_f32_e32 v5, v5, v6
	;; [unrolled: 1-line block ×3, first 2 shown]
	ds_write2_b32 v1, v8, v10 offset0:48 offset1:72
	v_mul_f32_e32 v6, v5, v41
	s_waitcnt lgkmcnt(1)
	v_mov_b32_e32 v10, v3
	v_mov_b32_e32 v11, v4
	;; [unrolled: 1-line block ×3, first 2 shown]
	v_pk_mul_f32 v[4:5], v[6:7], v[10:11]
	s_nop 0
	v_sub_f32_e32 v3, v9, v5
	v_sub_f32_e32 v3, v3, v4
	v_mul_f32_e32 v2, v3, v2
	ds_write2_b32 v1, v2, v6 offset1:24
	s_cmp_gt_i32 s5, -1
	s_cbranch_scc1 .LBB28_23
	s_branch .LBB28_41
.LBB28_22:
	s_mov_b32 s5, s4
	s_cmp_gt_i32 s5, -1
	s_cbranch_scc0 .LBB28_41
.LBB28_23:
	s_cmp_lt_u32 s5, 19
	s_cbranch_scc1 .LBB28_28
; %bb.24:
	s_mul_i32 s7, s5, 0x60
	v_add_u32_e32 v36, s7, v1
	v_add_u32_e32 v2, 0xffffffa0, v36
	;; [unrolled: 1-line block ×8, first 2 shown]
	ds_read_b32 v40, v36
	ds_read_b32 v41, v2
	;; [unrolled: 1-line block ×8, first 2 shown]
	v_add_u32_e32 v2, 0xfffffd00, v36
	v_add_u32_e32 v3, 0xfffffca0, v36
	;; [unrolled: 1-line block ×8, first 2 shown]
	ds_read_b32 v38, v2
	ds_read_b32 v39, v3
	;; [unrolled: 1-line block ×8, first 2 shown]
	v_add_u32_e32 v2, 0xfffffa00, v36
	v_add_u32_e32 v3, 0xfffff9a0, v36
	;; [unrolled: 1-line block ×4, first 2 shown]
	ds_read_b32 v8, v2
	ds_read_b32 v9, v3
	;; [unrolled: 1-line block ×4, first 2 shown]
	s_cmp_le_i32 s4, s5
	s_cbranch_scc1 .LBB28_27
; %bb.25:
	s_mul_i32 s16, s26, 0x60
	v_lshl_add_u32 v4, v0, 2, s16
	s_lshl_b32 s16, s26, 2
	s_add_i32 s16, s7, s16
	v_add_u32_e32 v4, 0x8a0, v4
	s_addk_i32 s16, 0xf8dc
	s_mov_b32 s17, s4
.LBB28_26:                              ; =>This Inner Loop Header: Depth=1
	v_mov_b32_e32 v5, s16
	v_add_u32_e32 v7, 0x400, v5
	ds_read_b32 v6, v4
	v_add_u32_e32 v10, 0x200, v5
	ds_read2_b32 v[12:13], v5 offset0:192 offset1:216
	ds_read2_b32 v[16:17], v5 offset0:144 offset1:168
	;; [unrolled: 1-line block ×4, first 2 shown]
	ds_read2_b32 v[28:29], v5 offset1:24
	ds_read2_b32 v[30:31], v7 offset0:176 offset1:200
	ds_read2_b32 v[42:43], v7 offset0:128 offset1:152
	;; [unrolled: 1-line block ×5, first 2 shown]
	s_add_i32 s17, s17, -1
	s_add_i32 s16, s16, -4
	s_waitcnt lgkmcnt(9)
	v_mov_b32_e32 v10, v13
	v_mov_b32_e32 v11, v12
	s_waitcnt lgkmcnt(8)
	v_mov_b32_e32 v12, v17
	v_mov_b32_e32 v13, v16
	;; [unrolled: 3-line block ×10, first 2 shown]
	v_add_u32_e32 v4, 0xffffffa0, v4
	s_cmp_gt_i32 s17, s5
	v_pk_fma_f32 v[34:35], v[6:7], v[10:11], v[34:35] op_sel_hi:[0,1,1] neg_lo:[1,0,0] neg_hi:[1,0,0]
	v_pk_fma_f32 v[24:25], v[6:7], v[12:13], v[24:25] op_sel_hi:[0,1,1] neg_lo:[1,0,0] neg_hi:[1,0,0]
	;; [unrolled: 1-line block ×10, first 2 shown]
	s_cbranch_scc1 .LBB28_26
.LBB28_27:
	s_mul_i32 s16, s5, 0x64
	v_mov_b32_e32 v4, s16
	s_lshl_b32 s16, s5, 2
	s_add_i32 s17, s7, 0xffffffa0
	s_add_i32 s18, s16, -4
	s_add_i32 s19, s17, s18
	v_add_u32_e32 v52, s17, v1
	s_add_i32 s17, s7, 0xffffff40
	v_mov_b32_e32 v5, s19
	s_add_i32 s19, s17, s18
	s_add_i32 s17, s16, s17
	s_add_i32 s17, s17, -8
	v_mov_b32_e32 v6, s17
	s_add_i32 s17, s7, 0xfffffee0
	s_add_i32 s21, s16, -12
	s_add_i32 s20, s17, s16
	s_add_i32 s17, s17, s21
	v_mov_b32_e32 v10, s17
	s_add_i32 s17, s7, 0xfffffe80
	s_add_i32 s24, s17, s18
	s_add_i32 s25, s17, s21
	s_add_i32 s17, s16, s17
	s_add_i32 s17, s17, -16
	v_mov_b32_e32 v11, s17
	s_add_i32 s17, s7, 0xfffffe20
	s_sub_i32 s29, s16, 20
	s_add_i32 s27, s17, s16
	s_add_i32 s17, s17, s29
	v_mov_b32_e32 v13, s17
	s_add_i32 s17, s7, 0xfffffdc0
	s_add_i32 s30, s17, s18
	;; [unrolled: 1-line block ×5, first 2 shown]
	s_sub_i32 s17, s17, 24
	v_mov_b32_e32 v7, s20
	v_mov_b32_e32 v12, s27
	ds_read_b32 v37, v4
	ds_read2_b32 v[42:43], v5 offset1:1
	ds_read_b32 v69, v6
	ds_read_b32 v58, v7
	;; [unrolled: 1-line block ×6, first 2 shown]
	v_mov_b32_e32 v4, s17
	s_add_i32 s17, s7, 0xfffffd60
	s_sub_i32 s37, s16, 28
	s_add_i32 s34, s17, s16
	s_add_i32 s17, s17, s37
	v_mov_b32_e32 v6, s17
	s_add_i32 s17, s7, 0xfffffd00
	s_add_i32 s38, s17, s18
	;; [unrolled: 1-line block ×6, first 2 shown]
	s_sub_i32 s17, s17, 32
	v_mov_b32_e32 v7, s17
	s_add_i32 s17, s7, 0xfffffca0
	s_add_i32 s42, s17, s16
	s_add_i32 s43, s42, -8
	v_mov_b32_e32 v5, s34
	v_mov_b32_e32 v10, s42
	ds_read_b32 v63, v4
	ds_read_b32 v85, v5
	;; [unrolled: 1-line block ×5, first 2 shown]
	v_mov_b32_e32 v4, s43
	s_add_i32 s43, s42, -16
	v_mov_b32_e32 v5, s43
	s_sub_i32 s43, s42, 24
	s_add_i32 s28, s27, -8
	s_add_i32 s27, s27, -16
	;; [unrolled: 1-line block ×4, first 2 shown]
	s_sub_i32 s34, s34, 24
	v_mov_b32_e32 v6, s43
	ds_read2_b32 v[50:51], v4 offset1:1
	ds_read2_b32 v[22:23], v5 offset1:1
	;; [unrolled: 1-line block ×3, first 2 shown]
	v_mov_b32_e32 v4, s41
	v_mov_b32_e32 v16, s33
	;; [unrolled: 1-line block ×4, first 2 shown]
	ds_read2_b32 v[6:7], v4 offset1:1
	ds_read2_b32 v[12:13], v5 offset1:1
	;; [unrolled: 1-line block ×4, first 2 shown]
	v_mov_b32_e32 v4, s27
	v_mov_b32_e32 v44, s25
	;; [unrolled: 1-line block ×3, first 2 shown]
	s_add_i32 s20, s20, -8
	v_mov_b32_e32 v5, s36
	ds_read2_b32 v[30:31], v4 offset1:1
	ds_read2_b32 v[28:29], v5 offset1:1
	;; [unrolled: 1-line block ×4, first 2 shown]
	v_mov_b32_e32 v4, s39
	v_mov_b32_e32 v5, s20
	;; [unrolled: 1-line block ×4, first 2 shown]
	ds_read2_b32 v[48:49], v4 offset1:1
	ds_read2_b32 v[70:71], v5 offset1:1
	;; [unrolled: 1-line block ×4, first 2 shown]
	v_mov_b32_e32 v4, s19
	s_sub_i32 s19, s16, 36
	s_add_i32 s17, s17, s19
	s_waitcnt lgkmcnt(14)
	v_mul_f32_e32 v37, v40, v37
	v_mov_b32_e32 v5, s24
	v_mov_b32_e32 v54, s30
	;; [unrolled: 1-line block ×3, first 2 shown]
	ds_read2_b32 v[76:77], v4 offset1:1
	ds_read2_b32 v[78:79], v5 offset1:1
	;; [unrolled: 1-line block ×4, first 2 shown]
	ds_write_b32 v36, v37
	v_mov_b32_e32 v36, s17
	s_addk_i32 s7, 0xfc40
	ds_read_b32 v55, v36
	v_fma_f32 v36, -v37, v43, v41
	s_add_i32 s17, s7, s18
	v_fma_f32 v88, -v37, v60, v15
	v_mul_f32_e32 v36, v36, v42
	v_mov_b32_e32 v15, s17
	s_add_i32 s17, s7, s21
	v_fma_f32 v85, -v37, v85, v33
	v_mov_b32_e32 v33, s17
	s_add_i32 s17, s7, s29
	s_waitcnt lgkmcnt(5)
	v_pk_mul_f32 v[40:41], v[36:37], v[76:77]
	v_fma_f32 v86, -v37, v86, v39
	v_mov_b32_e32 v39, s17
	s_add_i32 s17, s7, s37
	v_sub_f32_e32 v26, v26, v41
	s_sub_i32 s42, s42, 32
	v_fma_f32 v87, -v37, v58, v27
	v_mov_b32_e32 v42, s17
	v_sub_f32_e32 v89, v26, v40
	s_waitcnt lgkmcnt(4)
	v_pk_mul_f32 v[26:27], v[36:37], v[78:79]
	s_add_i32 s17, s7, s19
	s_add_i32 s7, s7, s16
	v_mov_b32_e32 v4, s42
	v_sub_f32_e32 v14, v14, v27
	s_add_i32 s16, s7, 0xffffffa0
	ds_read2_b32 v[4:5], v4 offset1:1
	v_sub_f32_e32 v90, v14, v26
	ds_read2_b32 v[40:41], v15 offset1:1
	ds_read2_b32 v[76:77], v33 offset1:1
	;; [unrolled: 1-line block ×4, first 2 shown]
	v_mov_b32_e32 v33, s16
	s_sub_i32 s16, s7, 40
	s_waitcnt lgkmcnt(8)
	v_pk_mul_f32 v[42:43], v[36:37], v[80:81]
	ds_read_b32 v39, v33
	v_sub_f32_e32 v43, v32, v43
	v_mov_b32_e32 v32, s16
	ds_read_b32 v60, v32
	s_waitcnt lgkmcnt(9)
	v_pk_mul_f32 v[32:33], v[36:37], v[82:83]
	s_add_i32 s18, s7, 0xffffff3c
	v_sub_f32_e32 v33, v38, v33
	v_sub_f32_e32 v82, v33, v32
	s_waitcnt lgkmcnt(5)
	v_pk_mul_f32 v[32:33], v[36:37], v[40:41]
	s_add_i32 s16, s7, 0xffffff98
	v_sub_f32_e32 v33, v34, v33
	v_sub_f32_e32 v83, v33, v32
	v_mov_b32_e32 v32, s18
	ds_read2_b32 v[32:33], v32 offset1:1
	v_mov_b32_e32 v38, s16
	s_add_i32 s16, s7, 0xffffff90
	s_waitcnt lgkmcnt(2)
	v_fma_f32 v80, -v37, v39, v35
	v_mov_b32_e32 v39, s16
	s_add_i32 s16, s7, 0xffffff88
	v_mov_b32_e32 v40, s16
	s_add_i32 s16, s7, 0xffffff34
	;; [unrolled: 2-line block ×3, first 2 shown]
	ds_write_b32 v52, v36
	v_mov_b32_e32 v35, s16
	s_waitcnt lgkmcnt(1)
	v_fma_f32 v24, -v37, v33, v24
	v_sub_f32_e32 v81, v43, v42
	ds_read2_b32 v[78:79], v34 offset1:1
	ds_read2_b32 v[34:35], v35 offset1:1
	v_fma_f32 v91, -v36, v32, v24
	ds_read2_b32 v[42:43], v38 offset1:1
	ds_read2_b32 v[38:39], v39 offset1:1
	;; [unrolled: 1-line block ×3, first 2 shown]
	v_mul_f32_e32 v40, v89, v69
	v_mov_b32_e32 v41, v36
	v_pk_mul_f32 v[70:71], v[40:41], v[70:71]
	v_pk_mul_f32 v[50:51], v[40:41], v[50:51]
	v_sub_f32_e32 v24, v87, v71
	v_sub_f32_e32 v69, v24, v70
	v_pk_mul_f32 v[70:71], v[40:41], v[72:73]
	s_waitcnt lgkmcnt(2)
	v_pk_mul_f32 v[42:43], v[40:41], v[42:43]
	v_sub_f32_e32 v24, v88, v71
	v_sub_f32_e32 v87, v24, v70
	v_pk_mul_f32 v[70:71], v[40:41], v[74:75]
	s_add_i32 s20, s7, 0xfffffee0
	v_sub_f32_e32 v24, v85, v71
	v_sub_f32_e32 v85, v24, v70
	;; [unrolled: 1-line block ×5, first 2 shown]
	v_mov_b32_e32 v41, s20
	s_add_i32 s20, s7, 0xfffffed8
	ds_read_b32 v41, v41
	v_sub_f32_e32 v80, v24, v42
	v_mov_b32_e32 v24, s20
	ds_read2_b32 v[42:43], v24 offset1:1
	s_add_i32 s20, s7, 0xfffffed0
	s_waitcnt lgkmcnt(1)
	v_fma_f32 v41, -v37, v41, v25
	v_mov_b32_e32 v24, s20
	s_add_i32 s20, s7, 0xfffffe7c
	s_waitcnt lgkmcnt(0)
	v_fma_f32 v41, -v36, v43, v41
	v_fma_f32 v88, -v40, v42, v41
	v_mul_f32_e32 v42, v69, v84
	v_mov_b32_e32 v43, v40
	v_pk_mul_f32 v[44:45], v[42:43], v[44:45]
	v_pk_mul_f32 v[46:47], v[42:43], v[46:47]
	v_sub_f32_e32 v45, v81, v45
	v_sub_f32_e32 v69, v45, v44
	v_pk_mul_f32 v[44:45], v[42:43], v[76:77]
	v_pk_mul_f32 v[48:49], v[42:43], v[48:49]
	v_sub_f32_e32 v45, v83, v45
	v_sub_f32_e32 v41, v90, v47
	;; [unrolled: 1-line block ×4, first 2 shown]
	v_pk_mul_f32 v[44:45], v[42:43], v[78:79]
	v_mov_b32_e32 v43, s20
	v_sub_f32_e32 v41, v41, v46
	v_sub_f32_e32 v81, v47, v48
	ds_read2_b32 v[46:47], v43 offset1:1
	s_add_i32 s20, s7, 0xfffffe74
	v_mov_b32_e32 v43, s20
	ds_read2_b32 v[48:49], v43 offset1:1
	s_add_i32 s20, s7, 0xfffffe20
	s_waitcnt lgkmcnt(1)
	v_fma_f32 v20, -v37, v47, v20
	v_fma_f32 v20, -v36, v46, v20
	v_sub_f32_e32 v43, v91, v45
	s_waitcnt lgkmcnt(0)
	v_fma_f32 v20, -v40, v49, v20
	v_fma_f32 v78, -v42, v48, v20
	v_mov_b32_e32 v20, s20
	s_add_i32 s20, s7, 0xfffffe18
	v_sub_f32_e32 v43, v43, v44
	ds_read_b32 v20, v20
	v_mov_b32_e32 v44, s20
	ds_read2_b32 v[44:45], v44 offset1:1
	s_add_i32 s20, s7, 0xfffffe10
	v_mov_b32_e32 v46, s20
	s_waitcnt lgkmcnt(1)
	v_fma_f32 v20, -v37, v20, v21
	ds_read2_b32 v[46:47], v46 offset1:1
	s_waitcnt lgkmcnt(1)
	v_fma_f32 v20, -v36, v45, v20
	s_add_i32 s20, s7, 0xfffffdbc
	v_fma_f32 v79, -v40, v44, v20
	v_mov_b32_e32 v20, s20
	s_add_i32 s20, s7, 0xfffffdb4
	ds_read2_b32 v[24:25], v24 offset1:1
	v_mov_b32_e32 v21, s20
	ds_read2_b32 v[44:45], v20 offset1:1
	ds_read2_b32 v[48:49], v21 offset1:1
	s_add_i32 s20, s7, 0xfffffdac
	v_mov_b32_e32 v20, s20
	s_add_i32 s20, s7, 0xfffffd60
	s_waitcnt lgkmcnt(1)
	v_fma_f32 v8, -v37, v45, v8
	v_fma_f32 v8, -v36, v44, v8
	v_mov_b32_e32 v44, s20
	ds_read2_b32 v[20:21], v20 offset1:1
	ds_read_b32 v44, v44
	s_add_i32 s20, s7, 0xfffffd58
	v_mov_b32_e32 v45, s20
	ds_read2_b32 v[50:51], v45 offset1:1
	s_waitcnt lgkmcnt(3)
	v_fma_f32 v8, -v40, v49, v8
	s_add_i32 s20, s7, 0xfffffd50
	v_fma_f32 v83, -v42, v48, v8
	s_waitcnt lgkmcnt(1)
	v_fma_f32 v8, -v37, v44, v9
	v_mov_b32_e32 v9, s20
	s_add_i32 s20, s7, 0xfffffd48
	v_mov_b32_e32 v44, s20
	s_add_i32 s20, s7, 0xfffffcfc
	ds_read2_b32 v[70:71], v9 offset1:1
	ds_read2_b32 v[44:45], v44 offset1:1
	s_waitcnt lgkmcnt(2)
	v_fma_f32 v8, -v36, v51, v8
	v_mov_b32_e32 v9, s20
	s_add_i32 s20, s7, 0xfffffcf4
	ds_read2_b32 v[48:49], v9 offset1:1
	v_fma_f32 v84, -v40, v50, v8
	v_mov_b32_e32 v8, s20
	s_add_i32 s20, s7, 0xfffffca0
	v_mov_b32_e32 v9, s20
	ds_read_b32 v74, v9
	s_add_i32 s20, s7, 0xfffffcec
	v_mov_b32_e32 v9, s20
	s_add_i32 s20, s7, 0xfffffce4
	v_mov_b32_e32 v75, s20
	s_waitcnt lgkmcnt(1)
	v_fma_f32 v2, -v37, v49, v2
	s_add_i32 s20, s7, 0xfffffc98
	v_fma_f32 v89, -v36, v48, v2
	v_mov_b32_e32 v2, s20
	ds_read2_b32 v[72:73], v8 offset1:1
	ds_read2_b32 v[50:51], v9 offset1:1
	;; [unrolled: 1-line block ×3, first 2 shown]
	s_waitcnt lgkmcnt(3)
	v_fma_f32 v37, -v37, v74, v3
	ds_read2_b32 v[74:75], v2 offset1:1
	s_add_i32 s20, s7, 0xfffffc90
	s_add_i32 s19, s7, 0xffffff74
	v_mov_b32_e32 v2, s20
	s_add_i32 s20, s7, 0xfffffc88
	v_mov_b32_e32 v3, s20
	s_add_i32 s20, s7, 0xfffffc80
	s_waitcnt lgkmcnt(0)
	v_fma_f32 v36, -v36, v75, v37
	v_mov_b32_e32 v37, s19
	s_add_i32 s19, s7, 0xffffff10
	v_add_u32_e32 v67, 0xffffffa0, v52
	v_mov_b32_e32 v90, s20
	ds_read2_b32 v[76:77], v2 offset1:1
	ds_read2_b32 v[48:49], v3 offset1:1
	;; [unrolled: 1-line block ×3, first 2 shown]
	ds_read_b32 v75, v37
	v_mov_b32_e32 v37, s19
	s_add_i32 s20, s7, 0xfffffeac
	ds_write_b32 v67, v40
	ds_read_b32 v67, v37
	v_mov_b32_e32 v37, s20
	s_add_i32 s20, s7, 0xfffffe48
	v_fma_f32 v36, -v40, v74, v36
	ds_read_b32 v74, v37
	v_fma_f32 v37, -v40, v73, v89
	v_mov_b32_e32 v40, s20
	ds_read_b32 v73, v40
	v_mul_f32_e32 v40, v41, v66
	v_mov_b32_e32 v41, v42
	s_add_i32 s24, s7, 0xfffffde4
	v_pk_mul_f32 v[30:31], v[40:41], v[30:31]
	v_add_u32_e32 v68, 0xffffff40, v52
	v_fma_f32 v72, -v42, v72, v37
	v_mov_b32_e32 v37, s24
	s_add_i32 s27, s7, 0xfffffd80
	v_sub_f32_e32 v31, v87, v31
	v_pk_mul_f32 v[28:29], v[40:41], v[28:29]
	ds_write_b32 v68, v42
	v_fma_f32 v47, -v42, v47, v79
	ds_read_b32 v79, v37
	v_fma_f32 v37, -v42, v71, v84
	s_waitcnt lgkmcnt(9)
	v_fma_f32 v36, -v42, v77, v36
	v_mov_b32_e32 v42, s27
	v_sub_f32_e32 v30, v31, v30
	v_sub_f32_e32 v29, v85, v29
	ds_read_b32 v66, v42
	v_sub_f32_e32 v42, v29, v28
	v_mul_f32_e32 v28, v30, v64
	v_mov_b32_e32 v29, v40
	v_pk_mul_f32 v[16:17], v[28:29], v[16:17]
	v_add_u32_e32 v65, 0xfffffee0, v52
	v_pk_mul_f32 v[18:19], v[28:29], v[18:19]
	v_sub_f32_e32 v17, v81, v17
	ds_write_b32 v65, v40
	v_sub_f32_e32 v19, v69, v19
	v_sub_f32_e32 v65, v17, v16
	v_pk_mul_f32 v[16:17], v[28:29], v[26:27]
	v_pk_mul_f32 v[22:23], v[40:41], v[22:23]
	v_sub_f32_e32 v64, v19, v18
	v_sub_f32_e32 v17, v82, v17
	s_add_i32 s49, s7, 0xfffffe6c
	v_sub_f32_e32 v23, v86, v23
	s_add_i32 s55, s7, 0xfffffcb8
	v_sub_f32_e32 v69, v17, v16
	v_pk_mul_f32 v[16:17], v[28:29], v[34:35]
	v_mul_f32_e32 v34, v64, v63
	v_mov_b32_e32 v35, v28
	v_sub_f32_e32 v85, v23, v22
	v_mov_b32_e32 v22, s55
	v_mov_b32_e32 v18, s49
	v_pk_mul_f32 v[12:13], v[34:35], v[12:13]
	ds_read_b32 v86, v22
	v_pk_mul_f32 v[22:23], v[40:41], v[38:39]
	v_fma_f32 v46, -v40, v46, v47
	v_fma_f32 v47, -v40, v70, v37
	;; [unrolled: 1-line block ×3, first 2 shown]
	ds_read2_b32 v[18:19], v18 offset1:1
	v_sub_f32_e32 v13, v42, v13
	v_sub_f32_e32 v23, v80, v23
	v_fma_f32 v51, -v40, v51, v72
	v_sub_f32_e32 v17, v43, v17
	v_fma_f32 v43, -v28, v45, v47
	s_waitcnt lgkmcnt(12)
	v_fma_f32 v45, -v28, v49, v70
	v_sub_f32_e32 v49, v13, v12
	s_add_i32 s18, s7, 0xffffff80
	v_sub_f32_e32 v80, v23, v22
	v_pk_mul_f32 v[22:23], v[40:41], v[24:25]
	v_fma_f32 v50, -v28, v50, v51
	v_fma_f32 v51, -v34, v48, v45
	v_mul_f32_e32 v48, v49, v61
	v_mov_b32_e32 v49, v34
	s_add_i32 s47, s7, 0xffffff24
	v_sub_f32_e32 v23, v88, v23
	v_mov_b32_e32 v24, s18
	v_pk_mul_f32 v[6:7], v[48:49], v[6:7]
	s_add_i32 s48, s7, 0xfffffec8
	v_sub_f32_e32 v88, v23, v22
	v_mov_b32_e32 v22, s17
	ds_read2_b32 v[36:37], v24 offset1:1
	v_mov_b32_e32 v24, s47
	s_add_i32 s17, s7, 0xfffffc70
	v_sub_f32_e32 v7, v65, v7
	s_add_i32 s27, s7, 0xfffffd1c
	s_add_i32 s55, s7, 0xfffffc78
	ds_read2_b32 v[38:39], v24 offset1:1
	v_mov_b32_e32 v24, s48
	v_mov_b32_e32 v25, s17
	s_add_i32 s17, s7, 0xfffffc68
	v_sub_f32_e32 v81, v17, v16
	s_waitcnt lgkmcnt(2)
	v_pk_mul_f32 v[16:17], v[28:29], v[18:19]
	v_pk_mul_f32 v[10:11], v[34:35], v[10:11]
	v_fma_f32 v9, -v34, v9, v50
	v_sub_f32_e32 v50, v7, v6
	v_add_u32_e32 v62, 0xfffffe80, v52
	v_mov_b32_e32 v31, s27
	v_fma_f32 v21, -v40, v21, v83
	ds_read2_b32 v[40:41], v24 offset1:1
	v_mov_b32_e32 v24, s55
	v_mov_b32_e32 v72, s17
	s_add_i32 s17, s7, 0xfffffc60
	v_sub_f32_e32 v17, v78, v17
	v_sub_f32_e32 v11, v85, v11
	v_fma_f32 v3, -v48, v3, v51
	v_mul_f32_e32 v50, v50, v57
	v_mov_b32_e32 v51, v48
	ds_read_b32 v77, v31
	ds_read2_b32 v[22:23], v22 offset1:1
	v_mov_b32_e32 v76, s17
	v_sub_f32_e32 v78, v17, v16
	ds_read2_b32 v[30:31], v24 offset1:1
	ds_read2_b32 v[26:27], v25 offset1:1
	;; [unrolled: 1-line block ×4, first 2 shown]
	ds_write_b32 v62, v28
	v_sub_f32_e32 v62, v11, v10
	v_pk_mul_f32 v[4:5], v[50:51], v[4:5]
	s_add_i32 s29, s7, 0xfffffec0
	v_sub_f32_e32 v5, v62, v5
	v_sub_f32_e32 v61, v5, v4
	v_mov_b32_e32 v4, s29
	v_pk_mul_f32 v[32:33], v[34:35], v[32:33]
	ds_read2_b32 v[4:5], v4 offset1:1
	s_add_i32 s43, s7, 0xfffffe08
	v_sub_f32_e32 v33, v80, v33
	v_sub_f32_e32 v63, v33, v32
	v_mov_b32_e32 v32, s43
	ds_read2_b32 v[32:33], v32 offset1:1
	s_waitcnt lgkmcnt(9)
	v_pk_mul_f32 v[40:41], v[34:35], v[40:41]
	v_pk_mul_f32 v[36:37], v[50:51], v[36:37]
	v_sub_f32_e32 v41, v88, v41
	v_sub_f32_e32 v64, v41, v40
	s_waitcnt lgkmcnt(1)
	v_pk_mul_f32 v[4:5], v[50:51], v[4:5]
	s_add_i32 s30, s7, 0xfffffe00
	s_add_i32 s45, s7, 0xfffffde8
	;; [unrolled: 1-line block ×4, first 2 shown]
	v_pk_mul_f32 v[38:39], v[48:49], v[38:39]
	v_sub_f32_e32 v37, v63, v37
	v_sub_f32_e32 v5, v64, v5
	s_add_i32 s51, s7, 0xfffffd28
	v_mov_b32_e32 v42, s45
	v_mov_b32_e32 v6, s41
	v_pk_mul_f32 v[14:15], v[48:49], v[14:15]
	v_sub_f32_e32 v39, v81, v39
	v_sub_f32_e32 v81, v37, v36
	v_mov_b32_e32 v36, s30
	v_sub_f32_e32 v82, v5, v4
	v_mov_b32_e32 v4, s33
	v_add_u32_e32 v59, 0xfffffe20, v52
	s_add_i32 s35, s7, 0xfffffe64
	s_add_i32 s42, s7, 0xfffffe4c
	;; [unrolled: 1-line block ×4, first 2 shown]
	ds_read2_b32 v[10:11], v42 offset1:1
	ds_read2_b32 v[36:37], v36 offset1:1
	v_mov_b32_e32 v42, s51
	s_waitcnt lgkmcnt(2)
	v_pk_mul_f32 v[32:33], v[34:35], v[32:33]
	ds_read2_b32 v[6:7], v6 offset1:1
	ds_read2_b32 v[4:5], v4 offset1:1
	v_sub_f32_e32 v15, v69, v15
	ds_read2_b32 v[40:41], v42 offset1:1
	v_mov_b32_e32 v42, s42
	v_sub_f32_e32 v33, v46, v33
	v_mov_b32_e32 v35, s44
	ds_write_b32 v59, v34
	v_sub_f32_e32 v59, v15, v14
	v_mov_b32_e32 v14, s35
	v_sub_f32_e32 v69, v39, v38
	v_mov_b32_e32 v38, s37
	v_sub_f32_e32 v70, v33, v32
	ds_read2_b32 v[32:33], v42 offset1:1
	v_fma_f32 v76, -v34, v44, v43
	ds_read2_b32 v[42:43], v35 offset1:1
	ds_read2_b32 v[38:39], v38 offset1:1
	ds_read2_b32 v[14:15], v14 offset1:1
	s_add_i32 s25, s7, 0xffffff1c
	s_waitcnt lgkmcnt(6)
	v_pk_mul_f32 v[4:5], v[50:51], v[4:5]
	v_mov_b32_e32 v62, s25
	v_sub_f32_e32 v5, v76, v5
	v_add_u32_e32 v56, 0xfffffdc0, v52
	s_add_i32 s16, s7, 0xffffff78
	s_add_i32 s46, s7, 0xfffffccc
	v_fma_f32 v72, -v28, v20, v21
	s_waitcnt lgkmcnt(0)
	v_pk_mul_f32 v[14:15], v[48:49], v[14:15]
	v_pk_mul_f32 v[38:39], v[48:49], v[38:39]
	v_pk_mul_f32 v[36:37], v[50:51], v[36:37]
	v_sub_f32_e32 v76, v5, v4
	ds_read2_b32 v[4:5], v62 offset1:1
	v_mul_f32_e32 v62, v61, v55
	v_mov_b32_e32 v63, v50
	v_add_u32_e32 v53, 0xfffffd60, v52
	s_add_i32 s31, s7, 0xffffff14
	s_add_i32 s19, s7, 0xfffffeb8
	;; [unrolled: 1-line block ×15, first 2 shown]
	v_mov_b32_e32 v35, s46
	v_sub_f32_e32 v15, v78, v15
	v_sub_f32_e32 v39, v72, v39
	ds_write_b32 v56, v48
	v_mov_b32_e32 v56, s16
	v_sub_f32_e32 v37, v70, v37
	v_pk_mul_f32 v[22:23], v[62:63], v[22:23]
	v_mov_b32_e32 v18, s54
	v_mov_b32_e32 v20, s52
	;; [unrolled: 1-line block ×4, first 2 shown]
	ds_read2_b32 v[44:45], v35 offset1:1
	v_mov_b32_e32 v35, s38
	v_mov_b32_e32 v34, s39
	v_sub_f32_e32 v78, v15, v14
	v_mov_b32_e32 v14, s31
	v_sub_f32_e32 v72, v39, v38
	v_mov_b32_e32 v38, s34
	v_fma_f32 v80, -v48, v8, v9
	v_mov_b32_e32 v8, s36
	v_mov_b32_e32 v49, s40
	v_sub_f32_e32 v70, v37, v36
	ds_read2_b32 v[36:37], v56 offset1:1
	v_mov_b32_e32 v56, s28
	v_mov_b32_e32 v51, s19
	v_fma_f32 v83, -v50, v2, v3
	v_mov_b32_e32 v64, s21
	ds_write_b32 v53, v50
	v_mov_b32_e32 v53, s24
	v_mov_b32_e32 v50, s27
	v_sub_f32_e32 v23, v59, v23
	ds_read2_b32 v[18:19], v18 offset1:1
	ds_read2_b32 v[20:21], v20 offset1:1
	;; [unrolled: 1-line block ×13, first 2 shown]
	v_sub_f32_e32 v59, v23, v22
	ds_read2_b32 v[22:23], v53 offset1:1
	ds_read2_b32 v[64:65], v64 offset1:1
	s_add_i32 s20, s7, 0xfffffdf8
	v_add_u32_e32 v54, 0xfffffd00, v52
	v_mov_b32_e32 v53, s20
	ds_write_b32 v54, v62
	s_waitcnt lgkmcnt(5)
	v_pk_mul_f32 v[50:51], v[62:63], v[50:51]
	s_waitcnt lgkmcnt(2)
	v_pk_mul_f32 v[22:23], v[62:63], v[22:23]
	;; [unrolled: 2-line block ×3, first 2 shown]
	v_pk_mul_f32 v[4:5], v[62:63], v[4:5]
	v_mov_b32_e32 v61, v62
	ds_read2_b32 v[62:63], v53 offset1:1
	v_mul_f32_e32 v60, v59, v60
	v_sub_f32_e32 v5, v69, v5
	v_sub_f32_e32 v53, v5, v4
	v_pk_mul_f32 v[4:5], v[60:61], v[36:37]
	v_sub_f32_e32 v23, v72, v23
	v_sub_f32_e32 v5, v81, v5
	;; [unrolled: 1-line block ×4, first 2 shown]
	v_pk_mul_f32 v[2:3], v[60:61], v[2:3]
	v_sub_f32_e32 v54, v55, v54
	s_waitcnt lgkmcnt(0)
	v_pk_mul_f32 v[36:37], v[60:61], v[62:63]
	v_sub_f32_e32 v55, v23, v22
	v_pk_mul_f32 v[22:23], v[60:61], v[56:57]
	v_mul_f32_e32 v4, v4, v75
	v_mov_b32_e32 v5, v60
	v_sub_f32_e32 v51, v80, v51
	v_sub_f32_e32 v3, v82, v3
	;; [unrolled: 1-line block ×4, first 2 shown]
	v_pk_mul_f32 v[14:15], v[4:5], v[14:15]
	v_pk_mul_f32 v[30:31], v[60:61], v[30:31]
	v_sub_f32_e32 v50, v51, v50
	v_sub_f32_e32 v15, v53, v15
	;; [unrolled: 1-line block ×3, first 2 shown]
	v_pk_mul_f32 v[2:3], v[4:5], v[38:39]
	v_sub_f32_e32 v36, v37, v36
	v_pk_mul_f32 v[8:9], v[4:5], v[8:9]
	v_sub_f32_e32 v37, v23, v22
	;; [unrolled: 2-line block ×3, first 2 shown]
	v_sub_f32_e32 v30, v5, v30
	v_sub_f32_e32 v5, v15, v14
	v_add_u32_e32 v90, 0xfffffc40, v52
	v_mul_f32_e32 v14, v5, v67
	v_mov_b32_e32 v15, v4
	ds_write_b32 v90, v4
	v_pk_mul_f32 v[4:5], v[14:15], v[46:47]
	v_sub_f32_e32 v3, v54, v3
	v_sub_f32_e32 v5, v51, v5
	;; [unrolled: 1-line block ×3, first 2 shown]
	v_add_u32_e32 v58, 0xfffffca0, v52
	v_add_u32_e32 v68, 0xfffffbe0, v52
	v_sub_f32_e32 v9, v55, v9
	v_sub_f32_e32 v31, v3, v2
	v_pk_mul_f32 v[2:3], v[14:15], v[34:35]
	v_pk_mul_f32 v[6:7], v[14:15], v[6:7]
	v_mul_f32_e32 v4, v4, v74
	v_mov_b32_e32 v5, v14
	ds_write_b32 v58, v60
	v_sub_f32_e32 v23, v50, v23
	v_sub_f32_e32 v3, v36, v3
	;; [unrolled: 1-line block ×4, first 2 shown]
	ds_write_b32 v68, v14
	v_pk_mul_f32 v[8:9], v[4:5], v[32:33]
	v_pk_mul_f32 v[14:15], v[14:15], v[26:27]
	v_sub_f32_e32 v22, v23, v22
	v_sub_f32_e32 v9, v31, v9
	;; [unrolled: 1-line block ×3, first 2 shown]
	v_pk_mul_f32 v[2:3], v[4:5], v[42:43]
	v_sub_f32_e32 v31, v7, v6
	v_pk_mul_f32 v[6:7], v[4:5], v[44:45]
	v_sub_f32_e32 v5, v30, v15
	v_sub_f32_e32 v14, v5, v14
	;; [unrolled: 1-line block ×3, first 2 shown]
	v_add_u32_e32 v91, 0xfffffb80, v52
	v_mul_f32_e32 v8, v5, v73
	v_mov_b32_e32 v9, v4
	ds_write_b32 v91, v4
	v_pk_mul_f32 v[4:5], v[8:9], v[10:11]
	v_sub_f32_e32 v3, v34, v3
	v_sub_f32_e32 v5, v23, v5
	;; [unrolled: 1-line block ×3, first 2 shown]
	v_add_u32_e32 v89, 0xfffffb20, v52
	v_sub_f32_e32 v7, v22, v7
	v_sub_f32_e32 v10, v3, v2
	v_pk_mul_f32 v[2:3], v[8:9], v[40:41]
	v_mul_f32_e32 v4, v4, v79
	v_mov_b32_e32 v5, v8
	v_sub_f32_e32 v3, v31, v3
	v_sub_f32_e32 v11, v7, v6
	ds_write_b32 v89, v8
	v_pk_mul_f32 v[6:7], v[4:5], v[28:29]
	v_pk_mul_f32 v[8:9], v[8:9], v[24:25]
	v_sub_f32_e32 v7, v10, v7
	v_sub_f32_e32 v10, v3, v2
	v_pk_mul_f32 v[2:3], v[4:5], v[12:13]
	v_sub_f32_e32 v5, v14, v9
	v_sub_f32_e32 v8, v5, v8
	;; [unrolled: 1-line block ×3, first 2 shown]
	v_add_u32_e32 v92, 0xfffffac0, v52
	v_mul_f32_e32 v6, v5, v66
	v_mov_b32_e32 v7, v4
	ds_write_b32 v92, v4
	v_pk_mul_f32 v[4:5], v[6:7], v[20:21]
	v_sub_f32_e32 v3, v11, v3
	v_sub_f32_e32 v5, v10, v5
	;; [unrolled: 1-line block ×4, first 2 shown]
	v_mul_f32_e32 v2, v2, v77
	v_mov_b32_e32 v3, v6
	v_pk_mul_f32 v[4:5], v[2:3], v[18:19]
	v_add_u32_e32 v71, 0xfffffa60, v52
	v_sub_f32_e32 v3, v9, v5
	s_add_i32 s17, s7, 0xfffffc58
	ds_write_b32 v71, v6
	v_pk_mul_f32 v[6:7], v[6:7], v[16:17]
	v_sub_f32_e32 v3, v3, v4
	v_sub_f32_e32 v5, v8, v7
	v_mul_f32_e32 v4, v3, v86
	v_mov_b32_e32 v3, s17
	v_sub_f32_e32 v8, v5, v6
	ds_read2_b32 v[6:7], v3 offset1:1
	s_addk_i32 s7, 0xfc54
	v_mov_b32_e32 v3, s7
	ds_read_b32 v9, v3
	v_add_u32_e32 v84, 0xfffffa00, v52
	v_mov_b32_e32 v5, v2
	ds_write_b32 v84, v2
	s_waitcnt lgkmcnt(2)
	v_pk_mul_f32 v[2:3], v[4:5], v[6:7]
	v_add_u32_e32 v87, 0xfffff9a0, v52
	v_sub_f32_e32 v3, v8, v3
	v_sub_f32_e32 v2, v3, v2
	s_waitcnt lgkmcnt(1)
	v_mul_f32_e32 v2, v2, v9
	v_add_u32_e32 v3, 0xfffff940, v52
	s_sub_i32 s5, s5, 20
	ds_write_b32 v87, v4
	ds_write_b32 v3, v2
.LBB28_28:
	s_cmp_lt_i32 s5, 0
	s_cbranch_scc1 .LBB28_41
; %bb.29:
	s_bitcmp1_b32 s5, 0
	s_cselect_b64 s[16:17], -1, 0
	s_and_b64 vcc, exec, s[16:17]
	s_mov_b32 s7, s5
	s_cbranch_vccnz .LBB28_34
; %bb.30:
	s_mul_i32 s7, s5, 0x60
	v_add_u32_e32 v3, s7, v1
	ds_read_b32 v2, v3
	s_cmp_le_i32 s4, s5
	s_cbranch_scc1 .LBB28_33
; %bb.31:
	s_lshl_b32 s16, s26, 2
	s_add_i32 s7, s7, s16
	s_mul_i32 s16, s26, 0x60
	v_lshl_add_u32 v4, v0, 2, s16
	s_add_i32 s7, s7, -4
	v_add_u32_e32 v4, 0x8a0, v4
	s_mov_b32 s16, s4
.LBB28_32:                              ; =>This Inner Loop Header: Depth=1
	v_mov_b32_e32 v6, s7
	ds_read_b32 v5, v4
	ds_read_b32 v6, v6
	s_add_i32 s16, s16, -1
	s_add_i32 s7, s7, -4
	v_add_u32_e32 v4, 0xffffffa0, v4
	s_cmp_gt_i32 s16, s5
	s_waitcnt lgkmcnt(0)
	v_fma_f32 v2, -v5, v6, v2
	s_cbranch_scc1 .LBB28_32
.LBB28_33:
	s_mul_i32 s7, s5, 0x64
	v_mov_b32_e32 v4, s7
	ds_read_b32 v4, v4
	s_add_i32 s7, s5, -1
	s_waitcnt lgkmcnt(0)
	v_mul_f32_e32 v2, v2, v4
	ds_write_b32 v3, v2
.LBB28_34:
	s_cmp_eq_u32 s5, 0
	s_cbranch_scc1 .LBB28_41
; %bb.35:
	s_mul_i32 s5, s7, 0x60
	s_lshl_b32 s16, s26, 2
	s_mul_i32 s17, s26, 0x60
	s_add_i32 s16, s5, s16
	v_lshl_add_u32 v2, v0, 2, s17
	s_add_i32 s5, s16, -4
	v_add_u32_e32 v3, 0x8a0, v2
	s_addk_i32 s16, 0xff9c
	s_branch .LBB28_37
.LBB28_36:                              ;   in Loop: Header=BB28_37 Depth=1
	s_addk_i32 s17, 0xff9c
	v_mov_b32_e32 v2, s17
	ds_read_b32 v2, v2
	s_add_i32 s17, s7, -2
	s_addk_i32 s5, 0xff40
	s_addk_i32 s16, 0xff40
	s_cmp_lt_i32 s7, 2
	s_waitcnt lgkmcnt(0)
	v_mul_f32_e32 v2, v4, v2
	s_mov_b32 s7, s17
	ds_write_b32 v5, v2
	s_cbranch_scc1 .LBB28_41
.LBB28_37:                              ; =>This Loop Header: Depth=1
                                        ;     Child Loop BB28_38 Depth 2
                                        ;     Child Loop BB28_40 Depth 2
	s_mul_i32 s18, s7, 0x60
	v_add_u32_e32 v6, s18, v1
	ds_read_b32 v2, v6
	s_cmp_le_i32 s4, s7
	v_mov_b32_e32 v4, v3
	s_mov_b32 s17, s5
	s_mov_b32 s19, s4
	s_cbranch_scc1 .LBB28_39
.LBB28_38:                              ;   Parent Loop BB28_37 Depth=1
                                        ; =>  This Inner Loop Header: Depth=2
	v_mov_b32_e32 v7, s17
	ds_read_b32 v5, v4
	ds_read_b32 v7, v7
	s_add_i32 s19, s19, -1
	s_add_i32 s17, s17, -4
	v_add_u32_e32 v4, 0xffffffa0, v4
	s_cmp_gt_i32 s19, s7
	s_waitcnt lgkmcnt(0)
	v_fma_f32 v2, -v5, v7, v2
	s_cbranch_scc1 .LBB28_38
.LBB28_39:                              ;   in Loop: Header=BB28_37 Depth=1
	s_mul_i32 s17, s7, 0x64
	v_mov_b32_e32 v4, s17
	ds_read_b32 v7, v4
	s_addk_i32 s18, 0xffa0
	v_add_u32_e32 v5, s18, v1
	ds_read_b32 v4, v5
	s_cmp_le_i32 s26, s7
	s_waitcnt lgkmcnt(1)
	v_mul_f32_e32 v2, v2, v7
	ds_write_b32 v6, v2
	v_mov_b32_e32 v2, v3
	s_mov_b32 s18, s16
	s_mov_b32 s19, s26
	s_cbranch_scc1 .LBB28_36
.LBB28_40:                              ;   Parent Loop BB28_37 Depth=1
                                        ; =>  This Inner Loop Header: Depth=2
	v_mov_b32_e32 v7, s18
	ds_read_b32 v6, v2
	ds_read_b32 v7, v7
	s_add_i32 s19, s19, -1
	s_add_i32 s18, s18, -4
	v_add_u32_e32 v2, 0xffffffa0, v2
	s_cmp_gt_i32 s19, s7
	s_waitcnt lgkmcnt(0)
	v_fma_f32 v4, -v6, v7, v4
	s_cbranch_scc1 .LBB28_40
	s_branch .LBB28_36
.LBB28_41:
	s_mov_b64 s[4:5], 0
.LBB28_42:
	s_and_b64 vcc, exec, s[4:5]
	s_cbranch_vccz .LBB28_56
; %bb.43:
	s_cmp_gt_i32 s6, 23
	s_cselect_b64 s[4:5], -1, 0
	s_mov_b32 s7, 0
	s_and_b64 vcc, exec, s[4:5]
	s_cbranch_vccz .LBB28_45
; %bb.44:
	v_add_u32_e32 v86, 0x200, v1
	v_add_u32_e32 v84, 0x400, v1
	v_mov_b32_e32 v85, 0
	ds_read2_b32 v[18:19], v1 offset1:24
	ds_read2_b32 v[54:55], v1 offset0:48 offset1:72
	ds_read2_b32 v[56:57], v1 offset0:96 offset1:120
	ds_read2_b32 v[58:59], v1 offset0:144 offset1:168
	ds_read2_b32 v[62:63], v1 offset0:192 offset1:216
	ds_read2_b32 v[64:65], v86 offset0:112 offset1:136
	ds_read2_b32 v[72:73], v84 offset0:32 offset1:56
	ds_read2_b32 v[40:41], v84 offset0:80 offset1:104
	ds_read2_b32 v[38:39], v84 offset0:128 offset1:152
	ds_read_b128 v[34:37], v85
	ds_read_b128 v[30:33], v85 offset:16
	ds_read_b128 v[26:29], v85 offset:32
	;; [unrolled: 1-line block ×3, first 2 shown]
	ds_read2_b64 v[2:5], v85 offset0:25 offset1:26
	ds_read2_b32 v[78:79], v85 offset0:25 offset1:26
	ds_read2_b32 v[66:67], v85 offset0:27 offset1:28
	;; [unrolled: 1-line block ×4, first 2 shown]
	ds_read2_b64 v[10:13], v85 offset0:27 offset1:28
	ds_read2_b32 v[60:61], v85 offset0:75 offset1:76
	ds_read_b128 v[14:17], v85 offset:400
	ds_read_b128 v[6:9], v85 offset:416
	ds_read2_b32 v[80:81], v85 offset0:33 offset1:34
	ds_read2_b32 v[50:51], v85 offset0:77 offset1:78
	;; [unrolled: 1-line block ×5, first 2 shown]
	s_waitcnt lgkmcnt(14)
	v_mul_f32_e32 v48, v18, v34
	s_waitcnt lgkmcnt(13)
	v_mov_b32_e32 v69, v3
	v_fma_f32 v3, -v48, v35, v19
	v_mov_b32_e32 v70, v36
	v_mov_b32_e32 v36, v4
	s_waitcnt lgkmcnt(10)
	v_mov_b32_e32 v4, v74
	v_mov_b32_e32 v74, v32
	s_waitcnt lgkmcnt(6)
	v_mov_b32_e32 v52, v16
	s_waitcnt lgkmcnt(3)
	v_mov_b32_e32 v82, v50
	v_mov_b32_e32 v50, v10
	;; [unrolled: 1-line block ×4, first 2 shown]
	s_waitcnt lgkmcnt(2)
	v_mov_b32_e32 v16, v44
	v_mov_b32_e32 v44, v12
	;; [unrolled: 1-line block ×4, first 2 shown]
	v_mul_f32_e32 v49, v3, v78
	v_mov_b32_e32 v71, v79
	v_mov_b32_e32 v68, v66
	v_mov_b32_e32 v66, v30
	v_fma_f32 v53, -v48, v31, v57
	v_fma_f32 v79, -v48, v33, v59
	;; [unrolled: 1-line block ×3, first 2 shown]
	v_pk_mul_f32 v[28:29], v[48:49], v[80:81]
	v_pk_mul_f32 v[30:31], v[48:49], v[76:77]
	;; [unrolled: 1-line block ×3, first 2 shown]
	v_sub_f32_e32 v3, v64, v28
	v_sub_f32_e32 v28, v62, v30
	;; [unrolled: 1-line block ×3, first 2 shown]
	v_pk_mul_f32 v[58:59], v[48:49], v[70:71]
	v_fma_f32 v83, -v48, v27, v63
	v_sub_f32_e32 v32, v54, v58
	v_pk_mul_f32 v[62:63], v[48:49], v[66:67]
	ds_read2_b32 v[34:35], v85 offset0:37 offset1:38
	ds_read2_b32 v[26:27], v85 offset0:39 offset1:40
	v_sub_f32_e32 v32, v32, v59
	v_sub_f32_e32 v56, v56, v62
	ds_read2_b64 v[18:21], v85 offset0:45 offset1:46
	ds_read2_b32 v[88:89], v85 offset0:35 offset1:36
	v_sub_f32_e32 v70, v56, v63
	v_sub_f32_e32 v71, v30, v33
	;; [unrolled: 1-line block ×4, first 2 shown]
	v_mul_f32_e32 v29, v32, v2
	v_mov_b32_e32 v28, v49
	ds_read2_b64 v[30:33], v85 offset0:31 offset1:32
	ds_read_b128 v[62:65], v85 offset:64
	v_fma_f32 v37, -v48, v37, v55
	v_pk_mul_f32 v[2:3], v[28:29], v[68:69]
	v_fma_f32 v57, -v48, v22, v72
	v_sub_f32_e32 v2, v37, v2
	v_sub_f32_e32 v2, v2, v3
	v_fma_f32 v3, -v48, v24, v40
	s_waitcnt lgkmcnt(5)
	v_fma_f32 v3, -v49, v35, v3
	v_fma_f32 v24, -v48, v25, v41
	s_waitcnt lgkmcnt(1)
	v_fma_f32 v3, -v29, v30, v3
	;; [unrolled: 3-line block ×3, first 2 shown]
	v_fma_f32 v72, -v48, v23, v73
	ds_read2_b32 v[22:23], v85 offset0:127 offset1:128
	ds_read2_b32 v[54:55], v85 offset0:129 offset1:130
	;; [unrolled: 1-line block ×3, first 2 shown]
	v_fma_f32 v35, -v49, v27, v24
	ds_read2_b32 v[40:41], v85 offset0:41 offset1:42
	ds_read2_b64 v[24:27], v85 offset0:43 offset1:44
	v_fma_f32 v30, -v29, v31, v30
	v_fma_f32 v31, -v29, v32, v35
	;; [unrolled: 1-line block ×3, first 2 shown]
	s_waitcnt lgkmcnt(1)
	v_fma_f32 v32, -v49, v40, v32
	v_fma_f32 v32, -v29, v33, v32
	v_mul_f32_e32 v35, v2, v60
	s_waitcnt lgkmcnt(0)
	v_fma_f32 v39, -v35, v24, v3
	v_fma_f32 v76, -v35, v25, v30
	;; [unrolled: 1-line block ×4, first 2 shown]
	ds_read2_b64 v[24:27], v85 offset0:29 offset1:30
	v_mov_b32_e32 v40, v22
	v_mov_b32_e32 v22, v6
	v_mov_b32_e32 v6, v42
	v_fma_f32 v77, -v49, v89, v57
	v_pk_mul_f32 v[4:5], v[28:29], v[4:5]
	ds_read2_b32 v[56:57], v85 offset0:45 offset1:46
	s_waitcnt lgkmcnt(1)
	v_mov_b32_e32 v42, v24
	v_mov_b32_e32 v24, v88
	;; [unrolled: 1-line block ×3, first 2 shown]
	v_fma_f32 v2, -v49, v34, v72
	v_pk_mul_f32 v[60:61], v[28:29], v[24:25]
	v_pk_mul_f32 v[10:11], v[28:29], v[10:11]
	v_sub_f32_e32 v4, v53, v4
	v_fma_f32 v78, -v29, v27, v2
	v_pk_mul_f32 v[2:3], v[28:29], v[12:13]
	v_sub_f32_e32 v28, v4, v5
	v_sub_f32_e32 v4, v79, v10
	;; [unrolled: 1-line block ×3, first 2 shown]
	v_mov_b32_e32 v34, v29
	v_sub_f32_e32 v53, v4, v11
	v_sub_f32_e32 v80, v10, v61
	v_pk_mul_f32 v[10:11], v[34:35], v[36:37]
	ds_read2_b64 v[30:33], v85 offset0:75 offset1:76
	v_sub_f32_e32 v10, v70, v10
	v_sub_f32_e32 v70, v10, v11
	v_pk_mul_f32 v[10:11], v[34:35], v[50:51]
	v_sub_f32_e32 v2, v83, v2
	v_sub_f32_e32 v10, v71, v10
	v_sub_f32_e32 v81, v10, v11
	v_pk_mul_f32 v[10:11], v[34:35], v[44:45]
	v_sub_f32_e32 v79, v2, v3
	v_sub_f32_e32 v10, v74, v10
	;; [unrolled: 1-line block ×3, first 2 shown]
	ds_read2_b32 v[10:11], v84 offset0:176 offset1:200
	ds_read2_b64 v[2:5], v85 offset0:33 offset1:34
	ds_read_b128 v[60:63], v85 offset:432
	v_pk_mul_f32 v[12:13], v[34:35], v[42:43]
	ds_read2_b32 v[66:67], v85 offset0:43 offset1:44
	v_sub_f32_e32 v12, v75, v12
	v_sub_f32_e32 v75, v12, v13
	s_waitcnt lgkmcnt(3)
	v_fma_f32 v44, -v48, v64, v10
	v_fma_f32 v45, -v48, v65, v11
	ds_read_b128 v[10:13], v85 offset:448
	v_mov_b32_e32 v38, v32
	v_mov_b32_e32 v32, v54
	;; [unrolled: 1-line block ×5, first 2 shown]
	ds_read_b128 v[24:27], v85 offset:80
	v_mul_f32_e32 v51, v70, v14
	v_fma_f32 v14, -v49, v41, v44
	ds_read2_b32 v[36:37], v84 offset0:224 offset1:248
	s_waitcnt lgkmcnt(5)
	v_fma_f32 v2, -v29, v2, v14
	v_fma_f32 v2, -v35, v18, v2
	s_waitcnt lgkmcnt(2)
	v_fma_f32 v87, -v51, v12, v2
	v_fma_f32 v2, -v49, v66, v45
	;; [unrolled: 1-line block ×5, first 2 shown]
	s_waitcnt lgkmcnt(0)
	v_fma_f32 v2, -v48, v24, v36
	v_fma_f32 v2, -v49, v67, v2
	;; [unrolled: 1-line block ×5, first 2 shown]
	v_pk_mul_f32 v[42:43], v[34:35], v[46:47]
	v_fma_f32 v41, -v51, v10, v68
	v_fma_f32 v46, -v51, v11, v69
	ds_read2_b64 v[10:13], v85 offset0:77 offset1:78
	ds_read2_b32 v[44:45], v85 offset0:133 offset1:134
	v_fma_f32 v37, -v29, v5, v2
	ds_read2_b32 v[18:19], v85 offset0:179 offset1:180
	ds_read_b128 v[2:5], v85 offset:800
	v_mov_b32_e32 v83, v15
	v_mov_b32_e32 v50, v35
	v_sub_f32_e32 v34, v77, v42
	v_pk_mul_f32 v[24:25], v[50:51], v[8:9]
	v_pk_mul_f32 v[8:9], v[50:51], v[82:83]
	v_sub_f32_e32 v77, v34, v43
	s_waitcnt lgkmcnt(2)
	v_mov_b32_e32 v45, v13
	s_waitcnt lgkmcnt(0)
	v_mov_b32_e32 v34, v4
	v_mov_b32_e32 v4, v18
	;; [unrolled: 1-line block ×3, first 2 shown]
	v_pk_mul_f32 v[18:19], v[50:51], v[16:17]
	v_pk_mul_f32 v[6:7], v[50:51], v[6:7]
	v_sub_f32_e32 v8, v28, v8
	v_sub_f32_e32 v28, v8, v9
	;; [unrolled: 1-line block ×7, first 2 shown]
	ds_read2_b64 v[6:9], v85 offset0:67 offset1:68
	v_sub_f32_e32 v69, v18, v25
	ds_read2_b32 v[18:19], v85 offset0:125 offset1:126
	ds_read2_b32 v[72:73], v85 offset0:85 offset1:86
	ds_read_b32 v56, v85 offset:188
	ds_read2_b32 v[42:43], v85 offset0:177 offset1:178
	ds_read2_b64 v[14:17], v85 offset0:79 offset1:80
	s_waitcnt lgkmcnt(3)
	v_mov_b32_e32 v73, v61
	v_mov_b32_e32 v61, v59
	v_mul_f32_e32 v65, v28, v18
	v_mov_b32_e32 v64, v51
	v_pk_mul_f32 v[24:25], v[50:51], v[72:73]
	v_mov_b32_e32 v53, v19
	s_waitcnt lgkmcnt(0)
	v_mov_b32_e32 v50, v14
	v_mov_b32_e32 v14, v7
	v_fma_f32 v71, -v65, v8, v41
	v_fma_f32 v73, -v65, v9, v46
	v_mov_b32_e32 v19, v6
	v_mov_b32_e32 v18, v62
	v_fma_f32 v72, -v51, v63, v76
	v_pk_mul_f32 v[46:47], v[64:65], v[60:61]
	ds_read2_b64 v[6:9], v85 offset0:69 offset1:70
	ds_read_b128 v[60:63], v85 offset:464
	v_sub_f32_e32 v24, v78, v24
	v_sub_f32_e32 v67, v24, v25
	v_fma_f32 v24, -v35, v20, v88
	v_fma_f32 v25, -v35, v21, v37
	s_waitcnt lgkmcnt(1)
	v_fma_f32 v41, -v65, v6, v87
	s_waitcnt lgkmcnt(0)
	v_fma_f32 v6, -v51, v60, v24
	v_fma_f32 v60, -v65, v8, v6
	;; [unrolled: 1-line block ×5, first 2 shown]
	v_pk_mul_f32 v[6:7], v[64:65], v[54:55]
	v_pk_mul_f32 v[20:21], v[64:65], v[52:53]
	v_sub_f32_e32 v6, v75, v6
	v_sub_f32_e32 v20, v81, v20
	;; [unrolled: 1-line block ×3, first 2 shown]
	v_add_u32_e32 v66, 0x800, v1
	v_sub_f32_e32 v6, v77, v46
	v_sub_f32_e32 v37, v20, v21
	v_pk_mul_f32 v[20:21], v[64:65], v[22:23]
	v_sub_f32_e32 v77, v6, v47
	ds_read2_b32 v[6:7], v66 offset0:16 offset1:40
	v_sub_f32_e32 v20, v74, v20
	v_sub_f32_e32 v74, v20, v21
	v_pk_mul_f32 v[8:9], v[64:65], v[18:19]
	ds_read2_b64 v[18:21], v85 offset0:35 offset1:47
	ds_read_b128 v[22:25], v85 offset:816
	v_sub_f32_e32 v8, v39, v8
	s_waitcnt lgkmcnt(2)
	v_fma_f32 v6, -v48, v26, v6
	v_sub_f32_e32 v79, v8, v9
	v_mov_b32_e32 v8, 0x44c
	v_fma_f32 v26, -v49, v57, v6
	v_fma_f32 v6, -v48, v27, v7
	ds_read2_b32 v[52:53], v85 offset0:181 offset1:182
	ds_read2_b32 v[46:47], v8 offset1:1
	v_fma_f32 v27, -v49, v56, v6
	s_waitcnt lgkmcnt(3)
	v_fma_f32 v18, -v29, v18, v26
	v_mov_b32_e32 v36, v42
	v_mov_b32_e32 v42, v10
	v_mov_b32_e32 v10, v58
	ds_read2_b32 v[58:59], v85 offset0:183 offset1:184
	ds_read_b128 v[6:9], v85 offset:1200
	s_waitcnt lgkmcnt(3)
	v_mov_b32_e32 v53, v23
	ds_write2_b32 v1, v48, v49 offset1:24
	ds_write2_b32 v1, v29, v35 offset0:48 offset1:72
	v_fma_f32 v23, -v35, v20, v18
	v_fma_f32 v18, -v29, v19, v27
	;; [unrolled: 1-line block ×3, first 2 shown]
	ds_read2_b64 v[26:29], v85 offset0:81 offset1:82
	ds_read2_b64 v[18:21], v85 offset0:125 offset1:126
	;; [unrolled: 1-line block ×3, first 2 shown]
	v_mul_f32_e32 v61, v37, v30
	v_fma_f32 v23, -v51, v62, v23
	v_fma_f32 v30, -v51, v63, v35
	s_waitcnt lgkmcnt(2)
	v_fma_f32 v80, -v61, v26, v41
	s_waitcnt lgkmcnt(0)
	v_fma_f32 v23, -v65, v54, v23
	v_fma_f32 v30, -v65, v55, v30
	v_fma_f32 v76, -v61, v27, v76
	v_fma_f32 v81, -v61, v28, v60
	v_fma_f32 v78, -v61, v29, v78
	ds_read2_b64 v[26:29], v85 offset0:127 offset1:128
	v_fma_f32 v82, -v61, v56, v23
	v_fma_f32 v83, -v61, v57, v30
	ds_read2_b32 v[56:57], v85 offset0:225 offset1:226
	ds_read2_b32 v[62:63], v85 offset0:227 offset1:228
	v_mov_b32_e32 v60, v65
	ds_write2_b32 v1, v51, v65 offset0:96 offset1:120
	ds_read2_b32 v[48:49], v85 offset0:229 offset1:230
	ds_read2_b32 v[54:55], v85 offset0:231 offset1:232
	;; [unrolled: 1-line block ×3, first 2 shown]
	v_mov_b32_e32 v41, v31
	v_pk_mul_f32 v[10:11], v[60:61], v[10:11]
	v_pk_mul_f32 v[30:31], v[60:61], v[32:33]
	;; [unrolled: 1-line block ×3, first 2 shown]
	v_sub_f32_e32 v10, v69, v10
	s_waitcnt lgkmcnt(2)
	v_mov_b32_e32 v49, v21
	v_mov_b32_e32 v21, 0x454
	;; [unrolled: 1-line block ×3, first 2 shown]
	v_sub_f32_e32 v3, v70, v32
	v_sub_f32_e32 v87, v10, v11
	v_pk_mul_f32 v[10:11], v[60:61], v[44:45]
	v_mov_b32_e32 v23, v63
	v_mov_b32_e32 v63, v19
	v_sub_f32_e32 v3, v3, v33
	v_mov_b32_e32 v19, 0x514
	ds_read2_b32 v[32:33], v21 offset1:1
	v_sub_f32_e32 v21, v68, v30
	v_sub_f32_e32 v10, v67, v10
	v_mov_b32_e32 v35, v57
	v_sub_f32_e32 v70, v21, v31
	ds_read2_b32 v[30:31], v19 offset1:1
	ds_read_b32 v57, v85 offset:2300
	v_sub_f32_e32 v19, v10, v11
	v_pk_mul_f32 v[10:11], v[60:61], v[14:15]
	ds_read2_b32 v[68:69], v85 offset0:182 offset1:191
	s_movk_i32 s7, 0x400
	s_waitcnt lgkmcnt(4)
	v_mov_b32_e32 v39, v65
	v_sub_f32_e32 v10, v72, v10
	v_mul_f32_e32 v65, v3, v64
	v_mov_b32_e32 v64, v61
	v_sub_f32_e32 v67, v10, v11
	v_add_u32_e64 v3, s7, 0
	v_pk_mul_f32 v[10:11], v[64:65], v[12:13]
	v_pk_mul_f32 v[12:13], v[64:65], v[38:39]
	ds_read2_b32 v[40:41], v3 offset0:22 offset1:31
	v_sub_f32_e32 v3, v74, v12
	v_sub_f32_e32 v3, v3, v13
	v_pk_mul_f32 v[12:13], v[64:65], v[42:43]
	s_waitcnt lgkmcnt(1)
	v_mov_b32_e32 v51, v68
	v_sub_f32_e32 v12, v75, v12
	v_sub_f32_e32 v10, v77, v10
	;; [unrolled: 1-line block ×4, first 2 shown]
	ds_read2_b32 v[10:11], v85 offset0:185 offset1:186
	ds_read2_b32 v[38:39], v85 offset0:187 offset1:188
	v_pk_mul_f32 v[12:13], v[64:65], v[50:51]
	ds_read2_b32 v[50:51], v85 offset0:189 offset1:190
	v_mov_b32_e32 v21, v47
	v_mov_b32_e32 v44, v24
	;; [unrolled: 1-line block ×4, first 2 shown]
	v_fma_f32 v47, -v61, v17, v73
	ds_read2_b32 v[72:73], v85 offset0:230 offset1:239
	v_sub_f32_e32 v12, v79, v12
	ds_write2_b32 v1, v61, v65 offset0:144 offset1:168
	ds_read_b128 v[14:17], v85 offset:832
	v_sub_f32_e32 v77, v12, v13
	v_pk_mul_f32 v[12:13], v[64:65], v[58:59]
	ds_read_b128 v[58:61], v85 offset:848
	v_mov_b32_e32 v33, v7
	s_waitcnt lgkmcnt(7)
	v_mov_b32_e32 v43, v40
	s_waitcnt lgkmcnt(4)
	v_fma_f32 v7, -v65, v50, v78
	v_fma_f32 v40, -v65, v51, v82
	v_mov_b32_e32 v50, v65
	v_mul_f32_e32 v51, v3, v2
	v_sub_f32_e32 v12, v71, v12
	v_fma_f32 v71, -v65, v38, v76
	v_fma_f32 v68, -v65, v39, v81
	s_waitcnt lgkmcnt(3)
	v_mov_b32_e32 v45, v72
	v_fma_f32 v69, -v65, v69, v83
	v_mov_b32_e32 v38, 0x45c
	v_mov_b32_e32 v39, 0x51c
	v_pk_mul_f32 v[2:3], v[50:51], v[4:5]
	v_mov_b32_e32 v72, 0x5dc
	v_mov_b32_e32 v42, v26
	v_mov_b32_e32 v26, v54
	s_waitcnt lgkmcnt(1)
	v_mov_b32_e32 v54, v14
	v_sub_f32_e32 v79, v12, v13
	v_mov_b32_e32 v14, v10
	v_fma_f32 v80, -v65, v11, v80
	ds_read_b128 v[10:13], v85 offset:1216
	v_mov_b32_e32 v76, 0x464
	v_pk_mul_f32 v[4:5], v[50:51], v[36:37]
	ds_read2_b32 v[64:65], v38 offset1:1
	ds_read2_b32 v[38:39], v39 offset1:1
	s_waitcnt lgkmcnt(3)
	v_fma_f32 v78, -v51, v58, v68
	v_fma_f32 v7, -v51, v59, v7
	;; [unrolled: 1-line block ×3, first 2 shown]
	ds_read2_b32 v[36:37], v72 offset1:1
	ds_read2_b32 v[68:69], v76 offset1:1
	v_sub_f32_e32 v2, v87, v2
	ds_read2_b32 v[58:59], v85 offset0:233 offset1:234
	v_sub_f32_e32 v76, v2, v3
	v_pk_mul_f32 v[2:3], v[50:51], v[52:53]
	v_sub_f32_e32 v4, v70, v4
	v_sub_f32_e32 v2, v19, v2
	;; [unrolled: 1-line block ×4, first 2 shown]
	v_pk_mul_f32 v[2:3], v[50:51], v[24:25]
	v_mov_b32_e32 v72, 0x524
	v_sub_f32_e32 v2, v67, v2
	v_fma_f32 v87, -v51, v17, v71
	v_mul_f32_e32 v71, v4, v56
	v_mov_b32_e32 v70, v51
	v_fma_f32 v81, -v51, v60, v40
	v_sub_f32_e32 v67, v2, v3
	v_mov_b32_e32 v40, v8
	s_waitcnt lgkmcnt(4)
	v_mov_b32_e32 v8, v64
	v_mov_b32_e32 v64, v28
	v_pk_mul_f32 v[2:3], v[50:51], v[14:15]
	ds_read2_b32 v[24:25], v85 offset0:235 offset1:236
	ds_read2_b32 v[60:61], v85 offset0:237 offset1:238
	v_pk_mul_f32 v[14:15], v[70:71], v[22:23]
	v_pk_mul_f32 v[22:23], v[70:71], v[44:45]
	ds_read2_b32 v[44:45], v72 offset1:1
	s_waitcnt lgkmcnt(3)
	v_mov_b32_e32 v28, v58
	v_mov_b32_e32 v58, v16
	v_pk_mul_f32 v[16:17], v[70:71], v[34:35]
	v_sub_f32_e32 v14, v75, v14
	v_sub_f32_e32 v16, v74, v16
	ds_write2_b32 v1, v51, v71 offset0:192 offset1:216
	v_sub_f32_e32 v35, v16, v17
	v_sub_f32_e32 v88, v14, v15
	ds_read2_b64 v[14:17], v85 offset0:177 offset1:178
	ds_read2_b64 v[50:53], v85 offset0:129 offset1:130
	v_sub_f32_e32 v22, v77, v22
	v_sub_f32_e32 v89, v22, v23
	v_pk_mul_f32 v[22:23], v[70:71], v[54:55]
	v_sub_f32_e32 v2, v47, v2
	v_sub_f32_e32 v22, v79, v22
	;; [unrolled: 1-line block ×3, first 2 shown]
	v_pk_mul_f32 v[22:23], v[70:71], v[58:59]
	v_mov_b32_e32 v19, 0x5e4
	v_mov_b32_e32 v56, 0x6a4
	v_sub_f32_e32 v22, v80, v22
	v_mov_b32_e32 v54, 0x46c
	v_sub_f32_e32 v47, v2, v3
	ds_read_b128 v[2:5], v85 offset:1600
	v_sub_f32_e32 v80, v22, v23
	v_mov_b32_e32 v34, v38
	v_mov_b32_e32 v38, v10
	;; [unrolled: 1-line block ×3, first 2 shown]
	s_waitcnt lgkmcnt(1)
	v_mov_b32_e32 v68, v50
	v_mov_b32_e32 v50, v24
	v_fma_f32 v78, -v71, v25, v78
	ds_read2_b32 v[24:25], v19 offset1:1
	ds_read2_b32 v[22:23], v56 offset1:1
	v_fma_f32 v56, -v71, v73, v82
	ds_read2_b32 v[72:73], v54 offset1:1
	ds_read_b64 v[58:59], v85 offset:1048
	v_mul_f32_e32 v55, v35, v18
	v_mov_b32_e32 v54, v71
	v_pk_mul_f32 v[18:19], v[54:55], v[62:63]
	v_pk_mul_f32 v[26:27], v[54:55], v[26:27]
	v_sub_f32_e32 v18, v76, v18
	v_sub_f32_e32 v35, v18, v19
	v_pk_mul_f32 v[18:19], v[54:55], v[28:29]
	v_pk_mul_f32 v[28:29], v[54:55], v[48:49]
	v_sub_f32_e32 v26, v67, v26
	v_sub_f32_e32 v28, v83, v28
	v_fma_f32 v7, -v71, v60, v7
	v_fma_f32 v60, -v71, v61, v81
	v_sub_f32_e32 v81, v28, v29
	v_sub_f32_e32 v67, v26, v27
	ds_read2_b64 v[26:29], v85 offset0:175 offset1:176
	v_pk_mul_f32 v[48:49], v[54:55], v[50:51]
	v_sub_f32_e32 v18, v47, v18
	v_sub_f32_e32 v47, v87, v48
	;; [unrolled: 1-line block ×3, first 2 shown]
	v_mul_f32_e32 v47, v35, v46
	v_mov_b32_e32 v46, v55
	v_mov_b32_e32 v61, 0x52c
	;; [unrolled: 1-line block ×3, first 2 shown]
	v_fma_f32 v82, -v55, v53, v7
	v_mov_b32_e32 v7, 0x6ac
	ds_write2_b32 v86, v55, v47 offset0:112 offset1:136
	v_pk_mul_f32 v[20:21], v[46:47], v[20:21]
	v_sub_f32_e32 v19, v18, v19
	ds_read_b128 v[48:51], v85 offset:1232
	s_waitcnt lgkmcnt(2)
	v_mov_b32_e32 v18, v28
	v_mov_b32_e32 v28, v44
	;; [unrolled: 1-line block ×6, first 2 shown]
	ds_read2_b32 v[62:63], v61 offset1:1
	ds_read2_b32 v[70:71], v70 offset1:1
	;; [unrolled: 1-line block ×4, first 2 shown]
	v_sub_f32_e32 v7, v88, v20
	v_sub_f32_e32 v7, v7, v21
	v_pk_mul_f32 v[20:21], v[46:47], v[42:43]
	v_fma_f32 v87, -v55, v58, v60
	v_sub_f32_e32 v20, v89, v20
	v_sub_f32_e32 v35, v20, v21
	v_pk_mul_f32 v[20:21], v[46:47], v[64:65]
	v_fma_f32 v56, -v55, v59, v56
	v_sub_f32_e32 v20, v79, v20
	v_sub_f32_e32 v79, v20, v21
	v_pk_mul_f32 v[20:21], v[46:47], v[68:69]
	ds_read_b128 v[58:61], v85 offset:1616
	v_sub_f32_e32 v20, v80, v20
	v_sub_f32_e32 v80, v20, v21
	v_mov_b32_e32 v20, 0x474
	ds_read2_b32 v[20:21], v20 offset1:1
	v_pk_mul_f32 v[42:43], v[46:47], v[72:73]
	v_mov_b32_e32 v46, 0x534
	v_sub_f32_e32 v42, v78, v42
	v_sub_f32_e32 v43, v42, v43
	v_mov_b32_e32 v42, v24
	v_mov_b32_e32 v24, v14
	s_waitcnt lgkmcnt(5)
	v_mov_b32_e32 v14, v62
	v_mov_b32_e32 v62, v48
	s_waitcnt lgkmcnt(0)
	v_mov_b32_e32 v48, v20
	v_fma_f32 v78, -v47, v21, v87
	v_mul_f32_e32 v21, v7, v6
	v_mov_b32_e32 v20, v47
	v_pk_mul_f32 v[6:7], v[20:21], v[10:11]
	v_pk_mul_f32 v[8:9], v[20:21], v[8:9]
	;; [unrolled: 1-line block ×3, first 2 shown]
	v_mov_b32_e32 v64, 0x5f4
	v_pk_mul_f32 v[12:13], v[20:21], v[12:13]
	v_sub_f32_e32 v10, v81, v10
	v_sub_f32_e32 v8, v67, v8
	;; [unrolled: 1-line block ×3, first 2 shown]
	ds_read2_b64 v[52:55], v85 offset0:225 offset1:226
	v_fma_f32 v56, -v47, v41, v56
	v_mov_b32_e32 v41, 0x6b4
	ds_read2_b32 v[46:47], v46 offset1:1
	ds_read2_b32 v[64:65], v64 offset1:1
	v_sub_f32_e32 v73, v10, v11
	v_sub_f32_e32 v67, v8, v9
	;; [unrolled: 1-line block ×3, first 2 shown]
	ds_read2_b64 v[6:9], v85 offset0:179 offset1:227
	v_sub_f32_e32 v10, v83, v12
	ds_read2_b32 v[68:69], v41 offset1:1
	v_mov_b32_e32 v41, v31
	v_sub_f32_e32 v83, v10, v13
	v_pk_mul_f32 v[10:11], v[20:21], v[48:49]
	v_mul_f32_e32 v31, v73, v30
	v_mov_b32_e32 v30, v21
	v_sub_f32_e32 v10, v82, v10
	v_pk_mul_f32 v[40:41], v[30:31], v[40:41]
	v_mov_b32_e32 v72, 0x774
	v_mov_b32_e32 v81, 0x834
	v_sub_f32_e32 v82, v10, v11
	ds_read_b128 v[10:13], v85 offset:2000
	ds_read_b64 v[32:33], v85 offset:2200
	ds_write2_b32 v84, v21, v31 offset0:32 offset1:56
	v_sub_f32_e32 v35, v35, v40
	v_mov_b32_e32 v20, v4
	v_mov_b32_e32 v4, v70
	;; [unrolled: 1-line block ×3, first 2 shown]
	s_waitcnt lgkmcnt(6)
	v_mov_b32_e32 v16, v46
	v_mov_b32_e32 v46, v50
	v_fma_f32 v56, -v21, v51, v56
	v_mov_b32_e32 v19, 0x53c
	ds_read2_b32 v[48:49], v72 offset1:1
	v_sub_f32_e32 v35, v35, v41
	ds_read2_b32 v[40:41], v81 offset1:1
	ds_read2_b32 v[50:51], v19 offset1:1
	v_pk_mul_f32 v[38:39], v[30:31], v[38:39]
	v_mov_b32_e32 v21, 0x5fc
	v_sub_f32_e32 v19, v79, v38
	s_waitcnt lgkmcnt(0)
	v_mov_b32_e32 v51, v7
	v_mov_b32_e32 v7, 0x6bc
	v_pk_mul_f32 v[46:47], v[30:31], v[46:47]
	v_pk_mul_f32 v[62:63], v[30:31], v[62:63]
	v_pk_mul_f32 v[44:45], v[30:31], v[44:45]
	v_mov_b32_e32 v30, v31
	v_mul_f32_e32 v31, v35, v26
	v_sub_f32_e32 v79, v19, v39
	ds_read2_b32 v[38:39], v21 offset1:1
	v_mov_b32_e32 v19, 0x77c
	v_mov_b32_e32 v35, v27
	v_pk_mul_f32 v[26:27], v[30:31], v[28:29]
	ds_read2_b32 v[28:29], v7 offset1:1
	v_sub_f32_e32 v7, v80, v44
	v_mov_b32_e32 v21, 0x83c
	v_sub_f32_e32 v7, v7, v45
	ds_read2_b32 v[44:45], v19 offset1:1
	ds_read2_b32 v[72:73], v21 offset1:1
	s_waitcnt lgkmcnt(1)
	v_mov_b32_e32 v45, v13
	v_sub_f32_e32 v13, v78, v46
	v_pk_mul_f32 v[34:35], v[30:31], v[34:35]
	v_sub_f32_e32 v13, v13, v47
	v_mov_b32_e32 v47, v11
	v_sub_f32_e32 v11, v67, v34
	v_sub_f32_e32 v11, v11, v35
	v_pk_mul_f32 v[16:17], v[30:31], v[16:17]
	v_mov_b32_e32 v19, v37
	v_mul_f32_e32 v37, v11, v36
	v_mov_b32_e32 v36, v31
	v_sub_f32_e32 v16, v82, v16
	v_pk_mul_f32 v[24:25], v[36:37], v[24:25]
	v_mov_b32_e32 v29, v9
	v_sub_f32_e32 v9, v43, v62
	v_mov_b32_e32 v21, v23
	v_mov_b32_e32 v43, v3
	v_sub_f32_e32 v3, v86, v26
	v_pk_mul_f32 v[18:19], v[36:37], v[18:19]
	v_sub_f32_e32 v23, v7, v24
	v_sub_f32_e32 v26, v16, v17
	v_mov_b32_e32 v7, v65
	v_pk_mul_f32 v[16:17], v[30:31], v[50:51]
	v_sub_f32_e32 v11, v79, v18
	v_sub_f32_e32 v18, v3, v27
	v_pk_mul_f32 v[6:7], v[36:37], v[6:7]
	v_sub_f32_e32 v3, v56, v16
	v_sub_f32_e32 v6, v13, v6
	;; [unrolled: 1-line block ×4, first 2 shown]
	v_mul_f32_e32 v3, v3, v2
	v_mov_b32_e32 v2, v37
	v_pk_mul_f32 v[14:15], v[30:31], v[14:15]
	v_pk_mul_f32 v[16:17], v[2:3], v[42:43]
	v_sub_f32_e32 v14, v83, v14
	v_sub_f32_e32 v11, v18, v16
	;; [unrolled: 1-line block ×4, first 2 shown]
	v_pk_mul_f32 v[14:15], v[36:37], v[70:71]
	v_sub_f32_e32 v19, v6, v7
	v_sub_f32_e32 v6, v11, v17
	v_mov_b32_e32 v34, v74
	v_mov_b32_e32 v74, v58
	;; [unrolled: 1-line block ×3, first 2 shown]
	v_sub_f32_e32 v9, v9, v14
	v_pk_mul_f32 v[4:5], v[2:3], v[4:5]
	v_mul_f32_e32 v7, v6, v22
	v_mov_b32_e32 v6, v3
	v_sub_f32_e32 v18, v23, v25
	v_sub_f32_e32 v4, v24, v4
	;; [unrolled: 1-line block ×3, first 2 shown]
	v_pk_mul_f32 v[14:15], v[2:3], v[58:59]
	v_pk_mul_f32 v[16:17], v[6:7], v[20:21]
	v_mov_b32_e32 v39, v61
	v_sub_f32_e32 v14, v26, v14
	v_sub_f32_e32 v11, v18, v16
	;; [unrolled: 1-line block ×3, first 2 shown]
	v_pk_mul_f32 v[4:5], v[6:7], v[74:75]
	v_mov_b32_e32 v61, v69
	v_sub_f32_e32 v4, v9, v4
	v_sub_f32_e32 v9, v14, v15
	v_pk_mul_f32 v[14:15], v[6:7], v[60:61]
	v_mov_b32_e32 v35, v53
	v_sub_f32_e32 v14, v19, v14
	v_pk_mul_f32 v[18:19], v[2:3], v[38:39]
	ds_write2_b32 v84, v3, v7 offset0:128 offset1:152
	v_sub_f32_e32 v2, v13, v18
	v_sub_f32_e32 v13, v2, v19
	;; [unrolled: 1-line block ×3, first 2 shown]
	v_mul_f32_e32 v3, v2, v52
	v_mov_b32_e32 v2, v7
	v_pk_mul_f32 v[6:7], v[2:3], v[34:35]
	v_mov_b32_e32 v62, v54
	v_sub_f32_e32 v6, v16, v6
	v_mov_b32_e32 v54, v68
	v_sub_f32_e32 v6, v6, v7
	;; [unrolled: 2-line block ×3, first 2 shown]
	v_pk_mul_f32 v[4:5], v[2:3], v[54:55]
	v_mul_f32_e32 v7, v6, v76
	v_mov_b32_e32 v6, v3
	v_sub_f32_e32 v4, v9, v4
	v_sub_f32_e32 v16, v14, v15
	v_pk_mul_f32 v[14:15], v[6:7], v[62:63]
	v_mov_b32_e32 v9, v49
	v_sub_f32_e32 v11, v11, v14
	v_sub_f32_e32 v14, v4, v5
	v_pk_mul_f32 v[4:5], v[6:7], v[8:9]
	v_pk_mul_f32 v[8:9], v[2:3], v[28:29]
	v_sub_f32_e32 v4, v16, v4
	v_sub_f32_e32 v2, v13, v8
	;; [unrolled: 1-line block ×4, first 2 shown]
	v_mov_b32_e32 v46, v48
	ds_write2_b32 v84, v3, v7 offset0:176 offset1:200
	v_mul_f32_e32 v3, v2, v10
	v_mov_b32_e32 v2, v7
	v_pk_mul_f32 v[6:7], v[2:3], v[46:47]
	v_sub_f32_e32 v8, v4, v5
	v_sub_f32_e32 v6, v14, v6
	;; [unrolled: 1-line block ×3, first 2 shown]
	v_mul_f32_e32 v5, v4, v40
	v_mov_b32_e32 v4, v3
	v_mov_b32_e32 v13, v41
	v_pk_mul_f32 v[6:7], v[4:5], v[12:13]
	ds_write2_b32 v84, v3, v5 offset0:224 offset1:248
	v_sub_f32_e32 v4, v8, v6
	v_pk_mul_f32 v[8:9], v[2:3], v[44:45]
	s_waitcnt lgkmcnt(3)
	v_mov_b32_e32 v73, v33
	v_sub_f32_e32 v2, v16, v8
	v_sub_f32_e32 v6, v2, v9
	v_sub_f32_e32 v2, v4, v7
	v_mul_f32_e32 v3, v2, v32
	v_mov_b32_e32 v2, v5
	v_pk_mul_f32 v[4:5], v[2:3], v[72:73]
	s_mov_b32 s7, 24
	v_sub_f32_e32 v2, v6, v4
	v_sub_f32_e32 v2, v2, v5
	v_mul_f32_e32 v2, v2, v57
	ds_write2_b32 v84, v31, v37 offset0:80 offset1:104
	ds_write2_b32 v66, v3, v2 offset0:16 offset1:40
.LBB28_45:
	s_cmp_lt_i32 s7, s26
	s_cbranch_scc0 .LBB28_56
; %bb.46:
	s_add_i32 s16, s7, 19
	s_cmp_ge_u32 s16, s26
	s_cbranch_scc1 .LBB28_51
; %bb.47:
	s_mul_i32 s17, s7, 0x60
	v_add_u32_e32 v42, s17, v1
	v_add_u32_e32 v2, 0x200, v42
	ds_read2_b32 v[36:37], v42 offset1:24
	ds_read2_b32 v[34:35], v42 offset0:48 offset1:72
	ds_read2_b32 v[22:23], v42 offset0:96 offset1:120
	;; [unrolled: 1-line block ×5, first 2 shown]
	v_add_u32_e32 v2, 0x400, v42
	ds_read2_b32 v[32:33], v2 offset0:32 offset1:56
	ds_read2_b32 v[30:31], v2 offset0:80 offset1:104
	;; [unrolled: 1-line block ×4, first 2 shown]
	s_andn2_b64 vcc, exec, s[4:5]
	s_lshl_b32 s4, s7, 2
	s_cbranch_vccnz .LBB28_50
; %bb.48:
	v_mov_b32_e32 v2, 0x900
	v_lshl_or_b32 v2, v0, 2, v2
	s_mov_b32 s5, s4
	s_mov_b32 s18, s7
.LBB28_49:                              ; =>This Inner Loop Header: Depth=1
	v_mov_b32_e32 v3, s5
	ds_read_b32 v12, v2
	ds_read_b128 v[4:7], v3
	ds_read_b128 v[8:11], v3 offset:16
	ds_read_b128 v[26:29], v3 offset:32
	;; [unrolled: 1-line block ×4, first 2 shown]
	s_add_i32 s18, s18, -1
	s_addk_i32 s5, 0x60
	v_add_u32_e32 v2, 0x60, v2
	s_cmp_lg_u32 s18, 0
	s_waitcnt lgkmcnt(4)
	v_pk_fma_f32 v[36:37], v[12:13], v[4:5], v[36:37] op_sel_hi:[0,1,1] neg_lo:[1,0,0] neg_hi:[1,0,0]
	v_pk_fma_f32 v[34:35], v[12:13], v[6:7], v[34:35] op_sel_hi:[0,1,1] neg_lo:[1,0,0] neg_hi:[1,0,0]
	s_waitcnt lgkmcnt(3)
	v_pk_fma_f32 v[22:23], v[12:13], v[8:9], v[22:23] op_sel_hi:[0,1,1] neg_lo:[1,0,0] neg_hi:[1,0,0]
	v_pk_fma_f32 v[20:21], v[12:13], v[10:11], v[20:21] op_sel_hi:[0,1,1] neg_lo:[1,0,0] neg_hi:[1,0,0]
	s_waitcnt lgkmcnt(2)
	v_pk_fma_f32 v[18:19], v[12:13], v[26:27], v[18:19] op_sel_hi:[0,1,1] neg_lo:[1,0,0] neg_hi:[1,0,0]
	v_pk_fma_f32 v[24:25], v[12:13], v[28:29], v[24:25] op_sel_hi:[0,1,1] neg_lo:[1,0,0] neg_hi:[1,0,0]
	s_waitcnt lgkmcnt(1)
	v_pk_fma_f32 v[32:33], v[12:13], v[38:39], v[32:33] op_sel_hi:[0,1,1] neg_lo:[1,0,0] neg_hi:[1,0,0]
	v_pk_fma_f32 v[30:31], v[12:13], v[40:41], v[30:31] op_sel_hi:[0,1,1] neg_lo:[1,0,0] neg_hi:[1,0,0]
	s_waitcnt lgkmcnt(0)
	v_pk_fma_f32 v[16:17], v[12:13], v[44:45], v[16:17] op_sel_hi:[0,1,1] neg_lo:[1,0,0] neg_hi:[1,0,0]
	v_pk_fma_f32 v[14:15], v[12:13], v[46:47], v[14:15] op_sel_hi:[0,1,1] neg_lo:[1,0,0] neg_hi:[1,0,0]
	s_cbranch_scc1 .LBB28_49
.LBB28_50:
	s_add_i32 s5, s4, s17
	v_mov_b32_e32 v43, s5
	ds_read_b128 v[10:13], v43
	ds_read_b128 v[6:9], v43 offset:16
	ds_read2_b32 v[38:39], v43 offset0:25 offset1:26
	s_add_i32 s20, s17, 0x60
	ds_read2_b64 v[2:5], v43 offset0:25 offset1:26
	ds_read2_b32 v[26:27], v43 offset0:75 offset1:76
	s_waitcnt lgkmcnt(4)
	v_mul_f32_e32 v54, v36, v10
	v_mov_b32_e32 v40, v12
	v_fma_f32 v36, -v54, v11, v37
	v_fma_f32 v69, -v54, v13, v35
	ds_read_b128 v[10:13], v43 offset:48
	ds_read_b128 v[50:53], v43 offset:32
	s_add_i32 s18, s4, s20
	v_mov_b32_e32 v45, s18
	s_add_i32 s18, s17, 0x120
	s_waitcnt lgkmcnt(4)
	v_mov_b32_e32 v41, v39
	v_mul_f32_e32 v55, v36, v38
	s_add_i32 s19, s17, 0xc0
	s_add_i32 s24, s4, s18
	v_pk_mul_f32 v[36:37], v[54:55], v[40:41]
	s_add_i32 s21, s4, s19
	v_mov_b32_e32 v44, s24
	v_sub_f32_e32 v34, v34, v36
	ds_read2_b32 v[28:29], v44 offset0:5 offset1:6
	ds_read_b128 v[46:49], v43 offset:64
	v_mov_b32_e32 v68, s21
	v_sub_f32_e32 v34, v34, v37
	s_waitcnt lgkmcnt(3)
	v_fma_f32 v70, -v54, v10, v32
	v_fma_f32 v71, -v54, v11, v33
	v_fma_f32 v12, -v54, v12, v30
	ds_read2_b32 v[10:11], v45 offset0:15 offset1:16
	ds_read2_b64 v[36:39], v68 offset0:7 offset1:8
	v_fma_f32 v13, -v54, v13, v31
	ds_read2_b32 v[30:31], v45 offset0:17 offset1:18
	ds_read2_b32 v[56:57], v45 offset0:13 offset1:14
	;; [unrolled: 1-line block ×6, first 2 shown]
	v_mul_f32_e32 v35, v34, v2
	s_waitcnt lgkmcnt(7)
	v_fma_f32 v32, -v55, v10, v13
	v_fma_f32 v10, -v54, v46, v16
	s_waitcnt lgkmcnt(4)
	v_fma_f32 v2, -v55, v57, v12
	v_fma_f32 v72, -v35, v36, v2
	;; [unrolled: 1-line block ×5, first 2 shown]
	ds_read2_b32 v[66:67], v45 offset0:11 offset1:12
	ds_read2_b64 v[10:13], v68 offset0:5 offset1:6
	v_fma_f32 v37, -v35, v37, v32
	v_fma_f32 v73, -v35, v38, v16
	;; [unrolled: 1-line block ×3, first 2 shown]
	v_mov_b32_e32 v38, v4
	s_waitcnt lgkmcnt(5)
	v_mov_b32_e32 v2, v58
	s_waitcnt lgkmcnt(4)
	v_mov_b32_e32 v4, v60
	v_mov_b32_e32 v58, v6
	v_mov_b32_e32 v60, v8
	v_fma_f32 v39, -v54, v7, v23
	v_fma_f32 v57, -v54, v9, v21
	;; [unrolled: 1-line block ×4, first 2 shown]
	ds_read_b32 v77, v44 offset:76
	ds_read2_b64 v[14:17], v68 offset0:3 offset1:4
	ds_read2_b32 v[46:47], v44 offset0:7 offset1:8
	ds_read2_b32 v[40:41], v44 offset0:9 offset1:10
	ds_read_b32 v45, v45 offset:76
	ds_read2_b32 v[32:33], v43 offset0:125 offset1:126
	ds_read_b128 v[6:9], v43 offset:400
	v_mov_b32_e32 v34, v55
	s_waitcnt lgkmcnt(5)
	v_mov_b32_e32 v49, v17
	s_waitcnt lgkmcnt(4)
	v_mov_b32_e32 v17, v47
	v_pk_mul_f32 v[2:3], v[34:35], v[2:3]
	s_waitcnt lgkmcnt(0)
	v_mov_b32_e32 v30, v8
	v_mov_b32_e32 v8, v46
	v_pk_mul_f32 v[46:47], v[54:55], v[58:59]
	v_mov_b32_e32 v36, v28
	v_mov_b32_e32 v28, v14
	;; [unrolled: 1-line block ×4, first 2 shown]
	v_fma_f32 v50, -v54, v51, v19
	v_sub_f32_e32 v19, v22, v46
	v_pk_mul_f32 v[22:23], v[54:55], v[60:61]
	v_pk_mul_f32 v[4:5], v[34:35], v[4:5]
	v_sub_f32_e32 v2, v69, v2
	v_sub_f32_e32 v58, v19, v47
	v_sub_f32_e32 v19, v20, v22
	v_pk_mul_f32 v[20:21], v[54:55], v[62:63]
	v_sub_f32_e32 v62, v2, v3
	v_sub_f32_e32 v2, v39, v4
	;; [unrolled: 1-line block ×3, first 2 shown]
	v_pk_mul_f32 v[2:3], v[34:35], v[14:15]
	v_mov_b32_e32 v48, v64
	v_mov_b32_e32 v64, v52
	v_sub_f32_e32 v18, v18, v20
	v_sub_f32_e32 v2, v57, v2
	;; [unrolled: 1-line block ×4, first 2 shown]
	v_pk_mul_f32 v[18:19], v[54:55], v[64:65]
	v_sub_f32_e32 v64, v2, v3
	v_pk_mul_f32 v[2:3], v[34:35], v[48:49]
	s_add_i32 s21, s17, 0x180
	v_sub_f32_e32 v2, v50, v2
	v_sub_f32_e32 v65, v2, v3
	v_add_u32_e32 v2, s20, v1
	s_add_i32 s20, s17, 0x1e0
	s_add_i32 s24, s4, s21
	;; [unrolled: 1-line block ×3, first 2 shown]
	v_sub_f32_e32 v18, v24, v18
	v_mov_b32_e32 v20, v40
	v_mov_b32_e32 v40, v10
	;; [unrolled: 1-line block ×3, first 2 shown]
	v_fma_f32 v61, -v55, v67, v70
	v_mov_b32_e32 v66, s25
	ds_write_b32 v2, v55
	v_mov_b32_e32 v67, s24
	ds_write_b32 v42, v54
	v_fma_f32 v51, -v54, v53, v25
	v_sub_f32_e32 v60, v18, v19
	ds_read2_b32 v[14:15], v66 offset0:9 offset1:10
	ds_read_b128 v[2:5], v67 offset:32
	ds_read2_b32 v[18:19], v66 offset0:11 offset1:12
	ds_read_b64 v[46:47], v68 offset:72
	ds_read2_b32 v[48:49], v66 offset0:7 offset1:8
	ds_read_b128 v[22:25], v67 offset:48
	ds_read2_b32 v[52:53], v44 offset0:11 offset1:12
	v_pk_mul_f32 v[10:11], v[34:35], v[10:11]
	v_fma_f32 v39, -v55, v56, v71
	v_sub_f32_e32 v10, v51, v10
	v_sub_f32_e32 v51, v10, v11
	v_add_u32_e32 v10, s19, v1
	v_fma_f32 v31, -v55, v31, v75
	v_fma_f32 v69, -v55, v45, v76
	ds_read2_b32 v[54:55], v44 offset0:13 offset1:14
	ds_read2_b32 v[56:57], v44 offset0:15 offset1:16
	ds_read2_b32 v[44:45], v44 offset0:17 offset1:18
	v_fma_f32 v68, -v35, v13, v39
	ds_write_b32 v10, v35
	v_mov_b32_e32 v39, v27
	v_mul_f32_e32 v11, v62, v26
	v_mov_b32_e32 v10, v35
	s_waitcnt lgkmcnt(10)
	v_mov_b32_e32 v50, v14
	s_waitcnt lgkmcnt(9)
	;; [unrolled: 2-line block ×3, first 2 shown]
	v_mov_b32_e32 v4, v52
	v_mov_b32_e32 v52, v12
	v_pk_mul_f32 v[12:13], v[10:11], v[16:17]
	v_pk_mul_f32 v[16:17], v[10:11], v[38:39]
	v_fma_f32 v31, -v35, v46, v31
	v_sub_f32_e32 v16, v58, v16
	v_fma_f32 v34, -v35, v47, v69
	v_sub_f32_e32 v35, v16, v17
	v_pk_mul_f32 v[16:17], v[10:11], v[28:29]
	v_sub_f32_e32 v12, v21, v12
	s_add_i32 s19, s17, 0x2a0
	v_sub_f32_e32 v16, v59, v16
	v_sub_f32_e32 v59, v12, v13
	s_add_i32 s24, s17, 0x240
	s_add_i32 s25, s4, s19
	v_pk_mul_f32 v[12:13], v[10:11], v[40:41]
	v_sub_f32_e32 v58, v16, v17
	v_sub_f32_e32 v12, v60, v12
	v_mov_b32_e32 v16, s25
	s_add_i32 s25, s4, s24
	v_sub_f32_e32 v60, v12, v13
	v_pk_mul_f32 v[12:13], v[10:11], v[52:53]
	ds_read2_b32 v[46:47], v16 offset0:9 offset1:10
	v_mov_b32_e32 v69, s25
	ds_read_b32 v75, v16 offset:76
	ds_read2_b64 v[26:29], v69 offset0:5 offset1:6
	ds_read_b128 v[38:41], v67 offset:64
	v_sub_f32_e32 v10, v61, v12
	v_add_u32_e32 v12, s18, v1
	v_sub_f32_e32 v61, v10, v13
	s_waitcnt lgkmcnt(6)
	v_fma_f32 v17, -v11, v56, v37
	ds_write_b32 v12, v11
	v_mov_b32_e32 v12, v11
	v_mul_f32_e32 v13, v35, v6
	v_mov_b32_e32 v37, v7
	v_pk_mul_f32 v[6:7], v[12:13], v[8:9]
	v_pk_mul_f32 v[8:9], v[12:13], v[36:37]
	;; [unrolled: 1-line block ×3, first 2 shown]
	v_fma_f32 v52, -v11, v57, v73
	s_waitcnt lgkmcnt(6)
	v_fma_f32 v44, -v11, v44, v74
	v_fma_f32 v34, -v11, v77, v34
	v_mov_b32_e32 v21, v3
	v_sub_f32_e32 v3, v63, v8
	v_sub_f32_e32 v4, v51, v4
	s_waitcnt lgkmcnt(4)
	v_mov_b32_e32 v10, v46
	s_waitcnt lgkmcnt(2)
	v_mov_b32_e32 v46, v26
	v_mov_b32_e32 v26, v18
	;; [unrolled: 1-line block ×4, first 2 shown]
	v_fma_f32 v62, -v11, v55, v72
	v_fma_f32 v31, -v11, v45, v31
	v_sub_f32_e32 v3, v3, v9
	s_waitcnt lgkmcnt(1)
	v_fma_f32 v70, -v13, v38, v52
	v_fma_f32 v71, -v13, v39, v44
	;; [unrolled: 1-line block ×3, first 2 shown]
	ds_read2_b32 v[8:9], v16 offset0:11 offset1:12
	ds_read2_b32 v[44:45], v16 offset0:13 offset1:14
	;; [unrolled: 1-line block ×5, first 2 shown]
	ds_read_b128 v[34:37], v43 offset:800
	v_sub_f32_e32 v74, v4, v5
	ds_read2_b32 v[4:5], v66 offset0:13 offset1:14
	v_sub_f32_e32 v6, v64, v6
	v_sub_f32_e32 v11, v6, v7
	v_pk_mul_f32 v[6:7], v[12:13], v[20:21]
	v_fma_f32 v76, -v13, v25, v17
	v_sub_f32_e32 v6, v65, v6
	v_sub_f32_e32 v7, v6, v7
	s_waitcnt lgkmcnt(1)
	v_mov_b32_e32 v6, v36
	v_mov_b32_e32 v36, v8
	;; [unrolled: 1-line block ×3, first 2 shown]
	s_waitcnt lgkmcnt(0)
	v_mov_b32_e32 v28, v4
	v_mov_b32_e32 v4, v24
	v_mul_f32_e32 v25, v3, v32
	v_mov_b32_e32 v24, v13
	v_mov_b32_e32 v3, v49
	v_pk_mul_f32 v[2:3], v[24:25], v[2:3]
	v_pk_mul_f32 v[16:17], v[12:13], v[22:23]
	v_sub_f32_e32 v2, v59, v2
	v_sub_f32_e32 v78, v2, v3
	v_pk_mul_f32 v[2:3], v[24:25], v[14:15]
	v_sub_f32_e32 v12, v68, v16
	v_sub_f32_e32 v2, v60, v2
	v_fma_f32 v72, -v13, v40, v31
	v_sub_f32_e32 v77, v12, v17
	v_add_u32_e32 v12, s21, v1
	v_mov_b32_e32 v31, v33
	s_add_i32 s21, s17, 0x360
	v_sub_f32_e32 v79, v2, v3
	v_pk_mul_f32 v[2:3], v[24:25], v[18:19]
	ds_read_b32 v51, v66 offset:76
	ds_read2_b32 v[38:39], v66 offset0:15 offset1:16
	ds_read2_b32 v[40:41], v66 offset0:17 offset1:18
	ds_write_b32 v12, v13
	v_pk_mul_f32 v[12:13], v[24:25], v[30:31]
	s_add_i32 s18, s17, 0x300
	s_add_i32 s27, s4, s21
	v_sub_f32_e32 v2, v61, v2
	v_sub_f32_e32 v12, v58, v12
	s_add_i32 s25, s4, s18
	v_mov_b32_e32 v80, s27
	v_sub_f32_e32 v81, v2, v3
	v_pk_mul_f32 v[2:3], v[24:25], v[4:5]
	v_sub_f32_e32 v49, v12, v13
	v_mov_b32_e32 v20, s25
	v_sub_f32_e32 v2, v62, v2
	ds_read2_b32 v[58:59], v80 offset0:11 offset1:12
	ds_read2_b32 v[60:61], v80 offset0:13 offset1:14
	;; [unrolled: 1-line block ×4, first 2 shown]
	ds_read_b128 v[12:15], v20 offset:48
	ds_read_b64 v[66:67], v69 offset:72
	ds_read2_b64 v[16:19], v69 offset0:7 offset1:8
	ds_read_b128 v[20:23], v20 offset:64
	ds_read2_b32 v[68:69], v43 offset0:175 offset1:176
	ds_read2_b64 v[30:33], v43 offset0:75 offset1:76
	s_waitcnt lgkmcnt(9)
	v_mov_b32_e32 v24, v58
	s_waitcnt lgkmcnt(5)
	v_mov_b32_e32 v58, v12
	v_mov_b32_e32 v12, v44
	s_waitcnt lgkmcnt(3)
	v_mov_b32_e32 v44, v16
	v_mov_b32_e32 v16, v38
	v_fma_f32 v83, -v25, v39, v70
	v_fma_f32 v84, -v25, v40, v71
	;; [unrolled: 1-line block ×3, first 2 shown]
	ds_read2_b64 v[38:41], v43 offset0:125 offset1:126
	v_sub_f32_e32 v82, v2, v3
	v_add_u32_e32 v2, s20, v1
	v_mov_b32_e32 v70, v25
	s_waitcnt lgkmcnt(1)
	v_mul_f32_e32 v71, v49, v30
	v_mov_b32_e32 v49, v31
	ds_write_b32 v2, v25
	v_fma_f32 v73, -v25, v51, v73
	ds_read_b128 v[2:5], v43 offset:1200
	s_waitcnt lgkmcnt(2)
	v_mov_b32_e32 v30, v40
	v_mov_b32_e32 v40, v60
	;; [unrolled: 1-line block ×5, first 2 shown]
	v_fma_f32 v25, -v71, v19, v84
	v_pk_mul_f32 v[18:19], v[70:71], v[48:49]
	v_pk_mul_f32 v[26:27], v[70:71], v[26:27]
	v_sub_f32_e32 v11, v11, v18
	v_sub_f32_e32 v11, v11, v19
	;; [unrolled: 1-line block ×4, first 2 shown]
	v_mul_f32_e32 v27, v11, v68
	v_mov_b32_e32 v26, v71
	v_pk_mul_f32 v[16:17], v[70:71], v[16:17]
	v_pk_mul_f32 v[8:9], v[26:27], v[8:9]
	v_mov_b32_e32 v51, v33
	v_sub_f32_e32 v16, v76, v16
	v_sub_f32_e32 v8, v81, v8
	v_pk_mul_f32 v[18:19], v[70:71], v[50:51]
	v_sub_f32_e32 v49, v16, v17
	v_fma_f32 v51, -v71, v67, v73
	v_add_u32_e32 v16, s24, v1
	v_mov_b32_e32 v33, v69
	v_sub_f32_e32 v67, v8, v9
	v_pk_mul_f32 v[8:9], v[26:27], v[44:45]
	ds_write_b32 v16, v71
	v_pk_mul_f32 v[16:17], v[26:27], v[32:33]
	v_sub_f32_e32 v8, v82, v8
	v_sub_f32_e32 v7, v7, v18
	;; [unrolled: 1-line block ×4, first 2 shown]
	s_add_i32 s25, s17, 0x420
	v_pk_mul_f32 v[8:9], v[26:27], v[52:53]
	v_sub_f32_e32 v7, v7, v19
	v_pk_mul_f32 v[18:19], v[70:71], v[28:29]
	v_sub_f32_e32 v11, v11, v17
	v_pk_mul_f32 v[16:17], v[26:27], v[46:47]
	s_add_i32 s20, s17, 0x3c0
	s_add_i32 s27, s4, s25
	v_sub_f32_e32 v8, v83, v8
	v_sub_f32_e32 v18, v77, v18
	;; [unrolled: 1-line block ×3, first 2 shown]
	s_add_i32 s24, s4, s20
	v_sub_f32_e32 v52, v8, v9
	v_mov_b32_e32 v8, s27
	v_sub_f32_e32 v43, v18, v19
	v_fma_f32 v50, -v71, v66, v72
	v_sub_f32_e32 v66, v16, v17
	v_mov_b32_e32 v9, s24
	ds_read2_b32 v[28:29], v8 offset0:13 offset1:14
	ds_read_b64 v[32:33], v9 offset:72
	ds_read2_b64 v[16:19], v9 offset0:7 offset1:8
	ds_read2_b32 v[44:45], v8 offset0:15 offset1:16
	ds_read2_b32 v[46:47], v8 offset0:17 offset1:18
	ds_read_b32 v26, v8 offset:76
	v_add_u32_e32 v8, s19, v1
	ds_write_b32 v8, v27
	v_mov_b32_e32 v8, v27
	v_mul_f32_e32 v9, v11, v34
	v_mov_b32_e32 v11, v35
	v_fma_f32 v51, -v27, v75, v51
	v_pk_mul_f32 v[10:11], v[8:9], v[10:11]
	s_waitcnt lgkmcnt(6)
	v_mov_b32_e32 v48, v28
	s_waitcnt lgkmcnt(4)
	v_mov_b32_e32 v28, v16
	v_mov_b32_e32 v16, v62
	;; [unrolled: 1-line block ×4, first 2 shown]
	v_fma_f32 v50, -v27, v55, v50
	v_mov_b32_e32 v34, v4
	s_waitcnt lgkmcnt(3)
	v_mov_b32_e32 v4, v44
	v_mov_b32_e32 v44, v18
	;; [unrolled: 1-line block ×4, first 2 shown]
	v_fma_f32 v27, -v9, v23, v51
	v_pk_mul_f32 v[22:23], v[8:9], v[36:37]
	v_sub_f32_e32 v7, v7, v10
	v_pk_mul_f32 v[20:21], v[8:9], v[20:21]
	v_pk_mul_f32 v[14:15], v[8:9], v[14:15]
	;; [unrolled: 1-line block ×3, first 2 shown]
	v_sub_f32_e32 v8, v7, v11
	v_sub_f32_e32 v7, v31, v22
	;; [unrolled: 1-line block ×9, first 2 shown]
	v_add_u32_e32 v7, s18, v1
	ds_write_b32 v7, v9
	v_mov_b32_e32 v7, v57
	v_mul_f32_e32 v11, v8, v56
	v_mov_b32_e32 v10, v9
	v_pk_mul_f32 v[6:7], v[10:11], v[6:7]
	s_add_i32 s18, s5, 0x44c
	v_sub_f32_e32 v6, v66, v6
	v_mov_b32_e32 v8, s18
	v_sub_f32_e32 v22, v6, v7
	s_addk_i32 s5, 0x514
	v_pk_mul_f32 v[6:7], v[10:11], v[58:59]
	v_add_u32_e32 v14, s21, v1
	ds_read2_b32 v[12:13], v8 offset1:1
	v_mov_b32_e32 v8, s5
	v_sub_f32_e32 v6, v67, v6
	s_add_i32 s5, s17, 0x4e0
	v_add_u32_e32 v43, s20, v1
	v_sub_f32_e32 v53, v6, v7
	ds_read2_b32 v[20:21], v8 offset1:1
	v_add_u32_e32 v54, s5, v1
	s_add_i32 s5, s4, s5
	s_mul_i32 s19, s7, 0x64
	ds_write_b32 v14, v11
	s_add_i32 s20, s17, 0x540
	v_pk_mul_f32 v[6:7], v[10:11], v[64:65]
	v_pk_mul_f32 v[8:9], v[10:11], v[62:63]
	;; [unrolled: 1-line block ×3, first 2 shown]
	v_mov_b32_e32 v10, v11
	v_mul_f32_e32 v11, v22, v38
	v_mov_b32_e32 v25, v39
	s_add_i32 s18, s17, 0x480
	v_add_u32_e32 v56, s20, v1
	v_mov_b32_e32 v38, s5
	s_add_i32 s5, s4, s20
	s_add_i32 s20, s19, 0x5dc
	v_pk_mul_f32 v[24:25], v[10:11], v[24:25]
	v_add_u32_e32 v51, s18, v1
	s_add_i32 s18, s4, s18
	v_pk_mul_f32 v[22:23], v[10:11], v[40:41]
	v_mov_b32_e32 v39, s20
	v_sub_f32_e32 v14, v68, v14
	v_sub_f32_e32 v6, v50, v6
	;; [unrolled: 1-line block ×5, first 2 shown]
	v_mov_b32_e32 v40, s18
	v_sub_f32_e32 v52, v8, v9
	v_pk_mul_f32 v[14:15], v[10:11], v[16:17]
	v_pk_mul_f32 v[16:17], v[10:11], v[18:19]
	v_sub_f32_e32 v59, v6, v7
	ds_read2_b32 v[18:19], v39 offset1:1
	ds_read_b128 v[6:9], v40 offset:64
	v_sub_f32_e32 v22, v35, v22
	ds_write_b32 v43, v11
	v_sub_f32_e32 v35, v24, v25
	v_mov_b32_e32 v55, s19
	v_sub_f32_e32 v14, v36, v14
	v_sub_f32_e32 v43, v22, v23
	ds_read2_b32 v[22:23], v38 offset0:15 offset1:16
	ds_read2_b32 v[24:25], v38 offset0:17 offset1:18
	ds_read_b32 v36, v38 offset:76
	ds_read_b64 v[38:39], v55 offset:1800
	s_waitcnt lgkmcnt(9)
	v_mul_f32_e32 v41, v35, v12
	ds_read_b32 v12, v80 offset:76
	v_sub_f32_e32 v60, v14, v15
	v_mov_b32_e32 v31, v13
	v_mov_b32_e32 v13, v33
	v_sub_f32_e32 v14, v37, v16
	v_mov_b32_e32 v40, v11
	v_sub_f32_e32 v61, v14, v17
	v_pk_mul_f32 v[14:15], v[40:41], v[30:31]
	s_waitcnt lgkmcnt(0)
	v_pk_mul_f32 v[10:11], v[10:11], v[12:13]
	v_pk_mul_f32 v[28:29], v[40:41], v[28:29]
	v_sub_f32_e32 v14, v53, v14
	v_sub_f32_e32 v10, v27, v10
	;; [unrolled: 1-line block ×5, first 2 shown]
	ds_read2_b64 v[10:13], v55 offset0:175 offset1:176
	ds_read_b128 v[14:17], v55 offset:1600
	v_sub_f32_e32 v55, v28, v29
	v_mov_b32_e32 v28, s5
	ds_read_b64 v[28:29], v28 offset:72
	s_add_i32 s20, s17, 0x5a0
	s_add_i32 s18, s4, s20
	v_add_u32_e32 v49, s25, v1
	v_mov_b32_e32 v33, v47
	v_mov_b32_e32 v35, s18
	s_add_i32 s18, s19, 0x6a4
	s_addk_i32 s17, 0x660
	v_mov_b32_e32 v37, s18
	ds_write_b32 v49, v41
	v_pk_mul_f32 v[30:31], v[40:41], v[44:45]
	v_pk_mul_f32 v[32:33], v[40:41], v[32:33]
	v_mov_b32_e32 v40, v41
	v_mul_f32_e32 v41, v27, v2
	s_add_i32 s4, s4, s17
	v_mov_b32_e32 v49, v3
	v_mov_b32_e32 v50, v22
	;; [unrolled: 1-line block ×5, first 2 shown]
	ds_read2_b32 v[44:45], v37 offset1:1
	s_waitcnt lgkmcnt(2)
	v_mov_b32_e32 v37, v29
	v_sub_f32_e32 v9, v52, v30
	v_pk_mul_f32 v[2:3], v[40:41], v[4:5]
	ds_read2_b32 v[4:5], v35 offset0:17 offset1:18
	ds_read_b32 v30, v35 offset:76
	v_mov_b32_e32 v29, s4
	v_pk_mul_f32 v[46:47], v[40:41], v[48:49]
	v_sub_f32_e32 v9, v9, v31
	v_mov_b32_e32 v31, v17
	v_sub_f32_e32 v17, v59, v32
	ds_read_b32 v32, v29 offset:76
	v_sub_f32_e32 v29, v43, v46
	v_sub_f32_e32 v29, v29, v47
	v_mov_b32_e32 v35, v21
	v_mul_f32_e32 v21, v29, v20
	v_sub_f32_e32 v2, v60, v2
	v_mov_b32_e32 v20, v41
	s_waitcnt lgkmcnt(2)
	v_mov_b32_e32 v48, v4
	v_sub_f32_e32 v4, v2, v3
	v_pk_mul_f32 v[2:3], v[40:41], v[6:7]
	v_pk_mul_f32 v[6:7], v[20:21], v[34:35]
	;; [unrolled: 1-line block ×3, first 2 shown]
	ds_write_b32 v51, v41
	v_mov_b32_e32 v51, v11
	v_sub_f32_e32 v2, v61, v2
	v_sub_f32_e32 v6, v55, v6
	;; [unrolled: 1-line block ×3, first 2 shown]
	v_mov_b32_e32 v9, v25
	v_mov_b32_e32 v49, v15
	v_sub_f32_e32 v15, v2, v3
	v_pk_mul_f32 v[2:3], v[20:21], v[8:9]
	v_pk_mul_f32 v[8:9], v[40:41], v[26:27]
	v_sub_f32_e32 v6, v6, v7
	v_sub_f32_e32 v17, v17, v33
	;; [unrolled: 1-line block ×3, first 2 shown]
	v_mul_f32_e32 v7, v6, v10
	v_mov_b32_e32 v6, v21
	v_sub_f32_e32 v2, v17, v2
	v_sub_f32_e32 v17, v8, v9
	v_pk_mul_f32 v[8:9], v[6:7], v[50:51]
	v_mov_b32_e32 v46, v12
	v_mov_b32_e32 v12, v24
	v_sub_f32_e32 v4, v4, v8
	v_mov_b32_e32 v47, v19
	v_sub_f32_e32 v19, v11, v23
	v_pk_mul_f32 v[10:11], v[6:7], v[12:13]
	v_sub_f32_e32 v12, v2, v3
	v_sub_f32_e32 v2, v4, v9
	v_mul_f32_e32 v3, v2, v18
	v_mov_b32_e32 v2, v7
	ds_write_b32 v54, v21
	ds_write_b32 v56, v7
	v_pk_mul_f32 v[8:9], v[2:3], v[46:47]
	v_mov_b32_e32 v29, v5
	v_pk_mul_f32 v[6:7], v[6:7], v[36:37]
	v_sub_f32_e32 v10, v15, v10
	v_sub_f32_e32 v8, v19, v8
	v_pk_mul_f32 v[4:5], v[2:3], v[28:29]
	v_sub_f32_e32 v2, v17, v6
	v_sub_f32_e32 v10, v10, v11
	;; [unrolled: 1-line block ×4, first 2 shown]
	v_add_u32_e32 v58, s20, v1
	v_mul_f32_e32 v7, v2, v14
	v_mov_b32_e32 v6, v3
	ds_write_b32 v58, v3
	v_pk_mul_f32 v[2:3], v[6:7], v[48:49]
	v_sub_f32_e32 v4, v12, v4
	v_sub_f32_e32 v2, v10, v2
	;; [unrolled: 1-line block ×3, first 2 shown]
	v_mul_f32_e32 v3, v2, v44
	v_mov_b32_e32 v2, v7
	v_mov_b32_e32 v17, v45
	v_sub_f32_e32 v8, v4, v5
	v_pk_mul_f32 v[4:5], v[2:3], v[16:17]
	s_mul_i32 s4, s16, 0x64
	v_sub_f32_e32 v2, v8, v4
	v_sub_f32_e32 v2, v2, v5
	v_mul_f32_e32 v5, v2, v38
	v_add_u32_e32 v2, 0x400, v42
	s_waitcnt lgkmcnt(5)
	v_pk_mul_f32 v[8:9], v[6:7], v[30:31]
	ds_write2_b32 v2, v7, v5 offset0:128 offset1:176
	v_mov_b32_e32 v2, s4
	v_sub_f32_e32 v4, v11, v8
	ds_read_b32 v7, v2
	v_add_u32_e32 v57, s17, v1
	v_sub_f32_e32 v6, v4, v9
	v_mov_b32_e32 v4, v3
	v_mov_b32_e32 v33, v39
	ds_write_b32 v57, v3
	s_waitcnt lgkmcnt(7)
	v_pk_mul_f32 v[2:3], v[4:5], v[32:33]
	s_mulk_i32 s16, 0x60
	v_sub_f32_e32 v2, v6, v2
	v_sub_f32_e32 v2, v2, v3
	s_waitcnt lgkmcnt(1)
	v_mul_f32_e32 v2, v2, v7
	v_add_u32_e32 v3, s16, v1
	s_add_i32 s7, s7, 20
	ds_write_b32 v3, v2
.LBB28_51:
	s_cmp_ge_i32 s7, s26
	s_cbranch_scc1 .LBB28_56
; %bb.52:
	v_mov_b32_e32 v2, 0x900
	s_lshl_b32 s4, s7, 2
	v_lshl_or_b32 v2, v0, 2, v2
	s_branch .LBB28_54
.LBB28_53:                              ;   in Loop: Header=BB28_54 Depth=1
	s_lshl_b32 s16, s7, 2
	s_add_i32 s5, s16, s5
	v_mov_b32_e32 v5, s5
	ds_read_b32 v5, v5
	s_add_i32 s7, s7, 1
	s_add_i32 s4, s4, 4
	s_cmp_ge_i32 s7, s26
	s_waitcnt lgkmcnt(0)
	v_mul_f32_e32 v4, v4, v5
	ds_write_b32 v3, v4
	s_cbranch_scc1 .LBB28_56
.LBB28_54:                              ; =>This Loop Header: Depth=1
                                        ;     Child Loop BB28_55 Depth 2
	s_mul_i32 s5, s7, 0x60
	v_add_u32_e32 v3, s5, v1
	ds_read_b32 v4, v3
	s_cmp_eq_u32 s7, 0
	v_mov_b32_e32 v5, v2
	s_mov_b32 s16, s4
	s_mov_b32 s17, s7
	s_cbranch_scc1 .LBB28_53
.LBB28_55:                              ;   Parent Loop BB28_54 Depth=1
                                        ; =>  This Inner Loop Header: Depth=2
	v_mov_b32_e32 v7, s16
	ds_read_b32 v6, v5
	ds_read_b32 v7, v7
	s_add_i32 s17, s17, -1
	s_addk_i32 s16, 0x60
	v_add_u32_e32 v5, 0x60, v5
	s_cmp_lg_u32 s17, 0
	s_waitcnt lgkmcnt(0)
	v_fma_f32 v4, -v6, v7, v4
	s_cbranch_scc1 .LBB28_55
	s_branch .LBB28_53
.LBB28_56:
	s_waitcnt lgkmcnt(0)
	; wave barrier
	s_and_saveexec_b64 s[4:5], s[0:1]
	s_cbranch_execz .LBB28_65
; %bb.57:
	s_andn2_b64 vcc, exec, s[14:15]
	s_cbranch_vccnz .LBB28_65
; %bb.58:
	s_cmp_eq_u32 s6, 1
	s_cbranch_scc1 .LBB28_62
; %bb.59:
	v_mad_i64_i32 v[2:3], s[0:1], s22, v0, 0
	s_and_b32 s4, s26, 30
	v_lshl_add_u64 v[2:3], v[2:3], 2, s[12:13]
	s_mov_b32 s0, 1
	s_mov_b32 s1, 0
	;; [unrolled: 1-line block ×3, first 2 shown]
.LBB28_60:                              ; =>This Inner Loop Header: Depth=1
	s_mul_i32 s6, s0, 0x60
	s_mul_i32 s7, s1, 0x60
	v_add_u32_e32 v4, s7, v1
	v_add_u32_e32 v5, s6, v1
	ds_read_b32 v4, v4
	ds_read_b32 v5, v5
	s_add_i32 s1, s1, 2
	s_add_i32 s0, s0, 2
	s_add_i32 s5, s5, -2
	s_cmp_lg_u32 s5, 0
	s_waitcnt lgkmcnt(0)
	flat_store_dwordx2 v[2:3], v[4:5]
	v_lshl_add_u64 v[2:3], v[2:3], 0, 8
	s_cbranch_scc1 .LBB28_60
; %bb.61:
	s_cmp_lg_u32 s26, s4
	s_cselect_b64 s[0:1], -1, 0
	s_and_b64 vcc, exec, s[0:1]
	s_cbranch_vccnz .LBB28_63
	s_branch .LBB28_65
.LBB28_62:
	s_mov_b32 s4, 0
	s_cbranch_execz .LBB28_65
.LBB28_63:
	s_sub_i32 s0, s26, s4
	s_lshl_b32 s1, s4, 2
	v_lshlrev_b32_e32 v2, 2, v0
	v_mov_b32_e32 v3, 0
	s_add_u32 s1, s8, s1
	v_lshl_add_u64 v[4:5], s[2:3], 2, v[2:3]
	s_addc_u32 s3, s9, 0
	s_add_u32 s2, s1, s10
	s_addc_u32 s3, s3, s11
	v_mov_b64_e32 v[2:3], s[2:3]
	s_mul_i32 s1, s4, 0x60
	v_mad_u64_u32 v[2:3], s[2:3], v4, s22, v[2:3]
	v_mul_lo_u32 v1, v4, s23
	v_mul_lo_u32 v4, v5, s22
	v_lshl_add_u32 v0, v0, 2, s1
	v_add3_u32 v3, v4, v3, v1
	v_add_u32_e32 v0, 0x900, v0
.LBB28_64:                              ; =>This Inner Loop Header: Depth=1
	ds_read_b32 v1, v0
	s_add_i32 s0, s0, -1
	v_add_u32_e32 v0, 0x60, v0
	s_cmp_lg_u32 s0, 0
	s_waitcnt lgkmcnt(0)
	flat_store_dword v[2:3], v1
	v_lshl_add_u64 v[2:3], v[2:3], 0, 4
	s_cbranch_scc1 .LBB28_64
.LBB28_65:
	s_endpgm
	.section	.rodata,"a",@progbits
	.p2align	6, 0x0
	.amdhsa_kernel _ZL38rocblas_trsm_small_left_device_sharedBILi24ELi24ELb1EffPKPKfPKPfEv13rocblas_fill_18rocblas_operation_17rocblas_diagonal_iiT3_T4_lilT5_lili
		.amdhsa_group_segment_fixed_size 4608
		.amdhsa_private_segment_fixed_size 0
		.amdhsa_kernarg_size 352
		.amdhsa_user_sgpr_count 2
		.amdhsa_user_sgpr_dispatch_ptr 0
		.amdhsa_user_sgpr_queue_ptr 0
		.amdhsa_user_sgpr_kernarg_segment_ptr 1
		.amdhsa_user_sgpr_dispatch_id 0
		.amdhsa_user_sgpr_kernarg_preload_length 0
		.amdhsa_user_sgpr_kernarg_preload_offset 0
		.amdhsa_user_sgpr_private_segment_size 0
		.amdhsa_uses_dynamic_stack 0
		.amdhsa_enable_private_segment 0
		.amdhsa_system_sgpr_workgroup_id_x 1
		.amdhsa_system_sgpr_workgroup_id_y 0
		.amdhsa_system_sgpr_workgroup_id_z 1
		.amdhsa_system_sgpr_workgroup_info 0
		.amdhsa_system_vgpr_workitem_id 0
		.amdhsa_next_free_vgpr 97
		.amdhsa_next_free_sgpr 56
		.amdhsa_accum_offset 100
		.amdhsa_reserve_vcc 1
		.amdhsa_float_round_mode_32 0
		.amdhsa_float_round_mode_16_64 0
		.amdhsa_float_denorm_mode_32 3
		.amdhsa_float_denorm_mode_16_64 3
		.amdhsa_dx10_clamp 1
		.amdhsa_ieee_mode 1
		.amdhsa_fp16_overflow 0
		.amdhsa_tg_split 0
		.amdhsa_exception_fp_ieee_invalid_op 0
		.amdhsa_exception_fp_denorm_src 0
		.amdhsa_exception_fp_ieee_div_zero 0
		.amdhsa_exception_fp_ieee_overflow 0
		.amdhsa_exception_fp_ieee_underflow 0
		.amdhsa_exception_fp_ieee_inexact 0
		.amdhsa_exception_int_div_zero 0
	.end_amdhsa_kernel
	.section	.text._ZL38rocblas_trsm_small_left_device_sharedBILi24ELi24ELb1EffPKPKfPKPfEv13rocblas_fill_18rocblas_operation_17rocblas_diagonal_iiT3_T4_lilT5_lili,"axG",@progbits,_ZL38rocblas_trsm_small_left_device_sharedBILi24ELi24ELb1EffPKPKfPKPfEv13rocblas_fill_18rocblas_operation_17rocblas_diagonal_iiT3_T4_lilT5_lili,comdat
.Lfunc_end28:
	.size	_ZL38rocblas_trsm_small_left_device_sharedBILi24ELi24ELb1EffPKPKfPKPfEv13rocblas_fill_18rocblas_operation_17rocblas_diagonal_iiT3_T4_lilT5_lili, .Lfunc_end28-_ZL38rocblas_trsm_small_left_device_sharedBILi24ELi24ELb1EffPKPKfPKPfEv13rocblas_fill_18rocblas_operation_17rocblas_diagonal_iiT3_T4_lilT5_lili
                                        ; -- End function
	.set _ZL38rocblas_trsm_small_left_device_sharedBILi24ELi24ELb1EffPKPKfPKPfEv13rocblas_fill_18rocblas_operation_17rocblas_diagonal_iiT3_T4_lilT5_lili.num_vgpr, 97
	.set _ZL38rocblas_trsm_small_left_device_sharedBILi24ELi24ELb1EffPKPKfPKPfEv13rocblas_fill_18rocblas_operation_17rocblas_diagonal_iiT3_T4_lilT5_lili.num_agpr, 0
	.set _ZL38rocblas_trsm_small_left_device_sharedBILi24ELi24ELb1EffPKPKfPKPfEv13rocblas_fill_18rocblas_operation_17rocblas_diagonal_iiT3_T4_lilT5_lili.numbered_sgpr, 56
	.set _ZL38rocblas_trsm_small_left_device_sharedBILi24ELi24ELb1EffPKPKfPKPfEv13rocblas_fill_18rocblas_operation_17rocblas_diagonal_iiT3_T4_lilT5_lili.num_named_barrier, 0
	.set _ZL38rocblas_trsm_small_left_device_sharedBILi24ELi24ELb1EffPKPKfPKPfEv13rocblas_fill_18rocblas_operation_17rocblas_diagonal_iiT3_T4_lilT5_lili.private_seg_size, 0
	.set _ZL38rocblas_trsm_small_left_device_sharedBILi24ELi24ELb1EffPKPKfPKPfEv13rocblas_fill_18rocblas_operation_17rocblas_diagonal_iiT3_T4_lilT5_lili.uses_vcc, 1
	.set _ZL38rocblas_trsm_small_left_device_sharedBILi24ELi24ELb1EffPKPKfPKPfEv13rocblas_fill_18rocblas_operation_17rocblas_diagonal_iiT3_T4_lilT5_lili.uses_flat_scratch, 0
	.set _ZL38rocblas_trsm_small_left_device_sharedBILi24ELi24ELb1EffPKPKfPKPfEv13rocblas_fill_18rocblas_operation_17rocblas_diagonal_iiT3_T4_lilT5_lili.has_dyn_sized_stack, 0
	.set _ZL38rocblas_trsm_small_left_device_sharedBILi24ELi24ELb1EffPKPKfPKPfEv13rocblas_fill_18rocblas_operation_17rocblas_diagonal_iiT3_T4_lilT5_lili.has_recursion, 0
	.set _ZL38rocblas_trsm_small_left_device_sharedBILi24ELi24ELb1EffPKPKfPKPfEv13rocblas_fill_18rocblas_operation_17rocblas_diagonal_iiT3_T4_lilT5_lili.has_indirect_call, 0
	.section	.AMDGPU.csdata,"",@progbits
; Kernel info:
; codeLenInByte = 19368
; TotalNumSgprs: 62
; NumVgprs: 97
; NumAgprs: 0
; TotalNumVgprs: 97
; ScratchSize: 0
; MemoryBound: 0
; FloatMode: 240
; IeeeMode: 1
; LDSByteSize: 4608 bytes/workgroup (compile time only)
; SGPRBlocks: 7
; VGPRBlocks: 12
; NumSGPRsForWavesPerEU: 62
; NumVGPRsForWavesPerEU: 97
; AccumOffset: 100
; Occupancy: 4
; WaveLimiterHint : 0
; COMPUTE_PGM_RSRC2:SCRATCH_EN: 0
; COMPUTE_PGM_RSRC2:USER_SGPR: 2
; COMPUTE_PGM_RSRC2:TRAP_HANDLER: 0
; COMPUTE_PGM_RSRC2:TGID_X_EN: 1
; COMPUTE_PGM_RSRC2:TGID_Y_EN: 0
; COMPUTE_PGM_RSRC2:TGID_Z_EN: 1
; COMPUTE_PGM_RSRC2:TIDIG_COMP_CNT: 0
; COMPUTE_PGM_RSRC3_GFX90A:ACCUM_OFFSET: 24
; COMPUTE_PGM_RSRC3_GFX90A:TG_SPLIT: 0
	.section	.text._ZL30rocblas_trsm_small_left_deviceILi24ELi24ELb1EffPKPKfPKPfEv13rocblas_fill_18rocblas_operation_17rocblas_diagonal_iiT3_T4_lilT5_lili,"axG",@progbits,_ZL30rocblas_trsm_small_left_deviceILi24ELi24ELb1EffPKPKfPKPfEv13rocblas_fill_18rocblas_operation_17rocblas_diagonal_iiT3_T4_lilT5_lili,comdat
	.globl	_ZL30rocblas_trsm_small_left_deviceILi24ELi24ELb1EffPKPKfPKPfEv13rocblas_fill_18rocblas_operation_17rocblas_diagonal_iiT3_T4_lilT5_lili ; -- Begin function _ZL30rocblas_trsm_small_left_deviceILi24ELi24ELb1EffPKPKfPKPfEv13rocblas_fill_18rocblas_operation_17rocblas_diagonal_iiT3_T4_lilT5_lili
	.p2align	8
	.type	_ZL30rocblas_trsm_small_left_deviceILi24ELi24ELb1EffPKPKfPKPfEv13rocblas_fill_18rocblas_operation_17rocblas_diagonal_iiT3_T4_lilT5_lili,@function
_ZL30rocblas_trsm_small_left_deviceILi24ELi24ELb1EffPKPKfPKPfEv13rocblas_fill_18rocblas_operation_17rocblas_diagonal_iiT3_T4_lilT5_lili: ; @_ZL30rocblas_trsm_small_left_deviceILi24ELi24ELb1EffPKPKfPKPfEv13rocblas_fill_18rocblas_operation_17rocblas_diagonal_iiT3_T4_lilT5_lili
; %bb.0:
	s_load_dwordx4 s[8:11], s[0:1], 0x38
	s_load_dwordx4 s[4:7], s[0:1], 0x4
	s_load_dword s16, s[0:1], 0x14
	s_mov_b32 s20, s3
	s_mov_b32 s21, 0
	s_lshl_b64 s[24:25], s[20:21], 3
	s_waitcnt lgkmcnt(0)
	s_add_u32 s8, s8, s24
	s_addc_u32 s9, s9, s25
	s_load_dwordx2 s[8:9], s[8:9], 0x0
	s_min_i32 s17, s6, 24
	v_cmp_gt_i32_e32 vcc, s17, v0
	s_and_saveexec_b64 s[18:19], vcc
	s_cbranch_execz .LBB29_11
; %bb.1:
	s_load_dwordx4 s[12:15], s[0:1], 0x18
	s_load_dword s22, s[0:1], 0x28
	v_lshlrev_b32_e32 v2, 2, v0
	v_mov_b32_e32 v3, 0
	s_mov_b32 s3, 1
	s_waitcnt lgkmcnt(0)
	s_add_u32 s12, s12, s24
	s_addc_u32 s13, s13, s25
	s_load_dwordx2 s[12:13], s[12:13], 0x0
	s_cmp_lt_u32 s17, 2
	s_cselect_b64 s[26:27], -1, 0
	s_cmp_lg_u32 s22, 1
	s_cselect_b64 s[28:29], -1, 0
	s_or_b64 s[26:27], s[26:27], s[28:29]
	s_mov_b64 s[24:25], -1
	s_and_b64 vcc, exec, s[26:27]
	s_cbranch_vccnz .LBB29_5
; %bb.2:
	s_lshl_b64 s[20:21], s[14:15], 2
	s_waitcnt lgkmcnt(0)
	s_add_u32 s20, s12, s20
	s_addc_u32 s21, s13, s21
	v_lshl_add_u64 v[4:5], s[20:21], 0, v[2:3]
	s_and_b32 s21, s17, -2
	s_mov_b32 s20, 0
	s_mov_b32 s23, s21
.LBB29_3:                               ; =>This Inner Loop Header: Depth=1
	flat_load_dwordx2 v[6:7], v[4:5]
	s_mul_i32 s24, s3, 0x60
	s_mul_i32 s25, s20, 0x60
	s_add_i32 s20, s20, 2
	s_add_i32 s3, s3, 2
	s_add_i32 s23, s23, -2
	v_lshl_add_u64 v[4:5], v[4:5], 0, 8
	v_add_u32_e32 v1, s25, v2
	s_cmp_lg_u32 s23, 0
	v_add_u32_e32 v3, s24, v2
	s_waitcnt vmcnt(0) lgkmcnt(0)
	ds_write_b32 v1, v6
	ds_write_b32 v3, v7
	s_cbranch_scc1 .LBB29_3
; %bb.4:
	s_cmp_lg_u32 s17, s21
	s_cselect_b64 s[24:25], -1, 0
.LBB29_5:
	s_and_b64 vcc, exec, s[24:25]
	s_cbranch_vccz .LBB29_8
; %bb.6:
	s_ashr_i32 s23, s22, 31
	s_mul_hi_u32 s3, s22, s21
	s_mul_i32 s20, s23, s21
	s_add_i32 s25, s3, s20
	s_mul_i32 s24, s22, s21
	s_lshl_b64 s[24:25], s[24:25], 2
	s_lshl_b64 s[14:15], s[14:15], 2
	s_add_u32 s3, s24, s14
	s_addc_u32 s14, s25, s15
	s_waitcnt lgkmcnt(0)
	s_add_u32 s12, s12, s3
	v_mov_b32_e32 v3, 0
	s_addc_u32 s13, s13, s14
	s_mul_i32 s14, s21, 0x60
	v_lshl_add_u64 v[4:5], s[12:13], 0, v[2:3]
	s_lshl_b64 s[12:13], s[22:23], 2
	s_sub_i32 s3, s17, s21
	v_lshl_add_u32 v1, v0, 2, s14
.LBB29_7:                               ; =>This Inner Loop Header: Depth=1
	flat_load_dword v3, v[4:5]
	s_add_i32 s3, s3, -1
	v_lshl_add_u64 v[4:5], v[4:5], 0, s[12:13]
	s_cmp_eq_u32 s3, 0
	s_waitcnt vmcnt(0) lgkmcnt(0)
	ds_write_b32 v1, v3
	v_add_u32_e32 v1, 0x60, v1
	s_cbranch_scc0 .LBB29_7
.LBB29_8:
	v_mul_u32_u24_e32 v1, 0x60, v0
	s_cmpk_lg_i32 s5, 0x84
	v_mov_b32_e32 v3, 1.0
	v_add_u32_e32 v1, v2, v1
	s_cbranch_scc0 .LBB29_10
; %bb.9:
	ds_read_b32 v2, v1
	s_waitcnt lgkmcnt(0)
	v_div_scale_f32 v3, s[12:13], v2, v2, 1.0
	v_rcp_f32_e32 v4, v3
	v_div_scale_f32 v5, vcc, 1.0, v2, 1.0
	v_fma_f32 v6, -v3, v4, 1.0
	v_fmac_f32_e32 v4, v6, v4
	v_mul_f32_e32 v6, v5, v4
	v_fma_f32 v7, -v3, v6, v5
	v_fmac_f32_e32 v6, v7, v4
	v_fma_f32 v3, -v3, v6, v5
	v_div_fmas_f32 v3, v3, v4, v6
	v_div_fixup_f32 v3, v3, v2, 1.0
.LBB29_10:
	ds_write_b32 v1, v3
.LBB29_11:
	s_or_b64 exec, exec, s[18:19]
	s_load_dword s3, s[0:1], 0x60
	s_mul_i32 s5, s2, 0xffffffe8
	s_add_i32 s5, s7, s5
	s_waitcnt lgkmcnt(0)
	; wave barrier
	s_add_i32 s3, s3, -1
	s_cmp_ge_u32 s2, s3
	s_cselect_b32 s3, s5, 24
	v_cmp_gt_i32_e32 vcc, s3, v0
	s_and_saveexec_b64 s[12:13], vcc
	s_cbranch_execz .LBB29_53
; %bb.12:
	s_load_dword s5, s[0:1], 0x48
	s_lshl_b64 s[0:1], s[10:11], 2
	s_add_u32 s0, s8, s0
	v_mad_u64_u32 v[0:1], s[2:3], s2, 24, v[0:1]
	s_addc_u32 s1, s9, s1
	s_waitcnt lgkmcnt(0)
	v_mad_i64_i32 v[0:1], s[2:3], s5, v0, 0
	v_lshl_add_u64 v[54:55], v[0:1], 2, s[0:1]
	s_cmpk_eq_i32 s4, 0x6f
	s_mov_b64 s[0:1], -1
	s_cbranch_scc1 .LBB29_39
; %bb.13:
	s_add_i32 s7, s17, -1
	s_cmp_gt_i32 s6, 23
	s_mov_b32 s0, -1
	s_cbranch_scc0 .LBB29_15
; %bb.14:
	flat_load_dwordx4 v[4:7], v[54:55] offset:80
	flat_load_dwordx4 v[16:19], v[54:55] offset:64
	;; [unrolled: 1-line block ×5, first 2 shown]
	flat_load_dwordx4 v[8:11], v[54:55]
	v_mov_b32_e32 v86, 0
	s_movk_i32 s1, 0x800
	s_movk_i32 s2, 0x600
	ds_read_b32 v53, v86 offset:2300
	ds_read_b128 v[48:51], v86 offset:2000
	s_movk_i32 s3, 0x400
	v_mov_b32_e32 v0, 0x714
	v_mov_b32_e32 v1, 0x70c
	;; [unrolled: 1-line block ×8, first 2 shown]
	v_add_u32_e64 v34, s1, 0
	v_add_u32_e64 v35, s2, 0
	;; [unrolled: 1-line block ×3, first 2 shown]
	ds_read_b128 v[60:63], v86 offset:1904
	ds_read_b64 v[32:33], v86 offset:1720
	ds_read2_b64 v[88:91], v86 offset0:213 offset1:214
	ds_read_b32 v110, v86 offset:1700
	ds_read2_b32 v[68:69], v0 offset1:1
	ds_read2_b32 v[74:75], v1 offset1:1
	;; [unrolled: 1-line block ×4, first 2 shown]
	ds_read_b96 v[36:38], v86 offset:1600
	ds_read_b128 v[64:67], v86 offset:1520
	ds_read2_b32 v[96:97], v20 offset1:1
	ds_read2_b32 v[98:99], v21 offset1:1
	;; [unrolled: 1-line block ×4, first 2 shown]
	ds_read_b128 v[20:23], v86 offset:1504
	ds_read_b64 v[42:43], v86 offset:1336
	ds_read2_b64 v[92:95], v86 offset0:165 offset1:166
	ds_read2_b64 v[0:3], v86 offset0:163 offset1:164
	ds_read2_b64 v[56:59], v34 offset0:7 offset1:19
	ds_read2_b32 v[100:101], v35 offset0:91 offset1:141
	ds_read2_b32 v[102:103], v108 offset0:194 offset1:199
	;; [unrolled: 1-line block ×5, first 2 shown]
	s_waitcnt lgkmcnt(0)
	v_mov_b32_e32 v76, v37
	v_mov_b32_e32 v52, s16
	;; [unrolled: 1-line block ×9, first 2 shown]
	s_waitcnt vmcnt(0)
	v_mul_f32_e32 v37, s16, v7
	v_mov_b32_e32 v7, v59
	v_mul_f32_e32 v53, v37, v53
	v_pk_mul_f32 v[6:7], v[52:53], v[6:7]
	v_mov_b32_e32 v50, v4
	v_mov_b32_e32 v38, v18
	;; [unrolled: 1-line block ×4, first 2 shown]
	v_sub_f32_e32 v6, v6, v7
	v_pk_mul_f32 v[104:105], v[52:53], v[50:51]
	v_pk_mul_f32 v[106:107], v[52:53], v[38:39]
	;; [unrolled: 1-line block ×4, first 2 shown]
	v_mul_f32_e32 v52, v6, v58
	v_mul_f32_e32 v4, v53, v34
	v_pk_mul_f32 v[6:7], v[52:53], v[56:57]
	v_pk_mul_f32 v[38:39], v[52:53], v[62:63]
	;; [unrolled: 1-line block ×5, first 2 shown]
	v_fma_f32 v24, s16, v24, -v4
	flat_store_dwordx2 v[54:55], v[52:53] offset:88
	v_fma_f32 v4, s16, v5, -v7
	v_fma_f32 v5, s16, v19, -v39
	;; [unrolled: 1-line block ×5, first 2 shown]
	v_sub_f32_e32 v6, v4, v6
	v_sub_f32_e32 v37, v5, v38
	;; [unrolled: 1-line block ×5, first 2 shown]
	v_mov_b32_e32 v7, 0x4cc
	v_mov_b32_e32 v25, 0x4c4
	;; [unrolled: 1-line block ×3, first 2 shown]
	ds_read_b96 v[32:34], v86 offset:1200
	ds_read_b128 v[16:19], v86 offset:1136
	ds_read2_b32 v[4:5], v87 offset1:1
	ds_read2_b32 v[66:67], v7 offset1:1
	;; [unrolled: 1-line block ×4, first 2 shown]
	s_waitcnt lgkmcnt(0)
	v_mul_f32_e32 v7, v53, v19
	v_mul_f32_e32 v62, v6, v101
	v_mov_b32_e32 v63, v52
	ds_read2_b32 v[38:39], v108 offset0:7 offset1:19
	v_fma_f32 v7, s16, v31, -v7
	v_pk_mul_f32 v[4:5], v[62:63], v[4:5]
	v_fma_f32 v31, -v52, v18, v7
	v_pk_mul_f32 v[6:7], v[62:63], v[84:85]
	v_sub_f32_e32 v18, v104, v105
	v_sub_f32_e32 v5, v24, v5
	v_mov_b32_e32 v43, v34
	v_sub_f32_e32 v7, v18, v7
	v_sub_f32_e32 v34, v5, v4
	v_mov_b32_e32 v4, 0x414
	v_mov_b32_e32 v42, v33
	v_sub_f32_e32 v33, v7, v6
	ds_read2_b32 v[18:19], v4 offset1:1
	ds_read_b128 v[24:27], v86 offset:1120
	ds_read_b128 v[4:7], v86 offset:1104
	s_waitcnt lgkmcnt(0)
	v_mul_f32_e32 v38, v53, v38
	v_fma_f32 v30, s16, v30, -v38
	v_pk_mul_f32 v[84:85], v[62:63], v[72:73]
	v_fma_f32 v19, -v52, v19, v30
	v_mul_f32_e32 v72, v33, v48
	v_mov_b32_e32 v73, v62
	v_fma_f32 v38, -v62, v18, v19
	v_pk_mul_f32 v[18:19], v[72:73], v[60:61]
	v_pk_mul_f32 v[16:17], v[72:73], v[16:17]
	v_sub_f32_e32 v19, v37, v19
	v_sub_f32_e32 v37, v19, v18
	v_pk_mul_f32 v[18:19], v[72:73], v[90:91]
	v_sub_f32_e32 v17, v31, v17
	v_sub_f32_e32 v19, v41, v19
	;; [unrolled: 1-line block ×3, first 2 shown]
	v_pk_mul_f32 v[18:19], v[72:73], v[64:65]
	flat_store_dwordx2 v[54:55], v[72:73] offset:80
	v_sub_f32_e32 v19, v47, v19
	v_sub_f32_e32 v47, v19, v18
	v_pk_mul_f32 v[18:19], v[72:73], v[94:95]
	v_sub_f32_e32 v73, v17, v16
	v_mov_b32_e32 v16, 0x40c
	v_sub_f32_e32 v19, v49, v19
	ds_read2_b32 v[30:31], v16 offset1:1
	ds_read2_b32 v[48:49], v86 offset0:253 offset1:254
	ds_read_b32 v33, v86 offset:1000
	ds_read_b64 v[16:17], v86 offset:952
	v_pk_mul_f32 v[104:105], v[62:63], v[68:69]
	v_mul_f32_e32 v68, v37, v100
	v_mov_b32_e32 v69, v72
	v_pk_mul_f32 v[58:59], v[62:63], v[96:97]
	v_sub_f32_e32 v63, v19, v18
	v_mov_b32_e32 v18, 0x404
	v_pk_mul_f32 v[66:67], v[68:69], v[66:67]
	v_mov_b32_e32 v19, 0x3fc
	ds_read2_b32 v[108:109], v18 offset1:1
	ds_read2_b32 v[60:61], v19 offset1:1
	ds_read2_b64 v[94:97], v86 offset0:117 offset1:118
	v_sub_f32_e32 v34, v34, v67
	v_sub_f32_e32 v34, v34, v66
	s_waitcnt lgkmcnt(0)
	v_pk_mul_f32 v[66:67], v[68:69], v[30:31]
	ds_read2_b32 v[30:31], v86 offset0:215 offset1:225
	v_mul_f32_e32 v17, v53, v17
	v_fma_f32 v17, s16, v29, -v17
	v_pk_mul_f32 v[64:65], v[68:69], v[74:75]
	ds_read2_b32 v[74:75], v86 offset0:213 offset1:214
	v_fma_f32 v29, -v52, v16, v17
	v_sub_f32_e32 v37, v38, v67
	v_fma_f32 v29, -v62, v97, v29
	v_sub_f32_e32 v37, v37, v66
	ds_read2_b32 v[66:67], v86 offset0:211 offset1:212
	v_fma_f32 v87, -v72, v96, v29
	v_sub_f32_e32 v29, v106, v107
	s_waitcnt lgkmcnt(0)
	v_mul_f32_e32 v30, v53, v30
	v_sub_f32_e32 v29, v29, v105
	v_fma_f32 v28, s16, v28, -v30
	v_sub_f32_e32 v29, v29, v104
	v_fma_f32 v28, -v52, v75, v28
	v_sub_f32_e32 v29, v29, v65
	v_fma_f32 v28, -v62, v74, v28
	;; [unrolled: 2-line block ×3, first 2 shown]
	v_fma_f32 v38, -v68, v66, v28
	v_mul_f32_e32 v66, v29, v102
	v_mov_b32_e32 v67, v68
	v_pk_mul_f32 v[22:23], v[66:67], v[22:23]
	ds_read2_b64 v[16:19], v86 offset0:115 offset1:116
	v_sub_f32_e32 v23, v47, v23
	v_sub_f32_e32 v47, v23, v22
	v_pk_mul_f32 v[22:23], v[66:67], v[92:93]
	flat_store_dwordx2 v[54:55], v[66:67] offset:72
	v_sub_f32_e32 v23, v63, v23
	v_pk_mul_f32 v[96:97], v[68:69], v[80:81]
	v_sub_f32_e32 v63, v23, v22
	v_pk_mul_f32 v[22:23], v[66:67], v[26:27]
	ds_read2_b32 v[74:75], v86 offset0:207 offset1:208
	ds_read_b32 v30, v86 offset:800
	ds_read2_b32 v[80:81], v86 offset0:205 offset1:206
	ds_read_b64 v[26:27], v86 offset:760
	v_sub_f32_e32 v23, v73, v23
	v_pk_mul_f32 v[64:65], v[68:69], v[98:99]
	v_pk_mul_f32 v[28:29], v[66:67], v[88:89]
	v_sub_f32_e32 v69, v23, v22
	v_pk_mul_f32 v[22:23], v[66:67], v[94:95]
	ds_read2_b32 v[92:93], v86 offset0:209 offset1:210
	ds_read2_b64 v[88:91], v86 offset0:93 offset1:94
	v_sub_f32_e32 v23, v87, v23
	v_sub_f32_e32 v67, v23, v22
	s_waitcnt lgkmcnt(0)
	v_mul_f32_e32 v22, v53, v27
	v_fma_f32 v15, s16, v15, -v22
	v_fma_f32 v15, -v52, v26, v15
	v_fma_f32 v15, -v62, v91, v15
	;; [unrolled: 1-line block ×5, first 2 shown]
	v_sub_f32_e32 v15, v78, v79
	v_sub_f32_e32 v29, v41, v29
	;; [unrolled: 1-line block ×5, first 2 shown]
	v_mul_f32_e32 v102, v41, v110
	v_mov_b32_e32 v103, v66
	v_sub_f32_e32 v15, v15, v97
	v_pk_mul_f32 v[22:23], v[102:103], v[76:77]
	v_sub_f32_e32 v15, v15, v96
	v_sub_f32_e32 v15, v15, v23
	;; [unrolled: 1-line block ×3, first 2 shown]
	v_pk_mul_f32 v[22:23], v[102:103], v[82:83]
	v_pk_mul_f32 v[82:83], v[102:103], v[92:93]
	v_sub_f32_e32 v15, v34, v23
	v_sub_f32_e32 v34, v15, v22
	v_pk_mul_f32 v[22:23], v[102:103], v[108:109]
	ds_read2_b64 v[26:29], v86 offset0:91 offset1:92
	v_sub_f32_e32 v15, v37, v23
	v_pk_mul_f32 v[78:79], v[102:103], v[70:71]
	v_sub_f32_e32 v87, v15, v22
	ds_read2_b32 v[22:23], v86 offset0:150 offset1:167
	ds_read2_b32 v[70:71], v86 offset0:251 offset1:252
	ds_read_b64 v[76:77], v86 offset:912
	v_sub_f32_e32 v15, v38, v83
	v_sub_f32_e32 v38, v15, v82
	ds_read2_b32 v[82:83], v86 offset0:165 offset1:166
	s_waitcnt lgkmcnt(0)
	v_mul_f32_e32 v15, v53, v23
	v_fma_f32 v23, s16, v14, -v15
	ds_read_b32 v114, v86 offset:700
	ds_read2_b32 v[14:15], v86 offset0:163 offset1:164
	ds_read2_b32 v[88:89], v86 offset0:161 offset1:162
	v_fma_f32 v23, -v52, v83, v23
	v_fma_f32 v23, -v62, v82, v23
	ds_read_b128 v[82:85], v86 offset:560
	s_waitcnt lgkmcnt(0)
	v_fma_f32 v15, -v72, v15, v23
	v_fma_f32 v14, -v68, v14, v15
	;; [unrolled: 1-line block ×4, first 2 shown]
	ds_read_b128 v[88:91], v86 offset:544
	v_mul_f32_e32 v14, v53, v85
	v_fma_f32 v13, s16, v13, -v14
	v_fma_f32 v13, -v52, v84, v13
	ds_read_b32 v115, v86 offset:500
	ds_read2_b32 v[14:15], v86 offset0:100 offset1:119
	v_fma_f32 v13, -v62, v83, v13
	v_fma_f32 v13, -v72, v82, v13
	ds_read2_b32 v[82:83], v86 offset0:117 offset1:118
	ds_read2_b32 v[84:85], v86 offset0:115 offset1:116
	s_waitcnt lgkmcnt(0)
	v_fma_f32 v13, -v68, v91, v13
	v_fma_f32 v13, -v66, v90, v13
	;; [unrolled: 1-line block ×3, first 2 shown]
	v_mul_f32_e32 v13, v53, v15
	v_fma_f32 v12, s16, v12, -v13
	v_fma_f32 v12, -v52, v83, v12
	v_fma_f32 v15, -v62, v82, v12
	ds_read2_b32 v[12:13], v86 offset0:113 offset1:114
	ds_read_b64 v[90:91], v86 offset:376
	ds_read2_b32 v[104:105], v86 offset0:111 offset1:112
	v_fma_f32 v15, -v72, v85, v15
	v_fma_f32 v15, -v68, v84, v15
	ds_read2_b64 v[82:85], v86 offset0:45 offset1:46
	s_waitcnt lgkmcnt(0)
	v_fma_f32 v13, -v66, v13, v15
	v_fma_f32 v15, -v102, v12, v13
	v_mul_f32_e32 v12, v53, v91
	v_fma_f32 v11, s16, v11, -v12
	v_fma_f32 v11, -v52, v90, v11
	v_fma_f32 v11, -v62, v85, v11
	;; [unrolled: 1-line block ×3, first 2 shown]
	ds_read2_b64 v[90:93], v86 offset0:43 offset1:44
	ds_read2_b32 v[12:13], v86 offset0:50 offset1:71
	v_fma_f32 v11, -v68, v83, v11
	v_fma_f32 v11, -v66, v82, v11
	ds_read_b32 v116, v86 offset:300
	ds_read2_b32 v[82:83], v86 offset0:69 offset1:70
	s_waitcnt lgkmcnt(0)
	v_fma_f32 v93, -v102, v93, v11
	v_mul_f32_e32 v11, v53, v13
	ds_read2_b32 v[94:95], v86 offset0:67 offset1:68
	v_fma_f32 v10, s16, v10, -v11
	v_fma_f32 v10, -v52, v83, v10
	v_fma_f32 v13, -v62, v82, v10
	ds_read2_b32 v[10:11], v86 offset0:65 offset1:66
	ds_read2_b32 v[106:107], v86 offset0:61 offset1:62
	ds_read_b128 v[82:85], v86 offset:176
	s_waitcnt lgkmcnt(0)
	v_fma_f32 v13, -v72, v95, v13
	v_fma_f32 v13, -v68, v94, v13
	ds_read2_b32 v[108:109], v86 offset0:63 offset1:64
	ds_read_b128 v[94:97], v86 offset:160
	v_fma_f32 v11, -v66, v11, v13
	v_fma_f32 v10, -v102, v10, v11
	v_mul_f32_e32 v11, v53, v85
	v_fma_f32 v9, s16, v9, -v11
	v_fma_f32 v9, -v52, v84, v9
	v_fma_f32 v9, -v62, v83, v9
	;; [unrolled: 1-line block ×3, first 2 shown]
	ds_read_b128 v[82:85], v86 offset:144
	ds_read_b128 v[98:101], v86 offset:80
	v_mul_f32_e32 v36, v41, v36
	v_mov_b32_e32 v37, v102
	s_waitcnt lgkmcnt(0)
	v_fma_f32 v9, -v68, v97, v9
	v_pk_mul_f32 v[2:3], v[36:37], v[2:3]
	v_fma_f32 v9, -v66, v96, v9
	v_sub_f32_e32 v3, v63, v3
	v_fma_f32 v11, -v102, v95, v9
	v_mul_f32_e32 v9, v53, v101
	v_sub_f32_e32 v118, v3, v2
	v_pk_mul_f32 v[2:3], v[36:37], v[24:25]
	v_fma_f32 v8, s16, v8, -v9
	v_sub_f32_e32 v3, v69, v3
	v_fma_f32 v8, -v52, v100, v8
	v_sub_f32_e32 v119, v3, v2
	v_pk_mul_f32 v[2:3], v[36:37], v[18:19]
	v_fma_f32 v8, -v62, v99, v8
	v_sub_f32_e32 v3, v67, v3
	v_fma_f32 v13, -v72, v98, v8
	v_pk_mul_f32 v[8:9], v[36:37], v[20:21]
	v_sub_f32_e32 v120, v3, v2
	v_pk_mul_f32 v[2:3], v[36:37], v[28:29]
	ds_read_b32 v117, v86 offset:100
	flat_store_dwordx2 v[54:55], v[36:37] offset:64
	v_sub_f32_e32 v9, v47, v9
	v_sub_f32_e32 v3, v73, v3
	;; [unrolled: 1-line block ×4, first 2 shown]
	ds_read2_b32 v[2:3], v86 offset0:159 offset1:160
	v_mul_f32_e32 v24, v20, v46
	v_sub_f32_e32 v20, v50, v51
	ds_read_b32 v18, v86 offset:76
	v_sub_f32_e32 v20, v20, v59
	v_sub_f32_e32 v20, v20, v58
	v_mov_b32_e32 v25, v36
	v_sub_f32_e32 v20, v20, v65
	s_waitcnt lgkmcnt(0)
	v_pk_mul_f32 v[2:3], v[24:25], v[2:3]
	v_sub_f32_e32 v20, v20, v64
	v_sub_f32_e32 v3, v23, v3
	;; [unrolled: 1-line block ×5, first 2 shown]
	ds_read2_b32 v[2:3], v86 offset0:17 offset1:18
	ds_read2_b32 v[64:65], v86 offset0:13 offset1:14
	v_fma_f32 v13, -v68, v18, v13
	v_pk_mul_f32 v[18:19], v[24:25], v[44:45]
	v_fma_f32 v41, -v36, v94, v11
	v_sub_f32_e32 v19, v20, v19
	v_sub_f32_e32 v23, v19, v18
	v_pk_mul_f32 v[18:19], v[24:25], v[56:57]
	v_fma_f32 v85, -v24, v85, v41
	v_sub_f32_e32 v19, v34, v19
	v_sub_f32_e32 v34, v19, v18
	v_pk_mul_f32 v[18:19], v[24:25], v[60:61]
	v_mul_f32_e32 v40, v23, v40
	v_sub_f32_e32 v19, v87, v19
	v_sub_f32_e32 v87, v19, v18
	v_pk_mul_f32 v[18:19], v[24:25], v[74:75]
	v_mov_b32_e32 v41, v24
	v_sub_f32_e32 v19, v38, v19
	v_sub_f32_e32 v38, v19, v18
	ds_read2_b32 v[18:19], v86 offset0:15 offset1:16
	s_waitcnt lgkmcnt(0)
	v_fma_f32 v3, -v66, v3, v13
	v_fma_f32 v2, -v102, v2, v3
	v_pk_mul_f32 v[0:1], v[40:41], v[0:1]
	v_fma_f32 v15, -v36, v105, v15
	v_fma_f32 v21, -v36, v92, v93
	v_fma_f32 v37, -v36, v109, v10
	v_fma_f32 v2, -v36, v19, v2
	v_sub_f32_e32 v1, v118, v1
	v_fma_f32 v122, -v36, v88, v89
	ds_read2_b64 v[8:11], v86 offset0:13 offset1:14
	ds_read2_b32 v[28:29], v86 offset0:157 offset1:158
	v_fma_f32 v15, -v24, v104, v15
	v_fma_f32 v91, -v24, v91, v21
	;; [unrolled: 1-line block ×4, first 2 shown]
	ds_read2_b32 v[36:37], v86 offset0:11 offset1:12
	ds_read2_b32 v[66:67], v86 offset0:9 offset1:10
	ds_read2_b32 v[68:69], v86 offset0:7 offset1:8
	ds_read2_b32 v[72:73], v86 offset0:5 offset1:6
	ds_read2_b32 v[2:3], v86 offset0:3 offset1:4
	ds_read_b128 v[18:21], v86 offset:528
	ds_read2_b64 v[44:47], v86 offset0:63 offset1:64
	ds_read2_b32 v[74:75], v86 offset0:51 offset1:52
	ds_read2_b64 v[50:53], v86 offset0:15 offset1:16
	ds_read2_b32 v[78:79], v86 offset0:53 offset1:54
	ds_read2_b32 v[88:89], v86 offset0:55 offset1:56
	ds_read_b64 v[92:93], v86 offset:720
	ds_read_b128 v[56:59], v86 offset:704
	ds_read_b128 v[60:63], v86 offset:304
	ds_read_b64 v[94:95], v86 offset:320
	ds_read_b64 v[96:97], v86 offset:904
	ds_read2_b32 v[98:99], v86 offset0:203 offset1:204
	ds_read2_b32 v[100:101], v86 offset0:201 offset1:202
	;; [unrolled: 1-line block ×7, first 2 shown]
	v_sub_f32_e32 v118, v1, v0
	v_pk_mul_f32 v[0:1], v[40:41], v[6:7]
	s_waitcnt lgkmcnt(0)
	v_pk_mul_f32 v[20:21], v[40:41], v[20:21]
	v_sub_f32_e32 v1, v119, v1
	v_sub_f32_e32 v119, v1, v0
	v_pk_mul_f32 v[0:1], v[40:41], v[16:17]
	v_sub_f32_e32 v21, v122, v21
	v_sub_f32_e32 v1, v120, v1
	v_pk_mul_f32 v[24:25], v[40:41], v[26:27]
	v_sub_f32_e32 v120, v1, v0
	v_mul_f32_e32 v0, v118, v35
	v_mov_b32_e32 v1, v40
	v_sub_f32_e32 v23, v121, v25
	flat_store_dwordx2 v[54:55], v[40:41] offset:56
	v_sub_f32_e32 v121, v21, v20
	v_pk_mul_f32 v[6:7], v[0:1], v[112:113]
	v_pk_mul_f32 v[16:17], v[0:1], v[28:29]
	;; [unrolled: 1-line block ×4, first 2 shown]
	v_sub_f32_e32 v23, v23, v24
	ds_read2_b64 v[24:27], v86 offset0:41 offset1:42
	v_sub_f32_e32 v7, v15, v7
	v_sub_f32_e32 v15, v123, v17
	;; [unrolled: 1-line block ×4, first 2 shown]
	v_fma_f32 v41, -v40, v107, v124
	v_sub_f32_e32 v38, v21, v28
	v_pk_mul_f32 v[28:29], v[0:1], v[48:49]
	v_fma_f32 v90, -v40, v90, v91
	v_fma_f32 v84, -v40, v84, v85
	v_fma_f32 v13, -v40, v65, v13
	v_sub_f32_e32 v1, v87, v29
	v_fma_f32 v80, -v0, v106, v41
	v_mul_f32_e32 v40, v38, v32
	v_mov_b32_e32 v41, v0
	v_sub_f32_e32 v48, v1, v28
	v_sub_f32_e32 v49, v17, v20
	;; [unrolled: 1-line block ×4, first 2 shown]
	ds_read2_b32 v[6:7], v86 offset0:153 offset1:154
	ds_read_b64 v[16:17], v86 offset:520
	ds_read2_b32 v[20:21], v86 offset0:107 offset1:108
	ds_read2_b32 v[28:29], v86 offset0:105 offset1:106
	;; [unrolled: 1-line block ×3, first 2 shown]
	v_pk_mul_f32 v[4:5], v[40:41], v[4:5]
	v_pk_mul_f32 v[18:19], v[40:41], v[18:19]
	v_sub_f32_e32 v5, v119, v5
	v_fma_f32 v81, -v0, v83, v84
	v_fma_f32 v13, -v0, v64, v13
	s_waitcnt lgkmcnt(0)
	v_pk_mul_f32 v[0:1], v[40:41], v[26:27]
	v_sub_f32_e32 v19, v121, v19
	v_pk_mul_f32 v[26:27], v[40:41], v[92:93]
	v_pk_mul_f32 v[42:43], v[40:41], v[76:77]
	v_sub_f32_e32 v32, v5, v4
	v_sub_f32_e32 v23, v23, v27
	;; [unrolled: 1-line block ×4, first 2 shown]
	v_mul_f32_e32 v18, v32, v39
	v_mov_b32_e32 v19, v40
	v_sub_f32_e32 v1, v90, v1
	flat_store_dwordx2 v[54:55], v[40:41] offset:48
	v_fma_f32 v76, -v40, v82, v81
	v_fma_f32 v13, -v40, v37, v13
	v_pk_mul_f32 v[40:41], v[18:19], v[70:71]
	v_sub_f32_e32 v42, v27, v42
	v_sub_f32_e32 v23, v23, v26
	;; [unrolled: 1-line block ×3, first 2 shown]
	ds_read2_b32 v[0:1], v86 offset0:57 offset1:58
	ds_read_b64 v[4:5], v86 offset:136
	v_pk_mul_f32 v[26:27], v[18:19], v[34:35]
	v_pk_mul_f32 v[20:21], v[18:19], v[20:21]
	;; [unrolled: 1-line block ×4, first 2 shown]
	v_sub_f32_e32 v19, v48, v41
	v_sub_f32_e32 v21, v65, v21
	;; [unrolled: 1-line block ×7, first 2 shown]
	v_mul_f32_e32 v20, v19, v33
	v_mov_b32_e32 v21, v18
	v_sub_f32_e32 v35, v27, v26
	v_fma_f32 v13, -v18, v36, v13
	v_pk_mul_f32 v[18:19], v[20:21], v[24:25]
	v_pk_mul_f32 v[24:25], v[20:21], v[58:59]
	;; [unrolled: 1-line block ×3, first 2 shown]
	v_sub_f32_e32 v23, v23, v25
	v_sub_f32_e32 v25, v42, v27
	s_waitcnt lgkmcnt(0)
	v_pk_mul_f32 v[4:5], v[20:21], v[4:5]
	v_pk_mul_f32 v[16:17], v[20:21], v[16:17]
	flat_store_dwordx2 v[54:55], v[20:21] offset:40
	v_sub_f32_e32 v21, v25, v26
	v_sub_f32_e32 v32, v49, v39
	v_mul_f32_e32 v26, v21, v31
	v_mov_b32_e32 v27, v20
	v_sub_f32_e32 v32, v32, v38
	v_pk_mul_f32 v[20:21], v[26:27], v[100:101]
	v_sub_f32_e32 v5, v76, v5
	v_sub_f32_e32 v17, v43, v17
	v_sub_f32_e32 v21, v32, v21
	v_sub_f32_e32 v23, v23, v24
	v_pk_mul_f32 v[24:25], v[26:27], v[6:7]
	v_pk_mul_f32 v[0:1], v[26:27], v[0:1]
	v_sub_f32_e32 v15, v15, v25
	v_sub_f32_e32 v25, v17, v16
	v_pk_mul_f32 v[16:17], v[26:27], v[28:29]
	v_sub_f32_e32 v29, v5, v4
	v_sub_f32_e32 v4, v21, v20
	v_mul_f32_e32 v6, v4, v30
	v_mov_b32_e32 v7, v26
	v_sub_f32_e32 v1, v35, v1
	v_pk_mul_f32 v[4:5], v[6:7], v[56:57]
	v_sub_f32_e32 v15, v15, v24
	v_sub_f32_e32 v5, v23, v5
	;; [unrolled: 1-line block ×3, first 2 shown]
	v_pk_mul_f32 v[0:1], v[6:7], v[52:53]
	v_sub_f32_e32 v4, v5, v4
	v_sub_f32_e32 v1, v29, v1
	v_pk_mul_f32 v[20:21], v[26:27], v[66:67]
	v_sub_f32_e32 v27, v1, v0
	v_mul_f32_e32 v0, v4, v114
	v_mov_b32_e32 v1, v6
	v_pk_mul_f32 v[4:5], v[0:1], v[102:103]
	v_sub_f32_e32 v19, v64, v19
	v_sub_f32_e32 v17, v34, v17
	;; [unrolled: 1-line block ×4, first 2 shown]
	v_pk_mul_f32 v[18:19], v[6:7], v[46:47]
	v_sub_f32_e32 v23, v17, v16
	v_pk_mul_f32 v[16:17], v[6:7], v[94:95]
	v_sub_f32_e32 v4, v5, v4
	v_sub_f32_e32 v19, v25, v19
	;; [unrolled: 1-line block ×4, first 2 shown]
	v_mul_f32_e32 v4, v4, v22
	v_mov_b32_e32 v5, v0
	v_sub_f32_e32 v7, v7, v20
	v_sub_f32_e32 v13, v19, v18
	;; [unrolled: 1-line block ×3, first 2 shown]
	v_pk_mul_f32 v[16:17], v[0:1], v[110:111]
	v_pk_mul_f32 v[20:21], v[4:5], v[44:45]
	v_sub_f32_e32 v15, v23, v17
	v_sub_f32_e32 v13, v13, v21
	v_pk_mul_f32 v[22:23], v[0:1], v[68:69]
	v_pk_mul_f32 v[18:19], v[0:1], v[88:89]
	v_sub_f32_e32 v1, v7, v23
	v_sub_f32_e32 v0, v13, v20
	;; [unrolled: 1-line block ×4, first 2 shown]
	v_mov_b32_e32 v7, v26
	v_mul_f32_e32 v0, v0, v115
	v_mov_b32_e32 v1, v4
	v_sub_f32_e32 v15, v15, v16
	v_pk_mul_f32 v[16:17], v[4:5], v[62:63]
	v_sub_f32_e32 v21, v19, v18
	v_pk_mul_f32 v[18:19], v[4:5], v[50:51]
	flat_store_dwordx4 v[54:55], v[4:7] offset:24
	v_sub_f32_e32 v17, v25, v17
	v_sub_f32_e32 v13, v17, v16
	v_pk_mul_f32 v[4:5], v[0:1], v[108:109]
	v_pk_mul_f32 v[16:17], v[0:1], v[78:79]
	v_sub_f32_e32 v5, v15, v5
	v_sub_f32_e32 v4, v5, v4
	v_mul_f32_e32 v6, v4, v14
	v_mov_b32_e32 v7, v0
	v_sub_f32_e32 v15, v21, v17
	v_pk_mul_f32 v[4:5], v[6:7], v[60:61]
	v_sub_f32_e32 v19, v27, v19
	v_sub_f32_e32 v5, v13, v5
	;; [unrolled: 1-line block ×3, first 2 shown]
	v_pk_mul_f32 v[14:15], v[0:1], v[72:73]
	v_sub_f32_e32 v18, v19, v18
	v_pk_mul_f32 v[10:11], v[6:7], v[10:11]
	v_sub_f32_e32 v1, v22, v15
	v_sub_f32_e32 v7, v18, v11
	;; [unrolled: 1-line block ×5, first 2 shown]
	v_mul_f32_e32 v10, v1, v116
	v_mov_b32_e32 v11, v6
	v_pk_mul_f32 v[4:5], v[10:11], v[74:75]
	s_nop 0
	v_sub_f32_e32 v1, v13, v5
	v_sub_f32_e32 v1, v1, v4
	v_mul_f32_e32 v4, v1, v12
	v_mov_b32_e32 v5, v10
	v_pk_mul_f32 v[12:13], v[4:5], v[8:9]
	s_nop 0
	v_sub_f32_e32 v9, v7, v13
	v_mov_b32_e32 v7, v0
	flat_store_dwordx4 v[54:55], v[4:7] offset:8
	ds_read_b96 v[6:8], v86
	v_pk_mul_f32 v[0:1], v[10:11], v[2:3]
	v_sub_f32_e32 v2, v9, v12
	v_sub_f32_e32 v1, v14, v1
	;; [unrolled: 1-line block ×3, first 2 shown]
	s_waitcnt lgkmcnt(0)
	v_mov_b32_e32 v0, v7
	v_mov_b32_e32 v1, v8
	v_mul_f32_e32 v2, v2, v117
	v_mov_b32_e32 v3, v4
	v_pk_mul_f32 v[0:1], v[2:3], v[0:1]
	s_nop 0
	v_sub_f32_e32 v1, v5, v1
	v_sub_f32_e32 v0, v1, v0
	v_mul_f32_e32 v0, v0, v6
	v_mov_b32_e32 v1, v2
	flat_store_dwordx2 v[54:55], v[0:1]
	s_cmp_gt_i32 s0, -1
	s_cbranch_scc1 .LBB29_16
	s_branch .LBB29_38
.LBB29_15:
	s_mov_b32 s0, s7
	s_cmp_gt_i32 s0, -1
	s_cbranch_scc0 .LBB29_38
.LBB29_16:
	s_cmp_lt_u32 s0, 19
	s_cbranch_scc1 .LBB29_21
; %bb.17:
	s_mov_b32 s3, 0
	s_mov_b32 s1, s3
	v_lshl_add_u64 v[22:23], s[0:1], 2, v[54:55]
	v_add_co_u32_e32 v0, vcc, -12, v22
	s_cmp_le_i32 s7, s0
	s_nop 0
	v_addc_co_u32_e32 v1, vcc, -1, v23, vcc
	v_add_co_u32_e32 v4, vcc, 0xffffffe4, v22
	flat_load_dwordx4 v[0:3], v[0:1]
	s_nop 0
	v_addc_co_u32_e32 v5, vcc, -1, v23, vcc
	v_add_co_u32_e32 v8, vcc, 0xffffffd4, v22
	flat_load_dwordx4 v[4:7], v[4:5]
	;; [unrolled: 4-line block ×4, first 2 shown]
	s_nop 0
	v_addc_co_u32_e32 v17, vcc, -1, v23, vcc
	flat_load_dwordx4 v[16:19], v[16:17]
	s_waitcnt vmcnt(0) lgkmcnt(0)
	v_pk_mul_f32 v[0:1], s[16:17], v[0:1] op_sel_hi:[0,1]
	v_pk_mul_f32 v[2:3], s[16:17], v[2:3] op_sel_hi:[0,1]
	v_mov_b32_e32 v30, v1
	v_mov_b32_e32 v31, v0
	v_mov_b32_e32 v44, v3
	v_pk_mul_f32 v[6:7], s[16:17], v[6:7] op_sel_hi:[0,1]
	v_pk_mul_f32 v[4:5], s[16:17], v[4:5] op_sel_hi:[0,1]
	v_mov_b32_e32 v45, v2
	v_mov_b32_e32 v34, v7
	v_mov_b32_e32 v35, v6
	;; [unrolled: 5-line block ×3, first 2 shown]
	v_pk_mul_f32 v[4:5], s[16:17], v[14:15] op_sel_hi:[0,1]
	v_pk_mul_f32 v[6:7], s[16:17], v[12:13] op_sel_hi:[0,1]
	v_mov_b32_e32 v37, v0
	v_pk_mul_f32 v[0:1], s[16:17], v[18:19] op_sel_hi:[0,1]
	v_pk_mul_f32 v[10:11], s[16:17], v[16:17] op_sel_hi:[0,1]
	v_mov_b32_e32 v26, v3
	v_mov_b32_e32 v27, v2
	;; [unrolled: 1-line block ×10, first 2 shown]
	s_cbranch_scc1 .LBB29_20
; %bb.18:
	s_mul_i32 s1, s0, 0x60
	s_lshl_b32 s2, s17, 2
	s_add_i32 s1, s1, s2
	s_addk_i32 s1, 0xf8dc
	s_mov_b32 s2, s7
.LBB29_19:                              ; =>This Inner Loop Header: Depth=1
	v_lshl_add_u64 v[6:7], s[2:3], 2, v[54:55]
	flat_load_dword v6, v[6:7]
	v_mov_b32_e32 v7, s1
	v_add_u32_e32 v10, 0x400, v7
	v_add_u32_e32 v11, 0x200, v7
	ds_read2_b32 v[12:13], v7 offset0:192 offset1:216
	ds_read2_b32 v[14:15], v7 offset0:144 offset1:168
	;; [unrolled: 1-line block ×4, first 2 shown]
	ds_read2_b32 v[20:21], v7 offset1:24
	ds_read2_b32 v[24:25], v10 offset0:176 offset1:200
	ds_read2_b32 v[28:29], v10 offset0:128 offset1:152
	;; [unrolled: 1-line block ×5, first 2 shown]
	s_add_i32 s2, s2, -1
	s_add_i32 s1, s1, -4
	s_waitcnt lgkmcnt(0)
	v_mov_b32_e32 v10, v13
	v_mov_b32_e32 v11, v12
	;; [unrolled: 1-line block ×20, first 2 shown]
	s_cmp_gt_i32 s2, s0
	s_waitcnt vmcnt(0)
	v_pk_fma_f32 v[44:45], v[6:7], v[20:21], v[44:45] op_sel_hi:[0,1,1] neg_lo:[1,0,0] neg_hi:[1,0,0]
	v_pk_fma_f32 v[30:31], v[6:7], v[24:25], v[30:31] op_sel_hi:[0,1,1] neg_lo:[1,0,0] neg_hi:[1,0,0]
	;; [unrolled: 1-line block ×10, first 2 shown]
	s_cbranch_scc1 .LBB29_19
.LBB29_20:
	s_mul_i32 s1, s0, 0x64
	s_add_i32 s2, s0, -1
	v_mov_b32_e32 v6, s1
	s_mul_i32 s1, s2, 0x60
	s_lshl_b32 s5, s2, 2
	s_add_i32 s3, s1, s5
	v_mov_b32_e32 v7, s3
	s_mov_b32 s3, 0
	v_lshl_add_u64 v[62:63], s[2:3], 2, v[54:55]
	s_add_i32 s2, s0, -2
	s_add_i32 s4, s1, 0xffffffa0
	s_lshl_b32 s9, s2, 2
	s_add_i32 s8, s4, s5
	s_add_i32 s4, s4, s9
	v_lshl_add_u64 v[58:59], s[2:3], 2, v[54:55]
	s_add_i32 s2, s0, -3
	v_mov_b32_e32 v10, s4
	s_add_i32 s9, s1, 0xffffff40
	s_lshl_b32 s4, s0, 2
	s_lshl_b32 s11, s2, 2
	s_add_i32 s10, s9, s4
	s_add_i32 s9, s9, s11
	v_lshl_add_u64 v[60:61], s[2:3], 2, v[54:55]
	s_add_i32 s2, s0, -4
	v_mov_b32_e32 v12, s9
	s_add_i32 s9, s1, 0xfffffee0
	s_lshl_b32 s14, s2, 2
	s_add_i32 s12, s9, s5
	s_add_i32 s13, s9, s11
	;; [unrolled: 1-line block ×3, first 2 shown]
	v_lshl_add_u64 v[38:39], s[2:3], 2, v[54:55]
	s_add_i32 s2, s0, -5
	v_mov_b32_e32 v13, s9
	s_add_i32 s9, s1, 0xfffffe80
	s_lshl_b32 s18, s2, 2
	s_add_i32 s14, s9, s4
	s_add_i32 s9, s9, s18
	v_mov_b32_e32 v14, s14
	v_mov_b32_e32 v15, s9
	;; [unrolled: 1-line block ×3, first 2 shown]
	ds_read_b32 v46, v6
	ds_read2_b32 v[64:65], v7 offset1:1
	ds_read_b32 v98, v10
	ds_read_b32 v47, v11
	;; [unrolled: 1-line block ×6, first 2 shown]
	v_lshl_add_u64 v[14:15], s[2:3], 2, v[54:55]
	s_add_i32 s2, s0, -6
	s_add_i32 s9, s1, 0xfffffe20
	s_lshl_b32 s22, s2, 2
	s_add_i32 s19, s9, s5
	s_add_i32 s20, s9, s11
	;; [unrolled: 1-line block ×4, first 2 shown]
	v_lshl_add_u64 v[12:13], s[2:3], 2, v[54:55]
	s_add_i32 s2, s0, -7
	v_mov_b32_e32 v16, s9
	s_add_i32 s9, s1, 0xfffffdc0
	s_lshl_b32 s25, s2, 2
	s_add_i32 s22, s9, s4
	s_add_i32 s9, s9, s25
	v_lshl_add_u64 v[10:11], s[2:3], 2, v[54:55]
	s_add_i32 s2, s0, -8
	v_mov_b32_e32 v18, s9
	s_add_i32 s9, s1, 0xfffffd60
	s_lshl_b32 s30, s2, 2
	s_add_i32 s26, s9, s5
	s_add_i32 s27, s9, s11
	;; [unrolled: 1-line block ×5, first 2 shown]
	v_mov_b32_e32 v19, s9
	s_add_i32 s9, s1, 0xfffffd00
	s_add_i32 s30, s9, s4
	s_add_i32 s31, s30, -8
	v_mov_b32_e32 v17, s22
	v_mov_b32_e32 v20, s30
	ds_read_b32 v70, v16
	ds_read_b32 v71, v17
	;; [unrolled: 1-line block ×5, first 2 shown]
	v_mov_b32_e32 v16, s31
	s_add_i32 s31, s30, -16
	v_mov_b32_e32 v17, s31
	s_sub_i32 s31, s30, 24
	s_add_i32 s15, s14, -8
	s_add_i32 s14, s14, -16
	;; [unrolled: 1-line block ×4, first 2 shown]
	s_sub_i32 s22, s22, 24
	v_mov_b32_e32 v18, s31
	ds_read2_b32 v[74:75], v16 offset1:1
	ds_read2_b32 v[48:49], v17 offset1:1
	;; [unrolled: 1-line block ×3, first 2 shown]
	v_mov_b32_e32 v16, s29
	v_mov_b32_e32 v17, s22
	;; [unrolled: 1-line block ×4, first 2 shown]
	ds_read2_b32 v[18:19], v16 offset1:1
	ds_read2_b32 v[28:29], v17 offset1:1
	;; [unrolled: 1-line block ×4, first 2 shown]
	v_mov_b32_e32 v16, s14
	s_add_i32 s10, s10, -8
	v_lshl_add_u64 v[6:7], s[2:3], 2, v[54:55]
	s_add_i32 s2, s0, -9
	v_mov_b32_e32 v17, s24
	v_mov_b32_e32 v20, s13
	;; [unrolled: 1-line block ×3, first 2 shown]
	ds_read2_b32 v[52:53], v16 offset1:1
	ds_read2_b32 v[50:51], v17 offset1:1
	;; [unrolled: 1-line block ×4, first 2 shown]
	v_mov_b32_e32 v16, s27
	s_sub_i32 s30, s30, 32
	v_mov_b32_e32 v17, s10
	v_mov_b32_e32 v20, s15
	;; [unrolled: 1-line block ×3, first 2 shown]
	ds_read2_b32 v[80:81], v16 offset1:1
	ds_read2_b32 v[82:83], v17 offset1:1
	;; [unrolled: 1-line block ×4, first 2 shown]
	v_mov_b32_e32 v16, s8
	s_lshl_b32 s8, s2, 2
	v_mov_b32_e32 v17, s12
	v_mov_b32_e32 v20, s19
	;; [unrolled: 1-line block ×3, first 2 shown]
	ds_read2_b32 v[72:73], v16 offset1:1
	ds_read2_b32 v[88:89], v17 offset1:1
	ds_read2_b32 v[90:91], v20 offset1:1
	ds_read2_b32 v[92:93], v21 offset1:1
	v_mov_b32_e32 v16, s30
	s_add_i32 s9, s9, s8
	ds_read2_b32 v[20:21], v16 offset1:1
	v_mov_b32_e32 v16, s9
	s_add_i32 s9, s1, 0xfffffca0
	s_add_i32 s5, s9, s5
	s_waitcnt lgkmcnt(14)
	v_mul_f32_e32 v57, v44, v46
	ds_read_b32 v69, v16
	flat_store_dword v[22:23], v57
	v_mov_b32_e32 v22, s5
	s_add_i32 s5, s9, s11
	v_mov_b32_e32 v23, s5
	s_add_i32 s5, s9, s18
	v_lshl_add_u64 v[16:17], s[2:3], 2, v[54:55]
	s_add_i32 s2, s0, -10
	v_fma_f32 v101, -v57, v47, v31
	v_mov_b32_e32 v31, s5
	s_add_i32 s5, s9, s25
	v_fma_f32 v103, -v57, v71, v33
	v_mov_b32_e32 v33, s5
	s_lshl_b32 s5, s2, 2
	s_add_i32 s8, s9, s8
	s_add_i32 s5, s9, s5
	;; [unrolled: 1-line block ×4, first 2 shown]
	v_fma_f32 v65, -v57, v65, v45
	v_fma_f32 v104, -v57, v94, v37
	ds_read2_b32 v[94:95], v22 offset1:1
	ds_read2_b32 v[96:97], v23 offset1:1
	ds_read2_b32 v[46:47], v31 offset1:1
	ds_read2_b32 v[44:45], v33 offset1:1
	v_mov_b32_e32 v22, s10
	ds_read_b32 v31, v22
	v_fma_f32 v102, -v57, v56, v35
	v_mul_f32_e32 v56, v65, v64
	s_waitcnt lgkmcnt(0)
	v_pk_mul_f32 v[64:65], v[56:57], v[72:73]
	v_mov_b32_e32 v22, s5
	v_fma_f32 v105, -v57, v31, v27
	v_sub_f32_e32 v27, v30, v65
	v_pk_mul_f32 v[30:31], v[56:57], v[88:89]
	s_add_i32 s5, s10, -8
	v_sub_f32_e32 v31, v34, v31
	v_sub_f32_e32 v73, v31, v30
	v_pk_mul_f32 v[30:31], v[56:57], v[94:95]
	v_pk_mul_f32 v[34:35], v[56:57], v[90:91]
	v_sub_f32_e32 v26, v26, v31
	v_sub_f32_e32 v35, v32, v35
	v_pk_mul_f32 v[32:33], v[56:57], v[92:93]
	v_sub_f32_e32 v90, v26, v30
	v_mov_b32_e32 v26, s5
	s_add_i32 s5, s10, -16
	ds_read_b32 v71, v22
	v_lshl_add_u64 v[22:23], s[2:3], 2, v[54:55]
	s_add_i32 s2, s0, -11
	v_sub_f32_e32 v33, v36, v33
	v_sub_f32_e32 v36, v27, v64
	v_mov_b32_e32 v27, s5
	s_sub_i32 s5, s10, 24
	v_sub_f32_e32 v89, v33, v32
	v_mov_b32_e32 v32, s5
	s_sub_i32 s12, s10, 32
	s_sub_i32 s5, s10, 40
	s_lshl_b32 s10, s2, 2
	s_add_i32 s11, s1, 0xfffffbe0
	s_add_i32 s9, s9, s10
	s_add_i32 s10, s11, s4
	flat_store_dword v[62:63], v56
	s_add_i32 s13, s10, -4
	v_sub_f32_e32 v88, v35, v34
	ds_read2_b32 v[30:31], v26 offset1:1
	ds_read2_b32 v[62:63], v27 offset1:1
	;; [unrolled: 1-line block ×3, first 2 shown]
	v_mov_b32_e32 v26, s13
	ds_read2_b32 v[32:33], v26 offset1:1
	v_mov_b32_e32 v26, s9
	v_mul_f32_e32 v64, v36, v98
	v_mov_b32_e32 v65, v56
	ds_read_b32 v72, v26
	s_waitcnt lgkmcnt(0)
	v_fma_f32 v8, -v57, v33, v8
	v_lshl_add_u64 v[26:27], s[2:3], 2, v[54:55]
	s_add_i32 s2, s0, -12
	v_fma_f32 v91, -v56, v32, v8
	v_pk_mul_f32 v[32:33], v[64:65], v[82:83]
	v_pk_mul_f32 v[36:37], v[64:65], v[84:85]
	;; [unrolled: 1-line block ×3, first 2 shown]
	s_add_i32 s9, s10, -12
	v_sub_f32_e32 v8, v101, v33
	v_sub_f32_e32 v33, v102, v37
	;; [unrolled: 1-line block ×3, first 2 shown]
	s_lshl_b32 s13, s2, 2
	v_sub_f32_e32 v8, v8, v32
	v_sub_f32_e32 v102, v33, v36
	v_pk_mul_f32 v[32:33], v[64:65], v[74:75]
	v_sub_f32_e32 v105, v31, v30
	v_mov_b32_e32 v30, s9
	s_sub_i32 s9, s10, 20
	s_add_i32 s11, s11, s13
	s_add_i32 s13, s1, 0xfffffb80
	flat_store_dword v[58:59], v64
	v_sub_f32_e32 v33, v104, v33
	v_mov_b32_e32 v31, s9
	s_add_i32 s15, s13, s4
	v_sub_f32_e32 v104, v33, v32
	ds_read2_b32 v[32:33], v30 offset1:1
	ds_read2_b32 v[58:59], v31 offset1:1
	v_mov_b32_e32 v31, s15
	v_pk_mul_f32 v[82:83], v[64:65], v[86:87]
	v_mov_b32_e32 v30, s11
	ds_read_b32 v65, v31
	s_add_i32 s11, s15, -8
	v_sub_f32_e32 v37, v103, v83
	v_mov_b32_e32 v31, s11
	v_sub_f32_e32 v103, v37, v82
	ds_read2_b32 v[36:37], v31 offset1:1
	ds_read_b32 v134, v30
	s_waitcnt lgkmcnt(0)
	v_fma_f32 v9, -v57, v65, v9
	v_mul_f32_e32 v74, v8, v99
	v_mov_b32_e32 v75, v64
	v_fma_f32 v9, -v56, v37, v9
	v_fma_f32 v106, -v64, v36, v9
	v_pk_mul_f32 v[8:9], v[74:75], v[76:77]
	v_lshl_add_u64 v[30:31], s[2:3], 2, v[54:55]
	v_sub_f32_e32 v9, v73, v9
	v_sub_f32_e32 v73, v9, v8
	v_pk_mul_f32 v[8:9], v[74:75], v[96:97]
	s_add_i32 s2, s0, -13
	v_sub_f32_e32 v9, v90, v9
	v_sub_f32_e32 v137, v9, v8
	v_pk_mul_f32 v[8:9], v[74:75], v[32:33]
	s_add_i32 s11, s15, -16
	v_sub_f32_e32 v9, v91, v9
	v_sub_f32_e32 v138, v9, v8
	v_mov_b32_e32 v8, s11
	s_sub_i32 s30, s15, 24
	s_sub_i32 s14, s15, 32
	;; [unrolled: 1-line block ×4, first 2 shown]
	s_lshl_b32 s15, s2, 2
	v_pk_mul_f32 v[76:77], v[74:75], v[80:81]
	s_add_i32 s13, s13, s15
	s_add_i32 s15, s1, 0xfffffb20
	v_sub_f32_e32 v65, v89, v77
	flat_store_dword v[60:61], v74
	s_add_i32 s20, s15, s4
	v_sub_f32_e32 v136, v65, v76
	ds_read2_b32 v[76:77], v8 offset1:1
	v_mov_b32_e32 v8, s13
	s_add_i32 s13, s20, -4
	ds_read_b32 v139, v8
	v_mov_b32_e32 v8, s13
	v_pk_mul_f32 v[36:37], v[74:75], v[78:79]
	ds_read2_b32 v[32:33], v8 offset1:1
	s_add_i32 s13, s20, -12
	v_sub_f32_e32 v37, v88, v37
	v_mov_b32_e32 v8, s13
	v_sub_f32_e32 v135, v37, v36
	ds_read2_b32 v[36:37], v8 offset1:1
	v_lshl_add_u64 v[8:9], s[2:3], 2, v[54:55]
	s_add_i32 s2, s0, -14
	s_waitcnt lgkmcnt(0)
	v_fma_f32 v4, -v57, v33, v4
	v_fma_f32 v4, -v56, v32, v4
	s_sub_i32 s33, s20, 20
	s_sub_i32 s19, s20, 28
	;; [unrolled: 1-line block ×5, first 2 shown]
	s_lshl_b32 s20, s2, 2
	v_fma_f32 v4, -v64, v37, v4
	s_add_i32 s15, s15, s20
	s_add_i32 s21, s1, 0xfffffac0
	v_fma_f32 v140, -v74, v36, v4
	v_mov_b32_e32 v4, s15
	s_add_i32 s24, s21, s4
	ds_read_b32 v141, v4
	v_lshl_add_u64 v[32:33], s[2:3], 2, v[54:55]
	v_mov_b32_e32 v4, s24
	s_add_i32 s2, s24, -8
	ds_read_b32 v4, v4
	v_mov_b32_e32 v36, s2
	ds_read2_b32 v[36:37], v36 offset1:1
	s_add_i32 s2, s24, -16
	v_mov_b32_e32 v60, s2
	ds_read2_b32 v[78:79], v60 offset1:1
	s_add_i32 s2, s0, -15
	s_waitcnt lgkmcnt(0)
	v_fma_f32 v4, -v57, v4, v5
	s_sub_i32 s25, s24, 24
	s_sub_i32 s20, s24, 32
	;; [unrolled: 1-line block ×5, first 2 shown]
	s_lshl_b32 s24, s2, 2
	v_fma_f32 v4, -v56, v37, v4
	s_add_i32 s21, s21, s24
	s_add_i32 s24, s1, 0xfffffa60
	v_fma_f32 v4, -v64, v36, v4
	s_add_i32 s28, s24, s4
	v_fma_f32 v75, -v74, v79, v4
	v_mov_b32_e32 v4, s21
	s_add_i32 s21, s28, -4
	v_mov_b32_e32 v36, s21
	s_add_i32 s21, s28, -12
	v_mov_b32_e32 v60, s21
	ds_read_b32 v142, v4
	ds_read2_b32 v[36:37], v36 offset1:1
	ds_read2_b32 v[60:61], v60 offset1:1
	s_add_i32 s31, s1, 0xfffffa00
	s_add_i32 s38, s31, s4
	v_lshl_add_u64 v[4:5], s[2:3], 2, v[54:55]
	s_waitcnt lgkmcnt(0)
	v_fma_f32 v2, -v57, v37, v2
	v_fma_f32 v2, -v56, v36, v2
	;; [unrolled: 1-line block ×4, first 2 shown]
	v_mov_b32_e32 v2, s38
	ds_read_b32 v2, v2
	s_add_i32 s2, s0, -16
	s_sub_i32 s21, s28, 20
	v_mov_b32_e32 v65, s21
	s_sub_i32 s27, s28, 28
	s_sub_i32 s21, s28, 36
	;; [unrolled: 1-line block ×5, first 2 shown]
	s_lshl_b32 s28, s2, 2
	s_add_i32 s24, s24, s28
	v_mov_b32_e32 v36, s24
	s_add_i32 s24, s38, -8
	s_waitcnt lgkmcnt(0)
	v_fma_f32 v60, -v57, v2, v3
	v_mov_b32_e32 v2, s24
	s_add_i32 s24, s38, -16
	ds_read2_b32 v[80:81], v65 offset1:1
	ds_read_b32 v143, v36
	v_mov_b32_e32 v61, s24
	ds_read2_b32 v[2:3], v2 offset1:1
	ds_read2_b32 v[82:83], v61 offset1:1
	v_lshl_add_u64 v[36:37], s[2:3], 2, v[54:55]
	s_sub_i32 s2, s0, 17
	s_lshl_b32 s41, s2, 2
	s_waitcnt lgkmcnt(0)
	v_fma_f32 v3, -v56, v3, v60
	s_add_i32 s31, s31, s41
	s_add_i32 s41, s1, 0xfffff9a0
	v_fma_f32 v2, -v64, v2, v3
	s_add_i32 s42, s41, s4
	s_sub_i32 s24, s38, 24
	v_fma_f32 v83, -v74, v83, v2
	v_mov_b32_e32 v2, s31
	s_add_i32 s31, s42, -4
	v_mov_b32_e32 v61, s24
	v_mov_b32_e32 v60, s31
	ds_read2_b32 v[84:85], v61 offset1:1
	ds_read2_b32 v[60:61], v60 offset1:1
	s_add_i32 s31, s42, -12
	v_mov_b32_e32 v65, s31
	s_sub_i32 s31, s42, 20
	v_mov_b32_e32 v88, s31
	s_sub_i32 s31, s42, 28
	v_mov_b32_e32 v90, s31
	ds_read_b32 v144, v2
	ds_read2_b32 v[86:87], v65 offset1:1
	ds_read2_b32 v[88:89], v88 offset1:1
	ds_read2_b32 v[90:91], v90 offset1:1
	s_waitcnt lgkmcnt(0)
	v_fma_f32 v0, -v57, v61, v0
	v_fma_f32 v0, -v56, v60, v0
	s_addk_i32 s1, 0xf940
	v_fma_f32 v0, -v64, v87, v0
	s_add_i32 s4, s1, s4
	v_fma_f32 v107, -v74, v86, v0
	v_mov_b32_e32 v0, s4
	ds_read_b32 v0, v0
	v_lshl_add_u64 v[2:3], s[2:3], 2, v[54:55]
	s_sub_i32 s2, s0, 18
	s_lshl_b32 s46, s2, 2
	s_add_i32 s41, s41, s46
	v_mov_b32_e32 v60, s41
	s_add_i32 s41, s4, -8
	s_waitcnt lgkmcnt(0)
	v_fma_f32 v57, -v57, v0, v1
	v_mov_b32_e32 v0, s41
	ds_read2_b32 v[0:1], v0 offset1:1
	s_add_i32 s41, s4, -16
	v_mov_b32_e32 v65, s41
	s_sub_i32 s41, s4, 24
	v_mov_b32_e32 v92, s41
	s_sub_i32 s41, s4, 32
	v_mov_b32_e32 v94, s41
	ds_read_b32 v145, v60
	ds_read2_b32 v[86:87], v65 offset1:1
	ds_read2_b32 v[92:93], v92 offset1:1
	ds_read2_b32 v[94:95], v94 offset1:1
	s_waitcnt lgkmcnt(0)
	v_fma_f32 v1, -v56, v1, v57
	v_fma_f32 v0, -v64, v0, v1
	;; [unrolled: 1-line block ×3, first 2 shown]
	v_mov_b32_e32 v0, s8
	s_sub_i32 s22, s10, 28
	ds_read2_b32 v[56:57], v0 offset1:1
	v_mov_b32_e32 v0, s12
	ds_read2_b32 v[64:65], v0 offset1:1
	v_mov_b32_e32 v0, s22
	;; [unrolled: 2-line block ×3, first 2 shown]
	v_mul_f32_e32 v100, v73, v100
	v_mov_b32_e32 v101, v74
	ds_read2_b32 v[98:99], v0 offset1:1
	v_pk_mul_f32 v[0:1], v[100:101], v[52:53]
	v_pk_mul_f32 v[50:51], v[100:101], v[50:51]
	v_sub_f32_e32 v1, v102, v1
	v_sub_f32_e32 v73, v1, v0
	v_pk_mul_f32 v[0:1], v[100:101], v[48:49]
	flat_store_dword v[38:39], v100
	v_sub_f32_e32 v1, v104, v1
	v_sub_f32_e32 v147, v1, v0
	v_pk_mul_f32 v[0:1], v[100:101], v[62:63]
	s_sub_i32 s8, s4, 48
	v_sub_f32_e32 v1, v105, v1
	v_sub_f32_e32 v148, v1, v0
	v_pk_mul_f32 v[0:1], v[100:101], v[76:77]
	s_sub_i32 s41, s4, 40
	v_sub_f32_e32 v1, v106, v1
	v_sub_f32_e32 v101, v1, v0
	v_mov_b32_e32 v0, s33
	ds_read2_b32 v[48:49], v0 offset1:1
	v_mov_b32_e32 v1, s8
	s_sub_i32 s8, s4, 56
	s_sub_i32 s9, s10, 36
	;; [unrolled: 1-line block ×12, first 2 shown]
	s_addk_i32 s42, 0xffbc
	v_sub_f32_e32 v51, v103, v51
	v_mov_b32_e32 v0, s41
	v_mov_b32_e32 v38, s8
	s_sub_i32 s8, s4, 64
	v_sub_f32_e32 v146, v51, v50
	v_fma_f32 v149, -v100, v78, v75
	v_fma_f32 v150, -v100, v82, v83
	;; [unrolled: 1-line block ×3, first 2 shown]
	v_mov_b32_e32 v39, s8
	ds_read2_b32 v[50:51], v0 offset1:1
	ds_read2_b32 v[52:53], v1 offset1:1
	;; [unrolled: 1-line block ×4, first 2 shown]
	v_mov_b32_e32 v38, s42
	v_mov_b32_e32 v74, s38
	;; [unrolled: 1-line block ×21, first 2 shown]
	v_mul_f32_e32 v132, v73, v68
	v_mov_b32_e32 v133, v100
	v_fma_f32 v81, -v100, v81, v79
	v_fma_f32 v89, -v100, v89, v107
	ds_read2_b32 v[38:39], v38 offset1:1
	ds_read2_b32 v[74:75], v74 offset1:1
	;; [unrolled: 1-line block ×21, first 2 shown]
	flat_store_dword v[14:15], v132
	v_pk_mul_f32 v[14:15], v[132:133], v[46:47]
	v_pk_mul_f32 v[42:43], v[132:133], v[42:43]
	v_sub_f32_e32 v15, v137, v15
	s_waitcnt lgkmcnt(0)
	v_pk_mul_f32 v[48:49], v[132:133], v[48:49]
	v_sub_f32_e32 v43, v135, v43
	v_pk_mul_f32 v[40:41], v[132:133], v[40:41]
	v_sub_f32_e32 v100, v15, v14
	;; [unrolled: 2-line block ×3, first 2 shown]
	v_sub_f32_e32 v41, v136, v41
	v_sub_f32_e32 v68, v43, v42
	;; [unrolled: 1-line block ×6, first 2 shown]
	v_mov_b32_e32 v14, s11
	v_mov_b32_e32 v40, s13
	;; [unrolled: 1-line block ×4, first 2 shown]
	v_mul_f32_e32 v48, v68, v70
	v_mov_b32_e32 v49, v132
	ds_read2_b32 v[14:15], v14 offset1:1
	ds_read2_b32 v[40:41], v40 offset1:1
	;; [unrolled: 1-line block ×4, first 2 shown]
	v_pk_mul_f32 v[28:29], v[48:49], v[28:29]
	flat_store_dword v[12:13], v48
	v_pk_mul_f32 v[12:13], v[48:49], v[24:25]
	v_fma_f32 v136, -v132, v80, v81
	v_pk_mul_f32 v[80:81], v[48:49], v[98:99]
	v_sub_f32_e32 v29, v146, v29
	v_sub_f32_e32 v13, v147, v13
	;; [unrolled: 1-line block ×5, first 2 shown]
	v_pk_mul_f32 v[12:13], v[48:49], v[34:35]
	v_mul_f32_e32 v34, v70, v67
	v_sub_f32_e32 v13, v148, v13
	v_mov_b32_e32 v35, v48
	v_fma_f32 v88, -v132, v88, v89
	v_fma_f32 v89, -v132, v93, v151
	v_sub_f32_e32 v93, v13, v12
	v_mov_b32_e32 v12, s15
	v_mov_b32_e32 v24, s21
	;; [unrolled: 1-line block ×3, first 2 shown]
	v_pk_mul_f32 v[18:19], v[34:35], v[18:19]
	ds_read2_b32 v[12:13], v12 offset1:1
	ds_read2_b32 v[24:25], v24 offset1:1
	;; [unrolled: 1-line block ×3, first 2 shown]
	v_sub_f32_e32 v19, v73, v19
	flat_store_dword v[10:11], v34
	v_pk_mul_f32 v[10:11], v[34:35], v[44:45]
	v_pk_mul_f32 v[58:59], v[48:49], v[130:131]
	v_sub_f32_e32 v67, v19, v18
	v_sub_f32_e32 v11, v100, v11
	;; [unrolled: 1-line block ×4, first 2 shown]
	v_mov_b32_e32 v10, s24
	v_mov_b32_e32 v18, s31
	v_mul_f32_e32 v44, v67, v66
	v_mov_b32_e32 v45, v34
	v_fma_f32 v85, -v132, v85, v150
	v_sub_f32_e32 v68, v68, v80
	v_sub_f32_e32 v80, v59, v58
	v_pk_mul_f32 v[58:59], v[34:35], v[96:97]
	ds_read2_b32 v[10:11], v10 offset1:1
	ds_read2_b32 v[18:19], v18 offset1:1
	flat_store_dword v[6:7], v44
	v_pk_mul_f32 v[6:7], v[44:45], v[20:21]
	v_fma_f32 v84, -v48, v84, v85
	v_fma_f32 v85, -v48, v91, v88
	;; [unrolled: 1-line block ×3, first 2 shown]
	s_waitcnt lgkmcnt(0)
	v_pk_mul_f32 v[46:47], v[34:35], v[46:47]
	v_pk_mul_f32 v[48:49], v[34:35], v[128:129]
	v_sub_f32_e32 v59, v133, v59
	v_sub_f32_e32 v7, v81, v7
	;; [unrolled: 1-line block ×5, first 2 shown]
	v_fma_f32 v59, -v34, v90, v85
	v_fma_f32 v73, -v34, v95, v88
	v_pk_mul_f32 v[34:35], v[44:45], v[42:43]
	v_pk_mul_f32 v[42:43], v[44:45], v[126:127]
	v_sub_f32_e32 v6, v7, v6
	v_sub_f32_e32 v48, v49, v48
	;; [unrolled: 1-line block ×3, first 2 shown]
	v_pk_mul_f32 v[28:29], v[44:45], v[28:29]
	v_sub_f32_e32 v35, v80, v35
	v_sub_f32_e32 v43, v68, v43
	v_pk_mul_f32 v[46:47], v[44:45], v[64:65]
	v_mul_f32_e32 v6, v6, v69
	v_mov_b32_e32 v7, v44
	v_sub_f32_e32 v29, v84, v29
	v_sub_f32_e32 v47, v93, v47
	;; [unrolled: 1-line block ×4, first 2 shown]
	v_pk_mul_f32 v[34:35], v[6:7], v[56:57]
	v_sub_f32_e32 v45, v47, v46
	v_sub_f32_e32 v46, v29, v28
	v_pk_mul_f32 v[18:19], v[6:7], v[18:19]
	v_pk_mul_f32 v[20:21], v[6:7], v[24:25]
	;; [unrolled: 1-line block ×4, first 2 shown]
	v_sub_f32_e32 v7, v70, v35
	v_sub_f32_e32 v7, v7, v34
	flat_store_dword v[16:17], v6
	v_mul_f32_e32 v16, v7, v71
	v_mov_b32_e32 v17, v6
	v_pk_mul_f32 v[6:7], v[16:17], v[122:123]
	v_pk_mul_f32 v[12:13], v[16:17], v[12:13]
	v_sub_f32_e32 v7, v45, v7
	v_sub_f32_e32 v6, v7, v6
	v_sub_f32_e32 v19, v59, v19
	v_sub_f32_e32 v21, v49, v21
	v_sub_f32_e32 v29, v58, v29
	v_pk_mul_f32 v[14:15], v[16:17], v[14:15]
	v_sub_f32_e32 v13, v43, v13
	v_pk_mul_f32 v[10:11], v[16:17], v[10:11]
	v_mul_f32_e32 v6, v6, v72
	v_mov_b32_e32 v7, v16
	v_fma_f32 v44, -v44, v94, v73
	v_sub_f32_e32 v28, v29, v28
	v_sub_f32_e32 v15, v42, v15
	;; [unrolled: 1-line block ×5, first 2 shown]
	flat_store_dword v[22:23], v16
	v_pk_mul_f32 v[18:19], v[6:7], v[114:115]
	v_sub_f32_e32 v23, v13, v12
	v_pk_mul_f32 v[12:13], v[6:7], v[118:119]
	v_pk_mul_f32 v[16:17], v[16:17], v[50:51]
	v_sub_f32_e32 v19, v28, v19
	v_sub_f32_e32 v22, v15, v14
	v_pk_mul_f32 v[14:15], v[6:7], v[116:117]
	v_sub_f32_e32 v13, v20, v13
	v_sub_f32_e32 v20, v11, v10
	;; [unrolled: 3-line block ×3, first 2 shown]
	v_sub_f32_e32 v21, v7, v16
	v_sub_f32_e32 v7, v19, v18
	v_mul_f32_e32 v16, v7, v134
	v_mov_b32_e32 v17, v6
	v_sub_f32_e32 v25, v48, v25
	flat_store_dword v[26:27], v6
	v_pk_mul_f32 v[6:7], v[16:17], v[108:109]
	v_sub_f32_e32 v24, v25, v24
	v_sub_f32_e32 v7, v22, v7
	;; [unrolled: 1-line block ×5, first 2 shown]
	v_pk_mul_f32 v[14:15], v[16:17], v[110:111]
	v_sub_f32_e32 v19, v13, v12
	v_pk_mul_f32 v[12:13], v[16:17], v[112:113]
	v_mul_f32_e32 v6, v6, v139
	v_mov_b32_e32 v7, v16
	v_sub_f32_e32 v15, v23, v15
	v_sub_f32_e32 v13, v20, v13
	;; [unrolled: 1-line block ×3, first 2 shown]
	v_pk_mul_f32 v[10:11], v[6:7], v[102:103]
	flat_store_dword v[30:31], v16
	v_sub_f32_e32 v11, v18, v11
	v_sub_f32_e32 v18, v15, v14
	v_pk_mul_f32 v[14:15], v[6:7], v[104:105]
	v_pk_mul_f32 v[16:17], v[16:17], v[52:53]
	v_sub_f32_e32 v15, v19, v15
	v_sub_f32_e32 v19, v13, v12
	v_pk_mul_f32 v[12:13], v[6:7], v[106:107]
	v_sub_f32_e32 v7, v21, v17
	v_sub_f32_e32 v16, v7, v16
	;; [unrolled: 1-line block ×3, first 2 shown]
	flat_store_dword v[8:9], v6
	v_mul_f32_e32 v8, v7, v141
	v_mov_b32_e32 v9, v6
	v_pk_mul_f32 v[6:7], v[8:9], v[82:83]
	v_sub_f32_e32 v13, v20, v13
	v_sub_f32_e32 v7, v18, v7
	;; [unrolled: 1-line block ×3, first 2 shown]
	v_mul_f32_e32 v6, v6, v142
	v_mov_b32_e32 v7, v8
	v_sub_f32_e32 v14, v15, v14
	v_sub_f32_e32 v15, v13, v12
	v_pk_mul_f32 v[12:13], v[6:7], v[76:77]
	v_pk_mul_f32 v[10:11], v[8:9], v[86:87]
	v_sub_f32_e32 v13, v14, v13
	v_sub_f32_e32 v11, v19, v11
	flat_store_dword v[32:33], v8
	v_pk_mul_f32 v[8:9], v[8:9], v[62:63]
	flat_store_dword v[4:5], v6
	v_sub_f32_e32 v4, v13, v12
	v_sub_f32_e32 v14, v11, v10
	v_pk_mul_f32 v[10:11], v[6:7], v[78:79]
	v_sub_f32_e32 v7, v16, v9
	v_mul_f32_e32 v4, v4, v143
	v_mov_b32_e32 v5, v6
	v_sub_f32_e32 v11, v15, v11
	v_sub_f32_e32 v15, v7, v8
	v_pk_mul_f32 v[6:7], v[4:5], v[74:75]
	v_sub_f32_e32 v10, v11, v10
	v_sub_f32_e32 v7, v14, v7
	;; [unrolled: 1-line block ×3, first 2 shown]
	v_mul_f32_e32 v6, v6, v144
	v_mov_b32_e32 v7, v4
	v_pk_mul_f32 v[8:9], v[6:7], v[38:39]
	v_pk_mul_f32 v[0:1], v[4:5], v[0:1]
	v_sub_f32_e32 v7, v10, v9
	v_sub_f32_e32 v1, v15, v1
	flat_store_dword v[36:37], v4
	v_sub_f32_e32 v4, v1, v0
	v_sub_f32_e32 v0, v7, v8
	v_lshl_add_u64 v[60:61], s[2:3], 2, v[54:55]
	s_addk_i32 s4, 0xffb8
	v_mul_f32_e32 v0, v0, v145
	s_sub_i32 s2, s0, 19
	flat_store_dword v[2:3], v6
	flat_store_dword v[60:61], v0
	v_mov_b32_e32 v1, s4
	ds_read2_b32 v[2:3], v1 offset1:1
	s_lshl_b32 s4, s2, 2
	s_add_i32 s1, s1, s4
	v_mov_b32_e32 v1, s1
	ds_read_b32 v5, v1
	v_mov_b32_e32 v1, v6
	s_waitcnt lgkmcnt(0)
	v_pk_mul_f32 v[0:1], v[0:1], v[2:3]
	s_sub_i32 s0, s0, 20
	v_sub_f32_e32 v1, v4, v1
	v_sub_f32_e32 v0, v1, v0
	v_mul_f32_e32 v2, v0, v5
	v_lshl_add_u64 v[0:1], s[2:3], 2, v[54:55]
	flat_store_dword v[0:1], v2
.LBB29_21:
	s_cmp_lt_i32 s0, 0
	s_cbranch_scc1 .LBB29_38
; %bb.22:
	s_and_b32 s1, s0, 3
	s_cmp_eq_u32 s1, 3
	s_mov_b32 s2, s0
	s_cbranch_scc1 .LBB29_27
; %bb.23:
	s_mul_i32 s2, s0, 0x60
	s_lshl_b32 s3, s17, 2
	s_add_i32 s1, s0, 1
	s_add_i32 s2, s2, s3
	s_and_b32 s1, s1, 3
	s_add_i32 s8, s2, -4
	s_mov_b32 s5, 0
	s_mov_b32 s2, s0
	;; [unrolled: 1-line block ×3, first 2 shown]
	s_branch .LBB29_25
.LBB29_24:                              ;   in Loop: Header=BB29_25 Depth=1
	s_mul_i32 s3, s2, 0x64
	v_mov_b32_e32 v1, s3
	ds_read_b32 v1, v1
	s_add_i32 s2, s2, -1
	s_add_i32 s9, s9, 1
	s_addk_i32 s8, 0xffa0
	s_cmp_lg_u32 s9, s1
	s_waitcnt lgkmcnt(0)
	v_mul_f32_e32 v0, v0, v1
	flat_store_dword v[2:3], v0
	s_cbranch_scc0 .LBB29_27
.LBB29_25:                              ; =>This Loop Header: Depth=1
                                        ;     Child Loop BB29_26 Depth 2
	s_mov_b32 s3, s5
	v_lshl_add_u64 v[2:3], s[2:3], 2, v[54:55]
	flat_load_dword v0, v[2:3]
	s_cmp_le_i32 s7, s2
	s_mov_b32 s3, s8
	s_mov_b32 s4, s7
	s_waitcnt vmcnt(0) lgkmcnt(0)
	v_mul_f32_e32 v0, s16, v0
	s_cbranch_scc1 .LBB29_24
.LBB29_26:                              ;   Parent Loop BB29_25 Depth=1
                                        ; =>  This Inner Loop Header: Depth=2
	v_lshl_add_u64 v[4:5], s[4:5], 2, v[54:55]
	flat_load_dword v1, v[4:5]
	v_mov_b32_e32 v4, s3
	ds_read_b32 v4, v4
	s_add_i32 s4, s4, -1
	s_add_i32 s3, s3, -4
	s_cmp_gt_i32 s4, s2
	s_waitcnt vmcnt(0) lgkmcnt(0)
	v_fma_f32 v0, -v1, v4, v0
	s_cbranch_scc1 .LBB29_26
	s_branch .LBB29_24
.LBB29_27:
	s_cmp_lt_u32 s0, 3
	s_cbranch_scc1 .LBB29_38
; %bb.28:
	s_mul_i32 s0, s2, 0x60
	s_lshl_b32 s1, s17, 2
	s_add_i32 s0, s0, s1
	s_add_i32 s8, s0, -4
	s_add_i32 s9, s0, 0xffffff9c
	s_add_i32 s10, s0, 0xffffff3c
	;; [unrolled: 1-line block ×3, first 2 shown]
	s_mov_b32 s1, 0
	s_branch .LBB29_30
.LBB29_29:                              ;   in Loop: Header=BB29_30 Depth=1
	s_add_i32 s0, s3, 0xffffff9c
	v_mov_b32_e32 v1, s0
	ds_read_b32 v1, v1
	s_add_i32 s0, s2, -4
	s_addk_i32 s8, 0xfe80
	s_addk_i32 s9, 0xfe80
	;; [unrolled: 1-line block ×4, first 2 shown]
	s_waitcnt lgkmcnt(0)
	v_mul_f32_e32 v0, v0, v1
	s_cmp_lt_i32 s2, 4
	s_mov_b32 s2, s0
	flat_store_dword v[2:3], v0
	s_cbranch_scc1 .LBB29_38
.LBB29_30:                              ; =>This Loop Header: Depth=1
                                        ;     Child Loop BB29_31 Depth 2
                                        ;     Child Loop BB29_33 Depth 2
	;; [unrolled: 1-line block ×4, first 2 shown]
	s_mov_b32 s3, s1
	v_lshl_add_u64 v[4:5], s[2:3], 2, v[54:55]
	flat_load_dword v0, v[4:5]
	s_cmp_le_i32 s7, s2
	s_mov_b32 s3, s8
	s_mov_b32 s0, s7
	s_waitcnt vmcnt(0) lgkmcnt(0)
	v_mul_f32_e32 v0, s16, v0
	s_cbranch_scc1 .LBB29_32
.LBB29_31:                              ;   Parent Loop BB29_30 Depth=1
                                        ; =>  This Inner Loop Header: Depth=2
	v_lshl_add_u64 v[2:3], s[0:1], 2, v[54:55]
	flat_load_dword v1, v[2:3]
	v_mov_b32_e32 v2, s3
	ds_read_b32 v2, v2
	s_add_i32 s0, s0, -1
	s_add_i32 s3, s3, -4
	s_cmp_gt_i32 s0, s2
	s_waitcnt vmcnt(0) lgkmcnt(0)
	v_fma_f32 v0, -v1, v2, v0
	s_cbranch_scc1 .LBB29_31
.LBB29_32:                              ;   in Loop: Header=BB29_30 Depth=1
	s_add_i32 s0, s2, -1
	v_lshl_add_u64 v[2:3], s[0:1], 2, v[54:55]
	flat_load_dword v1, v[2:3]
	s_mul_i32 s3, s2, 0x64
	v_mov_b32_e32 v6, s3
	ds_read_b32 v6, v6
	s_mov_b32 s4, s9
	s_cmp_le_i32 s17, s2
	s_mov_b32 s0, s17
	s_waitcnt lgkmcnt(0)
	v_mul_f32_e32 v0, v0, v6
	flat_store_dword v[4:5], v0
	s_waitcnt vmcnt(0)
	v_mul_f32_e32 v0, s16, v1
	s_cbranch_scc1 .LBB29_34
.LBB29_33:                              ;   Parent Loop BB29_30 Depth=1
                                        ; =>  This Inner Loop Header: Depth=2
	s_add_i32 s0, s0, -1
	v_lshl_add_u64 v[4:5], s[0:1], 2, v[54:55]
	flat_load_dword v1, v[4:5]
	v_mov_b32_e32 v4, s4
	ds_read_b32 v4, v4
	s_add_i32 s4, s4, -4
	s_cmp_gt_i32 s0, s2
	s_waitcnt vmcnt(0) lgkmcnt(0)
	v_fma_f32 v0, -v1, v4, v0
	s_cbranch_scc1 .LBB29_33
.LBB29_34:                              ;   in Loop: Header=BB29_30 Depth=1
	s_add_i32 s4, s2, -2
	s_mov_b32 s5, s1
	v_lshl_add_u64 v[4:5], s[4:5], 2, v[54:55]
	flat_load_dword v1, v[4:5]
	s_addk_i32 s3, 0xff9c
	v_mov_b32_e32 v6, s3
	ds_read_b32 v6, v6
	s_mov_b32 s5, s10
	s_cmp_le_i32 s7, s4
	s_mov_b32 s0, s7
	s_waitcnt lgkmcnt(0)
	v_mul_f32_e32 v0, v0, v6
	flat_store_dword v[2:3], v0
	s_waitcnt vmcnt(0)
	v_mul_f32_e32 v0, s16, v1
	s_cbranch_scc1 .LBB29_36
.LBB29_35:                              ;   Parent Loop BB29_30 Depth=1
                                        ; =>  This Inner Loop Header: Depth=2
	v_lshl_add_u64 v[2:3], s[0:1], 2, v[54:55]
	flat_load_dword v1, v[2:3]
	v_mov_b32_e32 v2, s5
	ds_read_b32 v2, v2
	s_add_i32 s0, s0, -1
	s_add_i32 s5, s5, -4
	s_cmp_gt_i32 s0, s4
	s_waitcnt vmcnt(0) lgkmcnt(0)
	v_fma_f32 v0, -v1, v2, v0
	s_cbranch_scc1 .LBB29_35
.LBB29_36:                              ;   in Loop: Header=BB29_30 Depth=1
	s_add_i32 s4, s2, -3
	s_mov_b32 s5, s1
	v_lshl_add_u64 v[2:3], s[4:5], 2, v[54:55]
	flat_load_dword v1, v[2:3]
	s_addk_i32 s3, 0xff9c
	v_mov_b32_e32 v6, s3
	ds_read_b32 v6, v6
	s_mov_b32 s5, s11
	s_cmp_le_i32 s7, s4
	s_mov_b32 s0, s7
	s_waitcnt lgkmcnt(0)
	v_mul_f32_e32 v0, v0, v6
	flat_store_dword v[4:5], v0
	s_waitcnt vmcnt(0)
	v_mul_f32_e32 v0, s16, v1
	s_cbranch_scc1 .LBB29_29
.LBB29_37:                              ;   Parent Loop BB29_30 Depth=1
                                        ; =>  This Inner Loop Header: Depth=2
	v_lshl_add_u64 v[4:5], s[0:1], 2, v[54:55]
	flat_load_dword v1, v[4:5]
	v_mov_b32_e32 v4, s5
	ds_read_b32 v4, v4
	s_add_i32 s0, s0, -1
	s_add_i32 s5, s5, -4
	s_cmp_gt_i32 s0, s4
	s_waitcnt vmcnt(0) lgkmcnt(0)
	v_fma_f32 v0, -v1, v4, v0
	s_cbranch_scc1 .LBB29_37
	s_branch .LBB29_29
.LBB29_38:
	s_mov_b64 s[0:1], 0
.LBB29_39:
	s_and_b64 vcc, exec, s[0:1]
	s_cbranch_vccz .LBB29_53
; %bb.40:
	s_cmp_gt_i32 s6, 23
	s_cselect_b64 s[2:3], -1, 0
	s_mov_b32 s0, 0
	s_and_b64 vcc, exec, s[2:3]
	s_cbranch_vccz .LBB29_42
; %bb.41:
	flat_load_dwordx4 v[28:31], v[54:55]
	flat_load_dwordx4 v[32:35], v[54:55] offset:16
	flat_load_dwordx4 v[42:45], v[54:55] offset:32
	flat_load_dwordx4 v[24:27], v[54:55] offset:48
	flat_load_dwordx4 v[8:11], v[54:55] offset:64
	flat_load_dwordx4 v[0:3], v[54:55] offset:80
	v_mov_b32_e32 v146, 0
	ds_read_b128 v[46:49], v146
	ds_read_b128 v[50:53], v146 offset:16
	ds_read_b128 v[58:61], v146 offset:32
	ds_read2_b32 v[64:65], v146 offset0:25 offset1:26
	ds_read_b128 v[16:19], v146 offset:400
	ds_read_b128 v[20:23], v146 offset:416
	ds_read2_b32 v[36:37], v146 offset0:27 offset1:28
	ds_read2_b32 v[38:39], v146 offset0:29 offset1:30
	;; [unrolled: 1-line block ×13, first 2 shown]
	ds_read_b128 v[4:7], v146 offset:800
	ds_read2_b32 v[56:57], v146 offset0:225 offset1:226
	ds_read2_b64 v[76:79], v146 offset0:27 offset1:28
	ds_read_b64 v[98:99], v146 offset:232
	ds_read2_b64 v[12:15], v146 offset0:75 offset1:76
	ds_read_b64 v[94:95], v146 offset:616
	ds_read_b32 v147, v146 offset:1000
	ds_read2_b64 v[80:83], v146 offset0:25 offset1:26
	ds_read2_b32 v[102:103], v146 offset0:35 offset1:36
	s_waitcnt lgkmcnt(0)
	v_mov_b32_e32 v93, v21
	v_mov_b32_e32 v21, v87
	;; [unrolled: 1-line block ×40, first 2 shown]
	s_movk_i32 s0, 0x400
	s_waitcnt vmcnt(0)
	v_mul_f32_e32 v5, s16, v28
	v_mov_b32_e32 v100, v29
	v_mul_f32_e32 v63, v5, v46
	v_pk_mul_f32 v[28:29], v[62:63], v[100:101]
	v_mov_b32_e32 v74, v63
	v_sub_f32_e32 v5, v28, v29
	v_mul_f32_e32 v75, v5, v64
	v_pk_mul_f32 v[28:29], v[74:75], v[68:69]
	v_mul_f32_e32 v7, v63, v61
	v_fma_f32 v5, s16, v44, -v28
	v_fma_f32 v13, s16, v45, -v7
	v_pk_mul_f32 v[44:45], v[74:75], v[58:59]
	v_mov_b32_e32 v70, v43
	v_fma_f32 v7, s16, v42, -v44
	v_pk_mul_f32 v[42:43], v[74:75], v[52:53]
	v_mov_b32_e32 v112, v35
	v_fma_f32 v17, s16, v34, -v42
	v_pk_mul_f32 v[34:35], v[74:75], v[50:51]
	flat_store_dwordx2 v[54:55], v[74:75]
	v_mov_b32_e32 v110, v33
	v_fma_f32 v23, s16, v32, -v34
	v_pk_mul_f32 v[32:33], v[74:75], v[48:49]
	ds_read2_b32 v[48:49], v146 offset0:83 offset1:84
	v_fma_f32 v28, s16, v30, -v32
	v_mov_b32_e32 v106, v31
	v_sub_f32_e32 v41, v28, v33
	v_sub_f32_e32 v17, v17, v43
	;; [unrolled: 1-line block ×4, first 2 shown]
	ds_read2_b32 v[42:43], v146 offset0:131 offset1:132
	ds_read_b96 v[32:34], v146 offset:240
	s_waitcnt lgkmcnt(0)
	v_mov_b32_e32 v128, v48
	ds_read2_b32 v[124:125], v146 offset0:179 offset1:180
	ds_read_b128 v[28:31], v146 offset:432
	ds_read_b64 v[44:45], v146 offset:624
	ds_read_b96 v[46:48], v146 offset:48
	v_pk_mul_f32 v[136:137], v[62:63], v[106:107]
	v_pk_mul_f32 v[106:107], v[62:63], v[70:71]
	ds_read2_b32 v[70:71], v146 offset0:227 offset1:228
	ds_read_b96 v[50:52], v146 offset:144
	ds_read_b64 v[120:121], v146 offset:816
	v_pk_mul_f32 v[38:39], v[62:63], v[110:111]
	v_pk_mul_f32 v[122:123], v[62:63], v[112:113]
	v_sub_f32_e32 v62, v23, v35
	s_waitcnt lgkmcnt(0)
	v_mul_f32_e32 v35, v63, v46
	v_fma_f32 v24, s16, v24, -v35
	v_fma_f32 v35, -v75, v50, v24
	v_mul_f32_e32 v24, v63, v47
	v_mov_b32_e32 v31, 0x44c
	v_fma_f32 v24, s16, v25, -v24
	v_mov_b32_e32 v132, v42
	v_mov_b32_e32 v7, v57
	v_fma_f32 v42, -v75, v51, v24
	ds_read_b32 v129, v146 offset:428
	ds_read2_b32 v[46:47], v146 offset0:85 offset1:86
	ds_read_b32 v133, v146 offset:620
	ds_read2_b32 v[24:25], v146 offset0:133 offset1:134
	;; [unrolled: 2-line block ×3, first 2 shown]
	ds_read_b32 v67, v146 offset:1004
	ds_read_b64 v[114:115], v146 offset:1008
	ds_read_b64 v[60:61], v146 offset:1200
	ds_read2_b32 v[68:69], v146 offset0:229 offset1:230
	v_mov_b32_e32 v50, 0x454
	ds_read2_b32 v[64:65], v31 offset1:1
	ds_read2_b32 v[58:59], v50 offset1:1
	ds_read_b32 v57, v146 offset:1300
	v_mul_f32_e32 v31, v63, v48
	v_mul_f32_e32 v101, v41, v80
	v_mov_b32_e32 v100, v75
	v_fma_f32 v26, s16, v26, -v31
	v_pk_mul_f32 v[50:51], v[100:101], v[108:109]
	v_sub_f32_e32 v31, v136, v137
	v_sub_f32_e32 v31, v31, v50
	;; [unrolled: 1-line block ×3, first 2 shown]
	v_pk_mul_f32 v[50:51], v[100:101], v[102:103]
	v_mul_f32_e32 v103, v31, v72
	v_mov_b32_e32 v102, v101
	v_mov_b32_e32 v48, v32
	v_fma_f32 v26, -v75, v52, v26
	v_pk_mul_f32 v[48:49], v[102:103], v[48:49]
	v_sub_f32_e32 v13, v13, v50
	v_sub_f32_e32 v31, v35, v48
	v_fma_f32 v41, -v101, v33, v42
	v_fma_f32 v26, -v101, v34, v26
	v_pk_mul_f32 v[32:33], v[102:103], v[98:99]
	v_pk_mul_f32 v[34:35], v[102:103], v[78:79]
	v_sub_f32_e32 v13, v13, v51
	v_sub_f32_e32 v5, v5, v32
	;; [unrolled: 1-line block ×3, first 2 shown]
	v_pk_mul_f32 v[50:51], v[102:103], v[76:77]
	v_pk_mul_f32 v[52:53], v[102:103], v[82:83]
	v_sub_f32_e32 v17, v17, v50
	v_sub_f32_e32 v34, v62, v52
	flat_store_dwordx2 v[54:55], v[102:103] offset:8
	v_pk_mul_f32 v[136:137], v[100:101], v[126:127]
	v_pk_mul_f32 v[140:141], v[100:101], v[130:131]
	;; [unrolled: 1-line block ×3, first 2 shown]
	v_sub_f32_e32 v42, v34, v53
	s_waitcnt lgkmcnt(0)
	v_sub_f32_e32 v59, v17, v51
	v_sub_f32_e32 v62, v32, v35
	;; [unrolled: 1-line block ×4, first 2 shown]
	v_mov_b32_e32 v130, v46
	ds_read2_b64 v[32:35], v146 offset0:79 offset1:80
	ds_read2_b32 v[80:81], v146 offset0:182 offset1:189
	v_fma_f32 v74, -v103, v47, v26
	ds_read2_b64 v[46:49], v146 offset0:81 offset1:82
	ds_read2_b32 v[50:51], v146 offset0:15 offset1:16
	ds_read2_b32 v[98:99], v146 offset0:230 offset1:237
	;; [unrolled: 1-line block ×4, first 2 shown]
	ds_read_b32 v100, v146 offset:84
	ds_read2_b32 v[72:73], v146 offset0:39 offset1:40
	s_waitcnt lgkmcnt(0)
	v_mul_f32_e32 v17, v63, v50
	v_fma_f32 v17, s16, v27, -v17
	v_mov_b32_e32 v23, v89
	ds_read2_b32 v[26:27], v146 offset0:41 offset1:42
	ds_read2_b32 v[84:85], v146 offset0:43 offset1:44
	ds_read_b32 v102, v146 offset:180
	v_fma_f32 v17, -v75, v72, v17
	ds_read2_b32 v[76:77], v146 offset0:63 offset1:64
	ds_read2_b32 v[82:83], v146 offset0:87 offset1:88
	;; [unrolled: 1-line block ×4, first 2 shown]
	ds_read_b32 v105, v146 offset:276
	s_waitcnt lgkmcnt(0)
	v_fma_f32 v17, -v101, v76, v17
	v_mov_b32_e32 v31, v25
	v_fma_f32 v25, -v103, v82, v17
	v_mul_f32_e32 v17, v63, v51
	v_fma_f32 v8, s16, v8, -v17
	v_fma_f32 v8, -v75, v73, v8
	v_fma_f32 v8, -v101, v77, v8
	v_mov_b32_e32 v144, v32
	v_fma_f32 v32, -v103, v83, v8
	v_mul_f32_e32 v8, v63, v52
	ds_read2_b32 v[108:109], v146 offset0:89 offset1:90
	ds_read2_b32 v[134:135], v146 offset0:91 offset1:92
	ds_read_b32 v152, v146 offset:372
	v_fma_f32 v8, s16, v9, -v8
	v_fma_f32 v8, -v75, v26, v8
	v_fma_f32 v8, -v101, v88, v8
	v_mov_b32_e32 v66, v70
	s_waitcnt lgkmcnt(0)
	v_fma_f32 v70, -v103, v108, v8
	v_mul_f32_e32 v8, v63, v53
	v_fma_f32 v8, s16, v10, -v8
	v_fma_f32 v8, -v75, v27, v8
	v_fma_f32 v8, -v101, v89, v8
	;; [unrolled: 1-line block ×3, first 2 shown]
	v_mul_f32_e32 v8, v63, v78
	v_fma_f32 v8, s16, v11, -v8
	v_fma_f32 v8, -v75, v84, v8
	v_fma_f32 v8, -v101, v96, v8
	v_fma_f32 v134, -v103, v134, v8
	v_mov_b32_e32 v8, 0x52c
	v_mov_b32_e32 v9, 0x5ec
	;; [unrolled: 1-line block ×4, first 2 shown]
	ds_read2_b32 v[88:89], v8 offset1:1
	ds_read2_b32 v[82:83], v9 offset1:1
	;; [unrolled: 1-line block ×4, first 2 shown]
	v_mul_f32_e32 v8, v63, v79
	v_fma_f32 v0, s16, v0, -v8
	ds_read_b128 v[8:11], v146 offset:1600
	ds_read_b64 v[26:27], v146 offset:1616
	v_fma_f32 v0, -v75, v85, v0
	v_mov_b32_e32 v17, 0x474
	v_mov_b32_e32 v131, v29
	v_fma_f32 v0, -v101, v97, v0
	v_mov_b32_e32 v29, 0x534
	v_mov_b32_e32 v50, 0x5f4
	;; [unrolled: 1-line block ×3, first 2 shown]
	ds_read2_b32 v[108:109], v17 offset1:1
	ds_read2_b32 v[96:97], v29 offset1:1
	ds_read2_b32 v[84:85], v50 offset1:1
	ds_read2_b32 v[78:79], v51 offset1:1
	v_sub_f32_e32 v17, v38, v39
	v_sub_f32_e32 v17, v17, v136
	v_mul_f32_e32 v143, v42, v16
	v_mov_b32_e32 v142, v103
	v_mov_b32_e32 v145, v80
	s_waitcnt lgkmcnt(0)
	v_mov_b32_e32 v80, v76
	v_mov_b32_e32 v76, v26
	v_sub_f32_e32 v26, v17, v137
	v_pk_mul_f32 v[16:17], v[142:143], v[36:37]
	ds_read2_b64 v[148:151], v146 offset0:103 offset1:104
	ds_read2_b64 v[50:53], v146 offset0:105 offset1:106
	v_sub_f32_e32 v16, v26, v16
	v_sub_f32_e32 v79, v16, v17
	v_pk_mul_f32 v[16:17], v[142:143], v[128:129]
	v_mov_b32_e32 v85, v27
	v_sub_f32_e32 v13, v13, v16
	v_sub_f32_e32 v97, v13, v17
	ds_read2_b32 v[16:17], v146 offset0:111 offset1:112
	v_pk_mul_f32 v[26:27], v[142:143], v[130:131]
	v_mov_b32_e32 v110, v124
	v_sub_f32_e32 v13, v41, v26
	v_mov_b32_e32 v139, v98
	v_mov_b32_e32 v29, v43
	v_sub_f32_e32 v98, v13, v27
	ds_read2_b32 v[26:27], v146 offset0:113 offset1:114
	ds_read2_b32 v[42:43], v146 offset0:115 offset1:116
	ds_read_b32 v13, v146 offset:468
	s_waitcnt lgkmcnt(0)
	v_fma_f32 v109, -v143, v16, v25
	ds_read2_b64 v[36:39], v146 offset0:127 offset1:128
	v_mov_b32_e32 v124, v44
	v_mov_b32_e32 v25, v45
	v_mul_f32_e32 v45, v79, v40
	v_mov_b32_e32 v44, v143
	v_fma_f32 v128, -v143, v17, v32
	v_pk_mul_f32 v[16:17], v[44:45], v[22:23]
	v_pk_mul_f32 v[18:19], v[44:45], v[18:19]
	v_sub_f32_e32 v5, v5, v16
	v_sub_f32_e32 v5, v5, v17
	v_pk_mul_f32 v[16:17], v[44:45], v[28:29]
	v_fma_f32 v0, -v103, v135, v0
	v_fma_f32 v129, -v143, v26, v70
	;; [unrolled: 1-line block ×3, first 2 shown]
	v_pk_mul_f32 v[26:27], v[44:45], v[20:21]
	v_sub_f32_e32 v18, v59, v18
	v_sub_f32_e32 v16, v69, v16
	v_mov_b32_e32 v70, v120
	v_fma_f32 v120, -v143, v42, v134
	v_fma_f32 v0, -v143, v43, v0
	ds_read2_b64 v[20:23], v146 offset0:129 offset1:130
	s_waitcnt lgkmcnt(0)
	v_mov_b32_e32 v130, v36
	v_sub_f32_e32 v26, v62, v26
	v_sub_f32_e32 v36, v18, v19
	ds_read_b32 v131, v146 offset:1112
	ds_read2_b64 v[40:43], v146 offset0:151 offset1:152
	v_sub_f32_e32 v62, v16, v17
	ds_read2_b32 v[16:17], v146 offset0:135 offset1:136
	v_pk_mul_f32 v[18:19], v[44:45], v[30:31]
	v_sub_f32_e32 v59, v26, v27
	v_sub_f32_e32 v18, v74, v18
	;; [unrolled: 1-line block ×3, first 2 shown]
	ds_read2_b32 v[18:19], v146 offset0:137 offset1:138
	ds_read2_b32 v[26:27], v146 offset0:139 offset1:140
	ds_read_b32 v28, v146 offset:564
	v_mul_f32_e32 v29, v63, v100
	v_fma_f32 v1, s16, v1, -v29
	v_fma_f32 v1, -v75, v102, v1
	s_waitcnt lgkmcnt(0)
	v_mov_b32_e32 v32, v16
	v_fma_f32 v69, -v45, v17, v128
	v_mov_b32_e32 v16, 0x45c
	v_mov_b32_e32 v17, 0x51c
	v_fma_f32 v1, -v101, v105, v1
	v_mov_b32_e32 v113, v121
	v_mov_b32_e32 v29, 0x5dc
	;; [unrolled: 1-line block ×3, first 2 shown]
	v_fma_f32 v74, -v45, v18, v129
	v_fma_f32 v18, -v45, v19, v135
	v_fma_f32 v19, -v45, v26, v120
	v_fma_f32 v26, -v45, v27, v0
	ds_read2_b32 v[134:135], v16 offset1:1
	ds_read2_b32 v[128:129], v17 offset1:1
	;; [unrolled: 1-line block ×4, first 2 shown]
	v_fma_f32 v0, -v103, v152, v1
	v_sub_f32_e32 v17, v122, v123
	v_fma_f32 v0, -v143, v13, v0
	v_sub_f32_e32 v17, v17, v140
	v_fma_f32 v16, -v45, v28, v0
	v_pk_mul_f32 v[0:1], v[142:143], v[118:119]
	v_sub_f32_e32 v17, v17, v141
	v_mul_f32_e32 v153, v36, v12
	v_mov_b32_e32 v152, v45
	v_sub_f32_e32 v0, v17, v0
	v_pk_mul_f32 v[12:13], v[152:153], v[116:117]
	v_sub_f32_e32 v0, v0, v1
	v_sub_f32_e32 v0, v0, v12
	;; [unrolled: 1-line block ×3, first 2 shown]
	v_pk_mul_f32 v[0:1], v[152:153], v[132:133]
	v_pk_mul_f32 v[12:13], v[152:153], v[24:25]
	v_sub_f32_e32 v0, v97, v0
	v_sub_f32_e32 v97, v0, v1
	v_pk_mul_f32 v[0:1], v[152:153], v[32:33]
	v_sub_f32_e32 v12, v98, v12
	v_mul_f32_e32 v133, v36, v104
	v_mov_b32_e32 v132, v153
	v_sub_f32_e32 v0, v109, v0
	v_sub_f32_e32 v98, v12, v13
	v_pk_mul_f32 v[12:13], v[132:133], v[14:15]
	v_sub_f32_e32 v109, v0, v1
	v_sub_f32_e32 v1, v59, v12
	v_pk_mul_f32 v[32:33], v[132:133], v[124:125]
	ds_read_b32 v105, v146 offset:1304
	ds_read2_b64 v[28:31], v146 offset0:153 offset1:154
	v_fma_f32 v46, -v153, v46, v18
	v_fma_f32 v47, -v153, v47, v19
	;; [unrolled: 1-line block ×4, first 2 shown]
	ds_read2_b64 v[24:27], v146 offset0:175 offset1:176
	ds_read2_b64 v[16:19], v146 offset0:177 offset1:178
	v_sub_f32_e32 v36, v1, v13
	ds_read2_b32 v[140:141], v146 offset0:183 offset1:184
	ds_read2_b32 v[12:13], v146 offset0:185 offset1:186
	;; [unrolled: 1-line block ×3, first 2 shown]
	v_sub_f32_e32 v1, v62, v32
	v_sub_f32_e32 v156, v1, v33
	v_pk_mul_f32 v[32:33], v[132:133], v[144:145]
	v_mov_b32_e32 v0, v34
	v_sub_f32_e32 v1, v44, v32
	v_sub_f32_e32 v157, v1, v33
	s_waitcnt lgkmcnt(0)
	v_mov_b32_e32 v1, v141
	v_mov_b32_e32 v79, 0x524
	v_pk_mul_f32 v[0:1], v[132:133], v[0:1]
	v_mul_f32_e32 v119, v36, v4
	v_mov_b32_e32 v4, 0x46c
	v_mov_b32_e32 v138, v148
	;; [unrolled: 1-line block ×4, first 2 shown]
	v_fma_f32 v74, -v153, v35, v74
	v_pk_mul_f32 v[34:35], v[132:133], v[94:95]
	ds_read2_b32 v[122:123], v146 offset0:231 offset1:232
	ds_read2_b32 v[124:125], v146 offset0:233 offset1:234
	;; [unrolled: 1-line block ×3, first 2 shown]
	v_sub_f32_e32 v0, v69, v0
	v_mov_b32_e32 v148, v150
	v_mov_b32_e32 v118, v133
	;; [unrolled: 1-line block ×3, first 2 shown]
	v_fma_f32 v104, -v133, v15, v48
	ds_read2_b32 v[94:95], v79 offset1:1
	ds_read2_b32 v[48:49], v100 offset1:1
	;; [unrolled: 1-line block ×4, first 2 shown]
	v_sub_f32_e32 v4, v106, v107
	v_sub_f32_e32 v5, v5, v34
	;; [unrolled: 1-line block ×3, first 2 shown]
	v_pk_mul_f32 v[0:1], v[118:119], v[150:151]
	v_fma_f32 v150, -v133, v13, v46
	v_fma_f32 v62, -v133, v14, v47
	v_sub_f32_e32 v4, v4, v126
	ds_read2_b64 v[12:15], v146 offset0:225 offset1:226
	ds_read_b32 v151, v146 offset:2000
	v_sub_f32_e32 v155, v5, v35
	v_sub_f32_e32 v34, v4, v127
	v_pk_mul_f32 v[4:5], v[142:143], v[92:93]
	v_fma_f32 v100, -v133, v81, v154
	v_sub_f32_e32 v4, v34, v4
	v_sub_f32_e32 v36, v4, v5
	v_pk_mul_f32 v[34:35], v[152:153], v[90:91]
	s_waitcnt lgkmcnt(0)
	v_mov_b32_e32 v81, v13
	v_sub_f32_e32 v13, v36, v34
	v_mov_b32_e32 v4, v14
	v_sub_f32_e32 v13, v13, v35
	v_mov_b32_e32 v79, v15
	v_pk_mul_f32 v[14:15], v[118:119], v[86:87]
	v_mov_b32_e32 v34, v10
	v_sub_f32_e32 v10, v13, v14
	v_pk_mul_f32 v[46:47], v[118:119], v[110:111]
	v_sub_f32_e32 v13, v10, v15
	v_mov_b32_e32 v15, v9
	v_sub_f32_e32 v9, v97, v46
	v_sub_f32_e32 v9, v9, v47
	v_mov_b32_e32 v44, v143
	v_mov_b32_e32 v46, v153
	;; [unrolled: 1-line block ×3, first 2 shown]
	flat_store_dwordx4 v[54:55], v[44:47] offset:16
	v_sub_f32_e32 v0, v74, v0
	v_mov_b32_e32 v86, v26
	v_sub_f32_e32 v26, v0, v1
	ds_read_b64 v[0:1], v146 offset:88
	v_mov_b32_e32 v141, v149
	v_mov_b32_e32 v149, v123
	;; [unrolled: 1-line block ×3, first 2 shown]
	v_pk_mul_f32 v[36:37], v[118:119], v[140:141]
	v_mov_b32_e32 v14, v48
	v_mov_b32_e32 v48, v16
	v_sub_f32_e32 v16, v109, v36
	v_pk_mul_f32 v[46:47], v[118:119], v[112:113]
	v_mov_b32_e32 v5, v73
	v_mov_b32_e32 v35, v33
	;; [unrolled: 1-line block ×6, first 2 shown]
	v_sub_f32_e32 v18, v98, v46
	v_sub_f32_e32 v16, v16, v37
	v_mov_b32_e32 v46, v50
	v_fma_f32 v33, -v119, v51, v62
	v_fma_f32 v65, -v119, v52, v104
	;; [unrolled: 1-line block ×3, first 2 shown]
	ds_read_b64 v[36:37], v146 offset:184
	ds_read_b64 v[50:51], v146 offset:280
	;; [unrolled: 1-line block ×3, first 2 shown]
	s_waitcnt lgkmcnt(0)
	v_mul_f32_e32 v0, v63, v0
	v_mul_f32_e32 v1, v63, v1
	v_fma_f32 v0, s16, v2, -v0
	v_fma_f32 v1, s16, v3, -v1
	v_fma_f32 v0, -v75, v36, v0
	v_mov_b32_e32 v62, v38
	v_fma_f32 v38, -v101, v50, v0
	v_fma_f32 v0, -v75, v37, v1
	;; [unrolled: 1-line block ×3, first 2 shown]
	ds_read_b64 v[0:1], v146 offset:472
	ds_read_b64 v[2:3], v146 offset:568
	ds_read_b64 v[36:37], v146 offset:664
	ds_read_b64 v[50:51], v146 offset:760
	v_fma_f32 v38, -v103, v52, v38
	ds_read_b64 v[74:75], v146 offset:856
	s_waitcnt lgkmcnt(0)
	v_fma_f32 v0, -v143, v0, v38
	v_fma_f32 v0, -v45, v2, v0
	;; [unrolled: 1-line block ×6, first 2 shown]
	v_sub_f32_e32 v18, v18, v47
	v_mov_b32_e32 v47, v125
	v_fma_f32 v98, -v119, v74, v0
	v_fma_f32 v0, -v45, v3, v1
	v_mov_b32_e32 v125, v39
	v_mul_f32_e32 v39, v13, v56
	v_mov_b32_e32 v38, v119
	v_fma_f32 v0, -v153, v37, v0
	v_pk_mul_f32 v[6:7], v[38:39], v[6:7]
	v_mov_b32_e32 v87, v121
	v_mov_b32_e32 v59, v61
	ds_read_b64 v[52:53], v146 offset:952
	ds_read_b64 v[90:91], v146 offset:1048
	;; [unrolled: 1-line block ×4, first 2 shown]
	ds_read_b32 v61, v146 offset:1336
	ds_read_b64 v[102:103], v146 offset:1432
	ds_read_b32 v118, v146 offset:1528
	v_fma_f32 v0, -v133, v51, v0
	ds_read_b32 v37, v146 offset:2004
	ds_read_b64 v[50:51], v146 offset:1624
	ds_read_b32 v121, v146 offset:1720
	ds_read_b64 v[44:45], v146 offset:1816
	v_add_u32_e64 v1, s0, 0
	v_sub_f32_e32 v6, v155, v6
	v_mov_b32_e32 v104, v40
	v_mov_b32_e32 v40, 0x774
	v_fma_f32 v109, -v119, v75, v0
	ds_read2_b64 v[0:3], v1 offset0:123 offset1:147
	v_mov_b32_e32 v112, 0x5fc
	v_sub_f32_e32 v13, v6, v7
	v_pk_mul_f32 v[6:7], v[38:39], v[70:71]
	v_mov_b32_e32 v97, 0x834
	v_mov_b32_e32 v36, 0x53c
	ds_read2_b32 v[74:75], v40 offset1:1
	ds_read2_b32 v[106:107], v97 offset1:1
	;; [unrolled: 1-line block ×4, first 2 shown]
	v_sub_f32_e32 v6, v156, v6
	s_waitcnt lgkmcnt(0)
	v_mov_b32_e32 v113, v51
	v_sub_f32_e32 v51, v6, v7
	v_pk_mul_f32 v[6:7], v[38:39], v[138:139]
	v_mov_b32_e32 v36, 0x6bc
	v_sub_f32_e32 v6, v157, v6
	v_mov_b32_e32 v63, v135
	v_mov_b32_e32 v135, v41
	;; [unrolled: 1-line block ×6, first 2 shown]
	v_sub_f32_e32 v56, v6, v7
	ds_read2_b32 v[70:71], v36 offset1:1
	ds_read2_b32 v[126:127], v40 offset1:1
	;; [unrolled: 1-line block ×3, first 2 shown]
	v_pk_mul_f32 v[6:7], v[38:39], v[46:47]
	v_pk_mul_f32 v[46:47], v[38:39], v[148:149]
	s_waitcnt lgkmcnt(0)
	v_mov_b32_e32 v127, v1
	v_sub_f32_e32 v1, v150, v6
	v_sub_f32_e32 v6, v158, v46
	v_mov_b32_e32 v40, v20
	v_mov_b32_e32 v43, v129
	;; [unrolled: 1-line block ×3, first 2 shown]
	v_sub_f32_e32 v25, v6, v47
	v_sub_f32_e32 v1, v1, v7
	v_mul_f32_e32 v7, v13, v147
	v_mov_b32_e32 v6, v39
	v_mov_b32_e32 v20, v144
	v_pk_mul_f32 v[20:21], v[6:7], v[20:21]
	v_pk_mul_f32 v[66:67], v[6:7], v[66:67]
	v_mov_b32_e32 v71, v45
	v_sub_f32_e32 v13, v33, v20
	v_fma_f32 v33, -v39, v145, v65
	v_fma_f32 v45, -v39, v52, v98
	;; [unrolled: 1-line block ×3, first 2 shown]
	v_pk_mul_f32 v[46:47], v[6:7], v[124:125]
	v_pk_mul_f32 v[52:53], v[6:7], v[122:123]
	;; [unrolled: 1-line block ×3, first 2 shown]
	v_sub_f32_e32 v6, v9, v66
	v_fma_f32 v38, -v39, v99, v73
	v_sub_f32_e32 v16, v16, v52
	v_sub_f32_e32 v18, v18, v68
	;; [unrolled: 1-line block ×6, first 2 shown]
	v_fma_f32 v67, -v7, v23, v38
	v_mov_b32_e32 v23, v95
	v_mov_b32_e32 v95, v27
	;; [unrolled: 1-line block ×4, first 2 shown]
	v_mul_f32_e32 v17, v6, v64
	v_mov_b32_e32 v16, v7
	v_sub_f32_e32 v66, v20, v47
	v_pk_mul_f32 v[46:47], v[16:17], v[114:115]
	v_sub_f32_e32 v13, v13, v21
	v_mov_b32_e32 v20, v22
	v_mov_b32_e32 v21, v117
	;; [unrolled: 1-line block ×4, first 2 shown]
	v_pk_mul_f32 v[28:29], v[16:17], v[40:41]
	v_sub_f32_e32 v6, v51, v46
	v_fma_f32 v45, -v7, v90, v45
	v_fma_f32 v65, -v7, v91, v65
	v_sub_f32_e32 v1, v1, v28
	v_mov_b32_e32 v40, v7
	v_sub_f32_e32 v28, v6, v47
	v_pk_mul_f32 v[6:7], v[16:17], v[130:131]
	v_pk_mul_f32 v[20:21], v[16:17], v[20:21]
	v_sub_f32_e32 v6, v56, v6
	v_sub_f32_e32 v20, v33, v20
	v_mov_b32_e32 v38, v119
	v_mov_b32_e32 v41, v17
	v_sub_f32_e32 v33, v6, v7
	v_mul_f32_e32 v7, v28, v60
	v_mov_b32_e32 v6, v17
	flat_store_dwordx4 v[54:55], v[38:41] offset:32
	v_mov_b32_e32 v109, v31
	v_mov_b32_e32 v26, v30
	v_pk_mul_f32 v[38:39], v[6:7], v[58:59]
	v_pk_mul_f32 v[52:53], v[16:17], v[62:63]
	v_sub_f32_e32 v1, v1, v29
	v_sub_f32_e32 v40, v20, v21
	v_pk_mul_f32 v[20:21], v[6:7], v[108:109]
	v_fma_f32 v41, -v17, v92, v45
	v_fma_f32 v45, -v17, v93, v65
	v_pk_mul_f32 v[16:17], v[6:7], v[116:117]
	v_pk_mul_f32 v[28:29], v[6:7], v[136:137]
	;; [unrolled: 1-line block ×3, first 2 shown]
	v_sub_f32_e32 v6, v9, v38
	v_sub_f32_e32 v13, v13, v16
	v_sub_f32_e32 v16, v66, v28
	v_sub_f32_e32 v18, v18, v30
	v_sub_f32_e32 v6, v6, v39
	v_sub_f32_e32 v9, v18, v31
	v_sub_f32_e32 v18, v16, v29
	v_sub_f32_e32 v13, v13, v17
	v_mul_f32_e32 v17, v6, v57
	v_mov_b32_e32 v16, v7
	v_pk_mul_f32 v[22:23], v[16:17], v[22:23]
	v_pk_mul_f32 v[28:29], v[16:17], v[104:105]
	v_sub_f32_e32 v25, v25, v52
	v_sub_f32_e32 v1, v1, v22
	;; [unrolled: 1-line block ×5, first 2 shown]
	v_mov_b32_e32 v60, v100
	v_pk_mul_f32 v[30:31], v[16:17], v[42:43]
	v_sub_f32_e32 v22, v22, v29
	v_sub_f32_e32 v38, v20, v21
	v_pk_mul_f32 v[20:21], v[16:17], v[60:61]
	v_pk_mul_f32 v[26:27], v[16:17], v[26:27]
	v_sub_f32_e32 v16, v25, v30
	v_mul_f32_e32 v25, v22, v24
	v_mov_b32_e32 v24, v17
	v_sub_f32_e32 v6, v41, v20
	v_sub_f32_e32 v20, v40, v26
	v_pk_mul_f32 v[28:29], v[24:25], v[128:129]
	v_sub_f32_e32 v26, v16, v31
	v_pk_mul_f32 v[30:31], v[24:25], v[94:95]
	v_mov_b32_e32 v97, v19
	v_mov_b32_e32 v111, v103
	v_sub_f32_e32 v9, v9, v28
	v_sub_f32_e32 v28, v18, v30
	;; [unrolled: 1-line block ×3, first 2 shown]
	v_pk_mul_f32 v[22:23], v[24:25], v[88:89]
	v_pk_mul_f32 v[18:19], v[24:25], v[96:97]
	v_fma_f32 v39, -v7, v101, v45
	v_sub_f32_e32 v13, v13, v22
	v_sub_f32_e32 v22, v20, v27
	;; [unrolled: 1-line block ×4, first 2 shown]
	v_mov_b32_e32 v16, v7
	v_mov_b32_e32 v18, v25
	v_sub_f32_e32 v9, v9, v29
	v_pk_mul_f32 v[6:7], v[24:25], v[110:111]
	flat_store_dwordx3 v[54:55], v[16:18] offset:48
	v_sub_f32_e32 v6, v39, v6
	v_sub_f32_e32 v24, v6, v7
	v_mul_f32_e32 v17, v9, v120
	v_mov_b32_e32 v16, v25
	v_pk_mul_f32 v[6:7], v[16:17], v[86:87]
	v_sub_f32_e32 v28, v28, v31
	v_sub_f32_e32 v6, v26, v6
	;; [unrolled: 1-line block ×3, first 2 shown]
	v_mul_f32_e32 v7, v6, v8
	v_mov_b32_e32 v6, v17
	v_sub_f32_e32 v29, v20, v19
	v_pk_mul_f32 v[18:19], v[16:17], v[48:49]
	v_pk_mul_f32 v[20:21], v[16:17], v[82:83]
	;; [unrolled: 1-line block ×3, first 2 shown]
	v_sub_f32_e32 v13, v13, v23
	v_sub_f32_e32 v1, v1, v18
	;; [unrolled: 1-line block ×4, first 2 shown]
	v_pk_mul_f32 v[10:11], v[6:7], v[10:11]
	v_mov_b32_e32 v103, v118
	v_sub_f32_e32 v10, v13, v10
	v_sub_f32_e32 v13, v18, v21
	;; [unrolled: 1-line block ×3, first 2 shown]
	v_pk_mul_f32 v[8:9], v[6:7], v[112:113]
	v_pk_mul_f32 v[22:23], v[16:17], v[102:103]
	;; [unrolled: 1-line block ×3, first 2 shown]
	v_sub_f32_e32 v6, v24, v8
	v_sub_f32_e32 v16, v27, v22
	;; [unrolled: 1-line block ×3, first 2 shown]
	v_mul_f32_e32 v9, v18, v32
	v_mov_b32_e32 v8, v7
	v_sub_f32_e32 v1, v1, v19
	v_sub_f32_e32 v20, v10, v11
	v_pk_mul_f32 v[10:11], v[8:9], v[34:35]
	v_sub_f32_e32 v14, v29, v14
	v_sub_f32_e32 v1, v1, v10
	v_mov_b32_e32 v51, v121
	v_sub_f32_e32 v1, v1, v11
	v_sub_f32_e32 v16, v16, v23
	;; [unrolled: 1-line block ×3, first 2 shown]
	v_pk_mul_f32 v[14:15], v[8:9], v[76:77]
	v_pk_mul_f32 v[18:19], v[8:9], v[50:51]
	v_mul_f32_e32 v11, v1, v12
	v_mov_b32_e32 v10, v9
	v_sub_f32_e32 v6, v13, v14
	v_sub_f32_e32 v8, v16, v18
	v_pk_mul_f32 v[12:13], v[10:11], v[80:81]
	v_sub_f32_e32 v16, v8, v19
	v_sub_f32_e32 v1, v20, v12
	;; [unrolled: 1-line block ×3, first 2 shown]
	v_mov_b32_e32 v6, v17
	v_mov_b32_e32 v8, v9
	v_mov_b32_e32 v9, v11
	v_pk_mul_f32 v[14:15], v[10:11], v[78:79]
	flat_store_dwordx4 v[54:55], v[6:9] offset:60
	v_sub_f32_e32 v14, v21, v14
	v_sub_f32_e32 v1, v1, v13
	v_pk_mul_f32 v[6:7], v[10:11], v[70:71]
	v_sub_f32_e32 v13, v14, v15
	v_sub_f32_e32 v6, v22, v6
	;; [unrolled: 1-line block ×3, first 2 shown]
	v_mul_f32_e32 v7, v1, v72
	v_mov_b32_e32 v6, v11
	v_pk_mul_f32 v[4:5], v[6:7], v[4:5]
	v_mov_b32_e32 v45, v75
	v_sub_f32_e32 v1, v12, v4
	v_sub_f32_e32 v1, v1, v5
	v_mov_b32_e32 v36, v74
	v_pk_mul_f32 v[8:9], v[6:7], v[44:45]
	v_mul_f32_e32 v5, v1, v151
	v_mov_b32_e32 v4, v7
	v_sub_f32_e32 v6, v16, v8
	v_pk_mul_f32 v[10:11], v[4:5], v[36:37]
	v_sub_f32_e32 v6, v6, v9
	v_sub_f32_e32 v1, v13, v10
	v_pk_mul_f32 v[8:9], v[4:5], v[126:127]
	v_sub_f32_e32 v10, v1, v11
	v_sub_f32_e32 v4, v14, v8
	v_mov_b32_e32 v1, v107
	v_sub_f32_e32 v11, v4, v9
	v_mul_f32_e32 v9, v10, v106
	v_mov_b32_e32 v8, v5
	v_pk_mul_f32 v[0:1], v[8:9], v[0:1]
	v_mov_b32_e32 v4, v7
	v_sub_f32_e32 v0, v6, v0
	v_sub_f32_e32 v0, v0, v1
	v_mul_f32_e32 v1, v0, v2
	v_mov_b32_e32 v6, v9
	v_mov_b32_e32 v7, v1
	flat_store_dwordx4 v[54:55], v[4:7] offset:76
	ds_read_b32 v2, v146 offset:2300
	v_mov_b32_e32 v0, v9
	v_mov_b32_e32 v133, v3
	v_pk_mul_f32 v[0:1], v[0:1], v[132:133]
	s_mov_b32 s0, 24
	v_sub_f32_e32 v0, v11, v0
	v_sub_f32_e32 v0, v0, v1
	s_waitcnt lgkmcnt(0)
	v_mul_f32_e32 v0, v0, v2
	flat_store_dword v[54:55], v0 offset:92
.LBB29_42:
	s_cmp_lt_i32 s0, s17
	s_cbranch_scc0 .LBB29_53
; %bb.43:
	s_add_i32 s1, s0, 19
	s_cmp_ge_u32 s1, s17
	s_cbranch_scc1 .LBB29_48
; %bb.44:
	s_lshl_b32 s4, s0, 2
	s_mov_b32 s5, 0
	v_lshl_add_u64 v[32:33], v[54:55], 0, s[4:5]
	flat_load_dwordx4 v[0:3], v[32:33]
	flat_load_dwordx4 v[4:7], v[32:33] offset:16
	flat_load_dwordx4 v[8:11], v[32:33] offset:32
	;; [unrolled: 1-line block ×4, first 2 shown]
	s_andn2_b64 vcc, exec, s[2:3]
	s_waitcnt vmcnt(0) lgkmcnt(0)
	v_pk_mul_f32 v[0:1], s[16:17], v[0:1] op_sel_hi:[0,1]
	v_pk_mul_f32 v[42:43], s[16:17], v[2:3] op_sel_hi:[0,1]
	;; [unrolled: 1-line block ×10, first 2 shown]
	s_cbranch_vccnz .LBB29_47
; %bb.45:
	v_mov_b64_e32 v[2:3], v[54:55]
	s_mov_b32 s2, s0
.LBB29_46:                              ; =>This Inner Loop Header: Depth=1
	flat_load_dword v34, v[2:3]
	v_mov_b32_e32 v20, s4
	ds_read_b128 v[4:7], v20
	ds_read_b128 v[8:11], v20 offset:16
	ds_read_b128 v[12:15], v20 offset:32
	;; [unrolled: 1-line block ×4, first 2 shown]
	s_add_i32 s2, s2, -1
	s_addk_i32 s4, 0x60
	v_lshl_add_u64 v[2:3], v[2:3], 0, 4
	s_cmp_lg_u32 s2, 0
	s_waitcnt vmcnt(0) lgkmcnt(0)
	v_pk_fma_f32 v[0:1], v[34:35], v[4:5], v[0:1] op_sel_hi:[0,1,1] neg_lo:[1,0,0] neg_hi:[1,0,0]
	v_pk_fma_f32 v[42:43], v[34:35], v[6:7], v[42:43] op_sel_hi:[0,1,1] neg_lo:[1,0,0] neg_hi:[1,0,0]
	;; [unrolled: 1-line block ×10, first 2 shown]
	s_cbranch_scc1 .LBB29_46
.LBB29_47:
	s_lshl_b32 s2, s0, 2
	s_mul_i32 s3, s0, 0x60
	s_add_i32 s2, s2, s3
	v_mov_b32_e32 v23, s2
	ds_read_b128 v[80:83], v23
	ds_read_b128 v[12:15], v23 offset:16
	ds_read2_b32 v[52:53], v23 offset0:25 offset1:26
	ds_read2_b32 v[68:69], v23 offset0:27 offset1:28
	;; [unrolled: 1-line block ×12, first 2 shown]
	s_waitcnt lgkmcnt(13)
	v_mul_f32_e32 v100, v0, v80
	v_fma_f32 v0, -v100, v81, v1
	s_mul_i32 s3, s0, 0x64
	s_waitcnt lgkmcnt(11)
	v_mul_f32_e32 v101, v0, v52
	v_mov_b32_e32 v39, s3
	ds_read2_b32 v[44:45], v23 offset0:175 offset1:176
	ds_read2_b32 v[36:37], v23 offset0:177 offset1:178
	ds_read_b128 v[84:87], v23 offset:32
	ds_read_b32 v19, v39 offset:1000
	ds_read2_b32 v[34:35], v39 offset0:225 offset1:226
	ds_read_b96 v[16:18], v23 offset:800
	ds_read_b32 v52, v23 offset:140
	ds_read2_b64 v[88:91], v23 offset0:25 offset1:26
	ds_read_b96 v[20:22], v23 offset:416
	ds_read_b128 v[8:11], v23 offset:400
	ds_read_b64 v[50:51], v23 offset:232
	ds_read2_b64 v[4:7], v23 offset0:27 offset1:28
	ds_read_b32 v38, v23 offset:616
	ds_read2_b64 v[0:3], v23 offset0:75 offset1:76
	flat_store_dwordx2 v[32:33], v[100:101]
	ds_read_b128 v[92:95], v23 offset:48
	ds_read_b128 v[96:99], v23 offset:64
	v_fma_f32 v109, -v100, v83, v43
	s_waitcnt lgkmcnt(0)
	v_mov_b32_e32 v83, v89
	v_fma_f32 v87, -v100, v87, v25
	v_fma_f32 v80, -v100, v92, v66
	;; [unrolled: 1-line block ×6, first 2 shown]
	ds_read_b128 v[64:67], v23 offset:144
	v_fma_f32 v95, -v100, v97, v49
	v_fma_f32 v96, -v100, v98, v46
	;; [unrolled: 1-line block ×3, first 2 shown]
	ds_read_b128 v[46:49], v23 offset:160
	s_waitcnt lgkmcnt(0)
	v_fma_f32 v102, -v101, v64, v80
	v_fma_f32 v80, -v101, v65, v81
	;; [unrolled: 1-line block ×6, first 2 shown]
	v_mov_b32_e32 v46, v82
	v_mov_b32_e32 v47, v53
	v_pk_mul_f32 v[46:47], v[100:101], v[46:47]
	v_mov_b32_e32 v82, v68
	v_sub_f32_e32 v42, v42, v46
	v_mov_b32_e32 v68, v12
	v_fma_f32 v107, -v101, v48, v96
	v_fma_f32 v108, -v101, v49, v97
	v_sub_f32_e32 v47, v42, v47
	ds_read2_b32 v[66:67], v23 offset0:83 offset1:84
	ds_read_b128 v[92:95], v23 offset:240
	ds_read2_b32 v[42:43], v23 offset0:85 offset1:86
	ds_read2_b32 v[64:65], v23 offset0:87 offset1:88
	;; [unrolled: 1-line block ×3, first 2 shown]
	v_mov_b32_e32 v12, v72
	v_mov_b32_e32 v72, v14
	v_pk_mul_f32 v[68:69], v[100:101], v[68:69]
	v_mul_f32_e32 v81, v47, v88
	v_fma_f32 v53, -v100, v13, v31
	v_mov_b32_e32 v14, v76
	v_mov_b32_e32 v76, v84
	v_sub_f32_e32 v13, v30, v68
	v_pk_mul_f32 v[30:31], v[100:101], v[72:73]
	s_waitcnt lgkmcnt(0)
	v_fma_f32 v88, -v81, v95, v104
	v_fma_f32 v95, -v100, v15, v29
	v_mov_b32_e32 v84, v78
	v_mov_b32_e32 v78, v86
	v_fma_f32 v86, -v100, v85, v27
	v_sub_f32_e32 v85, v13, v69
	v_sub_f32_e32 v13, v28, v30
	v_pk_mul_f32 v[28:29], v[100:101], v[76:77]
	v_fma_f32 v110, -v81, v93, v80
	v_sub_f32_e32 v30, v13, v31
	v_sub_f32_e32 v13, v26, v28
	v_pk_mul_f32 v[26:27], v[100:101], v[78:79]
	v_mov_b32_e32 v80, v101
	v_sub_f32_e32 v28, v13, v29
	v_sub_f32_e32 v13, v24, v26
	v_pk_mul_f32 v[24:25], v[80:81], v[82:83]
	v_sub_f32_e32 v26, v13, v27
	v_sub_f32_e32 v13, v109, v24
	;; [unrolled: 1-line block ×3, first 2 shown]
	v_mov_b32_e32 v13, v91
	v_pk_mul_f32 v[12:13], v[80:81], v[12:13]
	v_mov_b32_e32 v15, v5
	v_sub_f32_e32 v12, v53, v12
	v_sub_f32_e32 v25, v12, v13
	v_pk_mul_f32 v[12:13], v[80:81], v[14:15]
	v_mov_b32_e32 v91, v75
	v_sub_f32_e32 v5, v95, v12
	v_mul_f32_e32 v69, v24, v74
	v_mov_b32_e32 v68, v81
	v_sub_f32_e32 v14, v5, v13
	v_pk_mul_f32 v[12:13], v[68:69], v[90:91]
	v_mov_b32_e32 v73, v21
	v_sub_f32_e32 v5, v85, v12
	v_sub_f32_e32 v12, v5, v13
	v_mov_b32_e32 v5, v71
	v_pk_mul_f32 v[4:5], v[68:69], v[4:5]
	v_mul_f32_e32 v71, v12, v8
	v_sub_f32_e32 v4, v30, v4
	v_sub_f32_e32 v13, v4, v5
	v_mov_b32_e32 v4, v70
	v_mov_b32_e32 v5, v9
	;; [unrolled: 1-line block ×3, first 2 shown]
	v_pk_mul_f32 v[4:5], v[70:71], v[4:5]
	v_mov_b32_e32 v85, v7
	v_sub_f32_e32 v4, v25, v4
	v_mov_b32_e32 v7, v63
	v_mov_b32_e32 v63, v11
	v_sub_f32_e32 v8, v4, v5
	v_pk_mul_f32 v[4:5], v[70:71], v[62:63]
	v_mov_b32_e32 v11, v61
	v_sub_f32_e32 v4, v14, v4
	v_mul_f32_e32 v9, v8, v60
	v_mov_b32_e32 v8, v71
	v_sub_f32_e32 v12, v4, v5
	v_pk_mul_f32 v[4:5], v[8:9], v[10:11]
	v_mov_b32_e32 v21, v57
	v_sub_f32_e32 v4, v13, v4
	v_sub_f32_e32 v4, v4, v5
	v_mov_b32_e32 v57, v1
	v_mul_f32_e32 v75, v4, v0
	v_mov_b32_e32 v74, v9
	v_pk_mul_f32 v[0:1], v[74:75], v[56:57]
	v_mov_b32_e32 v53, v51
	v_sub_f32_e32 v0, v12, v0
	v_sub_f32_e32 v0, v0, v1
	v_mul_f32_e32 v11, v0, v44
	v_pk_mul_f32 v[0:1], v[80:81], v[84:85]
	v_mov_b32_e32 v51, v59
	v_sub_f32_e32 v0, v86, v0
	v_sub_f32_e32 v10, v0, v1
	v_pk_mul_f32 v[0:1], v[80:81], v[52:53]
	v_mov_b32_e32 v46, v66
	v_sub_f32_e32 v0, v87, v0
	v_sub_f32_e32 v27, v0, v1
	;; [unrolled: 4-line block ×3, first 2 shown]
	v_pk_mul_f32 v[0:1], v[68:69], v[50:51]
	s_add_i32 s4, s3, 0x44c
	v_sub_f32_e32 v0, v26, v0
	v_sub_f32_e32 v59, v0, v1
	v_mov_b32_e32 v4, s4
	s_add_i32 s4, s2, 0x454
	v_pk_mul_f32 v[0:1], v[68:69], v[66:67]
	v_mov_b32_e32 v5, s4
	v_sub_f32_e32 v0, v102, v0
	s_add_i32 s4, s3, 0x514
	ds_read_b128 v[96:99], v23 offset:256
	v_sub_f32_e32 v112, v0, v1
	v_mov_b32_e32 v0, s4
	s_add_i32 s4, s2, 0x3fc
	v_mov_b32_e32 v1, s4
	s_add_i32 s4, s2, 0x45c
	;; [unrolled: 2-line block ×3, first 2 shown]
	s_add_i32 s5, s2, 0x404
	v_mov_b32_e32 v7, s4
	s_add_i32 s4, s3, 0x5dc
	v_mov_b32_e32 v12, s5
	s_add_i32 s5, s2, 0x464
	ds_read2_b32 v[118:119], v23 offset0:251 offset1:252
	ds_read2_b32 v[120:121], v23 offset0:253 offset1:254
	;; [unrolled: 1-line block ×6, first 2 shown]
	s_add_i32 s6, s2, 0x524
	s_addk_i32 s2, 0x5e4
	s_addk_i32 s3, 0x6a4
	ds_read2_b32 v[52:53], v0 offset1:1
	ds_read2_b32 v[130:131], v1 offset1:1
	;; [unrolled: 1-line block ×4, first 2 shown]
	v_mov_b32_e32 v0, s4
	v_mov_b32_e32 v1, s5
	v_fma_f32 v47, -v81, v94, v103
	s_waitcnt lgkmcnt(0)
	v_fma_f32 v92, -v81, v96, v105
	v_fma_f32 v93, -v81, v97, v106
	;; [unrolled: 1-line block ×3, first 2 shown]
	v_mov_b32_e32 v77, v3
	v_mov_b32_e32 v3, v45
	;; [unrolled: 1-line block ×3, first 2 shown]
	ds_read2_b32 v[132:133], v12 offset1:1
	ds_read2_b32 v[62:63], v1 offset1:1
	;; [unrolled: 1-line block ×4, first 2 shown]
	v_mov_b32_e32 v0, s2
	v_mov_b32_e32 v1, s3
	v_fma_f32 v111, -v81, v99, v108
	v_mov_b32_e32 v72, v58
	v_fma_f32 v76, -v69, v64, v88
	v_fma_f32 v113, -v69, v65, v92
	;; [unrolled: 1-line block ×4, first 2 shown]
	ds_read2_b32 v[48:49], v0 offset1:1
	ds_read2_b32 v[0:1], v1 offset1:1
	ds_read2_b32 v[134:135], v23 offset0:107 offset1:108
	ds_read2_b32 v[136:137], v23 offset0:109 offset1:110
	;; [unrolled: 1-line block ×21, first 2 shown]
	ds_read_b32 v58, v23 offset:1416
	ds_read_b96 v[28:30], v23 offset:1216
	ds_read2_b32 v[66:67], v4 offset1:1
	ds_read2_b32 v[64:65], v5 offset1:1
	ds_read_b32 v116, v39 offset:1800
	ds_read_b96 v[24:26], v39 offset:1600
	ds_read_b128 v[12:15], v39 offset:1200
	ds_read2_b64 v[4:7], v39 offset0:175 offset1:176
	v_fma_f32 v39, -v69, v43, v47
	s_waitcnt lgkmcnt(0)
	v_mov_b32_e32 v47, v134
	v_pk_mul_f32 v[46:47], v[70:71], v[46:47]
	v_pk_mul_f32 v[20:21], v[8:9], v[20:21]
	v_sub_f32_e32 v27, v27, v46
	v_sub_f32_e32 v27, v27, v47
	v_fma_f32 v47, -v71, v78, v76
	v_mov_b32_e32 v76, v40
	v_mov_b32_e32 v40, v22
	v_sub_f32_e32 v20, v31, v20
	v_sub_f32_e32 v31, v20, v21
	v_pk_mul_f32 v[20:21], v[8:9], v[40:41]
	v_mov_b32_e32 v43, v136
	v_sub_f32_e32 v20, v59, v20
	v_sub_f32_e32 v59, v20, v21
	v_mov_b32_e32 v20, v82
	v_mov_b32_e32 v82, v135
	v_pk_mul_f32 v[42:43], v[70:71], v[42:43]
	v_pk_mul_f32 v[40:41], v[8:9], v[82:83]
	v_sub_f32_e32 v42, v110, v42
	v_sub_f32_e32 v21, v112, v40
	v_mov_b32_e32 v40, v84
	v_mov_b32_e32 v84, v137
	flat_store_dwordx2 v[32:33], v[68:69] offset:8
	v_fma_f32 v108, -v69, v108, v111
	v_pk_mul_f32 v[68:69], v[70:71], v[72:73]
	v_sub_f32_e32 v46, v42, v43
	v_pk_mul_f32 v[42:43], v[8:9], v[84:85]
	v_sub_f32_e32 v10, v10, v68
	v_sub_f32_e32 v8, v39, v42
	;; [unrolled: 1-line block ×3, first 2 shown]
	v_fma_f32 v68, -v71, v79, v113
	v_sub_f32_e32 v78, v21, v41
	v_sub_f32_e32 v79, v8, v43
	v_pk_mul_f32 v[42:43], v[74:75], v[76:77]
	v_mov_b32_e32 v21, v138
	v_sub_f32_e32 v10, v10, v42
	v_pk_mul_f32 v[20:21], v[74:75], v[20:21]
	v_sub_f32_e32 v76, v10, v43
	v_sub_f32_e32 v10, v27, v20
	v_mov_b32_e32 v41, v140
	v_sub_f32_e32 v27, v10, v21
	v_pk_mul_f32 v[20:21], v[74:75], v[40:41]
	v_fma_f32 v70, -v71, v81, v115
	v_sub_f32_e32 v10, v46, v20
	v_fma_f32 v41, -v9, v87, v68
	v_mov_b32_e32 v87, v142
	v_fma_f32 v22, -v9, v89, v70
	v_sub_f32_e32 v77, v10, v21
	v_pk_mul_f32 v[20:21], v[74:75], v[86:87]
	v_fma_f32 v72, -v71, v109, v108
	v_sub_f32_e32 v10, v47, v20
	v_fma_f32 v47, -v75, v91, v22
	ds_read_b32 v22, v23 offset:556
	v_sub_f32_e32 v74, v10, v21
	v_mov_b32_e32 v10, v75
	v_pk_mul_f32 v[20:21], v[10:11], v[2:3]
	v_mov_b32_e32 v39, v37
	ds_read2_b32 v[42:43], v23 offset0:163 offset1:187
	v_fma_f32 v69, -v71, v80, v114
	ds_read_b32 v3, v23 offset:1804
	s_waitcnt lgkmcnt(0)
	v_fma_f32 v2, -v9, v22, v72
	v_mov_b32_e32 v22, v92
	v_mov_b32_e32 v92, v139
	v_pk_mul_f32 v[38:39], v[10:11], v[38:39]
	v_sub_f32_e32 v20, v31, v20
	v_fma_f32 v8, -v9, v88, v69
	v_mov_b32_e32 v40, v94
	v_mov_b32_e32 v94, v141
	v_pk_mul_f32 v[72:73], v[10:11], v[92:93]
	v_sub_f32_e32 v31, v20, v21
	v_sub_f32_e32 v20, v59, v38
	v_fma_f32 v80, -v75, v90, v8
	v_mov_b32_e32 v8, v71
	v_mov_b32_e32 v46, v96
	;; [unrolled: 1-line block ×3, first 2 shown]
	v_pk_mul_f32 v[70:71], v[10:11], v[94:95]
	v_sub_f32_e32 v38, v20, v39
	v_sub_f32_e32 v20, v78, v72
	v_pk_mul_f32 v[68:69], v[10:11], v[96:97]
	v_sub_f32_e32 v39, v20, v73
	v_sub_f32_e32 v20, v79, v70
	v_fma_f32 v2, -v75, v42, v2
	v_sub_f32_e32 v42, v20, v71
	v_sub_f32_e32 v20, v41, v68
	v_sub_f32_e32 v59, v20, v69
	v_add_u32_e32 v20, 0x400, v23
	v_fma_f32 v2, -v11, v43, v2
	ds_read2_b32 v[70:71], v20 offset0:3 offset1:27
	ds_read2_b32 v[72:73], v20 offset0:51 offset1:75
	;; [unrolled: 1-line block ×5, first 2 shown]
	flat_store_dwordx4 v[32:33], v[8:11] offset:16
	v_fma_f32 v43, -v11, v99, v47
	v_mov_b32_e32 v37, v17
	v_mov_b32_e32 v10, v11
	v_mul_f32_e32 v11, v31, v16
	v_pk_mul_f32 v[8:9], v[10:11], v[36:37]
	v_mov_b32_e32 v23, v122
	v_sub_f32_e32 v8, v76, v8
	v_sub_f32_e32 v31, v8, v9
	v_pk_mul_f32 v[8:9], v[10:11], v[22:23]
	v_mov_b32_e32 v41, v124
	v_sub_f32_e32 v8, v27, v8
	v_sub_f32_e32 v27, v8, v9
	;; [unrolled: 4-line block ×5, first 2 shown]
	v_mov_b32_e32 v17, v35
	v_mul_f32_e32 v9, v31, v34
	v_mov_b32_e32 v8, v11
	v_pk_mul_f32 v[16:17], v[8:9], v[16:17]
	v_mov_b32_e32 v18, v102
	v_sub_f32_e32 v16, v38, v16
	v_sub_f32_e32 v31, v16, v17
	v_mov_b32_e32 v16, v100
	v_mov_b32_e32 v100, v123
	v_pk_mul_f32 v[22:23], v[8:9], v[100:101]
	v_mov_b32_e32 v102, v125
	v_sub_f32_e32 v17, v39, v22
	v_sub_f32_e32 v46, v17, v23
	v_pk_mul_f32 v[22:23], v[8:9], v[102:103]
	s_waitcnt lgkmcnt(0)
	v_fma_f32 v2, -v11, v20, v2
	v_sub_f32_e32 v17, v42, v22
	v_mov_b32_e32 v22, v104
	v_mov_b32_e32 v104, v127
	v_pk_mul_f32 v[34:35], v[8:9], v[104:105]
	v_sub_f32_e32 v42, v17, v23
	v_sub_f32_e32 v17, v59, v34
	v_mov_b32_e32 v34, v106
	v_mov_b32_e32 v106, v129
	v_pk_mul_f32 v[36:37], v[8:9], v[106:107]
	v_sub_f32_e32 v47, v17, v35
	v_sub_f32_e32 v8, v43, v36
	;; [unrolled: 1-line block ×3, first 2 shown]
	v_mov_b32_e32 v17, v118
	v_mul_f32_e32 v37, v31, v19
	v_mov_b32_e32 v36, v9
	v_pk_mul_f32 v[16:17], v[36:37], v[16:17]
	v_mov_b32_e32 v19, v120
	v_sub_f32_e32 v8, v27, v16
	v_sub_f32_e32 v27, v8, v17
	v_pk_mul_f32 v[16:17], v[36:37], v[18:19]
	v_mov_b32_e32 v23, v130
	v_sub_f32_e32 v8, v40, v16
	v_sub_f32_e32 v31, v8, v17
	;; [unrolled: 4-line block ×4, first 2 shown]
	v_mov_b32_e32 v16, v21
	v_mov_b32_e32 v17, v70
	v_pk_mul_f32 v[16:17], v[36:37], v[16:17]
	v_mov_b32_e32 v8, v11
	v_mul_f32_e32 v11, v27, v66
	v_mov_b32_e32 v66, v119
	v_mov_b32_e32 v10, v37
	v_sub_f32_e32 v2, v2, v16
	v_mov_b32_e32 v64, v121
	v_pk_mul_f32 v[22:23], v[10:11], v[66:67]
	v_sub_f32_e32 v2, v2, v17
	v_mov_b32_e32 v18, v14
	v_mov_b32_e32 v14, v60
	;; [unrolled: 1-line block ×3, first 2 shown]
	v_pk_mul_f32 v[34:35], v[10:11], v[64:65]
	v_sub_f32_e32 v17, v46, v22
	v_mov_b32_e32 v16, v50
	v_mov_b32_e32 v50, v28
	;; [unrolled: 1-line block ×4, first 2 shown]
	v_pk_mul_f32 v[38:39], v[10:11], v[60:61]
	v_sub_f32_e32 v27, v17, v23
	v_sub_f32_e32 v17, v42, v34
	v_pk_mul_f32 v[40:41], v[10:11], v[62:63]
	v_sub_f32_e32 v46, v17, v35
	v_sub_f32_e32 v17, v47, v38
	;; [unrolled: 1-line block ×5, first 2 shown]
	v_mov_b32_e32 v40, v11
	v_mov_b32_e32 v21, v13
	v_mul_f32_e32 v41, v27, v12
	flat_store_dwordx4 v[32:33], v[8:11] offset:32
	v_mov_b32_e32 v17, v5
	v_mov_b32_e32 v19, v53
	v_pk_mul_f32 v[8:9], v[40:41], v[20:21]
	v_pk_mul_f32 v[10:11], v[40:41], v[14:15]
	v_sub_f32_e32 v5, v31, v8
	v_sub_f32_e32 v5, v5, v9
	v_mul_f32_e32 v9, v5, v52
	v_mov_b32_e32 v8, v41
	v_pk_mul_f32 v[14:15], v[8:9], v[18:19]
	v_sub_f32_e32 v10, v59, v10
	v_sub_f32_e32 v5, v46, v14
	;; [unrolled: 1-line block ×3, first 2 shown]
	v_pk_mul_f32 v[10:11], v[8:9], v[50:51]
	v_sub_f32_e32 v5, v5, v15
	v_sub_f32_e32 v10, v47, v10
	v_mul_f32_e32 v5, v5, v4
	v_mov_b32_e32 v4, v9
	v_pk_mul_f32 v[12:13], v[40:41], v[28:29]
	v_sub_f32_e32 v15, v10, v11
	v_pk_mul_f32 v[10:11], v[4:5], v[16:17]
	v_mov_b32_e32 v38, v6
	v_mov_b32_e32 v6, v56
	;; [unrolled: 1-line block ×3, first 2 shown]
	v_sub_f32_e32 v12, v68, v12
	v_sub_f32_e32 v10, v14, v10
	;; [unrolled: 1-line block ×3, first 2 shown]
	v_pk_mul_f32 v[12:13], v[8:9], v[56:57]
	v_pk_mul_f32 v[6:7], v[4:5], v[6:7]
	v_sub_f32_e32 v10, v10, v11
	v_mov_b32_e32 v39, v45
	v_sub_f32_e32 v8, v60, v12
	v_mov_b32_e32 v59, v49
	v_sub_f32_e32 v6, v20, v6
	v_mul_f32_e32 v11, v10, v44
	v_mov_b32_e32 v10, v5
	v_sub_f32_e32 v8, v8, v13
	v_pk_mul_f32 v[12:13], v[10:11], v[38:39]
	v_sub_f32_e32 v16, v6, v7
	v_pk_mul_f32 v[6:7], v[10:11], v[58:59]
	v_sub_f32_e32 v12, v15, v12
	v_sub_f32_e32 v6, v8, v6
	v_mov_b32_e32 v8, v41
	flat_store_dwordx4 v[32:33], v[8:11] offset:48
	v_mov_b32_e32 v42, v48
	v_mov_b32_e32 v43, v25
	v_sub_f32_e32 v8, v12, v13
	v_sub_f32_e32 v10, v6, v7
	v_mul_f32_e32 v7, v8, v24
	v_mov_b32_e32 v6, v11
	v_mov_b32_e32 v22, v71
	;; [unrolled: 1-line block ×5, first 2 shown]
	v_pk_mul_f32 v[8:9], v[6:7], v[42:43]
	v_pk_mul_f32 v[18:19], v[40:41], v[22:23]
	;; [unrolled: 1-line block ×3, first 2 shown]
	v_mov_b32_e32 v5, v1
	v_sub_f32_e32 v1, v16, v8
	v_sub_f32_e32 v2, v2, v18
	;; [unrolled: 1-line block ×4, first 2 shown]
	v_mov_b32_e32 v4, v26
	v_mul_f32_e32 v1, v1, v0
	v_mov_b32_e32 v0, v7
	v_mov_b32_e32 v36, v79
	;; [unrolled: 1-line block ×3, first 2 shown]
	v_sub_f32_e32 v2, v2, v14
	v_pk_mul_f32 v[4:5], v[0:1], v[4:5]
	v_sub_f32_e32 v2, v2, v15
	v_sub_f32_e32 v4, v10, v4
	v_pk_mul_f32 v[6:7], v[6:7], v[36:37]
	s_mulk_i32 s1, 0x64
	v_sub_f32_e32 v2, v2, v6
	flat_store_dwordx2 v[32:33], v[0:1] offset:64
	v_sub_f32_e32 v0, v4, v5
	v_mov_b32_e32 v4, s1
	v_sub_f32_e32 v6, v2, v7
	ds_read_b32 v7, v4
	v_mov_b32_e32 v2, v83
	v_mul_f32_e32 v5, v0, v116
	v_mov_b32_e32 v4, v1
	v_pk_mul_f32 v[0:1], v[4:5], v[2:3]
	s_add_i32 s0, s0, 20
	v_sub_f32_e32 v0, v6, v0
	v_sub_f32_e32 v0, v0, v1
	s_waitcnt lgkmcnt(0)
	v_mul_f32_e32 v1, v0, v7
	v_mov_b32_e32 v0, v5
	flat_store_dwordx2 v[32:33], v[0:1] offset:72
.LBB29_48:
	s_cmp_ge_i32 s0, s17
	s_cbranch_scc1 .LBB29_53
; %bb.49:
	s_lshl_b32 s2, s0, 2
	s_mov_b32 s1, 0
	s_branch .LBB29_51
.LBB29_50:                              ;   in Loop: Header=BB29_51 Depth=1
	s_mul_i32 s3, s0, 0x64
	v_mov_b32_e32 v2, s3
	ds_read_b32 v2, v2
	s_add_i32 s0, s0, 1
	s_add_i32 s2, s2, 4
	s_cmp_ge_i32 s0, s17
	s_waitcnt lgkmcnt(0)
	v_mul_f32_e32 v2, v4, v2
	flat_store_dword v[0:1], v2
	s_cbranch_scc1 .LBB29_53
.LBB29_51:                              ; =>This Loop Header: Depth=1
                                        ;     Child Loop BB29_52 Depth 2
	v_lshl_add_u64 v[0:1], s[0:1], 2, v[54:55]
	flat_load_dword v4, v[0:1]
	s_cmp_eq_u32 s0, 0
	v_mov_b64_e32 v[2:3], v[54:55]
	s_mov_b32 s3, s2
	s_mov_b32 s4, s0
	s_waitcnt vmcnt(0) lgkmcnt(0)
	v_mul_f32_e32 v4, s16, v4
	s_cbranch_scc1 .LBB29_50
.LBB29_52:                              ;   Parent Loop BB29_51 Depth=1
                                        ; =>  This Inner Loop Header: Depth=2
	flat_load_dword v5, v[2:3]
	v_mov_b32_e32 v6, s3
	ds_read_b32 v6, v6
	s_add_i32 s4, s4, -1
	s_addk_i32 s3, 0x60
	v_lshl_add_u64 v[2:3], v[2:3], 0, 4
	s_cmp_lg_u32 s4, 0
	s_waitcnt vmcnt(0) lgkmcnt(0)
	v_fma_f32 v4, -v5, v6, v4
	s_cbranch_scc1 .LBB29_52
	s_branch .LBB29_50
.LBB29_53:
	s_endpgm
	.section	.rodata,"a",@progbits
	.p2align	6, 0x0
	.amdhsa_kernel _ZL30rocblas_trsm_small_left_deviceILi24ELi24ELb1EffPKPKfPKPfEv13rocblas_fill_18rocblas_operation_17rocblas_diagonal_iiT3_T4_lilT5_lili
		.amdhsa_group_segment_fixed_size 2304
		.amdhsa_private_segment_fixed_size 0
		.amdhsa_kernarg_size 352
		.amdhsa_user_sgpr_count 2
		.amdhsa_user_sgpr_dispatch_ptr 0
		.amdhsa_user_sgpr_queue_ptr 0
		.amdhsa_user_sgpr_kernarg_segment_ptr 1
		.amdhsa_user_sgpr_dispatch_id 0
		.amdhsa_user_sgpr_kernarg_preload_length 0
		.amdhsa_user_sgpr_kernarg_preload_offset 0
		.amdhsa_user_sgpr_private_segment_size 0
		.amdhsa_uses_dynamic_stack 0
		.amdhsa_enable_private_segment 0
		.amdhsa_system_sgpr_workgroup_id_x 1
		.amdhsa_system_sgpr_workgroup_id_y 0
		.amdhsa_system_sgpr_workgroup_id_z 1
		.amdhsa_system_sgpr_workgroup_info 0
		.amdhsa_system_vgpr_workitem_id 0
		.amdhsa_next_free_vgpr 159
		.amdhsa_next_free_sgpr 47
		.amdhsa_accum_offset 160
		.amdhsa_reserve_vcc 1
		.amdhsa_float_round_mode_32 0
		.amdhsa_float_round_mode_16_64 0
		.amdhsa_float_denorm_mode_32 3
		.amdhsa_float_denorm_mode_16_64 3
		.amdhsa_dx10_clamp 1
		.amdhsa_ieee_mode 1
		.amdhsa_fp16_overflow 0
		.amdhsa_tg_split 0
		.amdhsa_exception_fp_ieee_invalid_op 0
		.amdhsa_exception_fp_denorm_src 0
		.amdhsa_exception_fp_ieee_div_zero 0
		.amdhsa_exception_fp_ieee_overflow 0
		.amdhsa_exception_fp_ieee_underflow 0
		.amdhsa_exception_fp_ieee_inexact 0
		.amdhsa_exception_int_div_zero 0
	.end_amdhsa_kernel
	.section	.text._ZL30rocblas_trsm_small_left_deviceILi24ELi24ELb1EffPKPKfPKPfEv13rocblas_fill_18rocblas_operation_17rocblas_diagonal_iiT3_T4_lilT5_lili,"axG",@progbits,_ZL30rocblas_trsm_small_left_deviceILi24ELi24ELb1EffPKPKfPKPfEv13rocblas_fill_18rocblas_operation_17rocblas_diagonal_iiT3_T4_lilT5_lili,comdat
.Lfunc_end29:
	.size	_ZL30rocblas_trsm_small_left_deviceILi24ELi24ELb1EffPKPKfPKPfEv13rocblas_fill_18rocblas_operation_17rocblas_diagonal_iiT3_T4_lilT5_lili, .Lfunc_end29-_ZL30rocblas_trsm_small_left_deviceILi24ELi24ELb1EffPKPKfPKPfEv13rocblas_fill_18rocblas_operation_17rocblas_diagonal_iiT3_T4_lilT5_lili
                                        ; -- End function
	.set _ZL30rocblas_trsm_small_left_deviceILi24ELi24ELb1EffPKPKfPKPfEv13rocblas_fill_18rocblas_operation_17rocblas_diagonal_iiT3_T4_lilT5_lili.num_vgpr, 159
	.set _ZL30rocblas_trsm_small_left_deviceILi24ELi24ELb1EffPKPKfPKPfEv13rocblas_fill_18rocblas_operation_17rocblas_diagonal_iiT3_T4_lilT5_lili.num_agpr, 0
	.set _ZL30rocblas_trsm_small_left_deviceILi24ELi24ELb1EffPKPKfPKPfEv13rocblas_fill_18rocblas_operation_17rocblas_diagonal_iiT3_T4_lilT5_lili.numbered_sgpr, 47
	.set _ZL30rocblas_trsm_small_left_deviceILi24ELi24ELb1EffPKPKfPKPfEv13rocblas_fill_18rocblas_operation_17rocblas_diagonal_iiT3_T4_lilT5_lili.num_named_barrier, 0
	.set _ZL30rocblas_trsm_small_left_deviceILi24ELi24ELb1EffPKPKfPKPfEv13rocblas_fill_18rocblas_operation_17rocblas_diagonal_iiT3_T4_lilT5_lili.private_seg_size, 0
	.set _ZL30rocblas_trsm_small_left_deviceILi24ELi24ELb1EffPKPKfPKPfEv13rocblas_fill_18rocblas_operation_17rocblas_diagonal_iiT3_T4_lilT5_lili.uses_vcc, 1
	.set _ZL30rocblas_trsm_small_left_deviceILi24ELi24ELb1EffPKPKfPKPfEv13rocblas_fill_18rocblas_operation_17rocblas_diagonal_iiT3_T4_lilT5_lili.uses_flat_scratch, 0
	.set _ZL30rocblas_trsm_small_left_deviceILi24ELi24ELb1EffPKPKfPKPfEv13rocblas_fill_18rocblas_operation_17rocblas_diagonal_iiT3_T4_lilT5_lili.has_dyn_sized_stack, 0
	.set _ZL30rocblas_trsm_small_left_deviceILi24ELi24ELb1EffPKPKfPKPfEv13rocblas_fill_18rocblas_operation_17rocblas_diagonal_iiT3_T4_lilT5_lili.has_recursion, 0
	.set _ZL30rocblas_trsm_small_left_deviceILi24ELi24ELb1EffPKPKfPKPfEv13rocblas_fill_18rocblas_operation_17rocblas_diagonal_iiT3_T4_lilT5_lili.has_indirect_call, 0
	.section	.AMDGPU.csdata,"",@progbits
; Kernel info:
; codeLenInByte = 18660
; TotalNumSgprs: 53
; NumVgprs: 159
; NumAgprs: 0
; TotalNumVgprs: 159
; ScratchSize: 0
; MemoryBound: 0
; FloatMode: 240
; IeeeMode: 1
; LDSByteSize: 2304 bytes/workgroup (compile time only)
; SGPRBlocks: 6
; VGPRBlocks: 19
; NumSGPRsForWavesPerEU: 53
; NumVGPRsForWavesPerEU: 159
; AccumOffset: 160
; Occupancy: 3
; WaveLimiterHint : 1
; COMPUTE_PGM_RSRC2:SCRATCH_EN: 0
; COMPUTE_PGM_RSRC2:USER_SGPR: 2
; COMPUTE_PGM_RSRC2:TRAP_HANDLER: 0
; COMPUTE_PGM_RSRC2:TGID_X_EN: 1
; COMPUTE_PGM_RSRC2:TGID_Y_EN: 0
; COMPUTE_PGM_RSRC2:TGID_Z_EN: 1
; COMPUTE_PGM_RSRC2:TIDIG_COMP_CNT: 0
; COMPUTE_PGM_RSRC3_GFX90A:ACCUM_OFFSET: 39
; COMPUTE_PGM_RSRC3_GFX90A:TG_SPLIT: 0
	.section	.text._ZL31rocblas_trsm_small_right_deviceIffPKPKfPKPfLi24EEv13rocblas_fill_18rocblas_operation_17rocblas_diagonal_iiT0_T1_lilT2_lili,"axG",@progbits,_ZL31rocblas_trsm_small_right_deviceIffPKPKfPKPfLi24EEv13rocblas_fill_18rocblas_operation_17rocblas_diagonal_iiT0_T1_lilT2_lili,comdat
	.globl	_ZL31rocblas_trsm_small_right_deviceIffPKPKfPKPfLi24EEv13rocblas_fill_18rocblas_operation_17rocblas_diagonal_iiT0_T1_lilT2_lili ; -- Begin function _ZL31rocblas_trsm_small_right_deviceIffPKPKfPKPfLi24EEv13rocblas_fill_18rocblas_operation_17rocblas_diagonal_iiT0_T1_lilT2_lili
	.p2align	8
	.type	_ZL31rocblas_trsm_small_right_deviceIffPKPKfPKPfLi24EEv13rocblas_fill_18rocblas_operation_17rocblas_diagonal_iiT0_T1_lilT2_lili,@function
_ZL31rocblas_trsm_small_right_deviceIffPKPKfPKPfLi24EEv13rocblas_fill_18rocblas_operation_17rocblas_diagonal_iiT0_T1_lilT2_lili: ; @_ZL31rocblas_trsm_small_right_deviceIffPKPKfPKPfLi24EEv13rocblas_fill_18rocblas_operation_17rocblas_diagonal_iiT0_T1_lilT2_lili
; %bb.0:
	s_load_dwordx4 s[8:11], s[0:1], 0x38
	s_load_dwordx4 s[4:7], s[0:1], 0x0
	s_load_dwordx2 s[16:17], s[0:1], 0x10
	s_mov_b32 s20, s3
	s_mov_b32 s21, 0
	s_lshl_b64 s[24:25], s[20:21], 3
	s_waitcnt lgkmcnt(0)
	s_add_u32 s8, s8, s24
	s_addc_u32 s9, s9, s25
	s_load_dwordx2 s[8:9], s[8:9], 0x0
	s_min_i32 s20, s16, 24
	v_cmp_gt_i32_e32 vcc, s20, v0
	s_and_saveexec_b64 s[18:19], vcc
	s_cbranch_execz .LBB30_10
; %bb.1:
	s_load_dwordx4 s[12:15], s[0:1], 0x18
	s_load_dword s22, s[0:1], 0x28
	v_lshlrev_b32_e32 v2, 2, v0
	v_mov_b32_e32 v3, 0
	s_mov_b32 s3, 1
	s_waitcnt lgkmcnt(0)
	s_add_u32 s12, s12, s24
	s_addc_u32 s13, s13, s25
	s_load_dwordx2 s[12:13], s[12:13], 0x0
	s_cmp_lt_u32 s20, 2
	s_cselect_b64 s[26:27], -1, 0
	s_cmp_lg_u32 s22, 1
	s_cselect_b64 s[28:29], -1, 0
	s_or_b64 s[26:27], s[26:27], s[28:29]
	s_mov_b64 s[24:25], -1
	s_and_b64 vcc, exec, s[26:27]
	s_cbranch_vccnz .LBB30_5
; %bb.2:
	s_lshl_b64 s[24:25], s[14:15], 2
	s_waitcnt lgkmcnt(0)
	s_add_u32 s24, s12, s24
	s_addc_u32 s25, s13, s25
	s_and_b32 s21, s20, -2
	v_lshl_add_u64 v[4:5], s[24:25], 0, v[2:3]
	s_mov_b32 s23, 0
	s_mov_b32 s24, s21
.LBB30_3:                               ; =>This Inner Loop Header: Depth=1
	flat_load_dwordx2 v[6:7], v[4:5]
	s_mul_i32 s25, s3, 0x60
	s_mul_i32 s26, s23, 0x60
	s_add_i32 s23, s23, 2
	s_add_i32 s3, s3, 2
	s_add_i32 s24, s24, -2
	v_lshl_add_u64 v[4:5], v[4:5], 0, 8
	v_add_u32_e32 v1, s26, v2
	s_cmp_lg_u32 s24, 0
	v_add_u32_e32 v3, s25, v2
	s_waitcnt vmcnt(0) lgkmcnt(0)
	ds_write_b32 v1, v6
	ds_write_b32 v3, v7
	s_cbranch_scc1 .LBB30_3
; %bb.4:
	s_cmp_lg_u32 s20, s21
	s_cselect_b64 s[24:25], -1, 0
.LBB30_5:
	s_and_b64 vcc, exec, s[24:25]
	s_cbranch_vccz .LBB30_8
; %bb.6:
	s_ashr_i32 s23, s22, 31
	s_mul_hi_u32 s3, s22, s21
	s_mul_i32 s24, s23, s21
	s_add_i32 s25, s3, s24
	s_mul_i32 s24, s22, s21
	s_lshl_b64 s[24:25], s[24:25], 2
	s_lshl_b64 s[14:15], s[14:15], 2
	s_add_u32 s3, s24, s14
	s_addc_u32 s14, s25, s15
	s_waitcnt lgkmcnt(0)
	s_add_u32 s12, s12, s3
	v_mov_b32_e32 v3, 0
	s_addc_u32 s13, s13, s14
	s_mul_i32 s14, s21, 0x60
	v_lshl_add_u64 v[4:5], s[12:13], 0, v[2:3]
	s_lshl_b64 s[12:13], s[22:23], 2
	s_sub_i32 s3, s20, s21
	v_lshl_add_u32 v1, v0, 2, s14
.LBB30_7:                               ; =>This Inner Loop Header: Depth=1
	flat_load_dword v3, v[4:5]
	s_add_i32 s3, s3, -1
	v_lshl_add_u64 v[4:5], v[4:5], 0, s[12:13]
	s_cmp_eq_u32 s3, 0
	s_waitcnt vmcnt(0) lgkmcnt(0)
	ds_write_b32 v1, v3
	v_add_u32_e32 v1, 0x60, v1
	s_cbranch_scc0 .LBB30_7
.LBB30_8:
	s_cmpk_eq_i32 s6, 0x84
	s_cbranch_scc0 .LBB30_10
; %bb.9:
	s_movk_i32 s3, 0x60
	v_mad_u32_u24 v1, v0, s3, v2
	v_mov_b32_e32 v2, 1.0
	ds_write_b32 v1, v2
.LBB30_10:
	s_or_b64 exec, exec, s[18:19]
	s_load_dword s3, s[0:1], 0x60
	s_load_dword s6, s[0:1], 0x48
	s_lshl_b64 s[10:11], s[10:11], 2
	s_waitcnt lgkmcnt(0)
	s_add_u32 s0, s8, s10
	s_mul_i32 s12, s2, 0xffffffe8
	s_addc_u32 s1, s9, s11
	s_add_i32 s3, s3, -1
	s_add_i32 s7, s7, s12
	s_cmp_ge_u32 s2, s3
	s_mul_i32 s22, s2, 0x60
	s_cselect_b32 s7, s7, 24
	s_mul_hi_i32 s21, s2, 0x60
	s_add_u32 s2, s0, s22
	s_addc_u32 s3, s1, s21
	v_cmp_gt_i32_e64 s[0:1], s7, v0
	s_and_saveexec_b64 s[12:13], s[0:1]
	s_cbranch_execz .LBB30_19
; %bb.11:
	s_cmp_lt_i32 s16, 1
	s_cbranch_scc1 .LBB30_19
; %bb.12:
	s_cmp_eq_u32 s16, 1
	s_cselect_b64 s[14:15], -1, 0
	s_cmp_lg_u32 s6, 1
	s_cselect_b64 s[18:19], -1, 0
	s_or_b64 s[14:15], s[14:15], s[18:19]
	v_mov_b32_e32 v3, 0
	s_and_b64 vcc, exec, s[14:15]
	s_cbranch_vccnz .LBB30_16
; %bb.13:
	v_lshlrev_b32_e32 v2, 2, v0
	v_mov_b32_e32 v1, 0x900
	s_and_b32 s18, s16, 0x7ffffffe
	v_lshl_add_u64 v[2:3], s[2:3], 0, v[2:3]
	v_lshl_or_b32 v1, v0, 2, v1
	s_mov_b32 s14, s17
	s_mov_b32 s15, s17
	;; [unrolled: 1-line block ×5, first 2 shown]
.LBB30_14:                              ; =>This Inner Loop Header: Depth=1
	flat_load_dwordx2 v[4:5], v[2:3]
	s_mul_i32 s24, s7, 0x60
	s_mul_i32 s25, s19, 0x60
	s_add_i32 s19, s19, 2
	s_add_i32 s7, s7, 2
	s_add_i32 s23, s23, -2
	v_lshl_add_u64 v[2:3], v[2:3], 0, 8
	v_add_u32_e32 v6, s25, v1
	s_cmp_lg_u32 s23, 0
	v_add_u32_e32 v7, s24, v1
	s_waitcnt vmcnt(0) lgkmcnt(0)
	v_pk_mul_f32 v[4:5], s[14:15], v[4:5]
	ds_write_b32 v6, v4
	ds_write_b32 v7, v5
	s_cbranch_scc1 .LBB30_14
; %bb.15:
	s_cmp_lg_u32 s16, s18
	s_cselect_b64 s[14:15], -1, 0
	s_and_b64 vcc, exec, s[14:15]
	s_cbranch_vccnz .LBB30_17
	s_branch .LBB30_19
.LBB30_16:
	s_mov_b32 s18, 0
	s_cbranch_execz .LBB30_19
.LBB30_17:
	s_mul_hi_i32 s15, s6, s18
	s_mul_i32 s14, s6, s18
	s_ashr_i32 s7, s6, 31
	s_sub_i32 s19, s16, s18
	s_lshl_b64 s[14:15], s[14:15], 2
	s_add_u32 s14, s14, s22
	s_addc_u32 s15, s15, s21
	s_add_u32 s14, s14, s10
	s_addc_u32 s15, s15, s11
	s_add_u32 s14, s8, s14
	v_lshlrev_b32_e32 v2, 2, v0
	v_mov_b32_e32 v3, 0
	s_addc_u32 s15, s9, s15
	v_lshl_add_u64 v[2:3], s[14:15], 0, v[2:3]
	s_lshl_b64 s[14:15], s[6:7], 2
	s_mul_i32 s7, s18, 0x60
	v_lshl_add_u32 v1, v0, 2, s7
	v_add_u32_e32 v1, 0x900, v1
.LBB30_18:                              ; =>This Inner Loop Header: Depth=1
	flat_load_dword v4, v[2:3]
	s_add_i32 s19, s19, -1
	v_lshl_add_u64 v[2:3], v[2:3], 0, s[14:15]
	s_cmp_lg_u32 s19, 0
	s_waitcnt vmcnt(0) lgkmcnt(0)
	v_mul_f32_e32 v4, s17, v4
	ds_write_b32 v1, v4
	v_add_u32_e32 v1, 0x60, v1
	s_cbranch_scc1 .LBB30_18
.LBB30_19:
	s_or_b64 exec, exec, s[12:13]
	s_cmpk_eq_i32 s5, 0x6f
	s_cselect_b64 s[14:15], -1, 0
	s_cmpk_lg_i32 s4, 0x79
	s_cselect_b64 s[12:13], -1, 0
	s_cmpk_eq_i32 s4, 0x79
	s_cselect_b64 s[18:19], -1, 0
	s_and_b64 s[18:19], s[18:19], s[14:15]
	s_andn2_b64 vcc, exec, s[18:19]
	s_mov_b64 s[18:19], -1
	s_waitcnt lgkmcnt(0)
	; wave barrier
	s_cbranch_vccz .LBB30_76
; %bb.20:
	s_cmpk_lg_i32 s4, 0x7a
	s_cselect_b64 s[4:5], -1, 0
	s_xor_b64 s[14:15], s[14:15], -1
	s_add_i32 s7, s20, -1
	s_or_b64 s[14:15], s[4:5], s[14:15]
	v_mov_b32_e32 v1, 0x900
	s_cmp_gt_i32 s16, 3
	v_lshl_or_b32 v1, v0, 2, v1
	s_cselect_b64 s[4:5], -1, 0
	s_and_b64 vcc, exec, s[14:15]
	s_cbranch_vccz .LBB30_55
; %bb.21:
	s_andn2_b64 vcc, exec, s[12:13]
	s_mov_b64 s[12:13], -1
	s_cbranch_vccnz .LBB30_34
; %bb.22:
	s_andn2_b64 vcc, exec, s[4:5]
	s_mov_b32 s14, 0
	s_cbranch_vccnz .LBB30_28
; %bb.23:
	v_mov_b32_e32 v2, 0x900
	v_lshl_or_b32 v6, v0, 2, v2
	s_mov_b32 s12, 0
	s_mov_b32 s13, 0
.LBB30_24:                              ; =>This Loop Header: Depth=1
                                        ;     Child Loop BB30_25 Depth 2
	s_or_b32 s15, s13, 3
	s_mul_i32 s14, s13, 0x60
	v_add_u32_e32 v8, s14, v1
	s_mulk_i32 s15, 0x60
	ds_read2_b32 v[4:5], v8 offset1:24
	v_add_u32_e32 v7, s15, v1
	ds_read_b32 v2, v8 offset:192
	ds_read_b32 v3, v7
	s_cmp_eq_u32 s13, 0
	v_mov_b32_e32 v9, v6
	s_mov_b32 s15, s12
	s_mov_b32 s17, s13
	s_cbranch_scc1 .LBB30_26
.LBB30_25:                              ;   Parent Loop BB30_24 Depth=1
                                        ; =>  This Inner Loop Header: Depth=2
	v_mov_b32_e32 v10, s15
	ds_read_b32 v14, v9
	ds_read_b128 v[10:13], v10
	s_add_i32 s17, s17, -1
	s_addk_i32 s15, 0x60
	v_add_u32_e32 v9, 0x60, v9
	s_cmp_eq_u32 s17, 0
	s_waitcnt lgkmcnt(0)
	v_pk_fma_f32 v[4:5], v[14:15], v[10:11], v[4:5] op_sel_hi:[0,1,1] neg_lo:[1,0,0] neg_hi:[1,0,0]
	v_pk_fma_f32 v[2:3], v[14:15], v[12:13], v[2:3] op_sel_hi:[0,1,1] neg_lo:[1,0,0] neg_hi:[1,0,0]
	s_cbranch_scc0 .LBB30_25
.LBB30_26:                              ;   in Loop: Header=BB30_24 Depth=1
	s_lshl_b32 s17, s13, 2
	s_add_i32 s18, s17, s14
	v_mov_b32_e32 v9, s18
	ds_read_b128 v[10:13], v9
	ds_read2_b32 v[14:15], v9 offset0:25 offset1:26
	s_addk_i32 s18, 0x64
	s_add_i32 s12, s12, 16
	s_waitcnt lgkmcnt(1)
	v_div_scale_f32 v16, s[14:15], v10, v10, v4
	v_rcp_f32_e32 v17, v16
	v_div_scale_f32 v18, vcc, v4, v10, v4
	v_fma_f32 v19, -v16, v17, 1.0
	v_fmac_f32_e32 v17, v19, v17
	v_mul_f32_e32 v19, v18, v17
	v_fma_f32 v20, -v16, v19, v18
	v_fmac_f32_e32 v19, v20, v17
	v_fma_f32 v16, -v16, v19, v18
	v_div_fmas_f32 v16, v16, v17, v19
	v_div_fixup_f32 v10, v16, v10, v4
	v_fma_f32 v4, -v10, v11, v5
	s_waitcnt lgkmcnt(0)
	v_div_scale_f32 v5, s[14:15], v14, v14, v4
	v_rcp_f32_e32 v11, v5
	v_div_scale_f32 v16, vcc, v4, v14, v4
	v_fma_f32 v2, -v10, v12, v2
	v_fma_f32 v17, -v5, v11, 1.0
	v_fmac_f32_e32 v11, v17, v11
	v_mul_f32_e32 v17, v16, v11
	v_fma_f32 v18, -v5, v17, v16
	v_fmac_f32_e32 v17, v18, v11
	v_fma_f32 v5, -v5, v17, v16
	v_div_fmas_f32 v5, v5, v11, v17
	v_div_fixup_f32 v11, v5, v14, v4
	ds_read_b64 v[4:5], v9 offset:200
	s_or_b32 s14, s17, 4
	v_fma_f32 v2, -v11, v15, v2
	s_sub_i32 s18, s18, s14
	ds_read_b32 v9, v9 offset:300
	s_waitcnt lgkmcnt(1)
	v_div_scale_f32 v12, s[14:15], v4, v4, v2
	v_rcp_f32_e32 v14, v12
	s_add_i32 s14, s18, s17
	v_mov_b32_e32 v15, s14
	ds_read_b32 v15, v15 offset:12
	v_fma_f32 v16, -v12, v14, 1.0
	v_fmac_f32_e32 v14, v16, v14
	v_div_scale_f32 v16, vcc, v2, v4, v2
	v_mul_f32_e32 v17, v16, v14
	v_fma_f32 v18, -v12, v17, v16
	v_fmac_f32_e32 v17, v18, v14
	v_fma_f32 v12, -v12, v17, v16
	v_div_fmas_f32 v12, v12, v14, v17
	v_fma_f32 v3, -v10, v13, v3
	v_div_fixup_f32 v2, v12, v4, v2
	s_waitcnt lgkmcnt(0)
	v_fma_f32 v3, -v11, v15, v3
	v_fma_f32 v3, -v2, v5, v3
	v_div_scale_f32 v4, s[14:15], v9, v9, v3
	v_rcp_f32_e32 v5, v4
	ds_write2_b32 v8, v10, v11 offset1:24
	ds_write_b32 v8, v2 offset:192
	s_add_i32 s14, s13, 4
	s_add_i32 s13, s13, 7
	v_fma_f32 v2, -v4, v5, 1.0
	v_fmac_f32_e32 v5, v2, v5
	v_div_scale_f32 v2, vcc, v3, v9, v3
	v_mul_f32_e32 v8, v2, v5
	v_fma_f32 v10, -v4, v8, v2
	v_fmac_f32_e32 v8, v10, v5
	v_fma_f32 v2, -v4, v8, v2
	v_div_fmas_f32 v2, v2, v5, v8
	v_div_fixup_f32 v2, v2, v9, v3
	s_cmp_ge_i32 s13, s20
	ds_write_b32 v7, v2
	s_cbranch_scc1 .LBB30_28
; %bb.27:                               ;   in Loop: Header=BB30_24 Depth=1
	s_mov_b32 s13, s14
	s_branch .LBB30_24
.LBB30_28:
	s_cmp_ge_i32 s14, s20
	s_cbranch_scc1 .LBB30_33
; %bb.29:
	v_mov_b32_e32 v2, 0x900
	s_lshl_b32 s12, s14, 2
	v_lshl_or_b32 v2, v0, 2, v2
	s_branch .LBB30_31
.LBB30_30:                              ;   in Loop: Header=BB30_31 Depth=1
	s_lshl_b32 s15, s14, 2
	s_add_i32 s13, s15, s13
	v_mov_b32_e32 v5, s13
	ds_read_b32 v5, v5
	s_add_i32 s14, s14, 1
	s_add_i32 s12, s12, 4
	s_cmp_ge_i32 s14, s20
	s_waitcnt lgkmcnt(0)
	v_div_scale_f32 v6, s[18:19], v5, v5, v4
	v_rcp_f32_e32 v7, v6
	v_div_scale_f32 v8, vcc, v4, v5, v4
	v_fma_f32 v9, -v6, v7, 1.0
	v_fmac_f32_e32 v7, v9, v7
	v_mul_f32_e32 v9, v8, v7
	v_fma_f32 v10, -v6, v9, v8
	v_fmac_f32_e32 v9, v10, v7
	v_fma_f32 v6, -v6, v9, v8
	v_div_fmas_f32 v6, v6, v7, v9
	v_div_fixup_f32 v4, v6, v5, v4
	ds_write_b32 v3, v4
	s_cbranch_scc1 .LBB30_33
.LBB30_31:                              ; =>This Loop Header: Depth=1
                                        ;     Child Loop BB30_32 Depth 2
	s_mul_i32 s13, s14, 0x60
	v_add_u32_e32 v3, s13, v1
	ds_read_b32 v4, v3
	s_cmp_eq_u32 s14, 0
	v_mov_b32_e32 v5, v2
	s_mov_b32 s15, s12
	s_mov_b32 s17, s14
	s_cbranch_scc1 .LBB30_30
.LBB30_32:                              ;   Parent Loop BB30_31 Depth=1
                                        ; =>  This Inner Loop Header: Depth=2
	v_mov_b32_e32 v7, s15
	ds_read_b32 v6, v5
	ds_read_b32 v7, v7
	s_add_i32 s17, s17, -1
	s_addk_i32 s15, 0x60
	v_add_u32_e32 v5, 0x60, v5
	s_cmp_eq_u32 s17, 0
	s_waitcnt lgkmcnt(0)
	v_fma_f32 v4, -v6, v7, v4
	s_cbranch_scc0 .LBB30_32
	s_branch .LBB30_30
.LBB30_33:
	s_mov_b64 s[12:13], 0
.LBB30_34:
	s_and_b64 vcc, exec, s[12:13]
	s_cbranch_vccz .LBB30_54
; %bb.35:
	s_andn2_b64 vcc, exec, s[4:5]
	s_mov_b32 s14, s7
	s_cbranch_vccnz .LBB30_41
; %bb.36:
	s_mul_i32 s13, s20, 0x60
	s_mul_i32 s12, s20, 0x64
	v_lshl_add_u32 v2, v0, 2, s13
	s_addk_i32 s12, 0xff90
	v_add_u32_e32 v6, 0x8a0, v2
	s_mov_b32 s13, s7
.LBB30_37:                              ; =>This Loop Header: Depth=1
                                        ;     Child Loop BB30_38 Depth 2
	s_mul_i32 s14, s13, 0x60
	v_add_u32_e32 v8, s14, v1
	s_addk_i32 s14, 0xfee0
	v_add_u32_e32 v9, 0xffffffa0, v8
	v_add_u32_e32 v10, 0xffffff40, v8
	;; [unrolled: 1-line block ×3, first 2 shown]
	ds_read_b32 v5, v8
	ds_read_b32 v4, v9
	;; [unrolled: 1-line block ×4, first 2 shown]
	s_cmp_le_i32 s7, s13
	v_mov_b32_e32 v11, v6
	s_mov_b32 s15, s12
	s_mov_b32 s17, s7
	s_cbranch_scc1 .LBB30_39
.LBB30_38:                              ;   Parent Loop BB30_37 Depth=1
                                        ; =>  This Inner Loop Header: Depth=2
	v_mov_b32_e32 v13, s15
	ds_read_b32 v12, v11
	ds_read2_b32 v[14:15], v13 offset0:2 offset1:3
	ds_read2_b32 v[16:17], v13 offset1:1
	s_add_i32 s17, s17, -1
	s_addk_i32 s15, 0xffa0
	v_add_u32_e32 v11, 0xffffffa0, v11
	s_cmp_le_i32 s17, s13
	s_waitcnt lgkmcnt(1)
	v_pk_fma_f32 v[4:5], v[12:13], v[14:15], v[4:5] op_sel_hi:[0,1,1] neg_lo:[1,0,0] neg_hi:[1,0,0]
	s_waitcnt lgkmcnt(0)
	v_pk_fma_f32 v[2:3], v[12:13], v[16:17], v[2:3] op_sel_hi:[0,1,1] neg_lo:[1,0,0] neg_hi:[1,0,0]
	s_cbranch_scc0 .LBB30_38
.LBB30_39:                              ;   in Loop: Header=BB30_37 Depth=1
	s_add_i32 s15, s13, -3
	s_add_i32 s17, s13, -1
	s_mul_i32 s19, s13, 0x64
	s_lshl_b32 s18, s17, 2
	s_lshl_b32 s15, s15, 2
	s_add_i32 s23, s19, -4
	s_mulk_i32 s17, 0x60
	v_mov_b32_e32 v11, s23
	s_add_i32 s23, s18, s17
	s_add_i32 s18, s19, -12
	s_add_i32 s17, s15, s17
	v_mov_b32_e32 v14, s23
	v_mov_b32_e32 v15, s18
	;; [unrolled: 1-line block ×3, first 2 shown]
	ds_read2_b32 v[12:13], v11 offset1:1
	ds_read_b32 v11, v14
	ds_read2_b32 v[14:15], v15 offset1:1
	ds_read2_b32 v[16:17], v16 offset1:1
	s_lshl_b32 s17, s13, 2
	s_waitcnt lgkmcnt(3)
	v_div_scale_f32 v18, s[18:19], v13, v13, v5
	v_rcp_f32_e32 v19, v18
	s_sub_i32 s17, s23, s17
	s_add_i32 s17, s17, s15
	s_addk_i32 s17, 0xffa4
	v_fma_f32 v20, -v18, v19, 1.0
	v_fmac_f32_e32 v19, v20, v19
	v_div_scale_f32 v20, vcc, v5, v13, v5
	v_mul_f32_e32 v21, v20, v19
	v_fma_f32 v22, -v18, v21, v20
	v_fmac_f32_e32 v21, v22, v19
	v_fma_f32 v18, -v18, v21, v20
	v_div_fmas_f32 v18, v18, v19, v21
	v_div_fixup_f32 v13, v18, v13, v5
	v_fma_f32 v4, -v13, v12, v4
	s_waitcnt lgkmcnt(2)
	v_div_scale_f32 v5, s[18:19], v11, v11, v4
	v_rcp_f32_e32 v12, v5
	s_waitcnt lgkmcnt(1)
	v_fma_f32 v3, -v13, v15, v3
	s_add_i32 s14, s15, s14
	v_fma_f32 v2, -v13, v14, v2
	v_fma_f32 v18, -v5, v12, 1.0
	v_fmac_f32_e32 v12, v18, v12
	v_div_scale_f32 v18, vcc, v4, v11, v4
	v_mul_f32_e32 v19, v18, v12
	v_fma_f32 v20, -v5, v19, v18
	v_fmac_f32_e32 v19, v20, v12
	v_fma_f32 v5, -v5, v19, v18
	v_div_fmas_f32 v5, v5, v12, v19
	v_div_fixup_f32 v11, v5, v11, v4
	v_mov_b32_e32 v4, s17
	ds_read2_b32 v[4:5], v4 offset1:1
	s_waitcnt lgkmcnt(1)
	v_fma_f32 v3, -v11, v17, v3
	v_mov_b32_e32 v12, s14
	ds_read_b32 v12, v12
	v_fma_f32 v2, -v11, v16, v2
	s_waitcnt lgkmcnt(1)
	v_div_scale_f32 v15, s[14:15], v5, v5, v3
	v_rcp_f32_e32 v17, v15
	s_add_i32 s12, s12, -16
	v_fma_f32 v18, -v15, v17, 1.0
	v_fmac_f32_e32 v17, v18, v17
	v_div_scale_f32 v18, vcc, v3, v5, v3
	v_mul_f32_e32 v19, v18, v17
	v_fma_f32 v20, -v15, v19, v18
	v_fmac_f32_e32 v19, v20, v17
	v_fma_f32 v15, -v15, v19, v18
	v_div_fmas_f32 v15, v15, v17, v19
	v_div_fixup_f32 v3, v15, v5, v3
	v_fma_f32 v2, -v3, v4, v2
	s_waitcnt lgkmcnt(0)
	v_div_scale_f32 v4, s[14:15], v12, v12, v2
	v_rcp_f32_e32 v5, v4
	ds_write_b32 v8, v13
	ds_write_b32 v9, v11
	;; [unrolled: 1-line block ×3, first 2 shown]
	s_add_i32 s14, s13, -4
	s_cmp_lt_i32 s13, 7
	v_fma_f32 v3, -v4, v5, 1.0
	v_fmac_f32_e32 v5, v3, v5
	v_div_scale_f32 v3, vcc, v2, v12, v2
	v_mul_f32_e32 v8, v3, v5
	v_fma_f32 v9, -v4, v8, v3
	v_fmac_f32_e32 v8, v9, v5
	v_fma_f32 v3, -v4, v8, v3
	v_div_fmas_f32 v3, v3, v5, v8
	v_div_fixup_f32 v2, v3, v12, v2
	ds_write_b32 v7, v2
	s_cbranch_scc1 .LBB30_41
; %bb.40:                               ;   in Loop: Header=BB30_37 Depth=1
	s_mov_b32 s13, s14
	s_branch .LBB30_37
.LBB30_41:
	s_cmp_lt_i32 s14, 0
	s_cbranch_scc1 .LBB30_54
; %bb.42:
	s_bitcmp1_b32 s14, 0
	s_cselect_b64 s[12:13], -1, 0
	s_and_b64 vcc, exec, s[12:13]
	s_mov_b32 s12, s14
	s_cbranch_vccnz .LBB30_47
; %bb.43:
	s_mul_i32 s12, s14, 0x60
	v_add_u32_e32 v2, s12, v1
	ds_read_b32 v3, v2
	s_cmp_le_i32 s7, s14
	s_cbranch_scc1 .LBB30_46
; %bb.44:
	s_mul_i32 s15, s20, 0x60
	s_lshl_b32 s13, s14, 2
	s_add_i32 s13, s15, s13
	v_lshl_add_u32 v4, v0, 2, s15
	s_addk_i32 s13, 0xffa0
	v_add_u32_e32 v4, 0x8a0, v4
	s_mov_b32 s15, s7
.LBB30_45:                              ; =>This Inner Loop Header: Depth=1
	v_mov_b32_e32 v6, s13
	ds_read_b32 v5, v4
	ds_read_b32 v6, v6
	s_add_i32 s15, s15, -1
	s_addk_i32 s13, 0xffa0
	v_add_u32_e32 v4, 0xffffffa0, v4
	s_cmp_gt_u32 s15, s14
	s_waitcnt lgkmcnt(0)
	v_fma_f32 v3, -v5, v6, v3
	s_cbranch_scc1 .LBB30_45
.LBB30_46:
	s_lshl_b32 s13, s14, 2
	s_add_i32 s12, s13, s12
	v_mov_b32_e32 v4, s12
	ds_read_b32 v4, v4
	s_waitcnt lgkmcnt(0)
	v_div_scale_f32 v5, s[12:13], v4, v4, v3
	v_rcp_f32_e32 v6, v5
	v_div_scale_f32 v7, vcc, v3, v4, v3
	s_add_i32 s12, s14, -1
	v_fma_f32 v8, -v5, v6, 1.0
	v_fmac_f32_e32 v6, v8, v6
	v_mul_f32_e32 v8, v7, v6
	v_fma_f32 v9, -v5, v8, v7
	v_fmac_f32_e32 v8, v9, v6
	v_fma_f32 v5, -v5, v8, v7
	v_div_fmas_f32 v5, v5, v6, v8
	v_div_fixup_f32 v3, v5, v4, v3
	ds_write_b32 v2, v3
.LBB30_47:
	s_cmp_eq_u32 s14, 0
	s_cbranch_scc1 .LBB30_54
; %bb.48:
	s_mul_i32 s14, s20, 0x60
	s_lshl_b32 s13, s12, 2
	s_add_i32 s15, s14, s13
	v_lshl_add_u32 v2, v0, 2, s14
	s_add_i32 s13, s15, 0xffffffa0
	v_add_u32_e32 v2, 0x8a0, v2
	s_add_i32 s14, s15, 0xffffff9c
	s_branch .LBB30_50
.LBB30_49:                              ;   in Loop: Header=BB30_50 Depth=1
	s_mul_i32 s18, s17, 0x60
	s_add_i32 s15, s15, s18
	s_add_i32 s15, s15, -4
	v_mov_b32_e32 v5, s15
	ds_read_b32 v5, v5
	s_add_i32 s12, s12, -2
	s_add_i32 s13, s13, -8
	s_add_i32 s14, s14, -8
	s_cmp_eq_u32 s17, 0
	s_waitcnt lgkmcnt(0)
	v_div_scale_f32 v6, s[18:19], v5, v5, v4
	v_rcp_f32_e32 v7, v6
	v_div_scale_f32 v8, vcc, v4, v5, v4
	v_fma_f32 v9, -v6, v7, 1.0
	v_fmac_f32_e32 v7, v9, v7
	v_mul_f32_e32 v9, v8, v7
	v_fma_f32 v10, -v6, v9, v8
	v_fmac_f32_e32 v9, v10, v7
	v_fma_f32 v6, -v6, v9, v8
	v_div_fmas_f32 v6, v6, v7, v9
	v_div_fixup_f32 v4, v6, v5, v4
	ds_write_b32 v3, v4
	s_cbranch_scc1 .LBB30_54
.LBB30_50:                              ; =>This Loop Header: Depth=1
                                        ;     Child Loop BB30_51 Depth 2
                                        ;     Child Loop BB30_53 Depth 2
	s_mul_i32 s17, s12, 0x60
	v_add_u32_e32 v5, s17, v1
	ds_read_b32 v6, v5
	s_cmp_le_i32 s7, s12
	v_mov_b32_e32 v3, v2
	s_mov_b32 s15, s13
	s_mov_b32 s18, s7
	s_cbranch_scc1 .LBB30_52
.LBB30_51:                              ;   Parent Loop BB30_50 Depth=1
                                        ; =>  This Inner Loop Header: Depth=2
	v_mov_b32_e32 v7, s15
	ds_read_b32 v4, v3
	ds_read_b32 v7, v7
	s_add_i32 s18, s18, -1
	s_addk_i32 s15, 0xffa0
	v_add_u32_e32 v3, 0xffffffa0, v3
	s_cmp_le_u32 s18, s12
	s_waitcnt lgkmcnt(0)
	v_fma_f32 v6, -v4, v7, v6
	s_cbranch_scc0 .LBB30_51
.LBB30_52:                              ;   in Loop: Header=BB30_50 Depth=1
	s_lshl_b32 s15, s12, 2
	s_add_i32 s18, s15, s17
	v_mov_b32_e32 v3, s18
	ds_read_b32 v7, v3
	s_addk_i32 s17, 0xffa0
	v_add_u32_e32 v3, s17, v1
	ds_read_b32 v4, v3
	s_add_i32 s17, s12, -1
	s_waitcnt lgkmcnt(1)
	v_div_scale_f32 v8, s[18:19], v7, v7, v6
	v_rcp_f32_e32 v9, v8
	v_div_scale_f32 v10, vcc, v6, v7, v6
	s_cmp_le_i32 s20, s12
	v_fma_f32 v11, -v8, v9, 1.0
	v_fmac_f32_e32 v9, v11, v9
	v_mul_f32_e32 v11, v10, v9
	v_fma_f32 v12, -v8, v11, v10
	v_fmac_f32_e32 v11, v12, v9
	v_fma_f32 v8, -v8, v11, v10
	v_div_fmas_f32 v8, v8, v9, v11
	v_div_fixup_f32 v6, v8, v7, v6
	ds_write_b32 v5, v6
	v_mov_b32_e32 v5, v2
	s_mov_b32 s18, s14
	s_mov_b32 s19, s7
	s_cbranch_scc1 .LBB30_49
.LBB30_53:                              ;   Parent Loop BB30_50 Depth=1
                                        ; =>  This Inner Loop Header: Depth=2
	v_mov_b32_e32 v7, s18
	ds_read_b32 v6, v5
	ds_read_b32 v7, v7
	s_add_i32 s19, s19, -1
	s_addk_i32 s18, 0xffa0
	v_add_u32_e32 v5, 0xffffffa0, v5
	s_cmp_gt_u32 s19, s17
	s_waitcnt lgkmcnt(0)
	v_fma_f32 v4, -v6, v7, v4
	s_cbranch_scc1 .LBB30_53
	s_branch .LBB30_49
.LBB30_54:
	s_mov_b64 s[18:19], 0
.LBB30_55:
	s_andn2_b64 vcc, exec, s[18:19]
	s_cbranch_vccnz .LBB30_75
; %bb.56:
	s_andn2_b64 vcc, exec, s[4:5]
	s_mov_b32 s12, s7
	s_cbranch_vccnz .LBB30_62
; %bb.57:
	s_mul_i32 s4, s20, 0x60
	v_lshl_add_u32 v2, v0, 2, s4
	s_mul_i32 s4, s20, 0x64
	v_add_u32_e32 v6, 0x8a0, v2
	s_addk_i32 s4, 0xfe7c
	s_mov_b32 s5, s7
.LBB30_58:                              ; =>This Loop Header: Depth=1
                                        ;     Child Loop BB30_59 Depth 2
	s_mul_i32 s12, s5, 24
	v_lshl_add_u32 v8, s12, 2, v1
	v_add_u32_e32 v9, 0xffffffa0, v8
	v_add_u32_e32 v10, 0xffffff40, v8
	;; [unrolled: 1-line block ×3, first 2 shown]
	ds_read_b32 v4, v8
	ds_read_b32 v5, v9
	;; [unrolled: 1-line block ×4, first 2 shown]
	s_cmp_le_i32 s7, s5
	s_mov_b32 s13, s4
	v_mov_b32_e32 v11, v6
	s_mov_b32 s14, s7
	s_cbranch_scc1 .LBB30_60
.LBB30_59:                              ;   Parent Loop BB30_58 Depth=1
                                        ; =>  This Inner Loop Header: Depth=2
	v_mov_b32_e32 v13, s13
	ds_read_b32 v12, v11
	ds_read2_b32 v[16:17], v13 offset0:48 offset1:72
	ds_read2_b32 v[18:19], v13 offset1:24
	s_add_i32 s14, s14, -1
	s_add_i32 s13, s13, -4
	v_add_u32_e32 v11, 0xffffffa0, v11
	s_waitcnt lgkmcnt(1)
	v_mov_b32_e32 v14, v17
	v_mov_b32_e32 v15, v16
	s_waitcnt lgkmcnt(0)
	v_mov_b32_e32 v16, v19
	v_mov_b32_e32 v17, v18
	s_cmp_le_i32 s14, s5
	v_pk_fma_f32 v[4:5], v[12:13], v[14:15], v[4:5] op_sel_hi:[0,1,1] neg_lo:[1,0,0] neg_hi:[1,0,0]
	v_pk_fma_f32 v[2:3], v[12:13], v[16:17], v[2:3] op_sel_hi:[0,1,1] neg_lo:[1,0,0] neg_hi:[1,0,0]
	s_cbranch_scc0 .LBB30_59
.LBB30_60:                              ;   in Loop: Header=BB30_58 Depth=1
	s_mul_i32 s13, s5, 0x64
	s_lshl_b32 s12, s12, 2
	v_mov_b32_e32 v11, s13
	s_lshl_b32 s13, s5, 2
	s_add_i32 s14, s12, s13
	s_add_i32 s12, s14, 0xffffff9c
	v_mov_b32_e32 v12, s12
	s_add_i32 s12, s14, 0xffffff40
	v_mov_b32_e32 v14, s12
	s_add_i32 s12, s14, 0xffffff38
	v_mov_b32_e32 v15, s12
	ds_read_b32 v11, v11
	ds_read2_b32 v[12:13], v12 offset1:1
	ds_read_b32 v16, v14
	ds_read2_b32 v[14:15], v15 offset1:1
	s_addk_i32 s4, 0xfe80
	s_waitcnt lgkmcnt(3)
	v_div_scale_f32 v17, s[12:13], v11, v11, v4
	v_rcp_f32_e32 v18, v17
	s_nop 0
	v_fma_f32 v19, -v17, v18, 1.0
	v_fmac_f32_e32 v18, v19, v18
	v_div_scale_f32 v19, vcc, v4, v11, v4
	v_mul_f32_e32 v20, v19, v18
	v_fma_f32 v21, -v17, v20, v19
	v_fmac_f32_e32 v20, v21, v18
	v_fma_f32 v17, -v17, v20, v19
	v_div_fmas_f32 v17, v17, v18, v20
	v_div_fixup_f32 v11, v17, v11, v4
	s_waitcnt lgkmcnt(2)
	v_fma_f32 v4, -v11, v13, v5
	v_div_scale_f32 v5, s[12:13], v12, v12, v4
	v_rcp_f32_e32 v13, v5
	s_waitcnt lgkmcnt(1)
	v_fma_f32 v2, -v11, v16, v2
	v_fma_f32 v17, -v5, v13, 1.0
	v_fmac_f32_e32 v13, v17, v13
	v_div_scale_f32 v17, vcc, v4, v12, v4
	v_mul_f32_e32 v18, v17, v13
	v_fma_f32 v19, -v5, v18, v17
	v_fmac_f32_e32 v18, v19, v13
	v_fma_f32 v5, -v5, v18, v17
	v_div_fmas_f32 v5, v5, v13, v18
	v_div_fixup_f32 v17, v5, v12, v4
	s_waitcnt lgkmcnt(0)
	v_fma_f32 v2, -v17, v15, v2
	v_div_scale_f32 v4, s[12:13], v14, v14, v2
	v_rcp_f32_e32 v15, v4
	s_add_i32 s12, s14, 0xfffffedc
	v_fma_f32 v5, -v4, v15, 1.0
	v_fmac_f32_e32 v15, v5, v15
	v_div_scale_f32 v5, vcc, v2, v14, v2
	v_mul_f32_e32 v16, v5, v15
	v_fma_f32 v12, -v4, v16, v5
	v_fmac_f32_e32 v16, v12, v15
	v_fma_f32 v18, -v4, v16, v5
	v_mov_b32_e32 v4, s12
	s_add_i32 s12, s14, 0xfffffed4
	v_mov_b32_e32 v12, s12
	ds_read2_b32 v[4:5], v4 offset1:1
	ds_read2_b32 v[12:13], v12 offset1:1
	v_div_fmas_f32 v15, v18, v15, v16
	v_div_fixup_f32 v2, v15, v14, v2
	ds_write_b32 v8, v11
	ds_write_b32 v9, v17
	;; [unrolled: 1-line block ×3, first 2 shown]
	s_waitcnt lgkmcnt(4)
	v_fma_f32 v3, -v11, v5, v3
	v_fma_f32 v3, -v17, v4, v3
	s_waitcnt lgkmcnt(3)
	v_fma_f32 v3, -v2, v13, v3
	v_div_scale_f32 v4, s[12:13], v12, v12, v3
	v_rcp_f32_e32 v5, v4
	s_add_i32 s12, s5, -4
	s_cmp_lt_i32 s5, 7
	v_fma_f32 v2, -v4, v5, 1.0
	v_fmac_f32_e32 v5, v2, v5
	v_div_scale_f32 v2, vcc, v3, v12, v3
	v_mul_f32_e32 v8, v2, v5
	v_fma_f32 v9, -v4, v8, v2
	v_fmac_f32_e32 v8, v9, v5
	v_fma_f32 v2, -v4, v8, v2
	v_div_fmas_f32 v2, v2, v5, v8
	v_div_fixup_f32 v2, v2, v12, v3
	ds_write_b32 v7, v2
	s_cbranch_scc1 .LBB30_62
; %bb.61:                               ;   in Loop: Header=BB30_58 Depth=1
	s_mov_b32 s5, s12
	s_branch .LBB30_58
.LBB30_62:
	s_cmp_lt_i32 s12, 0
	s_cbranch_scc1 .LBB30_75
; %bb.63:
	s_bitcmp1_b32 s12, 0
	s_cselect_b64 s[4:5], -1, 0
	s_and_b64 vcc, exec, s[4:5]
	s_mov_b32 s4, s12
	s_cbranch_vccnz .LBB30_68
; %bb.64:
	s_mul_i32 s4, s12, 0x60
	v_add_u32_e32 v2, s4, v1
	ds_read_b32 v3, v2
	s_cmp_le_i32 s7, s12
	s_cbranch_scc1 .LBB30_67
; %bb.65:
	s_lshl_b32 s5, s20, 2
	s_add_i32 s4, s4, s5
	s_mul_i32 s5, s20, 0x60
	v_lshl_add_u32 v4, v0, 2, s5
	s_add_i32 s4, s4, -4
	v_add_u32_e32 v4, 0x8a0, v4
	s_mov_b32 s5, s7
.LBB30_66:                              ; =>This Inner Loop Header: Depth=1
	v_mov_b32_e32 v6, s4
	ds_read_b32 v5, v4
	ds_read_b32 v6, v6
	s_add_i32 s5, s5, -1
	s_add_i32 s4, s4, -4
	v_add_u32_e32 v4, 0xffffffa0, v4
	s_cmp_gt_u32 s5, s12
	s_waitcnt lgkmcnt(0)
	v_fma_f32 v3, -v5, v6, v3
	s_cbranch_scc1 .LBB30_66
.LBB30_67:
	s_mul_i32 s4, s12, 0x64
	v_mov_b32_e32 v4, s4
	ds_read_b32 v4, v4
	s_waitcnt lgkmcnt(0)
	v_div_scale_f32 v5, s[4:5], v4, v4, v3
	v_rcp_f32_e32 v6, v5
	v_div_scale_f32 v7, vcc, v3, v4, v3
	s_add_i32 s4, s12, -1
	v_fma_f32 v8, -v5, v6, 1.0
	v_fmac_f32_e32 v6, v8, v6
	v_mul_f32_e32 v8, v7, v6
	v_fma_f32 v9, -v5, v8, v7
	v_fmac_f32_e32 v8, v9, v6
	v_fma_f32 v5, -v5, v8, v7
	v_div_fmas_f32 v5, v5, v6, v8
	v_div_fixup_f32 v3, v5, v4, v3
	ds_write_b32 v2, v3
.LBB30_68:
	s_cmp_eq_u32 s12, 0
	s_cbranch_scc1 .LBB30_75
; %bb.69:
	s_mul_i32 s5, s20, 0x60
	v_lshl_add_u32 v2, v0, 2, s5
	s_mul_i32 s5, s4, 0x60
	s_lshl_b32 s12, s20, 2
	s_add_i32 s12, s5, s12
	v_add_u32_e32 v2, 0x8a0, v2
	s_add_i32 s5, s12, -4
	s_addk_i32 s12, 0xff9c
	s_branch .LBB30_71
.LBB30_70:                              ;   in Loop: Header=BB30_71 Depth=1
	s_addk_i32 s14, 0xff9c
	v_mov_b32_e32 v5, s14
	ds_read_b32 v5, v5
	s_add_i32 s4, s4, -2
	s_addk_i32 s5, 0xff40
	s_addk_i32 s12, 0xff40
	s_cmp_eq_u32 s13, 0
	s_waitcnt lgkmcnt(0)
	v_div_scale_f32 v6, s[14:15], v5, v5, v4
	v_rcp_f32_e32 v7, v6
	v_div_scale_f32 v8, vcc, v4, v5, v4
	v_fma_f32 v9, -v6, v7, 1.0
	v_fmac_f32_e32 v7, v9, v7
	v_mul_f32_e32 v9, v8, v7
	v_fma_f32 v10, -v6, v9, v8
	v_fmac_f32_e32 v9, v10, v7
	v_fma_f32 v6, -v6, v9, v8
	v_div_fmas_f32 v6, v6, v7, v9
	v_div_fixup_f32 v4, v6, v5, v4
	ds_write_b32 v3, v4
	s_cbranch_scc1 .LBB30_75
.LBB30_71:                              ; =>This Loop Header: Depth=1
                                        ;     Child Loop BB30_72 Depth 2
                                        ;     Child Loop BB30_74 Depth 2
	s_mul_i32 s13, s4, 0x60
	v_add_u32_e32 v5, s13, v1
	ds_read_b32 v6, v5
	s_cmp_le_i32 s7, s4
	s_mov_b32 s13, s5
	v_mov_b32_e32 v3, v2
	s_mov_b32 s14, s7
	s_cbranch_scc1 .LBB30_73
.LBB30_72:                              ;   Parent Loop BB30_71 Depth=1
                                        ; =>  This Inner Loop Header: Depth=2
	v_mov_b32_e32 v7, s13
	ds_read_b32 v4, v3
	ds_read_b32 v7, v7
	s_add_i32 s14, s14, -1
	s_add_i32 s13, s13, -4
	v_add_u32_e32 v3, 0xffffffa0, v3
	s_cmp_le_u32 s14, s4
	s_waitcnt lgkmcnt(0)
	v_fma_f32 v6, -v4, v7, v6
	s_cbranch_scc0 .LBB30_72
.LBB30_73:                              ;   in Loop: Header=BB30_71 Depth=1
	s_mul_i32 s14, s4, 0x64
	v_mov_b32_e32 v3, s14
	ds_read_b32 v7, v3
	v_add_u32_e32 v3, 0xffffffa0, v5
	ds_read_b32 v4, v3
	s_add_i32 s13, s4, -1
	s_cmp_le_i32 s20, s4
	s_waitcnt lgkmcnt(1)
	v_div_scale_f32 v8, s[18:19], v7, v7, v6
	v_rcp_f32_e32 v9, v8
	v_div_scale_f32 v10, vcc, v6, v7, v6
	s_mov_b32 s15, s12
	v_fma_f32 v11, -v8, v9, 1.0
	v_fmac_f32_e32 v9, v11, v9
	v_mul_f32_e32 v11, v10, v9
	v_fma_f32 v12, -v8, v11, v10
	v_fmac_f32_e32 v11, v12, v9
	v_fma_f32 v8, -v8, v11, v10
	v_div_fmas_f32 v8, v8, v9, v11
	v_div_fixup_f32 v6, v8, v7, v6
	ds_write_b32 v5, v6
	v_mov_b32_e32 v5, v2
	s_mov_b32 s17, s7
	s_cbranch_scc1 .LBB30_70
.LBB30_74:                              ;   Parent Loop BB30_71 Depth=1
                                        ; =>  This Inner Loop Header: Depth=2
	v_mov_b32_e32 v7, s15
	ds_read_b32 v6, v5
	ds_read_b32 v7, v7
	s_add_i32 s17, s17, -1
	s_add_i32 s15, s15, -4
	v_add_u32_e32 v5, 0xffffffa0, v5
	s_cmp_gt_u32 s17, s13
	s_waitcnt lgkmcnt(0)
	v_fma_f32 v4, -v6, v7, v4
	s_cbranch_scc1 .LBB30_74
	s_branch .LBB30_70
.LBB30_75:
	s_mov_b64 s[18:19], 0
.LBB30_76:
	s_andn2_b64 vcc, exec, s[18:19]
	s_cbranch_vccnz .LBB30_88
; %bb.77:
	v_mov_b32_e32 v1, 0x900
	v_lshl_or_b32 v1, v0, 2, v1
	s_cmp_lt_i32 s16, 4
	s_mov_b32 s7, 0
	s_cbranch_scc1 .LBB30_83
; %bb.78:
	s_mov_b32 s4, 0
	s_mov_b32 s5, 0
.LBB30_79:                              ; =>This Loop Header: Depth=1
                                        ;     Child Loop BB30_80 Depth 2
	s_mul_i32 s7, s5, 24
	v_lshl_add_u32 v6, s7, 2, v1
	ds_read2_b32 v[4:5], v6 offset1:24
	ds_read2_b32 v[2:3], v6 offset0:48 offset1:72
	s_cmp_eq_u32 s5, 0
	s_mov_b32 s12, s4
	v_mov_b32_e32 v7, v1
	s_mov_b32 s13, s5
	s_cbranch_scc1 .LBB30_81
.LBB30_80:                              ;   Parent Loop BB30_79 Depth=1
                                        ; =>  This Inner Loop Header: Depth=2
	v_mov_b32_e32 v9, s12
	ds_read_b32 v8, v7
	ds_read2_b32 v[10:11], v9 offset1:24
	ds_read2_b32 v[12:13], v9 offset0:48 offset1:72
	s_add_i32 s13, s13, -1
	s_add_i32 s12, s12, 4
	v_add_u32_e32 v7, 0x60, v7
	s_cmp_eq_u32 s13, 0
	s_waitcnt lgkmcnt(1)
	v_pk_fma_f32 v[4:5], v[8:9], v[10:11], v[4:5] op_sel_hi:[0,1,1] neg_lo:[1,0,0] neg_hi:[1,0,0]
	s_waitcnt lgkmcnt(0)
	v_pk_fma_f32 v[2:3], v[8:9], v[12:13], v[2:3] op_sel_hi:[0,1,1] neg_lo:[1,0,0] neg_hi:[1,0,0]
	s_cbranch_scc0 .LBB30_80
.LBB30_81:                              ;   in Loop: Header=BB30_79 Depth=1
	s_mul_i32 s12, s5, 0x64
	v_mov_b32_e32 v7, s12
	ds_read_b32 v7, v7
	s_lshl_b32 s7, s7, 2
	s_lshl_b32 s12, s5, 2
	s_add_i32 s7, s7, s12
	v_mov_b32_e32 v13, s7
	s_waitcnt lgkmcnt(0)
	v_div_scale_f32 v14, s[12:13], v7, v7, v4
	v_rcp_f32_e32 v15, v14
	ds_read_b64 v[8:9], v13 offset:96
	ds_read_b96 v[10:12], v13 offset:192
	s_add_i32 s7, s5, 4
	s_add_i32 s5, s5, 7
	v_fma_f32 v16, -v14, v15, 1.0
	v_fmac_f32_e32 v15, v16, v15
	v_div_scale_f32 v16, vcc, v4, v7, v4
	v_mul_f32_e32 v17, v16, v15
	v_fma_f32 v18, -v14, v17, v16
	v_fmac_f32_e32 v17, v18, v15
	v_fma_f32 v14, -v14, v17, v16
	v_div_fmas_f32 v14, v14, v15, v17
	v_div_fixup_f32 v4, v14, v7, v4
	s_waitcnt lgkmcnt(1)
	v_fma_f32 v5, -v4, v8, v5
	v_div_scale_f32 v7, s[12:13], v9, v9, v5
	v_rcp_f32_e32 v8, v7
	s_waitcnt lgkmcnt(0)
	v_fma_f32 v2, -v4, v10, v2
	s_addk_i32 s4, 0x180
	s_cmp_ge_i32 s5, s20
	v_fma_f32 v14, -v7, v8, 1.0
	v_fmac_f32_e32 v8, v14, v8
	v_div_scale_f32 v14, vcc, v5, v9, v5
	v_mul_f32_e32 v15, v14, v8
	v_fma_f32 v16, -v7, v15, v14
	v_fmac_f32_e32 v15, v16, v8
	v_fma_f32 v7, -v7, v15, v14
	v_div_fmas_f32 v7, v7, v8, v15
	v_div_fixup_f32 v5, v7, v9, v5
	v_fma_f32 v2, -v5, v11, v2
	v_div_scale_f32 v7, s[12:13], v12, v12, v2
	v_rcp_f32_e32 v14, v7
	v_div_scale_f32 v15, vcc, v2, v12, v2
	ds_write2_b32 v6, v4, v5 offset1:24
	v_fma_f32 v8, -v7, v14, 1.0
	v_fmac_f32_e32 v14, v8, v14
	v_mul_f32_e32 v16, v15, v14
	v_fma_f32 v8, -v7, v16, v15
	v_fmac_f32_e32 v16, v8, v14
	ds_read_b128 v[8:11], v13 offset:288
	v_fma_f32 v7, -v7, v16, v15
	v_div_fmas_f32 v7, v7, v14, v16
	v_div_fixup_f32 v2, v7, v12, v2
	s_waitcnt lgkmcnt(0)
	v_fma_f32 v3, -v4, v8, v3
	v_fma_f32 v3, -v5, v9, v3
	;; [unrolled: 1-line block ×3, first 2 shown]
	v_div_scale_f32 v7, s[12:13], v11, v11, v3
	v_rcp_f32_e32 v8, v7
	s_nop 0
	v_fma_f32 v4, -v7, v8, 1.0
	v_fmac_f32_e32 v8, v4, v8
	v_div_scale_f32 v4, vcc, v3, v11, v3
	v_mul_f32_e32 v5, v4, v8
	v_fma_f32 v9, -v7, v5, v4
	v_fmac_f32_e32 v5, v9, v8
	v_fma_f32 v4, -v7, v5, v4
	v_div_fmas_f32 v4, v4, v8, v5
	v_div_fixup_f32 v3, v4, v11, v3
	ds_write2_b32 v6, v2, v3 offset0:48 offset1:72
	s_cbranch_scc1 .LBB30_83
; %bb.82:                               ;   in Loop: Header=BB30_79 Depth=1
	s_mov_b32 s5, s7
	s_branch .LBB30_79
.LBB30_83:
	s_cmp_ge_i32 s7, s20
	s_cbranch_scc1 .LBB30_88
; %bb.84:
	v_mov_b32_e32 v2, 0x900
	v_lshl_or_b32 v2, v0, 2, v2
	s_mul_i32 s4, s7, 0x60
	s_branch .LBB30_86
.LBB30_85:                              ;   in Loop: Header=BB30_86 Depth=1
	s_mul_i32 s5, s7, 0x64
	v_mov_b32_e32 v5, s5
	ds_read_b32 v5, v5
	s_add_i32 s7, s7, 1
	s_addk_i32 s4, 0x60
	s_cmp_ge_i32 s7, s20
	s_waitcnt lgkmcnt(0)
	v_div_scale_f32 v6, s[12:13], v5, v5, v4
	v_rcp_f32_e32 v7, v6
	v_div_scale_f32 v8, vcc, v4, v5, v4
	v_fma_f32 v9, -v6, v7, 1.0
	v_fmac_f32_e32 v7, v9, v7
	v_mul_f32_e32 v9, v8, v7
	v_fma_f32 v10, -v6, v9, v8
	v_fmac_f32_e32 v9, v10, v7
	v_fma_f32 v6, -v6, v9, v8
	v_div_fmas_f32 v6, v6, v7, v9
	v_div_fixup_f32 v4, v6, v5, v4
	ds_write_b32 v3, v4
	s_cbranch_scc1 .LBB30_88
.LBB30_86:                              ; =>This Loop Header: Depth=1
                                        ;     Child Loop BB30_87 Depth 2
	s_mul_i32 s5, s7, 0x60
	v_add_u32_e32 v3, s5, v1
	ds_read_b32 v4, v3
	s_cmp_eq_u32 s7, 0
	s_mov_b32 s5, s4
	v_mov_b32_e32 v5, v2
	s_mov_b32 s12, s7
	s_cbranch_scc1 .LBB30_85
.LBB30_87:                              ;   Parent Loop BB30_86 Depth=1
                                        ; =>  This Inner Loop Header: Depth=2
	v_mov_b32_e32 v7, s5
	ds_read_b32 v6, v5
	ds_read_b32 v7, v7
	s_add_i32 s12, s12, -1
	s_add_i32 s5, s5, 4
	v_add_u32_e32 v5, 0x60, v5
	s_cmp_eq_u32 s12, 0
	s_waitcnt lgkmcnt(0)
	v_fma_f32 v4, -v6, v7, v4
	s_cbranch_scc0 .LBB30_87
	s_branch .LBB30_85
.LBB30_88:
	s_and_saveexec_b64 s[4:5], s[0:1]
	s_cbranch_execz .LBB30_97
; %bb.89:
	s_cmp_lt_i32 s16, 1
	s_cbranch_scc1 .LBB30_97
; %bb.90:
	s_cmp_eq_u32 s16, 1
	s_cselect_b64 s[0:1], -1, 0
	s_cmp_lg_u32 s6, 1
	s_cselect_b64 s[4:5], -1, 0
	s_or_b64 s[0:1], s[0:1], s[4:5]
	v_mov_b32_e32 v3, 0
	s_and_b64 vcc, exec, s[0:1]
	v_lshlrev_b32_e32 v2, 2, v0
	s_cbranch_vccnz .LBB30_94
; %bb.91:
	v_lshl_add_u64 v[4:5], s[2:3], 0, v[2:3]
	v_mov_b32_e32 v1, 0x900
	s_and_b32 s2, s16, 0x7ffffffe
	v_lshl_or_b32 v1, v0, 2, v1
	s_mov_b32 s0, 1
	s_mov_b32 s1, 0
	s_mov_b32 s3, s2
.LBB30_92:                              ; =>This Inner Loop Header: Depth=1
	s_mul_i32 s5, s1, 0x60
	s_mul_i32 s4, s0, 0x60
	v_add_u32_e32 v3, s5, v1
	v_add_u32_e32 v6, s4, v1
	ds_read_b32 v8, v3
	ds_read_b32 v9, v6
	s_add_i32 s1, s1, 2
	s_add_i32 s0, s0, 2
	s_add_i32 s3, s3, -2
	s_cmp_lg_u32 s3, 0
	s_waitcnt lgkmcnt(0)
	flat_store_dwordx2 v[4:5], v[8:9]
	v_lshl_add_u64 v[4:5], v[4:5], 0, 8
	s_cbranch_scc1 .LBB30_92
; %bb.93:
	s_cmp_lg_u32 s16, s2
	s_cselect_b64 s[0:1], -1, 0
	s_and_b64 vcc, exec, s[0:1]
	s_cbranch_vccnz .LBB30_95
	s_branch .LBB30_97
.LBB30_94:
	s_mov_b32 s2, 0
	s_cbranch_execz .LBB30_97
.LBB30_95:
	s_mul_hi_i32 s1, s6, s2
	s_mul_i32 s0, s6, s2
	s_ashr_i32 s7, s6, 31
	s_sub_i32 s3, s16, s2
	s_lshl_b64 s[0:1], s[0:1], 2
	s_add_u32 s0, s0, s22
	s_addc_u32 s1, s1, s21
	s_add_u32 s0, s0, s10
	s_addc_u32 s1, s1, s11
	s_add_u32 s0, s8, s0
	s_mulk_i32 s2, 0x60
	v_mov_b32_e32 v3, 0
	s_addc_u32 s1, s9, s1
	v_lshl_add_u32 v0, v0, 2, s2
	v_lshl_add_u64 v[2:3], s[0:1], 0, v[2:3]
	s_lshl_b64 s[0:1], s[6:7], 2
	v_add_u32_e32 v0, 0x900, v0
.LBB30_96:                              ; =>This Inner Loop Header: Depth=1
	ds_read_b32 v1, v0
	s_add_i32 s3, s3, -1
	v_add_u32_e32 v0, 0x60, v0
	s_cmp_lg_u32 s3, 0
	s_waitcnt lgkmcnt(0)
	flat_store_dword v[2:3], v1
	v_lshl_add_u64 v[2:3], v[2:3], 0, s[0:1]
	s_cbranch_scc1 .LBB30_96
.LBB30_97:
	s_endpgm
	.section	.rodata,"a",@progbits
	.p2align	6, 0x0
	.amdhsa_kernel _ZL31rocblas_trsm_small_right_deviceIffPKPKfPKPfLi24EEv13rocblas_fill_18rocblas_operation_17rocblas_diagonal_iiT0_T1_lilT2_lili
		.amdhsa_group_segment_fixed_size 4608
		.amdhsa_private_segment_fixed_size 0
		.amdhsa_kernarg_size 352
		.amdhsa_user_sgpr_count 2
		.amdhsa_user_sgpr_dispatch_ptr 0
		.amdhsa_user_sgpr_queue_ptr 0
		.amdhsa_user_sgpr_kernarg_segment_ptr 1
		.amdhsa_user_sgpr_dispatch_id 0
		.amdhsa_user_sgpr_kernarg_preload_length 0
		.amdhsa_user_sgpr_kernarg_preload_offset 0
		.amdhsa_user_sgpr_private_segment_size 0
		.amdhsa_uses_dynamic_stack 0
		.amdhsa_enable_private_segment 0
		.amdhsa_system_sgpr_workgroup_id_x 1
		.amdhsa_system_sgpr_workgroup_id_y 0
		.amdhsa_system_sgpr_workgroup_id_z 1
		.amdhsa_system_sgpr_workgroup_info 0
		.amdhsa_system_vgpr_workitem_id 0
		.amdhsa_next_free_vgpr 23
		.amdhsa_next_free_sgpr 30
		.amdhsa_accum_offset 24
		.amdhsa_reserve_vcc 1
		.amdhsa_float_round_mode_32 0
		.amdhsa_float_round_mode_16_64 0
		.amdhsa_float_denorm_mode_32 3
		.amdhsa_float_denorm_mode_16_64 3
		.amdhsa_dx10_clamp 1
		.amdhsa_ieee_mode 1
		.amdhsa_fp16_overflow 0
		.amdhsa_tg_split 0
		.amdhsa_exception_fp_ieee_invalid_op 0
		.amdhsa_exception_fp_denorm_src 0
		.amdhsa_exception_fp_ieee_div_zero 0
		.amdhsa_exception_fp_ieee_overflow 0
		.amdhsa_exception_fp_ieee_underflow 0
		.amdhsa_exception_fp_ieee_inexact 0
		.amdhsa_exception_int_div_zero 0
	.end_amdhsa_kernel
	.section	.text._ZL31rocblas_trsm_small_right_deviceIffPKPKfPKPfLi24EEv13rocblas_fill_18rocblas_operation_17rocblas_diagonal_iiT0_T1_lilT2_lili,"axG",@progbits,_ZL31rocblas_trsm_small_right_deviceIffPKPKfPKPfLi24EEv13rocblas_fill_18rocblas_operation_17rocblas_diagonal_iiT0_T1_lilT2_lili,comdat
.Lfunc_end30:
	.size	_ZL31rocblas_trsm_small_right_deviceIffPKPKfPKPfLi24EEv13rocblas_fill_18rocblas_operation_17rocblas_diagonal_iiT0_T1_lilT2_lili, .Lfunc_end30-_ZL31rocblas_trsm_small_right_deviceIffPKPKfPKPfLi24EEv13rocblas_fill_18rocblas_operation_17rocblas_diagonal_iiT0_T1_lilT2_lili
                                        ; -- End function
	.set _ZL31rocblas_trsm_small_right_deviceIffPKPKfPKPfLi24EEv13rocblas_fill_18rocblas_operation_17rocblas_diagonal_iiT0_T1_lilT2_lili.num_vgpr, 23
	.set _ZL31rocblas_trsm_small_right_deviceIffPKPKfPKPfLi24EEv13rocblas_fill_18rocblas_operation_17rocblas_diagonal_iiT0_T1_lilT2_lili.num_agpr, 0
	.set _ZL31rocblas_trsm_small_right_deviceIffPKPKfPKPfLi24EEv13rocblas_fill_18rocblas_operation_17rocblas_diagonal_iiT0_T1_lilT2_lili.numbered_sgpr, 30
	.set _ZL31rocblas_trsm_small_right_deviceIffPKPKfPKPfLi24EEv13rocblas_fill_18rocblas_operation_17rocblas_diagonal_iiT0_T1_lilT2_lili.num_named_barrier, 0
	.set _ZL31rocblas_trsm_small_right_deviceIffPKPKfPKPfLi24EEv13rocblas_fill_18rocblas_operation_17rocblas_diagonal_iiT0_T1_lilT2_lili.private_seg_size, 0
	.set _ZL31rocblas_trsm_small_right_deviceIffPKPKfPKPfLi24EEv13rocblas_fill_18rocblas_operation_17rocblas_diagonal_iiT0_T1_lilT2_lili.uses_vcc, 1
	.set _ZL31rocblas_trsm_small_right_deviceIffPKPKfPKPfLi24EEv13rocblas_fill_18rocblas_operation_17rocblas_diagonal_iiT0_T1_lilT2_lili.uses_flat_scratch, 0
	.set _ZL31rocblas_trsm_small_right_deviceIffPKPKfPKPfLi24EEv13rocblas_fill_18rocblas_operation_17rocblas_diagonal_iiT0_T1_lilT2_lili.has_dyn_sized_stack, 0
	.set _ZL31rocblas_trsm_small_right_deviceIffPKPKfPKPfLi24EEv13rocblas_fill_18rocblas_operation_17rocblas_diagonal_iiT0_T1_lilT2_lili.has_recursion, 0
	.set _ZL31rocblas_trsm_small_right_deviceIffPKPKfPKPfLi24EEv13rocblas_fill_18rocblas_operation_17rocblas_diagonal_iiT0_T1_lilT2_lili.has_indirect_call, 0
	.section	.AMDGPU.csdata,"",@progbits
; Kernel info:
; codeLenInByte = 6200
; TotalNumSgprs: 36
; NumVgprs: 23
; NumAgprs: 0
; TotalNumVgprs: 23
; ScratchSize: 0
; MemoryBound: 0
; FloatMode: 240
; IeeeMode: 1
; LDSByteSize: 4608 bytes/workgroup (compile time only)
; SGPRBlocks: 4
; VGPRBlocks: 2
; NumSGPRsForWavesPerEU: 36
; NumVGPRsForWavesPerEU: 23
; AccumOffset: 24
; Occupancy: 8
; WaveLimiterHint : 0
; COMPUTE_PGM_RSRC2:SCRATCH_EN: 0
; COMPUTE_PGM_RSRC2:USER_SGPR: 2
; COMPUTE_PGM_RSRC2:TRAP_HANDLER: 0
; COMPUTE_PGM_RSRC2:TGID_X_EN: 1
; COMPUTE_PGM_RSRC2:TGID_Y_EN: 0
; COMPUTE_PGM_RSRC2:TGID_Z_EN: 1
; COMPUTE_PGM_RSRC2:TIDIG_COMP_CNT: 0
; COMPUTE_PGM_RSRC3_GFX90A:ACCUM_OFFSET: 5
; COMPUTE_PGM_RSRC3_GFX90A:TG_SPLIT: 0
	.section	.text._ZL38rocblas_trsm_small_left_device_sharedBILi28ELi28ELb0EffPKPKfPKPfEv13rocblas_fill_18rocblas_operation_17rocblas_diagonal_iiT3_T4_lilT5_lili,"axG",@progbits,_ZL38rocblas_trsm_small_left_device_sharedBILi28ELi28ELb0EffPKPKfPKPfEv13rocblas_fill_18rocblas_operation_17rocblas_diagonal_iiT3_T4_lilT5_lili,comdat
	.globl	_ZL38rocblas_trsm_small_left_device_sharedBILi28ELi28ELb0EffPKPKfPKPfEv13rocblas_fill_18rocblas_operation_17rocblas_diagonal_iiT3_T4_lilT5_lili ; -- Begin function _ZL38rocblas_trsm_small_left_device_sharedBILi28ELi28ELb0EffPKPKfPKPfEv13rocblas_fill_18rocblas_operation_17rocblas_diagonal_iiT3_T4_lilT5_lili
	.p2align	8
	.type	_ZL38rocblas_trsm_small_left_device_sharedBILi28ELi28ELb0EffPKPKfPKPfEv13rocblas_fill_18rocblas_operation_17rocblas_diagonal_iiT3_T4_lilT5_lili,@function
_ZL38rocblas_trsm_small_left_device_sharedBILi28ELi28ELb0EffPKPKfPKPfEv13rocblas_fill_18rocblas_operation_17rocblas_diagonal_iiT3_T4_lilT5_lili: ; @_ZL38rocblas_trsm_small_left_device_sharedBILi28ELi28ELb0EffPKPKfPKPfEv13rocblas_fill_18rocblas_operation_17rocblas_diagonal_iiT3_T4_lilT5_lili
; %bb.0:
	s_load_dwordx4 s[8:11], s[0:1], 0x38
	s_load_dwordx4 s[4:7], s[0:1], 0x4
	s_load_dword s16, s[0:1], 0x14
	s_mov_b32 s20, s3
	s_mov_b32 s21, 0
	s_lshl_b64 s[24:25], s[20:21], 3
	s_waitcnt lgkmcnt(0)
	s_add_u32 s8, s8, s24
	s_addc_u32 s9, s9, s25
	s_load_dwordx2 s[8:9], s[8:9], 0x0
	s_min_i32 s26, s6, 28
	v_cmp_gt_i32_e32 vcc, s26, v0
	s_and_saveexec_b64 s[18:19], vcc
	s_cbranch_execz .LBB31_11
; %bb.1:
	s_load_dwordx4 s[12:15], s[0:1], 0x18
	s_load_dword s22, s[0:1], 0x28
	v_lshlrev_b32_e32 v2, 2, v0
	v_mov_b32_e32 v3, 0
	s_mov_b32 s3, 1
	s_waitcnt lgkmcnt(0)
	s_add_u32 s12, s12, s24
	s_addc_u32 s13, s13, s25
	s_load_dwordx2 s[12:13], s[12:13], 0x0
	s_cmp_lt_u32 s26, 2
	s_cselect_b64 s[28:29], -1, 0
	s_cmp_lg_u32 s22, 1
	s_cselect_b64 s[30:31], -1, 0
	s_or_b64 s[28:29], s[28:29], s[30:31]
	s_mov_b64 s[24:25], -1
	s_and_b64 vcc, exec, s[28:29]
	s_cbranch_vccnz .LBB31_5
; %bb.2:
	s_lshl_b64 s[20:21], s[14:15], 2
	s_waitcnt lgkmcnt(0)
	s_add_u32 s20, s12, s20
	s_addc_u32 s21, s13, s21
	v_lshl_add_u64 v[4:5], s[20:21], 0, v[2:3]
	s_and_b32 s21, s26, -2
	s_mov_b32 s17, 0
	s_mov_b32 s20, s21
.LBB31_3:                               ; =>This Inner Loop Header: Depth=1
	flat_load_dwordx2 v[6:7], v[4:5]
	s_mul_i32 s23, s3, 0x70
	s_mul_i32 s24, s17, 0x70
	s_add_i32 s17, s17, 2
	s_add_i32 s3, s3, 2
	s_add_i32 s20, s20, -2
	v_lshl_add_u64 v[4:5], v[4:5], 0, 8
	v_add_u32_e32 v1, s24, v2
	s_cmp_lg_u32 s20, 0
	v_add_u32_e32 v3, s23, v2
	s_waitcnt vmcnt(0) lgkmcnt(0)
	ds_write_b32 v1, v6
	ds_write_b32 v3, v7
	s_cbranch_scc1 .LBB31_3
; %bb.4:
	s_cmp_lg_u32 s26, s21
	s_cselect_b64 s[24:25], -1, 0
.LBB31_5:
	s_and_b64 vcc, exec, s[24:25]
	s_cbranch_vccz .LBB31_8
; %bb.6:
	s_ashr_i32 s23, s22, 31
	s_mul_hi_u32 s3, s22, s21
	s_mul_i32 s17, s23, s21
	s_add_i32 s25, s3, s17
	s_mul_i32 s24, s22, s21
	s_lshl_b64 s[24:25], s[24:25], 2
	s_lshl_b64 s[14:15], s[14:15], 2
	s_add_u32 s3, s24, s14
	s_addc_u32 s14, s25, s15
	s_waitcnt lgkmcnt(0)
	s_add_u32 s12, s12, s3
	v_mov_b32_e32 v3, 0
	s_addc_u32 s13, s13, s14
	s_mul_i32 s14, s21, 0x70
	v_lshl_add_u64 v[4:5], s[12:13], 0, v[2:3]
	s_lshl_b64 s[12:13], s[22:23], 2
	s_sub_i32 s3, s26, s21
	v_lshl_add_u32 v1, v0, 2, s14
.LBB31_7:                               ; =>This Inner Loop Header: Depth=1
	flat_load_dword v3, v[4:5]
	s_add_i32 s3, s3, -1
	v_lshl_add_u64 v[4:5], v[4:5], 0, s[12:13]
	s_cmp_eq_u32 s3, 0
	s_waitcnt vmcnt(0) lgkmcnt(0)
	ds_write_b32 v1, v3
	v_add_u32_e32 v1, 0x70, v1
	s_cbranch_scc0 .LBB31_7
.LBB31_8:
	v_mul_u32_u24_e32 v1, 0x70, v0
	s_cmpk_lg_i32 s5, 0x84
	v_mov_b32_e32 v3, 1.0
	v_add_u32_e32 v1, v2, v1
	s_cbranch_scc0 .LBB31_10
; %bb.9:
	ds_read_b32 v2, v1
	s_waitcnt lgkmcnt(0)
	v_div_scale_f32 v3, s[12:13], v2, v2, 1.0
	v_rcp_f32_e32 v4, v3
	v_div_scale_f32 v5, vcc, 1.0, v2, 1.0
	v_fma_f32 v6, -v3, v4, 1.0
	v_fmac_f32_e32 v4, v6, v4
	v_mul_f32_e32 v6, v5, v4
	v_fma_f32 v7, -v3, v6, v5
	v_fmac_f32_e32 v6, v7, v4
	v_fma_f32 v3, -v3, v6, v5
	v_div_fmas_f32 v3, v3, v4, v6
	v_div_fixup_f32 v3, v3, v2, 1.0
.LBB31_10:
	ds_write_b32 v1, v3
.LBB31_11:
	s_or_b64 exec, exec, s[18:19]
	s_load_dword s3, s[0:1], 0x60
	s_load_dword s22, s[0:1], 0x48
	s_lshl_b64 s[10:11], s[10:11], 2
	s_mul_i32 s0, s2, 0xffffffe4
	s_waitcnt lgkmcnt(0)
	s_ashr_i32 s23, s22, 31
	s_add_u32 s5, s8, s10
	s_addc_u32 s13, s9, s11
	s_add_i32 s3, s3, -1
	s_add_i32 s0, s7, s0
	s_cmp_ge_u32 s2, s3
	s_mul_i32 s2, s2, 28
	s_cselect_b32 s7, s0, 28
	s_mul_hi_i32 s1, s22, s2
	s_mul_i32 s0, s22, s2
	s_ashr_i32 s3, s2, 31
	s_lshl_b64 s[0:1], s[0:1], 2
	s_add_u32 s12, s5, s0
	s_addc_u32 s13, s13, s1
	s_cmp_gt_i32 s6, 0
	v_cmp_gt_i32_e64 s[0:1], s7, v0
	s_cselect_b64 s[14:15], -1, 0
	s_mov_b32 s5, 0
	s_and_b64 s[20:21], s[0:1], s[14:15]
	s_and_saveexec_b64 s[18:19], s[20:21]
	s_cbranch_execz .LBB31_19
; %bb.12:
	s_cmp_lt_i32 s6, 2
	s_mov_b64 s[20:21], -1
	s_cbranch_scc1 .LBB31_16
; %bb.13:
	v_mad_i64_i32 v[2:3], s[20:21], s22, v0, 0
	v_mov_b32_e32 v1, 0xc40
	s_and_b32 s5, s26, 30
	v_lshl_add_u64 v[2:3], v[2:3], 2, s[12:13]
	v_lshl_add_u32 v1, v0, 2, v1
	s_mov_b32 s17, s16
	s_mov_b32 s7, 1
	s_mov_b32 s20, 0
	s_mov_b32 s21, s5
.LBB31_14:                              ; =>This Inner Loop Header: Depth=1
	flat_load_dwordx2 v[4:5], v[2:3]
	s_mul_i32 s24, s7, 0x70
	s_mul_i32 s25, s20, 0x70
	s_add_i32 s20, s20, 2
	s_add_i32 s7, s7, 2
	s_add_i32 s21, s21, -2
	v_lshl_add_u64 v[2:3], v[2:3], 0, 8
	v_add_u32_e32 v6, s25, v1
	s_cmp_lg_u32 s21, 0
	v_add_u32_e32 v7, s24, v1
	s_waitcnt vmcnt(0) lgkmcnt(0)
	v_pk_mul_f32 v[4:5], s[16:17], v[4:5]
	ds_write_b32 v6, v4
	ds_write_b32 v7, v5
	s_cbranch_scc1 .LBB31_14
; %bb.15:
	s_cmp_lg_u32 s26, s5
	s_cselect_b64 s[20:21], -1, 0
.LBB31_16:
	s_and_b64 vcc, exec, s[20:21]
	s_cbranch_vccz .LBB31_19
; %bb.17:
	s_sub_i32 s7, s26, s5
	s_lshl_b32 s17, s5, 2
	s_add_u32 s17, s8, s17
	s_addc_u32 s21, s9, 0
	s_add_u32 s20, s17, s10
	v_lshlrev_b32_e32 v2, 2, v0
	v_mov_b32_e32 v3, 0
	s_addc_u32 s21, s21, s11
	v_lshl_add_u64 v[4:5], s[2:3], 2, v[2:3]
	v_mov_b64_e32 v[2:3], s[20:21]
	v_mad_u64_u32 v[2:3], s[20:21], v4, s22, v[2:3]
	v_mul_lo_u32 v1, v4, s23
	v_mul_lo_u32 v4, v5, s22
	s_mulk_i32 s5, 0x70
	v_add3_u32 v3, v4, v3, v1
	v_lshl_add_u32 v1, v0, 2, s5
	v_add_u32_e32 v1, 0xc40, v1
.LBB31_18:                              ; =>This Inner Loop Header: Depth=1
	flat_load_dword v4, v[2:3]
	s_add_i32 s7, s7, -1
	v_lshl_add_u64 v[2:3], v[2:3], 0, 4
	s_cmp_lg_u32 s7, 0
	s_waitcnt vmcnt(0) lgkmcnt(0)
	v_mul_f32_e32 v4, s16, v4
	ds_write_b32 v1, v4
	v_add_u32_e32 v1, 0x70, v1
	s_cbranch_scc1 .LBB31_18
.LBB31_19:
	s_or_b64 exec, exec, s[18:19]
	v_mov_b32_e32 v1, 0xc40
	s_cmpk_eq_i32 s4, 0x6f
	v_lshl_add_u32 v1, v0, 2, v1
	s_mov_b64 s[4:5], -1
	s_waitcnt lgkmcnt(0)
	; wave barrier
	s_cbranch_scc1 .LBB31_34
; %bb.20:
	s_cmp_gt_i32 s6, 27
	s_cselect_b64 s[4:5], -1, 0
	s_mov_b32 s7, 0
	s_and_b64 vcc, exec, s[4:5]
	s_cbranch_vccz .LBB31_22
; %bb.21:
	v_add_u32_e32 v66, 0x400, v1
	v_add_u32_e32 v65, 0x600, v1
	;; [unrolled: 1-line block ×3, first 2 shown]
	v_mov_b32_e32 v67, 0
	ds_read2_b32 v[24:25], v1 offset1:28
	ds_read2_b32 v[30:31], v1 offset0:56 offset1:84
	ds_read2_b32 v[44:45], v1 offset0:112 offset1:140
	;; [unrolled: 1-line block ×12, first 2 shown]
	ds_read_b128 v[50:53], v67 offset:336
	ds_read_b32 v9, v67
	ds_read_b64 v[26:27], v67 offset:112
	ds_read_b96 v[6:8], v67 offset:224
	ds_read_b128 v[54:57], v67 offset:448
	ds_read_b96 v[14:16], v67 offset:560
	ds_read2_b32 v[22:23], v67 offset0:116 offset1:145
	ds_read_b96 v[72:74], v67 offset:784
	ds_read2_b32 v[48:49], v67 offset0:143 offset1:144
	s_waitcnt lgkmcnt(7)
	v_mul_f32_e32 v40, v24, v9
	s_waitcnt lgkmcnt(6)
	v_fma_f32 v9, -v40, v26, v25
	ds_read2_b32 v[32:33], v67 offset0:199 offset1:200
	s_waitcnt lgkmcnt(4)
	v_mov_b32_e32 v86, v15
	v_mov_b32_e32 v87, v16
	s_waitcnt lgkmcnt(2)
	v_mov_b32_e32 v89, v74
	ds_read_b128 v[2:5], v67 offset:912
	ds_read_b96 v[74:76], v67 offset:1008
	ds_read_b96 v[10:12], v67 offset:688
	ds_read_b128 v[58:61], v67 offset:672
	ds_read2_b32 v[20:21], v67 offset0:203 offset1:232
	ds_read2_b32 v[18:19], v67 offset0:201 offset1:202
	ds_read_b128 v[68:71], v67 offset:896
	v_fma_f32 v13, -v40, v14, v45
	ds_read_b96 v[24:26], v67 offset:1152
	ds_read_b96 v[14:16], v67 offset:1232
	v_mul_f32_e32 v41, v9, v27
	v_pk_mul_f32 v[6:7], v[40:41], v[6:7]
	v_mov_b32_e32 v88, v73
	s_waitcnt lgkmcnt(7)
	v_mov_b32_e32 v90, v75
	v_fma_f32 v45, -v40, v72, v63
	v_fma_f32 v63, -v40, v74, v79
	v_sub_f32_e32 v6, v30, v6
	ds_read_b128 v[72:75], v67 offset:1120
	v_sub_f32_e32 v27, v6, v7
	s_waitcnt lgkmcnt(6)
	v_pk_mul_f32 v[6:7], v[40:41], v[58:59]
	s_waitcnt lgkmcnt(1)
	v_mov_b32_e32 v92, v15
	v_sub_f32_e32 v6, v62, v6
	v_fma_f32 v95, -v40, v14, v81
	v_pk_mul_f32 v[14:15], v[40:41], v[54:55]
	v_sub_f32_e32 v59, v6, v7
	v_pk_mul_f32 v[6:7], v[40:41], v[68:69]
	v_sub_f32_e32 v9, v44, v14
	v_sub_f32_e32 v6, v78, v6
	v_mov_b32_e32 v93, v16
	v_sub_f32_e32 v58, v9, v15
	ds_read_b128 v[14:17], v67 offset:1136
	v_sub_f32_e32 v68, v6, v7
	s_waitcnt lgkmcnt(1)
	v_pk_mul_f32 v[6:7], v[40:41], v[72:73]
	v_mov_b32_e32 v82, v51
	v_mov_b32_e32 v83, v52
	v_fma_f32 v50, -v40, v50, v31
	v_sub_f32_e32 v6, v80, v6
	v_mul_f32_e32 v31, v27, v8
	v_mov_b32_e32 v30, v41
	v_sub_f32_e32 v72, v6, v7
	v_pk_mul_f32 v[6:7], v[30:31], v[82:83]
	v_mov_b32_e32 v91, v76
	v_sub_f32_e32 v6, v50, v6
	v_sub_f32_e32 v27, v6, v7
	v_pk_mul_f32 v[6:7], v[30:31], v[86:87]
	ds_read_b96 v[50:52], v67 offset:1456
	v_sub_f32_e32 v6, v13, v6
	v_sub_f32_e32 v13, v6, v7
	v_pk_mul_f32 v[6:7], v[30:31], v[88:89]
	ds_read_b128 v[76:79], v67 offset:1344
	ds_read_b128 v[80:83], v67 offset:1360
	v_sub_f32_e32 v6, v45, v6
	v_sub_f32_e32 v88, v6, v7
	v_pk_mul_f32 v[6:7], v[30:31], v[90:91]
	v_mul_f32_e32 v45, v27, v53
	v_sub_f32_e32 v6, v63, v6
	v_sub_f32_e32 v89, v6, v7
	ds_read_b128 v[6:9], v67 offset:1376
	s_waitcnt lgkmcnt(3)
	v_fma_f32 v44, -v40, v50, v85
	v_fma_f32 v44, -v41, v51, v44
	;; [unrolled: 1-line block ×3, first 2 shown]
	s_waitcnt lgkmcnt(2)
	v_fma_f32 v44, -v40, v76, v84
	v_pk_mul_f32 v[50:51], v[30:31], v[92:93]
	v_fma_f32 v91, -v41, v77, v44
	v_sub_f32_e32 v27, v95, v50
	v_mov_b32_e32 v44, v31
	ds_read_b128 v[52:55], v67 offset:1568
	ds_read_b128 v[84:87], v67 offset:1584
	v_sub_f32_e32 v30, v27, v51
	v_pk_mul_f32 v[62:63], v[44:45], v[78:79]
	ds_read_b128 v[76:79], v67 offset:1680
	v_pk_mul_f32 v[50:51], v[44:45], v[56:57]
	v_pk_mul_f32 v[56:57], v[44:45], v[60:61]
	v_sub_f32_e32 v27, v58, v50
	v_sub_f32_e32 v60, v27, v51
	v_sub_f32_e32 v27, v59, v56
	v_sub_f32_e32 v92, v27, v57
	ds_read_b96 v[56:58], v67 offset:1696
	s_waitcnt lgkmcnt(3)
	v_fma_f32 v52, -v40, v52, v46
	s_waitcnt lgkmcnt(1)
	v_fma_f32 v59, -v40, v76, v47
	v_pk_mul_f32 v[46:47], v[44:45], v[70:71]
	v_fma_f32 v52, -v41, v53, v52
	v_sub_f32_e32 v46, v68, v46
	v_sub_f32_e32 v93, v46, v47
	v_fma_f32 v46, -v31, v54, v52
	s_waitcnt lgkmcnt(0)
	v_mov_b32_e32 v76, v57
	v_fma_f32 v57, -v45, v55, v46
	ds_read_b128 v[52:55], v67 offset:1792
	ds_read_b128 v[68:71], v67 offset:1808
	v_fma_f32 v59, -v41, v77, v59
	v_fma_f32 v46, -v31, v78, v59
	;; [unrolled: 1-line block ×3, first 2 shown]
	s_waitcnt lgkmcnt(1)
	v_fma_f32 v28, -v40, v52, v28
	v_fma_f32 v28, -v41, v53, v28
	;; [unrolled: 1-line block ×3, first 2 shown]
	v_pk_mul_f32 v[46:47], v[44:45], v[74:75]
	v_fma_f32 v75, -v45, v55, v28
	ds_read_b128 v[52:55], v67 offset:1904
	v_sub_f32_e32 v28, v72, v46
	v_sub_f32_e32 v95, v28, v47
	ds_read_b96 v[72:74], v67 offset:1920
	v_mul_f32_e32 v47, v60, v22
	s_waitcnt lgkmcnt(1)
	v_fma_f32 v28, -v40, v52, v29
	v_fma_f32 v28, -v41, v53, v28
	v_sub_f32_e32 v29, v91, v62
	v_fma_f32 v28, -v31, v54, v28
	v_mov_b32_e32 v46, v45
	s_movk_i32 s7, 0x400
	v_sub_f32_e32 v62, v29, v63
	v_fma_f32 v63, -v45, v55, v28
	v_pk_mul_f32 v[28:29], v[46:47], v[48:49]
	v_mov_b32_e32 v94, 0x3fc
	v_add_u32_e64 v27, s7, 0
	v_sub_f32_e32 v13, v13, v28
	ds_read2_b32 v[50:51], v27 offset0:5 offset1:63
	v_mov_b32_e32 v44, 0x404
	v_mov_b32_e32 v52, 0x4dc
	;; [unrolled: 1-line block ×3, first 2 shown]
	v_sub_f32_e32 v13, v13, v29
	ds_read2_b32 v[28:29], v94 offset1:1
	ds_read2_b32 v[54:55], v44 offset1:1
	;; [unrolled: 1-line block ×4, first 2 shown]
	v_pk_mul_f32 v[32:33], v[46:47], v[32:33]
	s_waitcnt lgkmcnt(3)
	v_pk_mul_f32 v[28:29], v[46:47], v[28:29]
	v_sub_f32_e32 v32, v88, v32
	v_mov_b32_e32 v22, 0x6b4
	v_sub_f32_e32 v88, v32, v33
	v_mov_b32_e32 v32, 0x40c
	;; [unrolled: 2-line block ×3, first 2 shown]
	v_mov_b32_e32 v44, 0x4e4
	v_sub_f32_e32 v89, v28, v29
	ds_read2_b32 v[60:61], v22 offset1:1
	ds_read2_b32 v[32:33], v32 offset1:1
	;; [unrolled: 1-line block ×4, first 2 shown]
	s_waitcnt lgkmcnt(5)
	v_pk_mul_f32 v[48:49], v[46:47], v[48:49]
	v_mov_b32_e32 v77, v58
	v_sub_f32_e32 v22, v30, v48
	v_sub_f32_e32 v22, v22, v49
	v_mov_b32_e32 v30, 0x794
	s_waitcnt lgkmcnt(0)
	v_pk_mul_f32 v[48:49], v[46:47], v[52:53]
	v_fma_f32 v56, -v47, v56, v59
	ds_read2_b32 v[58:59], v30 offset1:1
	v_sub_f32_e32 v30, v90, v48
	v_sub_f32_e32 v30, v30, v49
	v_mul_f32_e32 v49, v13, v23
	v_mov_b32_e32 v48, v47
	v_pk_mul_f32 v[2:3], v[48:49], v[2:3]
	v_pk_mul_f32 v[10:11], v[48:49], v[10:11]
	v_sub_f32_e32 v2, v93, v2
	v_sub_f32_e32 v90, v2, v3
	v_pk_mul_f32 v[2:3], v[48:49], v[14:15]
	v_sub_f32_e32 v10, v92, v10
	v_sub_f32_e32 v2, v95, v2
	;; [unrolled: 1-line block ×3, first 2 shown]
	v_pk_mul_f32 v[2:3], v[48:49], v[80:81]
	v_sub_f32_e32 v10, v10, v11
	v_sub_f32_e32 v2, v62, v2
	;; [unrolled: 1-line block ×3, first 2 shown]
	v_pk_mul_f32 v[2:3], v[48:49], v[84:85]
	v_mul_f32_e32 v53, v10, v12
	v_sub_f32_e32 v2, v57, v2
	v_mov_b32_e32 v52, v49
	v_sub_f32_e32 v92, v2, v3
	v_pk_mul_f32 v[2:3], v[52:53], v[18:19]
	v_mov_b32_e32 v10, 0x5c4
	v_sub_f32_e32 v2, v88, v2
	v_sub_f32_e32 v13, v2, v3
	ds_read2_b32 v[2:3], v10 offset1:1
	v_pk_mul_f32 v[10:11], v[52:53], v[54:55]
	v_mul_f32_e32 v55, v13, v20
	v_sub_f32_e32 v10, v89, v10
	v_sub_f32_e32 v88, v10, v11
	s_waitcnt lgkmcnt(0)
	v_pk_mul_f32 v[2:3], v[52:53], v[2:3]
	v_pk_mul_f32 v[10:11], v[52:53], v[28:29]
	v_sub_f32_e32 v2, v30, v2
	v_sub_f32_e32 v10, v22, v10
	;; [unrolled: 1-line block ×3, first 2 shown]
	v_fma_f32 v2, -v47, v68, v75
	v_fma_f32 v3, -v47, v72, v63
	v_sub_f32_e32 v89, v10, v11
	v_fma_f32 v72, -v49, v69, v2
	v_fma_f32 v10, -v49, v73, v3
	v_pk_mul_f32 v[2:3], v[52:53], v[76:77]
	v_mov_b32_e32 v54, v53
	v_mov_b32_e32 v12, 0x4ec
	;; [unrolled: 1-line block ×4, first 2 shown]
	v_sub_f32_e32 v2, v56, v2
	v_pk_mul_f32 v[18:19], v[54:55], v[82:83]
	ds_read2_b32 v[22:23], v14 offset1:1
	ds_read2_b32 v[80:81], v15 offset1:1
	;; [unrolled: 1-line block ×3, first 2 shown]
	v_sub_f32_e32 v52, v2, v3
	ds_read_b96 v[28:30], v67 offset:1616
	ds_read_b128 v[12:15], v67 offset:1600
	v_sub_f32_e32 v18, v62, v18
	v_pk_mul_f32 v[62:63], v[54:55], v[4:5]
	ds_read_b128 v[2:5], v67 offset:2016
	v_pk_mul_f32 v[56:57], v[54:55], v[70:71]
	ds_read_b128 v[68:71], v67 offset:2032
	v_sub_f32_e32 v20, v90, v62
	v_sub_f32_e32 v20, v20, v63
	s_waitcnt lgkmcnt(1)
	v_fma_f32 v2, -v40, v2, v34
	v_fma_f32 v2, -v41, v3, v2
	v_fma_f32 v2, -v31, v4, v2
	v_fma_f32 v34, -v45, v5, v2
	s_waitcnt lgkmcnt(0)
	v_fma_f32 v34, -v47, v68, v34
	v_fma_f32 v34, -v49, v69, v34
	;; [unrolled: 1-line block ×4, first 2 shown]
	v_sub_f32_e32 v34, v72, v56
	v_fma_f32 v73, -v53, v74, v10
	v_pk_mul_f32 v[10:11], v[54:55], v[86:87]
	v_sub_f32_e32 v86, v34, v57
	v_mul_f32_e32 v57, v20, v21
	v_mov_b32_e32 v56, v55
	v_pk_mul_f32 v[16:17], v[54:55], v[16:17]
	v_sub_f32_e32 v10, v92, v10
	v_pk_mul_f32 v[20:21], v[56:57], v[32:33]
	v_pk_mul_f32 v[22:23], v[56:57], v[22:23]
	v_sub_f32_e32 v16, v91, v16
	v_sub_f32_e32 v82, v10, v11
	v_mov_b32_e32 v10, 0x4f4
	v_mov_b32_e32 v11, 0x5d4
	v_sub_f32_e32 v20, v88, v20
	v_sub_f32_e32 v22, v93, v22
	v_pk_mul_f32 v[68:69], v[56:57], v[80:81]
	v_sub_f32_e32 v54, v16, v17
	v_sub_f32_e32 v75, v18, v19
	ds_read_b128 v[2:5], v67 offset:1840
	ds_read_b128 v[16:19], v67 offset:1824
	ds_read2_b32 v[62:63], v10 offset1:1
	ds_read2_b32 v[10:11], v11 offset1:1
	v_sub_f32_e32 v34, v52, v68
	v_sub_f32_e32 v52, v20, v21
	v_sub_f32_e32 v81, v22, v23
	ds_read_b128 v[20:23], v67 offset:2128
	v_pk_mul_f32 v[32:33], v[56:57], v[84:85]
	v_sub_f32_e32 v88, v34, v69
	v_sub_f32_e32 v32, v89, v32
	v_sub_f32_e32 v80, v32, v33
	v_pk_mul_f32 v[32:33], v[56:57], v[78:79]
	ds_read_b128 v[68:71], v67 offset:2144
	v_sub_f32_e32 v32, v73, v32
	v_sub_f32_e32 v56, v32, v33
	ds_read_b96 v[32:34], v67 offset:2080
	s_waitcnt lgkmcnt(2)
	v_fma_f32 v20, -v40, v20, v35
	v_fma_f32 v20, -v41, v21, v20
	v_fma_f32 v20, -v31, v22, v20
	v_fma_f32 v20, -v45, v23, v20
	ds_read_b96 v[72:74], v67 offset:2160
	s_waitcnt lgkmcnt(2)
	v_fma_f32 v35, -v47, v68, v20
	ds_read_b128 v[20:23], v67 offset:2240
	v_fma_f32 v35, -v49, v69, v35
	v_fma_f32 v35, -v53, v70, v35
	;; [unrolled: 1-line block ×3, first 2 shown]
	ds_read_b128 v[68:71], v67 offset:2256
	s_waitcnt lgkmcnt(1)
	v_fma_f32 v20, -v40, v20, v42
	v_fma_f32 v20, -v41, v21, v20
	;; [unrolled: 1-line block ×4, first 2 shown]
	s_waitcnt lgkmcnt(0)
	v_fma_f32 v20, -v47, v68, v20
	v_mul_f32_e32 v85, v52, v50
	v_mov_b32_e32 v84, v57
	v_fma_f32 v20, -v49, v69, v20
	v_pk_mul_f32 v[6:7], v[84:85], v[6:7]
	v_fma_f32 v20, -v53, v70, v20
	v_sub_f32_e32 v6, v75, v6
	v_fma_f32 v90, -v55, v71, v20
	ds_read_b128 v[68:71], v67 offset:2048
	ds_read_b128 v[20:23], v67 offset:2064
	v_sub_f32_e32 v50, v6, v7
	v_pk_mul_f32 v[6:7], v[84:85], v[12:13]
	v_pk_mul_f32 v[24:25], v[84:85], v[24:25]
	v_sub_f32_e32 v6, v82, v6
	v_sub_f32_e32 v52, v6, v7
	v_pk_mul_f32 v[6:7], v[84:85], v[16:17]
	v_mov_b32_e32 v76, v73
	v_mov_b32_e32 v77, v74
	v_fma_f32 v35, -v57, v72, v35
	v_sub_f32_e32 v24, v54, v24
	v_sub_f32_e32 v6, v86, v6
	ds_read_b128 v[72:75], v67 offset:2352
	v_sub_f32_e32 v24, v24, v25
	v_sub_f32_e32 v54, v6, v7
	s_waitcnt lgkmcnt(2)
	v_pk_mul_f32 v[6:7], v[84:85], v[68:69]
	v_mul_f32_e32 v87, v24, v26
	v_sub_f32_e32 v6, v83, v6
	v_mov_b32_e32 v86, v85
	v_sub_f32_e32 v78, v6, v7
	v_pk_mul_f32 v[6:7], v[86:87], v[62:63]
	v_pk_mul_f32 v[10:11], v[86:87], v[10:11]
	v_sub_f32_e32 v6, v80, v6
	v_sub_f32_e32 v10, v81, v10
	;; [unrolled: 1-line block ×4, first 2 shown]
	ds_read_b128 v[10:13], v67 offset:2304
	s_waitcnt lgkmcnt(1)
	v_fma_f32 v6, -v40, v72, v43
	v_fma_f32 v6, -v41, v73, v6
	;; [unrolled: 1-line block ×4, first 2 shown]
	ds_read_b128 v[72:75], v67 offset:2368
	ds_read_b96 v[24:26], v67 offset:2384
	v_pk_mul_f32 v[6:7], v[86:87], v[60:61]
	v_mul_f32_e32 v89, v16, v51
	v_sub_f32_e32 v6, v88, v6
	v_sub_f32_e32 v91, v6, v7
	s_waitcnt lgkmcnt(1)
	v_fma_f32 v6, -v47, v72, v17
	v_fma_f32 v6, -v49, v73, v6
	;; [unrolled: 1-line block ×4, first 2 shown]
	v_pk_mul_f32 v[6:7], v[86:87], v[58:59]
	v_mov_b32_e32 v88, v87
	v_sub_f32_e32 v6, v56, v6
	v_sub_f32_e32 v56, v6, v7
	v_pk_mul_f32 v[6:7], v[86:87], v[76:77]
	v_mov_b32_e32 v44, 0x79c
	v_sub_f32_e32 v6, v35, v6
	v_sub_f32_e32 v35, v6, v7
	s_waitcnt lgkmcnt(0)
	v_fma_f32 v6, -v57, v24, v17
	v_fma_f32 v6, -v85, v25, v6
	;; [unrolled: 1-line block ×3, first 2 shown]
	v_pk_mul_f32 v[6:7], v[88:89], v[8:9]
	v_pk_mul_f32 v[14:15], v[88:89], v[14:15]
	v_sub_f32_e32 v6, v50, v6
	v_mov_b32_e32 v46, 0x7a4
	v_mov_b32_e32 v48, 0x6c4
	ds_read2_b32 v[62:63], v44 offset1:1
	ds_read2_b32 v[42:43], v46 offset1:1
	;; [unrolled: 1-line block ×3, first 2 shown]
	v_sub_f32_e32 v14, v52, v14
	v_sub_f32_e32 v52, v6, v7
	ds_read_b128 v[6:9], v67 offset:2464
	v_pk_mul_f32 v[16:17], v[88:89], v[18:19]
	v_sub_f32_e32 v94, v14, v15
	v_sub_f32_e32 v16, v54, v16
	;; [unrolled: 1-line block ×3, first 2 shown]
	ds_read_b128 v[14:17], v67 offset:2480
	s_waitcnt lgkmcnt(1)
	v_fma_f32 v6, -v40, v6, v38
	v_fma_f32 v6, -v41, v7, v6
	;; [unrolled: 1-line block ×3, first 2 shown]
	v_pk_mul_f32 v[18:19], v[88:89], v[70:71]
	v_fma_f32 v6, -v45, v9, v6
	ds_read_b128 v[68:71], v67 offset:2496
	s_waitcnt lgkmcnt(1)
	v_fma_f32 v6, -v47, v14, v6
	v_fma_f32 v6, -v49, v15, v6
	;; [unrolled: 1-line block ×4, first 2 shown]
	ds_read_b128 v[6:9], v67 offset:2512
	s_waitcnt lgkmcnt(1)
	v_fma_f32 v24, -v57, v68, v14
	ds_read_b128 v[14:17], v67 offset:2576
	v_fma_f32 v24, -v85, v69, v24
	v_fma_f32 v24, -v87, v70, v24
	;; [unrolled: 1-line block ×3, first 2 shown]
	ds_read_b128 v[68:71], v67 offset:2592
	s_waitcnt lgkmcnt(1)
	v_fma_f32 v14, -v40, v14, v39
	v_fma_f32 v14, -v41, v15, v14
	;; [unrolled: 1-line block ×4, first 2 shown]
	s_waitcnt lgkmcnt(0)
	v_fma_f32 v24, -v47, v68, v14
	ds_read_b128 v[14:17], v67 offset:2608
	v_fma_f32 v24, -v49, v69, v24
	v_fma_f32 v24, -v53, v70, v24
	;; [unrolled: 1-line block ×3, first 2 shown]
	ds_read_b128 v[68:71], v67 offset:2688
	ds_read_b96 v[24:26], v67 offset:2624
	s_waitcnt lgkmcnt(2)
	v_fma_f32 v14, -v57, v14, v38
	v_fma_f32 v14, -v85, v15, v14
	;; [unrolled: 1-line block ×4, first 2 shown]
	ds_read_b128 v[14:17], v67 offset:2704
	s_waitcnt lgkmcnt(2)
	v_fma_f32 v36, -v40, v68, v36
	v_fma_f32 v36, -v41, v69, v36
	;; [unrolled: 1-line block ×4, first 2 shown]
	ds_read_b128 v[68:71], v67 offset:2720
	ds_read_b128 v[72:75], v67 offset:2736
	s_waitcnt lgkmcnt(2)
	v_fma_f32 v14, -v47, v14, v36
	v_fma_f32 v14, -v49, v15, v14
	;; [unrolled: 1-line block ×4, first 2 shown]
	s_waitcnt lgkmcnt(1)
	v_fma_f32 v36, -v57, v68, v14
	ds_read_b128 v[14:17], v67 offset:2800
	v_fma_f32 v36, -v85, v69, v36
	v_fma_f32 v36, -v87, v70, v36
	;; [unrolled: 1-line block ×3, first 2 shown]
	ds_read_b128 v[68:71], v67 offset:2816
	s_waitcnt lgkmcnt(1)
	v_fma_f32 v14, -v40, v14, v37
	v_fma_f32 v14, -v41, v15, v14
	;; [unrolled: 1-line block ×4, first 2 shown]
	ds_read2_b32 v[58:59], v64 offset0:216 offset1:244
	s_waitcnt lgkmcnt(1)
	v_fma_f32 v36, -v47, v68, v14
	ds_read_b128 v[14:17], v67 offset:2912
	v_fma_f32 v36, -v49, v69, v36
	v_fma_f32 v36, -v53, v70, v36
	;; [unrolled: 1-line block ×3, first 2 shown]
	ds_read_b128 v[68:71], v67 offset:3024
	ds_read_b128 v[36:39], v67 offset:2928
	s_waitcnt lgkmcnt(2)
	v_fma_f32 v14, -v40, v14, v58
	v_fma_f32 v14, -v41, v15, v14
	;; [unrolled: 1-line block ×4, first 2 shown]
	v_sub_f32_e32 v14, v78, v18
	v_mov_b32_e32 v46, 0x5dc
	v_sub_f32_e32 v98, v14, v19
	ds_read_b96 v[14:16], v67 offset:3008
	s_waitcnt lgkmcnt(2)
	v_fma_f32 v18, -v40, v68, v59
	ds_write2_b32 v1, v40, v41 offset1:28
	v_mov_b32_e32 v48, 0x6bc
	v_fma_f32 v50, -v41, v69, v18
	ds_read2_b32 v[18:19], v46 offset1:1
	ds_read2_b32 v[40:41], v48 offset1:1
	ds_write2_b32 v1, v31, v45 offset0:56 offset1:84
	ds_write2_b32 v1, v47, v49 offset0:112 offset1:140
	;; [unrolled: 1-line block ×3, first 2 shown]
	ds_read_b128 v[76:79], v67 offset:3040
	ds_read_b128 v[80:83], v67 offset:3056
	v_fma_f32 v31, -v31, v70, v50
	v_fma_f32 v31, -v45, v71, v31
	ds_read_b128 v[68:71], v67 offset:2832
	s_waitcnt lgkmcnt(2)
	v_fma_f32 v31, -v47, v76, v31
	v_fma_f32 v31, -v49, v77, v31
	v_fma_f32 v17, -v47, v36, v17
	v_fma_f32 v31, -v53, v78, v31
	ds_read_b96 v[76:78], v67 offset:2848
	s_waitcnt lgkmcnt(1)
	v_fma_f32 v48, -v57, v68, v44
	ds_read_b128 v[44:47], v67 offset:2944
	v_fma_f32 v17, -v49, v37, v17
	v_fma_f32 v17, -v53, v38, v17
	v_fma_f32 v48, -v85, v69, v48
	v_fma_f32 v17, -v55, v39, v17
	v_fma_f32 v48, -v87, v70, v48
	v_fma_f32 v53, -v89, v71, v48
	ds_read_b128 v[48:51], v67 offset:2960
	s_waitcnt lgkmcnt(1)
	v_fma_f32 v17, -v57, v44, v17
	v_fma_f32 v17, -v85, v45, v17
	;; [unrolled: 1-line block ×3, first 2 shown]
	ds_read_b128 v[36:39], v67 offset:2272
	v_fma_f32 v17, -v89, v47, v17
	ds_read_b128 v[44:47], v67 offset:2288
	ds_read2_b32 v[58:59], v27 offset0:92 offset1:121
	ds_read2_b32 v[68:69], v27 offset0:179 offset1:208
	v_mov_b32_e32 v70, v89
	s_waitcnt lgkmcnt(3)
	v_fma_f32 v36, -v57, v36, v90
	v_fma_f32 v31, -v55, v79, v31
	s_waitcnt lgkmcnt(1)
	v_mul_f32_e32 v71, v52, v58
	v_pk_mul_f32 v[18:19], v[70:71], v[18:19]
	v_fma_f32 v55, -v85, v37, v36
	v_sub_f32_e32 v18, v84, v18
	v_sub_f32_e32 v58, v18, v19
	v_mov_b32_e32 v18, 0x87c
	v_pk_mul_f32 v[36:37], v[88:89], v[38:39]
	ds_read2_b32 v[18:19], v18 offset1:1
	v_sub_f32_e32 v27, v55, v36
	v_sub_f32_e32 v27, v27, v37
	v_pk_mul_f32 v[36:37], v[70:71], v[40:41]
	v_mov_b32_e32 v39, 0x884
	v_sub_f32_e32 v36, v91, v36
	v_mov_b32_e32 v38, 0x7ac
	v_sub_f32_e32 v79, v36, v37
	v_mov_b32_e32 v40, 0x95c
	v_pk_mul_f32 v[36:37], v[70:71], v[62:63]
	v_mov_b32_e32 v62, v25
	v_fma_f32 v88, -v71, v24, v54
	ds_read2_b32 v[90:91], v39 offset1:1
	ds_read2_b32 v[24:25], v40 offset1:1
	;; [unrolled: 1-line block ×3, first 2 shown]
	s_waitcnt lgkmcnt(3)
	v_pk_mul_f32 v[18:19], v[70:71], v[18:19]
	s_movk_i32 s7, 0x600
	v_sub_f32_e32 v18, v35, v18
	v_sub_f32_e32 v35, v18, v19
	v_add_u32_e64 v18, s7, 0
	ds_read2_b32 v[40:41], v18 offset0:109 offset1:167
	s_waitcnt lgkmcnt(2)
	v_pk_mul_f32 v[18:19], v[70:71], v[24:25]
	s_movk_i32 s16, 0x800
	v_sub_f32_e32 v18, v86, v18
	v_sub_f32_e32 v36, v56, v36
	;; [unrolled: 1-line block ×3, first 2 shown]
	v_add_u32_e64 v18, s16, 0
	v_fma_f32 v19, -v57, v80, v31
	v_sub_f32_e32 v84, v36, v37
	ds_read2_b32 v[38:39], v18 offset0:68 offset1:97
	ds_read2_b32 v[36:37], v18 offset0:155 offset1:184
	v_fma_f32 v18, -v85, v81, v19
	s_movk_i32 s7, 0xa00
	ds_write2_b32 v1, v57, v85 offset0:224 offset1:252
	ds_write2_b32 v66, v87, v89 offset0:24 offset1:52
	v_fma_f32 v18, -v87, v82, v18
	v_add_u32_e64 v19, s7, 0
	v_fma_f32 v76, -v71, v76, v53
	v_fma_f32 v56, -v89, v83, v18
	ds_read_b128 v[52:55], v67 offset:3072
	ds_read2_b32 v[18:19], v19 offset0:85 offset1:143
	v_fma_f32 v17, -v71, v48, v17
	v_mul_f32_e32 v57, v58, v59
	v_mov_b32_e32 v63, v26
	s_waitcnt lgkmcnt(1)
	v_fma_f32 v48, -v71, v52, v56
	v_mov_b32_e32 v56, v71
	v_pk_mul_f32 v[2:3], v[56:57], v[2:3]
	v_pk_mul_f32 v[28:29], v[56:57], v[28:29]
	v_sub_f32_e32 v2, v95, v2
	v_sub_f32_e32 v58, v2, v3
	v_pk_mul_f32 v[2:3], v[56:57], v[20:21]
	ds_read_b96 v[24:26], v67 offset:3088
	v_sub_f32_e32 v2, v98, v2
	v_sub_f32_e32 v80, v2, v3
	v_pk_mul_f32 v[2:3], v[56:57], v[44:45]
	v_sub_f32_e32 v28, v94, v28
	v_sub_f32_e32 v2, v27, v2
	;; [unrolled: 1-line block ×3, first 2 shown]
	v_pk_mul_f32 v[2:3], v[56:57], v[6:7]
	v_sub_f32_e32 v28, v28, v29
	v_sub_f32_e32 v2, v96, v2
	;; [unrolled: 1-line block ×3, first 2 shown]
	v_mul_f32_e32 v3, v28, v30
	v_mov_b32_e32 v2, v57
	v_pk_mul_f32 v[6:7], v[2:3], v[60:61]
	v_mov_b32_e32 v31, 0x88c
	v_mov_b32_e32 v70, 0x964
	ds_write2_b32 v66, v71, v57 offset0:80 offset1:108
	v_sub_f32_e32 v6, v79, v6
	v_fma_f32 v72, -v71, v72, v97
	s_waitcnt lgkmcnt(1)
	v_mov_b32_e32 v20, v25
	v_mov_b32_e32 v21, v26
	;; [unrolled: 1-line block ×4, first 2 shown]
	v_fma_f32 v56, -v57, v53, v48
	v_sub_f32_e32 v44, v6, v7
	ds_read2_b32 v[52:53], v31 offset1:1
	ds_read2_b32 v[6:7], v70 offset1:1
	;; [unrolled: 1-line block ×4, first 2 shown]
	v_pk_mul_f32 v[26:27], v[2:3], v[42:43]
	v_fma_f32 v28, -v57, v77, v76
	v_sub_f32_e32 v25, v84, v26
	s_waitcnt lgkmcnt(2)
	v_pk_mul_f32 v[6:7], v[2:3], v[6:7]
	v_sub_f32_e32 v25, v25, v27
	v_pk_mul_f32 v[26:27], v[2:3], v[90:91]
	v_sub_f32_e32 v6, v86, v6
	v_sub_f32_e32 v26, v35, v26
	;; [unrolled: 1-line block ×3, first 2 shown]
	v_pk_mul_f32 v[6:7], v[2:3], v[62:63]
	v_mov_b32_e32 v29, 0xc1c
	v_mov_b32_e32 v30, 0xc24
	v_sub_f32_e32 v35, v26, v27
	v_mov_b32_e32 v26, 0xc2c
	v_mov_b32_e32 v45, 0xb4c
	v_sub_f32_e32 v2, v88, v6
	v_mul_f32_e32 v63, v44, v68
	v_mov_b32_e32 v62, v3
	v_fma_f32 v87, -v3, v78, v28
	ds_read2_b32 v[42:43], v29 offset1:1
	ds_read2_b32 v[30:31], v30 offset1:1
	;; [unrolled: 1-line block ×4, first 2 shown]
	v_mov_b32_e32 v45, 0xa64
	v_sub_f32_e32 v88, v2, v7
	v_mov_b32_e32 v2, 0xb44
	v_pk_mul_f32 v[4:5], v[62:63], v[4:5]
	v_fma_f32 v83, -v57, v73, v72
	v_fma_f32 v17, -v57, v49, v17
	v_pk_mul_f32 v[72:73], v[62:63], v[74:75]
	v_mov_b32_e32 v6, 0x97c
	v_mov_b32_e32 v7, 0xa5c
	v_pk_mul_f32 v[74:75], v[62:63], v[8:9]
	v_pk_mul_f32 v[48:49], v[62:63], v[46:47]
	ds_read2_b32 v[46:47], v45 offset1:1
	ds_read2_b32 v[44:45], v2 offset1:1
	ds_read2_b32 v[76:77], v6 offset1:1
	ds_read2_b32 v[78:79], v7 offset1:1
	v_sub_f32_e32 v2, v58, v4
	v_fma_f32 v17, -v3, v50, v17
	v_fma_f32 v54, -v3, v54, v56
	ds_write2_b32 v66, v3, v63 offset0:136 offset1:164
	v_sub_f32_e32 v68, v2, v5
	v_pk_mul_f32 v[2:3], v[62:63], v[22:23]
	v_sub_f32_e32 v22, v82, v74
	v_mov_b32_e32 v9, 0xb3c
	v_sub_f32_e32 v4, v81, v48
	v_sub_f32_e32 v2, v80, v2
	;; [unrolled: 1-line block ×3, first 2 shown]
	v_mov_b32_e32 v74, 0xa4c
	v_sub_f32_e32 v22, v83, v72
	v_mov_b32_e32 v75, 0xa54
	ds_read_b96 v[6:8], v67 offset:2544
	ds_read_b128 v[56:59], v67 offset:2528
	v_sub_f32_e32 v89, v2, v3
	v_sub_f32_e32 v90, v4, v49
	v_fma_f32 v17, -v63, v51, v17
	ds_read_b128 v[2:5], v67 offset:2992
	ds_read_b128 v[48:51], v67 offset:2976
	v_mov_b32_e32 v62, 0x974
	v_sub_f32_e32 v94, v22, v73
	v_fma_f32 v95, -v63, v55, v54
	ds_read2_b32 v[22:23], v9 offset1:1
	ds_read2_b32 v[72:73], v62 offset1:1
	;; [unrolled: 1-line block ×4, first 2 shown]
	v_mov_b32_e32 v9, 0xb2c
	ds_read2_b32 v[80:81], v9 offset1:1
	v_mul_f32_e32 v69, v68, v69
	v_mov_b32_e32 v68, v63
	v_pk_mul_f32 v[62:63], v[68:69], v[92:93]
	v_mov_b32_e32 v9, 0xb34
	v_sub_f32_e32 v25, v25, v62
	v_mov_b32_e32 v62, 0xc34
	v_sub_f32_e32 v25, v25, v63
	ds_read2_b32 v[82:83], v9 offset1:1
	ds_read2_b32 v[84:85], v62 offset1:1
	s_waitcnt lgkmcnt(2)
	v_pk_mul_f32 v[62:63], v[68:69], v[80:81]
	v_pk_mul_f32 v[54:55], v[68:69], v[54:55]
	;; [unrolled: 1-line block ×4, first 2 shown]
	v_sub_f32_e32 v9, v87, v62
	v_sub_f32_e32 v54, v88, v54
	;; [unrolled: 1-line block ×8, first 2 shown]
	ds_read_b128 v[52:55], v67 offset:2768
	ds_read_b128 v[60:63], v67 offset:2752
	v_mul_f32_e32 v81, v25, v40
	v_mov_b32_e32 v80, v69
	v_pk_mul_f32 v[32:33], v[80:81], v[32:33]
	v_fma_f32 v67, -v69, v24, v95
	v_sub_f32_e32 v32, v89, v32
	v_sub_f32_e32 v35, v32, v33
	v_mul_f32_e32 v35, v35, v34
	v_mov_b32_e32 v34, v81
	v_pk_mul_f32 v[24:25], v[80:81], v[48:49]
	s_waitcnt lgkmcnt(0)
	v_pk_mul_f32 v[48:49], v[80:81], v[60:61]
	v_pk_mul_f32 v[32:33], v[80:81], v[56:57]
	v_pk_mul_f32 v[56:57], v[34:35], v[70:71]
	v_sub_f32_e32 v17, v17, v24
	v_sub_f32_e32 v24, v94, v48
	;; [unrolled: 1-line block ×3, first 2 shown]
	v_pk_mul_f32 v[10:11], v[80:81], v[10:11]
	v_sub_f32_e32 v61, v24, v49
	v_sub_f32_e32 v24, v40, v57
	v_sub_f32_e32 v10, v90, v10
	v_sub_f32_e32 v17, v17, v25
	v_mul_f32_e32 v25, v24, v41
	v_mov_b32_e32 v24, v35
	v_sub_f32_e32 v56, v10, v11
	v_pk_mul_f32 v[12:13], v[24:25], v[12:13]
	v_sub_f32_e32 v32, v91, v32
	v_sub_f32_e32 v12, v56, v12
	v_pk_mul_f32 v[10:11], v[34:35], v[72:73]
	v_sub_f32_e32 v60, v32, v33
	v_pk_mul_f32 v[32:33], v[34:35], v[74:75]
	v_pk_mul_f32 v[20:21], v[34:35], v[20:21]
	v_sub_f32_e32 v12, v12, v13
	v_sub_f32_e32 v10, v86, v10
	;; [unrolled: 1-line block ×3, first 2 shown]
	v_pk_mul_f32 v[48:49], v[34:35], v[82:83]
	v_sub_f32_e32 v20, v67, v20
	v_mul_f32_e32 v13, v12, v38
	v_mov_b32_e32 v12, v25
	v_sub_f32_e32 v9, v9, v48
	v_sub_f32_e32 v48, v10, v11
	v_pk_mul_f32 v[10:11], v[24:25], v[58:59]
	v_sub_f32_e32 v56, v32, v33
	v_pk_mul_f32 v[32:33], v[24:25], v[62:63]
	v_pk_mul_f32 v[40:41], v[24:25], v[50:51]
	v_sub_f32_e32 v24, v20, v21
	v_pk_mul_f32 v[20:21], v[12:13], v[76:77]
	v_sub_f32_e32 v10, v60, v10
	v_sub_f32_e32 v20, v48, v20
	;; [unrolled: 1-line block ×3, first 2 shown]
	ds_write2_b32 v65, v35, v25 offset0:120 offset1:148
	v_sub_f32_e32 v25, v10, v11
	v_pk_mul_f32 v[10:11], v[12:13], v[78:79]
	v_mul_f32_e32 v21, v20, v39
	v_mov_b32_e32 v20, v13
	v_sub_f32_e32 v32, v61, v32
	v_sub_f32_e32 v9, v9, v49
	;; [unrolled: 1-line block ×3, first 2 shown]
	v_pk_mul_f32 v[22:23], v[12:13], v[22:23]
	v_pk_mul_f32 v[6:7], v[20:21], v[6:7]
	v_sub_f32_e32 v32, v32, v33
	v_sub_f32_e32 v9, v9, v22
	;; [unrolled: 1-line block ×4, first 2 shown]
	v_pk_mul_f32 v[10:11], v[20:21], v[52:53]
	v_sub_f32_e32 v6, v6, v7
	v_sub_f32_e32 v10, v32, v10
	;; [unrolled: 1-line block ×3, first 2 shown]
	v_pk_mul_f32 v[22:23], v[12:13], v[42:43]
	v_sub_f32_e32 v17, v17, v40
	v_sub_f32_e32 v9, v24, v22
	v_mul_f32_e32 v7, v6, v8
	v_mov_b32_e32 v6, v21
	v_sub_f32_e32 v17, v17, v41
	v_pk_mul_f32 v[2:3], v[20:21], v[2:3]
	v_sub_f32_e32 v12, v9, v23
	v_pk_mul_f32 v[8:9], v[6:7], v[46:47]
	v_sub_f32_e32 v2, v17, v2
	v_sub_f32_e32 v8, v25, v8
	;; [unrolled: 1-line block ×4, first 2 shown]
	ds_write2_b32 v64, v13, v21 offset0:48 offset1:76
	v_sub_f32_e32 v13, v10, v11
	v_pk_mul_f32 v[10:11], v[6:7], v[44:45]
	v_mul_f32_e32 v3, v2, v36
	v_mov_b32_e32 v2, v7
	v_sub_f32_e32 v10, v32, v10
	v_pk_mul_f32 v[8:9], v[2:3], v[54:55]
	v_pk_mul_f32 v[4:5], v[2:3], v[4:5]
	v_sub_f32_e32 v8, v13, v8
	v_sub_f32_e32 v13, v10, v11
	v_pk_mul_f32 v[10:11], v[6:7], v[30:31]
	ds_write2_b32 v64, v7, v3 offset0:104 offset1:132
	v_sub_f32_e32 v2, v12, v10
	v_sub_f32_e32 v10, v2, v11
	;; [unrolled: 1-line block ×3, first 2 shown]
	v_mul_f32_e32 v7, v2, v37
	v_mov_b32_e32 v6, v3
	v_pk_mul_f32 v[2:3], v[6:7], v[28:29]
	v_sub_f32_e32 v4, v17, v4
	v_sub_f32_e32 v2, v13, v2
	;; [unrolled: 1-line block ×3, first 2 shown]
	v_mul_f32_e32 v3, v2, v18
	v_mov_b32_e32 v2, v7
	v_sub_f32_e32 v8, v4, v5
	v_pk_mul_f32 v[4:5], v[2:3], v[14:15]
	ds_write2_b32 v64, v7, v3 offset0:160 offset1:188
	v_sub_f32_e32 v2, v8, v4
	v_pk_mul_f32 v[8:9], v[6:7], v[26:27]
	v_sub_f32_e32 v2, v2, v5
	v_sub_f32_e32 v4, v10, v8
	;; [unrolled: 1-line block ×3, first 2 shown]
	v_mul_f32_e32 v5, v2, v16
	v_mov_b32_e32 v4, v3
	v_pk_mul_f32 v[2:3], v[4:5], v[84:85]
	s_mov_b32 s7, 28
	v_sub_f32_e32 v2, v6, v2
	v_sub_f32_e32 v2, v2, v3
	v_mul_f32_e32 v2, v2, v19
	ds_write2_b32 v66, v69, v81 offset0:192 offset1:220
	ds_write2_b32 v64, v5, v2 offset0:216 offset1:244
.LBB31_22:
	s_cmp_lt_i32 s7, s26
	s_cbranch_scc0 .LBB31_33
; %bb.23:
	s_add_i32 s16, s7, 23
	s_cmp_ge_u32 s16, s26
	s_cbranch_scc1 .LBB31_28
; %bb.24:
	s_mul_i32 s16, s7, 0x70
	v_add_u32_e32 v25, s16, v1
	ds_read2_b32 v[40:41], v25 offset1:28
	ds_read2_b32 v[26:27], v25 offset0:56 offset1:84
	ds_read2_b32 v[18:19], v25 offset0:112 offset1:140
	;; [unrolled: 1-line block ×4, first 2 shown]
	v_add_u32_e32 v2, 0x400, v25
	ds_read2_b32 v[38:39], v2 offset0:24 offset1:52
	ds_read2_b32 v[16:17], v2 offset0:80 offset1:108
	;; [unrolled: 1-line block ×4, first 2 shown]
	v_add_u32_e32 v2, 0x600, v25
	ds_read2_b32 v[34:35], v2 offset0:120 offset1:148
	v_add_u32_e32 v2, 0x800, v25
	ds_read2_b32 v[32:33], v2 offset0:48 offset1:76
	ds_read2_b32 v[30:31], v2 offset0:104 offset1:132
	s_andn2_b64 vcc, exec, s[4:5]
	s_cbranch_vccnz .LBB31_27
; %bb.25:
	v_mov_b32_e32 v2, 0xc40
	v_lshl_add_u32 v2, v0, 2, v2
	s_mov_b32 s4, s7
	s_mov_b32 s5, s16
.LBB31_26:                              ; =>This Inner Loop Header: Depth=1
	v_mov_b32_e32 v3, s5
	v_add_u32_e32 v22, 0x400, v3
	ds_read2_b32 v[8:9], v2 offset1:28
	ds_read2_b64 v[4:7], v3 offset1:14
	ds_read2_b64 v[12:15], v3 offset0:28 offset1:42
	ds_read2_b64 v[42:45], v3 offset0:56 offset1:70
	;; [unrolled: 1-line block ×8, first 2 shown]
	v_add_u32_e32 v3, 0x800, v3
	ds_read2_b64 v[70:73], v22 offset0:124 offset1:138
	ds_read2_b64 v[74:77], v3 offset0:24 offset1:38
	;; [unrolled: 1-line block ×3, first 2 shown]
	s_waitcnt lgkmcnt(11)
	v_mov_b32_e32 v82, v4
	v_mov_b32_e32 v83, v6
	s_waitcnt lgkmcnt(10)
	v_mov_b32_e32 v84, v12
	v_mov_b32_e32 v85, v14
	;; [unrolled: 3-line block ×7, first 2 shown]
	v_pk_fma_f32 v[40:41], v[8:9], v[82:83], v[40:41] op_sel_hi:[0,1,1] neg_lo:[1,0,0] neg_hi:[1,0,0]
	s_waitcnt lgkmcnt(4)
	v_mov_b32_e32 v82, v62
	v_mov_b32_e32 v83, v64
	v_pk_fma_f32 v[26:27], v[8:9], v[84:85], v[26:27] op_sel_hi:[0,1,1] neg_lo:[1,0,0] neg_hi:[1,0,0]
	s_waitcnt lgkmcnt(3)
	v_mov_b32_e32 v84, v66
	v_mov_b32_e32 v85, v68
	;; [unrolled: 1-line block ×5, first 2 shown]
	v_pk_fma_f32 v[4:5], v[8:9], v[86:87], v[18:19] op_sel_hi:[0,1,1] neg_lo:[1,0,0] neg_hi:[1,0,0]
	v_pk_fma_f32 v[12:13], v[8:9], v[88:89], v[20:21] op_sel_hi:[0,1,1] neg_lo:[1,0,0] neg_hi:[1,0,0]
	s_waitcnt lgkmcnt(2)
	v_mov_b32_e32 v18, v70
	v_mov_b32_e32 v19, v72
	s_waitcnt lgkmcnt(1)
	v_mov_b32_e32 v20, v74
	v_mov_b32_e32 v21, v76
	;; [unrolled: 3-line block ×3, first 2 shown]
	s_add_i32 s5, s5, 8
	s_add_i32 s4, s4, -2
	v_mov_b32_e32 v22, v9
	v_mov_b32_e32 v48, v47
	;; [unrolled: 1-line block ×7, first 2 shown]
	v_pk_fma_f32 v[10:11], v[8:9], v[90:91], v[10:11] op_sel_hi:[0,1,1] neg_lo:[1,0,0] neg_hi:[1,0,0]
	v_pk_fma_f32 v[38:39], v[8:9], v[92:93], v[38:39] op_sel_hi:[0,1,1] neg_lo:[1,0,0] neg_hi:[1,0,0]
	;; [unrolled: 1-line block ×5, first 2 shown]
	v_mov_b32_e32 v72, v71
	v_mov_b32_e32 v76, v75
	;; [unrolled: 1-line block ×3, first 2 shown]
	v_pk_fma_f32 v[34:35], v[8:9], v[18:19], v[34:35] op_sel_hi:[0,1,1] neg_lo:[1,0,0] neg_hi:[1,0,0]
	v_pk_fma_f32 v[32:33], v[8:9], v[20:21], v[32:33] op_sel_hi:[0,1,1] neg_lo:[1,0,0] neg_hi:[1,0,0]
	;; [unrolled: 1-line block ×3, first 2 shown]
	v_add_u32_e32 v2, 0xe0, v2
	s_cmp_lg_u32 s4, 0
	v_pk_fma_f32 v[40:41], v[22:23], v[6:7], v[40:41] op_sel_hi:[0,1,1] neg_lo:[1,0,0] neg_hi:[1,0,0]
	v_pk_fma_f32 v[26:27], v[22:23], v[14:15], v[26:27] op_sel_hi:[0,1,1] neg_lo:[1,0,0] neg_hi:[1,0,0]
	;; [unrolled: 1-line block ×12, first 2 shown]
	s_cbranch_scc1 .LBB31_26
.LBB31_27:
	s_lshl_b32 s4, s7, 2
	s_add_i32 s5, s4, s16
	s_add_i32 s24, s16, 0x70
	v_mov_b32_e32 v70, s5
	s_add_i32 s5, s4, s24
	s_add_i32 s25, s16, 0xe0
	v_mov_b32_e32 v2, s5
	;; [unrolled: 3-line block ×3, first 2 shown]
	s_add_i32 s5, s4, s27
	s_add_i32 s28, s16, 0x1c0
	ds_read2_b32 v[52:53], v70 offset1:116
	ds_read_b64 v[50:51], v2
	ds_read_b96 v[46:48], v3
	v_mov_b32_e32 v2, s5
	s_add_i32 s5, s4, s28
	s_add_i32 s29, s16, 0x230
	ds_read_b128 v[12:15], v2
	v_mov_b32_e32 v2, s5
	s_add_i32 s5, s4, s29
	v_mov_b32_e32 v6, s5
	ds_read_b96 v[42:44], v6
	ds_read_b128 v[2:5], v2
	s_add_i32 s31, s16, 0x2a0
	s_add_i32 s5, s4, s31
	;; [unrolled: 1-line block ×5, first 2 shown]
	v_mov_b32_e32 v7, s5
	s_add_i32 s5, s4, s18
	ds_read2_b32 v[82:83], v6 offset0:3 offset1:4
	v_mov_b32_e32 v6, s17
	v_mov_b32_e32 v72, s5
	s_waitcnt lgkmcnt(2)
	v_mov_b32_e32 v85, v44
	ds_read2_b32 v[44:45], v70 offset0:145 offset1:203
	ds_read_b96 v[56:58], v6
	ds_read_b128 v[60:63], v7
	ds_read_b96 v[22:24], v7 offset:16
	ds_read2_b32 v[86:87], v6 offset0:3 offset1:4
	ds_read_b96 v[76:78], v72
	ds_read2_b32 v[54:55], v6 offset0:5 offset1:6
	s_add_i32 s17, s16, 0x460
	s_add_i32 s5, s4, s17
	v_mov_b32_e32 v73, s5
	s_add_i32 s5, s16, 0x4d0
	s_add_i32 s19, s4, s5
	v_mov_b32_e32 v74, s19
	s_waitcnt lgkmcnt(1)
	v_mov_b32_e32 v91, v78
	ds_read_b96 v[78:80], v74
	ds_read_b128 v[64:67], v73
	ds_read_b128 v[6:9], v73 offset:16
	v_mul_f32_e32 v40, v40, v52
	v_mov_b32_e32 v68, v13
	s_add_i32 s21, s16, 0x380
	v_fma_f32 v13, -v40, v50, v41
	s_add_i32 s30, s4, s21
	v_mul_f32_e32 v41, v13, v51
	v_mov_b32_e32 v69, v14
	v_fma_f32 v14, -v40, v42, v19
	v_mov_b32_e32 v52, s30
	v_fma_f32 v19, -v40, v12, v27
	s_waitcnt lgkmcnt(1)
	v_pk_mul_f32 v[12:13], v[40:41], v[64:65]
	v_mov_b32_e32 v89, v58
	s_add_i32 s19, s16, 0x540
	v_fma_f32 v27, -v40, v76, v11
	v_fma_f32 v50, -v40, v78, v39
	v_sub_f32_e32 v11, v38, v12
	v_pk_mul_f32 v[38:39], v[40:41], v[60:61]
	ds_read_b128 v[58:61], v52
	s_add_i32 s20, s4, s19
	v_mov_b32_e32 v71, s20
	s_add_i32 s20, s16, 0x5b0
	v_fma_f32 v49, -v40, v56, v21
	s_add_i32 s34, s4, s20
	v_sub_f32_e32 v12, v20, v38
	v_pk_mul_f32 v[20:21], v[40:41], v[46:47]
	v_pk_mul_f32 v[2:3], v[40:41], v[2:3]
	v_sub_f32_e32 v20, v26, v20
	v_sub_f32_e32 v2, v18, v2
	v_mov_b32_e32 v56, s34
	v_sub_f32_e32 v20, v20, v21
	v_sub_f32_e32 v75, v2, v3
	;; [unrolled: 1-line block ×3, first 2 shown]
	ds_read2_b32 v[38:39], v56 offset0:11 offset1:12
	s_waitcnt lgkmcnt(1)
	v_pk_mul_f32 v[2:3], v[40:41], v[58:59]
	v_mul_f32_e32 v47, v20, v48
	v_sub_f32_e32 v2, v10, v2
	v_mov_b32_e32 v46, v41
	v_sub_f32_e32 v92, v2, v3
	v_pk_mul_f32 v[2:3], v[46:47], v[68:69]
	v_mov_b32_e32 v90, v77
	v_sub_f32_e32 v93, v11, v13
	v_sub_f32_e32 v2, v19, v2
	ds_read_b128 v[18:21], v71
	ds_read_b128 v[10:13], v71 offset:16
	v_mov_b32_e32 v88, v57
	v_sub_f32_e32 v51, v2, v3
	v_pk_mul_f32 v[2:3], v[46:47], v[90:91]
	v_mov_b32_e32 v84, v43
	v_sub_f32_e32 v2, v27, v2
	v_pk_mul_f32 v[26:27], v[46:47], v[88:89]
	ds_read_b96 v[76:78], v56
	v_sub_f32_e32 v26, v49, v26
	v_pk_mul_f32 v[48:49], v[46:47], v[84:85]
	v_mov_b32_e32 v42, v79
	v_mov_b32_e32 v43, v80
	v_sub_f32_e32 v14, v14, v48
	v_sub_f32_e32 v84, v2, v3
	s_waitcnt lgkmcnt(2)
	v_fma_f32 v2, -v40, v18, v16
	v_sub_f32_e32 v68, v14, v49
	v_fma_f32 v14, -v41, v19, v2
	v_pk_mul_f32 v[2:3], v[46:47], v[42:43]
	v_mul_f32_e32 v51, v51, v15
	v_sub_f32_e32 v2, v50, v2
	v_sub_f32_e32 v79, v2, v3
	s_waitcnt lgkmcnt(0)
	v_fma_f32 v2, -v40, v76, v17
	v_mov_b32_e32 v50, v47
	v_fma_f32 v2, -v41, v77, v2
	v_fma_f32 v80, -v47, v78, v2
	v_pk_mul_f32 v[2:3], v[50:51], v[62:63]
	v_pk_mul_f32 v[4:5], v[50:51], v[4:5]
	s_add_i32 s30, s16, 0x620
	v_pk_mul_f32 v[18:19], v[50:51], v[20:21]
	v_sub_f32_e32 v2, v81, v2
	v_sub_f32_e32 v4, v75, v4
	s_add_i32 s34, s4, s30
	v_sub_f32_e32 v69, v26, v27
	ds_read2_b32 v[26:27], v56 offset0:3 offset1:4
	ds_read2_b32 v[58:59], v56 offset0:5 offset1:6
	ds_read2_b32 v[48:49], v56 offset0:7 offset1:8
	ds_read2_b32 v[42:43], v56 offset0:9 offset1:10
	ds_read2_b32 v[56:57], v72 offset0:3 offset1:4
	v_pk_mul_f32 v[64:65], v[50:51], v[60:61]
	ds_read2_b32 v[60:61], v74 offset0:3 offset1:4
	v_sub_f32_e32 v18, v14, v18
	v_sub_f32_e32 v62, v4, v5
	;; [unrolled: 1-line block ×3, first 2 shown]
	v_mov_b32_e32 v78, s34
	ds_read_b128 v[14:17], v52 offset:16
	ds_read_b128 v[2:5], v78
	v_pk_mul_f32 v[20:21], v[50:51], v[66:67]
	v_sub_f32_e32 v50, v92, v64
	v_mul_f32_e32 v53, v62, v53
	v_mov_b32_e32 v52, v51
	s_waitcnt lgkmcnt(0)
	v_fma_f32 v2, -v40, v2, v28
	s_add_i32 s34, s16, 0x690
	v_sub_f32_e32 v76, v50, v65
	v_fma_f32 v2, -v41, v3, v2
	v_pk_mul_f32 v[62:63], v[52:53], v[82:83]
	v_pk_mul_f32 v[64:65], v[52:53], v[86:87]
	v_pk_mul_f32 v[60:61], v[52:53], v[60:61]
	s_add_i32 s35, s4, s34
	v_sub_f32_e32 v20, v93, v20
	v_fma_f32 v2, -v47, v4, v2
	v_sub_f32_e32 v28, v68, v62
	v_sub_f32_e32 v62, v69, v64
	v_pk_mul_f32 v[66:67], v[52:53], v[56:57]
	v_sub_f32_e32 v60, v79, v60
	v_mov_b32_e32 v90, s35
	v_sub_f32_e32 v75, v20, v21
	v_sub_f32_e32 v50, v18, v19
	v_fma_f32 v77, -v51, v5, v2
	ds_read_b128 v[18:21], v78 offset:16
	ds_read_b128 v[2:5], v78 offset:32
	v_sub_f32_e32 v64, v84, v66
	ds_read2_b32 v[56:57], v74 offset0:7 offset1:8
	ds_read2_b32 v[68:69], v74 offset0:9 offset1:10
	;; [unrolled: 1-line block ×3, first 2 shown]
	v_sub_f32_e32 v74, v28, v63
	v_sub_f32_e32 v83, v62, v65
	;; [unrolled: 1-line block ×3, first 2 shown]
	ds_read_b128 v[60:63], v90
	s_add_i32 s35, s16, 0x700
	v_pk_mul_f32 v[26:27], v[52:53], v[26:27]
	s_add_i32 s36, s4, s35
	v_sub_f32_e32 v26, v80, v26
	v_mov_b32_e32 v91, s36
	v_sub_f32_e32 v88, v64, v67
	v_sub_f32_e32 v52, v26, v27
	ds_read_b96 v[80:82], v90 offset:16
	ds_read_b96 v[26:28], v78 offset:48
	ds_read_b128 v[64:67], v91
	s_waitcnt lgkmcnt(3)
	v_fma_f32 v29, -v40, v60, v29
	v_fma_f32 v29, -v41, v61, v29
	;; [unrolled: 1-line block ×4, first 2 shown]
	ds_read_b128 v[60:63], v91 offset:16
	s_waitcnt lgkmcnt(1)
	v_fma_f32 v36, -v40, v64, v36
	v_fma_f32 v36, -v41, v65, v36
	;; [unrolled: 1-line block ×4, first 2 shown]
	v_mul_f32_e32 v67, v74, v44
	v_mov_b32_e32 v66, v53
	v_pk_mul_f32 v[14:15], v[66:67], v[14:15]
	v_pk_mul_f32 v[6:7], v[66:67], v[6:7]
	v_sub_f32_e32 v14, v76, v14
	v_sub_f32_e32 v6, v75, v6
	;; [unrolled: 1-line block ×4, first 2 shown]
	v_pk_mul_f32 v[6:7], v[66:67], v[10:11]
	v_pk_mul_f32 v[22:23], v[66:67], v[22:23]
	v_sub_f32_e32 v6, v50, v6
	v_sub_f32_e32 v22, v46, v22
	;; [unrolled: 1-line block ×3, first 2 shown]
	v_pk_mul_f32 v[6:7], v[66:67], v[18:19]
	v_sub_f32_e32 v22, v22, v23
	v_sub_f32_e32 v6, v77, v6
	ds_read2_b32 v[78:79], v90 offset0:7 offset1:8
	ds_read_b96 v[64:66], v73 offset:32
	v_sub_f32_e32 v18, v6, v7
	v_mul_f32_e32 v73, v22, v24
	ds_read2_b32 v[74:75], v72 offset0:7 offset1:8
	ds_read2_b32 v[6:7], v72 offset0:5 offset1:6
	v_mov_b32_e32 v72, v67
	v_pk_mul_f32 v[10:11], v[72:73], v[54:55]
	v_add_u32_e32 v22, s27, v1
	v_sub_f32_e32 v10, v83, v10
	v_sub_f32_e32 v19, v10, v11
	v_add_u32_e32 v10, s24, v1
	s_add_i32 s24, s16, 0x770
	v_add_u32_e32 v11, s25, v1
	s_add_i32 s25, s4, s24
	v_fma_f32 v29, -v53, v80, v29
	ds_write_b32 v10, v41
	v_add_u32_e32 v10, s28, v1
	ds_write_b32 v11, v47
	v_add_u32_e32 v11, s29, v1
	;; [unrolled: 2-line block ×3, first 2 shown]
	s_waitcnt lgkmcnt(3)
	v_pk_mul_f32 v[6:7], v[72:73], v[6:7]
	v_mov_b32_e32 v80, s25
	ds_write_b32 v25, v40
	ds_write_b32 v10, v53
	;; [unrolled: 1-line block ×4, first 2 shown]
	v_fma_f32 v10, -v53, v60, v36
	v_sub_f32_e32 v6, v88, v6
	ds_read_b128 v[22:25], v80
	v_fma_f32 v36, -v67, v61, v10
	v_sub_f32_e32 v61, v6, v7
	v_pk_mul_f32 v[6:7], v[72:73], v[58:59]
	v_mov_b32_e32 v86, v81
	v_mov_b32_e32 v87, v82
	v_sub_f32_e32 v6, v52, v6
	v_sub_f32_e32 v77, v6, v7
	v_pk_mul_f32 v[6:7], v[72:73], v[86:87]
	ds_read_b96 v[58:60], v80 offset:16
	v_sub_f32_e32 v6, v29, v6
	v_sub_f32_e32 v29, v6, v7
	s_waitcnt lgkmcnt(1)
	v_fma_f32 v6, -v40, v22, v37
	v_fma_f32 v6, -v41, v23, v6
	;; [unrolled: 1-line block ×4, first 2 shown]
	s_waitcnt lgkmcnt(0)
	v_fma_f32 v6, -v53, v58, v6
	v_pk_mul_f32 v[10:11], v[72:73], v[84:85]
	v_fma_f32 v6, -v67, v59, v6
	v_mul_f32_e32 v55, v19, v45
	v_mov_b32_e32 v54, v73
	v_sub_f32_e32 v10, v89, v10
	v_fma_f32 v72, -v73, v60, v6
	v_pk_mul_f32 v[6:7], v[54:55], v[16:17]
	v_sub_f32_e32 v76, v10, v11
	v_sub_f32_e32 v6, v14, v6
	v_pk_mul_f32 v[10:11], v[54:55], v[12:13]
	s_add_i32 s25, s16, 0x7e0
	v_pk_mul_f32 v[8:9], v[54:55], v[8:9]
	v_sub_f32_e32 v10, v44, v10
	v_sub_f32_e32 v44, v6, v7
	v_pk_mul_f32 v[6:7], v[54:55], v[20:21]
	s_add_i32 s27, s4, s25
	v_sub_f32_e32 v8, v15, v8
	v_sub_f32_e32 v6, v18, v6
	v_mov_b32_e32 v84, s27
	v_sub_f32_e32 v81, v8, v9
	v_sub_f32_e32 v83, v6, v7
	ds_read_b128 v[6:9], v84
	v_add_u32_e32 v46, s33, v1
	v_sub_f32_e32 v82, v10, v11
	v_pk_mul_f32 v[10:11], v[54:55], v[62:63]
	ds_write_b32 v46, v55
	v_sub_f32_e32 v10, v36, v10
	v_sub_f32_e32 v85, v10, v11
	ds_read_b128 v[10:13], v84 offset:16
	ds_read2_b32 v[16:17], v80 offset0:15 offset1:16
	s_waitcnt lgkmcnt(3)
	v_fma_f32 v6, -v40, v6, v34
	v_fma_f32 v6, -v41, v7, v6
	s_add_i32 s27, s16, 0x850
	v_fma_f32 v6, -v47, v8, v6
	s_add_i32 s28, s4, s27
	v_fma_f32 v6, -v51, v9, v6
	v_mov_b32_e32 v86, s28
	ds_read_b128 v[18:21], v84 offset:32
	s_waitcnt lgkmcnt(2)
	v_fma_f32 v10, -v53, v10, v6
	ds_read_b128 v[6:9], v86
	v_fma_f32 v10, -v67, v11, v10
	v_fma_f32 v10, -v73, v12, v10
	v_fma_f32 v87, -v55, v13, v10
	ds_read_b128 v[10:13], v86 offset:16
	s_add_i32 s28, s16, 0x8c0
	s_waitcnt lgkmcnt(1)
	v_fma_f32 v6, -v40, v6, v35
	s_add_i32 s29, s4, s28
	v_fma_f32 v6, -v41, v7, v6
	v_mov_b32_e32 v54, s29
	s_add_i32 s29, s16, 0x930
	v_fma_f32 v6, -v47, v8, v6
	s_add_i32 s31, s4, s29
	v_fma_f32 v6, -v51, v9, v6
	v_mov_b32_e32 v89, s31
	ds_read_b128 v[22:25], v89
	s_waitcnt lgkmcnt(1)
	v_fma_f32 v10, -v53, v10, v6
	ds_read_b128 v[6:9], v54
	v_fma_f32 v10, -v67, v11, v10
	v_fma_f32 v10, -v73, v12, v10
	v_fma_f32 v88, -v55, v13, v10
	ds_read_b128 v[10:13], v54 offset:16
	s_waitcnt lgkmcnt(1)
	v_fma_f32 v6, -v40, v6, v32
	v_fma_f32 v6, -v41, v7, v6
	;; [unrolled: 1-line block ×4, first 2 shown]
	s_waitcnt lgkmcnt(0)
	v_fma_f32 v6, -v53, v10, v6
	v_fma_f32 v6, -v67, v11, v6
	;; [unrolled: 1-line block ×3, first 2 shown]
	s_add_i32 s31, s16, 0x9a0
	v_fma_f32 v6, -v73, v12, v6
	v_fma_f32 v14, -v41, v23, v14
	s_add_i32 s33, s4, s31
	v_fma_f32 v92, -v55, v13, v6
	ds_read_b128 v[10:13], v89 offset:16
	ds_read_b96 v[58:60], v89 offset:32
	ds_read_b128 v[6:9], v54 offset:64
	v_fma_f32 v14, -v47, v24, v14
	v_mov_b32_e32 v93, s33
	v_fma_f32 v14, -v51, v25, v14
	ds_read_b128 v[22:25], v93
	s_addk_i32 s16, 0xa10
	s_add_i32 s4, s4, s16
	s_waitcnt lgkmcnt(3)
	v_fma_f32 v10, -v53, v10, v14
	v_mov_b32_e32 v94, s4
	v_fma_f32 v10, -v67, v11, v10
	ds_read_b128 v[32:35], v94
	v_fma_f32 v10, -v73, v12, v10
	v_fma_f32 v13, -v55, v13, v10
	ds_read2_b32 v[14:15], v89 offset0:19 offset1:20
	s_waitcnt lgkmcnt(2)
	v_fma_f32 v10, -v40, v22, v30
	v_fma_f32 v10, -v41, v23, v10
	;; [unrolled: 1-line block ×4, first 2 shown]
	ds_read_b96 v[10:12], v93 offset:80
	s_waitcnt lgkmcnt(2)
	v_fma_f32 v22, -v40, v32, v31
	v_add_u32_e32 v50, 0x200, v70
	v_fma_f32 v30, -v41, v33, v22
	ds_read_b128 v[22:25], v93 offset:16
	ds_read2_b32 v[40:41], v50 offset0:104 offset1:133
	v_fma_f32 v30, -v47, v34, v30
	v_fma_f32 v45, -v51, v35, v30
	v_mov_b32_e32 v52, v55
	s_waitcnt lgkmcnt(1)
	v_fma_f32 v22, -v53, v22, v36
	ds_read_b128 v[34:37], v94 offset:16
	v_fma_f32 v22, -v67, v23, v22
	v_fma_f32 v22, -v73, v24, v22
	;; [unrolled: 1-line block ×3, first 2 shown]
	ds_read_b128 v[22:25], v94 offset:32
	s_waitcnt lgkmcnt(1)
	v_fma_f32 v34, -v53, v34, v45
	v_mul_f32_e32 v53, v44, v40
	v_pk_mul_f32 v[44:45], v[52:53], v[74:75]
	ds_read_b128 v[30:33], v93 offset:32
	v_sub_f32_e32 v40, v61, v44
	v_sub_f32_e32 v40, v40, v45
	ds_read2_b32 v[44:45], v80 offset0:7 offset1:8
	v_pk_mul_f32 v[46:47], v[52:53], v[56:57]
	v_fma_f32 v34, -v67, v35, v34
	v_sub_f32_e32 v46, v76, v46
	v_sub_f32_e32 v61, v46, v47
	v_pk_mul_f32 v[46:47], v[52:53], v[48:49]
	ds_read2_b32 v[56:57], v80 offset0:9 offset1:10
	ds_read2_b32 v[62:63], v80 offset0:11 offset1:12
	;; [unrolled: 1-line block ×3, first 2 shown]
	v_sub_f32_e32 v46, v77, v46
	ds_read_b96 v[48:50], v86 offset:32
	v_fma_f32 v34, -v73, v36, v34
	v_sub_f32_e32 v96, v46, v47
	v_pk_mul_f32 v[46:47], v[52:53], v[78:79]
	s_waitcnt lgkmcnt(4)
	v_pk_mul_f32 v[44:45], v[52:53], v[44:45]
	v_fma_f32 v52, -v55, v37, v34
	ds_read_b128 v[34:37], v54 offset:32
	v_sub_f32_e32 v29, v29, v46
	v_sub_f32_e32 v44, v72, v44
	;; [unrolled: 1-line block ×4, first 2 shown]
	ds_read_b128 v[44:47], v71 offset:32
	s_waitcnt lgkmcnt(2)
	v_fma_f32 v71, -v53, v48, v88
	v_add_u32_e32 v48, s21, v1
	v_mul_f32_e32 v41, v40, v41
	v_mov_b32_e32 v40, v53
	v_mov_b32_e32 v76, v49
	;; [unrolled: 1-line block ×3, first 2 shown]
	ds_write_b32 v48, v53
	ds_read_b128 v[48:51], v54 offset:48
	s_waitcnt lgkmcnt(3)
	v_fma_f32 v34, -v53, v34, v92
	v_fma_f32 v13, -v53, v58, v13
	;; [unrolled: 1-line block ×4, first 2 shown]
	v_pk_mul_f32 v[52:53], v[40:41], v[64:65]
	v_add_u32_e32 v58, 0x400, v70
	v_sub_f32_e32 v52, v81, v52
	v_sub_f32_e32 v52, v52, v53
	v_mul_f32_e32 v65, v52, v66
	ds_read2_b32 v[66:67], v58 offset0:63 offset1:92
	v_mov_b32_e32 v64, v41
	v_fma_f32 v52, -v41, v31, v30
	v_pk_mul_f32 v[30:31], v[64:65], v[68:69]
	v_pk_mul_f32 v[2:3], v[40:41], v[2:3]
	v_sub_f32_e32 v30, v61, v30
	v_sub_f32_e32 v30, v30, v31
	v_fma_f32 v31, -v65, v32, v52
	s_waitcnt lgkmcnt(0)
	v_mul_f32_e32 v61, v30, v66
	v_fma_f32 v79, -v61, v33, v31
	ds_read_b128 v[30:33], v91 offset:32
	ds_read_b128 v[52:55], v91 offset:48
	v_sub_f32_e32 v2, v83, v2
	v_sub_f32_e32 v80, v2, v3
	v_pk_mul_f32 v[44:45], v[40:41], v[44:45]
	s_waitcnt lgkmcnt(1)
	v_pk_mul_f32 v[2:3], v[40:41], v[30:31]
	v_sub_f32_e32 v44, v82, v44
	v_sub_f32_e32 v2, v85, v2
	;; [unrolled: 1-line block ×3, first 2 shown]
	v_pk_mul_f32 v[2:3], v[40:41], v[18:19]
	ds_read2_b32 v[72:73], v86 offset0:11 offset1:12
	v_sub_f32_e32 v2, v87, v2
	v_sub_f32_e32 v82, v2, v3
	v_add_u32_e32 v2, s18, v1
	ds_write_b32 v2, v41
	ds_read2_b32 v[2:3], v90 offset0:9 offset1:10
	v_pk_mul_f32 v[18:19], v[64:65], v[42:43]
	v_fma_f32 v13, -v41, v59, v13
	v_sub_f32_e32 v18, v96, v18
	v_sub_f32_e32 v85, v18, v19
	s_waitcnt lgkmcnt(0)
	v_pk_mul_f32 v[2:3], v[64:65], v[2:3]
	v_add_u32_e32 v18, s17, v1
	v_sub_f32_e32 v2, v29, v2
	v_sub_f32_e32 v29, v2, v3
	v_pk_mul_f32 v[2:3], v[64:65], v[56:57]
	v_fma_f32 v83, -v41, v35, v34
	v_fma_f32 v22, -v41, v23, v22
	ds_read2_b32 v[40:41], v90 offset0:11 offset1:12
	ds_read2_b32 v[42:43], v90 offset0:13 offset1:14
	v_sub_f32_e32 v2, v78, v2
	v_fma_f32 v13, -v65, v60, v13
	ds_write_b32 v18, v65
	v_mov_b32_e32 v60, v65
	v_add_u32_e32 v18, 0x800, v70
	v_sub_f32_e32 v66, v44, v45
	v_sub_f32_e32 v78, v2, v3
	ds_read2_b32 v[44:45], v58 offset0:121 offset1:179
	v_pk_mul_f32 v[2:3], v[64:65], v[76:77]
	ds_read2_b32 v[56:57], v58 offset0:208 offset1:237
	ds_read2_b32 v[58:59], v18 offset0:39 offset1:68
	;; [unrolled: 1-line block ×3, first 2 shown]
	v_pk_mul_f32 v[18:19], v[60:61], v[46:47]
	v_add_u32_e32 v34, s5, v1
	v_sub_f32_e32 v2, v71, v2
	v_sub_f32_e32 v18, v66, v18
	;; [unrolled: 1-line block ×3, first 2 shown]
	v_fma_f32 v24, -v65, v24, v22
	v_pk_mul_f32 v[2:3], v[60:61], v[36:37]
	v_pk_mul_f32 v[22:23], v[60:61], v[20:21]
	;; [unrolled: 1-line block ×3, first 2 shown]
	v_sub_f32_e32 v66, v18, v19
	ds_read_b96 v[30:32], v84 offset:64
	ds_read_b128 v[18:21], v84 offset:48
	ds_write_b32 v34, v61
	ds_read_b96 v[34:36], v94 offset:48
	ds_read2_b32 v[46:47], v94 offset0:15 offset1:16
	v_pk_mul_f32 v[4:5], v[60:61], v[4:5]
	v_sub_f32_e32 v2, v83, v2
	v_sub_f32_e32 v4, v80, v4
	v_mul_f32_e32 v67, v66, v67
	v_mov_b32_e32 v66, v61
	v_sub_f32_e32 v80, v4, v5
	v_sub_f32_e32 v4, v81, v64
	v_sub_f32_e32 v83, v2, v3
	v_pk_mul_f32 v[2:3], v[66:67], v[38:39]
	s_waitcnt lgkmcnt(11)
	v_pk_mul_f32 v[38:39], v[66:67], v[40:41]
	v_sub_f32_e32 v81, v4, v65
	v_sub_f32_e32 v4, v82, v22
	;; [unrolled: 1-line block ×4, first 2 shown]
	v_fma_f32 v70, -v61, v25, v24
	s_waitcnt lgkmcnt(1)
	v_mov_b32_e32 v65, v36
	v_sub_f32_e32 v82, v4, v23
	ds_read2_b32 v[36:37], v94 offset0:17 offset1:18
	v_sub_f32_e32 v84, v2, v3
	ds_read_b128 v[2:5], v93 offset:48
	ds_read_b128 v[22:25], v93 offset:64
	v_sub_f32_e32 v85, v29, v39
	ds_read2_b32 v[38:39], v89 offset0:11 offset1:12
	v_add_u32_e32 v87, s19, v1
	v_pk_mul_f32 v[60:61], v[66:67], v[62:63]
	v_mov_b32_e32 v64, v35
	v_pk_mul_f32 v[40:41], v[66:67], v[72:73]
	v_sub_f32_e32 v35, v78, v60
	ds_write_b32 v87, v67
	s_waitcnt lgkmcnt(1)
	v_pk_mul_f32 v[38:39], v[66:67], v[38:39]
	v_fma_f32 v78, -v67, v34, v70
	v_mov_b32_e32 v66, v67
	v_mul_f32_e32 v67, v84, v44
	v_pk_mul_f32 v[26:27], v[66:67], v[26:27]
	v_sub_f32_e32 v29, v71, v40
	v_sub_f32_e32 v26, v80, v26
	;; [unrolled: 1-line block ×4, first 2 shown]
	ds_read2_b32 v[40:41], v89 offset0:17 offset1:18
	ds_read2_b32 v[60:61], v89 offset0:15 offset1:16
	;; [unrolled: 1-line block ×3, first 2 shown]
	v_sub_f32_e32 v26, v26, v27
	v_sub_f32_e32 v13, v13, v38
	v_mul_f32_e32 v27, v26, v28
	v_pk_mul_f32 v[28:29], v[66:67], v[52:53]
	v_sub_f32_e32 v13, v13, v39
	ds_read2_b32 v[34:35], v86 offset0:17 offset1:18
	ds_read2_b32 v[38:39], v86 offset0:15 offset1:16
	;; [unrolled: 1-line block ×3, first 2 shown]
	v_sub_f32_e32 v26, v81, v28
	v_sub_f32_e32 v44, v26, v29
	v_pk_mul_f32 v[28:29], v[66:67], v[48:49]
	v_mov_b32_e32 v26, v67
	v_pk_mul_f32 v[2:3], v[66:67], v[2:3]
	v_sub_f32_e32 v28, v83, v28
	v_pk_mul_f32 v[42:43], v[26:27], v[42:43]
	v_sub_f32_e32 v2, v79, v2
	;; [unrolled: 2-line block ×3, first 2 shown]
	v_sub_f32_e32 v53, v28, v29
	s_waitcnt lgkmcnt(3)
	v_pk_mul_f32 v[28:29], v[26:27], v[62:63]
	v_sub_f32_e32 v18, v82, v18
	v_sub_f32_e32 v13, v13, v28
	;; [unrolled: 1-line block ×4, first 2 shown]
	v_add_u32_e32 v88, s20, v1
	v_add_u32_e32 v76, s30, v1
	v_sub_f32_e32 v52, v18, v19
	s_waitcnt lgkmcnt(0)
	v_pk_mul_f32 v[18:19], v[26:27], v[70:71]
	v_mul_f32_e32 v3, v2, v45
	v_mov_b32_e32 v2, v27
	ds_write_b32 v88, v67
	v_pk_mul_f32 v[48:49], v[26:27], v[74:75]
	v_sub_f32_e32 v18, v73, v18
	ds_write_b32 v76, v27
	v_pk_mul_f32 v[42:43], v[2:3], v[54:55]
	v_pk_mul_f32 v[26:27], v[26:27], v[64:65]
	v_sub_f32_e32 v42, v44, v42
	v_pk_mul_f32 v[20:21], v[2:3], v[20:21]
	v_sub_f32_e32 v45, v18, v19
	v_pk_mul_f32 v[18:19], v[2:3], v[50:51]
	v_pk_mul_f32 v[4:5], v[2:3], v[4:5]
	v_sub_f32_e32 v2, v78, v26
	v_sub_f32_e32 v4, v28, v4
	v_sub_f32_e32 v28, v2, v27
	v_sub_f32_e32 v2, v42, v43
	v_add_u32_e32 v77, s34, v1
	v_sub_f32_e32 v48, v72, v48
	v_mul_f32_e32 v27, v2, v56
	v_mov_b32_e32 v26, v3
	v_sub_f32_e32 v44, v48, v49
	ds_write_b32 v77, v3
	v_pk_mul_f32 v[2:3], v[26:27], v[16:17]
	v_sub_f32_e32 v20, v52, v20
	v_sub_f32_e32 v2, v44, v2
	;; [unrolled: 1-line block ×6, first 2 shown]
	v_pk_mul_f32 v[16:17], v[26:27], v[38:39]
	v_sub_f32_e32 v21, v18, v19
	v_pk_mul_f32 v[18:19], v[26:27], v[60:61]
	v_mul_f32_e32 v3, v2, v57
	v_mov_b32_e32 v2, v27
	v_sub_f32_e32 v16, v45, v16
	v_sub_f32_e32 v13, v13, v18
	v_sub_f32_e32 v18, v4, v5
	v_pk_mul_f32 v[4:5], v[2:3], v[30:31]
	v_sub_f32_e32 v13, v13, v19
	v_sub_f32_e32 v4, v20, v4
	;; [unrolled: 1-line block ×3, first 2 shown]
	v_pk_mul_f32 v[16:17], v[2:3], v[22:23]
	v_pk_mul_f32 v[6:7], v[2:3], v[6:7]
	v_sub_f32_e32 v16, v18, v16
	v_pk_mul_f32 v[18:19], v[26:27], v[46:47]
	v_sub_f32_e32 v6, v21, v6
	v_sub_f32_e32 v2, v28, v18
	;; [unrolled: 1-line block ×4, first 2 shown]
	v_add_u32_e32 v90, s35, v1
	v_add_u32_e32 v91, s24, v1
	v_mul_f32_e32 v5, v2, v32
	v_mov_b32_e32 v4, v3
	ds_write_b32 v90, v27
	ds_write_b32 v91, v3
	v_pk_mul_f32 v[2:3], v[4:5], v[34:35]
	v_add_u32_e32 v92, s25, v1
	v_sub_f32_e32 v2, v20, v2
	v_sub_f32_e32 v2, v2, v3
	;; [unrolled: 1-line block ×3, first 2 shown]
	v_pk_mul_f32 v[6:7], v[4:5], v[40:41]
	v_mul_f32_e32 v3, v2, v58
	v_mov_b32_e32 v2, v5
	v_sub_f32_e32 v6, v13, v6
	ds_write_b32 v92, v5
	v_pk_mul_f32 v[8:9], v[2:3], v[8:9]
	v_pk_mul_f32 v[4:5], v[4:5], v[36:37]
	v_sub_f32_e32 v13, v16, v17
	v_sub_f32_e32 v8, v18, v8
	;; [unrolled: 1-line block ×3, first 2 shown]
	v_pk_mul_f32 v[6:7], v[2:3], v[24:25]
	v_sub_f32_e32 v2, v21, v4
	v_sub_f32_e32 v6, v13, v6
	;; [unrolled: 1-line block ×4, first 2 shown]
	v_add_u32_e32 v95, s27, v1
	v_mul_f32_e32 v5, v2, v59
	v_mov_b32_e32 v4, v3
	ds_read2_b32 v[16:17], v94 offset0:19 offset1:20
	ds_read2_b32 v[18:19], v94 offset0:21 offset1:22
	ds_write_b32 v95, v3
	v_pk_mul_f32 v[2:3], v[4:5], v[14:15]
	v_add_u32_e32 v33, s28, v1
	v_sub_f32_e32 v2, v20, v2
	v_sub_f32_e32 v2, v2, v3
	v_mul_f32_e32 v3, v2, v68
	v_mov_b32_e32 v2, v5
	v_sub_f32_e32 v8, v6, v7
	v_pk_mul_f32 v[6:7], v[2:3], v[10:11]
	ds_write_b32 v33, v5
	v_sub_f32_e32 v2, v8, v6
	s_waitcnt lgkmcnt(3)
	v_pk_mul_f32 v[4:5], v[4:5], v[16:17]
	v_sub_f32_e32 v2, v2, v7
	v_sub_f32_e32 v4, v13, v4
	v_add_u32_e32 v96, s29, v1
	v_sub_f32_e32 v6, v4, v5
	v_mul_f32_e32 v5, v2, v12
	v_mov_b32_e32 v4, v3
	ds_write_b32 v96, v3
	s_waitcnt lgkmcnt(3)
	v_pk_mul_f32 v[2:3], v[4:5], v[18:19]
	v_add_u32_e32 v97, s31, v1
	v_sub_f32_e32 v2, v6, v2
	v_sub_f32_e32 v2, v2, v3
	v_mul_f32_e32 v2, v2, v69
	v_add_u32_e32 v3, s16, v1
	s_add_i32 s7, s7, 24
	ds_write_b32 v97, v5
	ds_write_b32 v3, v2
.LBB31_28:
	s_cmp_ge_i32 s7, s26
	s_cbranch_scc1 .LBB31_33
; %bb.29:
	v_mov_b32_e32 v2, 0xc40
	s_mul_i32 s4, s7, 0x70
	v_lshl_add_u32 v2, v0, 2, v2
	s_branch .LBB31_31
.LBB31_30:                              ;   in Loop: Header=BB31_31 Depth=1
	s_mul_i32 s5, s7, 0x74
	v_mov_b32_e32 v5, s5
	ds_read_b32 v5, v5
	s_add_i32 s7, s7, 1
	s_addk_i32 s4, 0x70
	s_cmp_ge_i32 s7, s26
	s_waitcnt lgkmcnt(0)
	v_mul_f32_e32 v4, v4, v5
	ds_write_b32 v3, v4
	s_cbranch_scc1 .LBB31_33
.LBB31_31:                              ; =>This Loop Header: Depth=1
                                        ;     Child Loop BB31_32 Depth 2
	s_mul_i32 s5, s7, 0x70
	v_add_u32_e32 v3, s5, v1
	ds_read_b32 v4, v3
	s_cmp_eq_u32 s7, 0
	v_mov_b32_e32 v5, v2
	s_mov_b32 s5, s7
	s_mov_b32 s16, s4
	s_cbranch_scc1 .LBB31_30
.LBB31_32:                              ;   Parent Loop BB31_31 Depth=1
                                        ; =>  This Inner Loop Header: Depth=2
	v_mov_b32_e32 v7, s16
	ds_read_b32 v6, v5
	ds_read_b32 v7, v7
	s_add_i32 s16, s16, 4
	s_add_i32 s5, s5, -1
	v_add_u32_e32 v5, 0x70, v5
	s_cmp_lg_u32 s5, 0
	s_waitcnt lgkmcnt(0)
	v_fma_f32 v4, -v6, v7, v4
	s_cbranch_scc1 .LBB31_32
	s_branch .LBB31_30
.LBB31_33:
	s_mov_b64 s[4:5], 0
.LBB31_34:
	s_and_b64 vcc, exec, s[4:5]
	s_cbranch_vccz .LBB31_114
; %bb.35:
	s_add_i32 s7, s26, -1
	s_cmp_gt_i32 s6, 27
	s_cbranch_scc0 .LBB31_91
; %bb.36:
	v_add_u32_e32 v4, 0x800, v1
	ds_read2_b32 v[2:3], v4 offset0:160 offset1:188
	ds_read2_b32 v[8:9], v4 offset0:104 offset1:132
	;; [unrolled: 1-line block ×4, first 2 shown]
	v_add_u32_e32 v18, 0x400, v1
	s_waitcnt lgkmcnt(3)
	v_mov_b32_e32 v5, v2
	v_add_u32_e32 v2, 0x600, v1
	v_mov_b32_e32 v4, v3
	ds_read2_b32 v[2:3], v2 offset0:120 offset1:148
	s_waitcnt lgkmcnt(3)
	v_mov_b32_e32 v6, v9
	v_mov_b32_e32 v7, v8
	s_waitcnt lgkmcnt(1)
	v_mov_b32_e32 v8, v11
	ds_read2_b32 v[14:15], v18 offset0:192 offset1:220
	v_mov_b32_e32 v9, v10
	s_waitcnt lgkmcnt(1)
	v_mov_b32_e32 v10, v3
	ds_read2_b32 v[16:17], v18 offset0:136 offset1:164
	v_mov_b32_e32 v11, v2
	ds_read2_b32 v[2:3], v18 offset0:80 offset1:108
	ds_read2_b32 v[24:25], v1 offset0:168 offset1:196
	;; [unrolled: 1-line block ×3, first 2 shown]
	s_waitcnt lgkmcnt(4)
	v_mov_b32_e32 v12, v15
	v_mov_b32_e32 v13, v14
	s_waitcnt lgkmcnt(3)
	v_mov_b32_e32 v14, v17
	ds_read2_b32 v[20:21], v18 offset0:24 offset1:52
	v_mov_b32_e32 v15, v16
	s_waitcnt lgkmcnt(3)
	v_mov_b32_e32 v16, v3
	v_mov_b32_e32 v17, v2
	ds_read2_b32 v[2:3], v1 offset0:224 offset1:252
	s_waitcnt lgkmcnt(3)
	v_mov_b32_e32 v22, v25
	s_waitcnt lgkmcnt(2)
	v_mov_b32_e32 v25, v26
	v_mov_b32_e32 v26, 0
	s_waitcnt lgkmcnt(1)
	v_mov_b32_e32 v18, v21
	;; [unrolled: 3-line block ×3, first 2 shown]
	v_mov_b32_e32 v21, v2
	ds_read2_b32 v[2:3], v1 offset0:56 offset1:84
	ds_read2_b32 v[32:33], v1 offset1:28
	ds_read_b32 v34, v26 offset:3132
	v_mov_b32_e32 v23, v24
	v_mov_b32_e32 v24, v27
	s_waitcnt lgkmcnt(2)
	v_mov_b32_e32 v26, v3
	v_mov_b32_e32 v27, v2
	s_waitcnt lgkmcnt(1)
	;; [unrolled: 3-line block ×3, first 2 shown]
	v_mul_f32_e32 v2, v31, v34
	s_mov_b64 s[4:5], 0
	s_movk_i32 s16, 0xc38
	v_mov_b32_e32 v3, v30
	ds_write_b32 v1, v2 offset:3024
.LBB31_37:                              ; =>This Inner Loop Header: Depth=1
	s_set_gpr_idx_on s4, gpr_idx(SRC0)
	v_mov_b32_e32 v30, v2
	s_set_gpr_idx_off
	v_mov_b32_e32 v31, s16
	ds_read_b32 v31, v31
	s_add_u32 s4, s4, 1
	s_addc_u32 s5, s5, 0
	s_addk_i32 s16, 0xff90
	s_cmp_lg_u32 s4, 1
	s_waitcnt lgkmcnt(0)
	v_fma_f32 v3, -v30, v31, v3
	s_cbranch_scc1 .LBB31_37
; %bb.38:
	v_mov_b32_e32 v30, 0
	ds_read_b32 v30, v30 offset:3016
	s_mov_b64 s[4:5], 0
	s_movk_i32 s16, 0xc34
	s_waitcnt lgkmcnt(0)
	v_mul_f32_e32 v3, v3, v30
	ds_write_b32 v1, v3 offset:2912
.LBB31_39:                              ; =>This Inner Loop Header: Depth=1
	s_set_gpr_idx_on s4, gpr_idx(SRC0)
	v_mov_b32_e32 v30, v2
	s_set_gpr_idx_off
	v_mov_b32_e32 v31, s16
	ds_read_b32 v31, v31
	s_add_u32 s4, s4, 1
	s_addc_u32 s5, s5, 0
	s_addk_i32 s16, 0xff90
	s_cmp_lg_u32 s4, 2
	s_waitcnt lgkmcnt(0)
	v_fma_f32 v4, -v30, v31, v4
	s_cbranch_scc1 .LBB31_39
; %bb.40:
	v_mov_b32_e32 v30, 0
	ds_read_b32 v30, v30 offset:2900
	s_mov_b64 s[4:5], 0
	s_movk_i32 s16, 0xc30
	s_waitcnt lgkmcnt(0)
	v_mul_f32_e32 v4, v4, v30
	;; [unrolled: 21-line block ×26, first 2 shown]
	ds_write_b32 v1, v28 offset:112
.LBB31_89:                              ; =>This Inner Loop Header: Depth=1
	s_set_gpr_idx_on s4, gpr_idx(SRC0)
	v_mov_b32_e32 v30, v2
	s_set_gpr_idx_off
	v_mov_b32_e32 v31, s16
	ds_read_b32 v31, v31
	s_add_u32 s4, s4, 1
	s_addc_u32 s5, s5, 0
	s_addk_i32 s16, 0xff90
	s_cmp_lg_u32 s4, 27
	s_waitcnt lgkmcnt(0)
	v_fma_f32 v29, -v30, v31, v29
	s_cbranch_scc1 .LBB31_89
; %bb.90:
	v_mov_b32_e32 v2, 0
	ds_read_b32 v2, v2
	s_mov_b32 s4, -1
	s_waitcnt lgkmcnt(0)
	v_mul_f32_e32 v2, v29, v2
	ds_write_b32 v1, v2
	s_cmp_gt_i32 s4, -1
	s_cbranch_scc1 .LBB31_92
	s_branch .LBB31_114
.LBB31_91:
	s_mov_b32 s4, s7
	s_cmp_gt_i32 s4, -1
	s_cbranch_scc0 .LBB31_114
.LBB31_92:
	s_cmp_lt_u32 s4, 23
	s_cbranch_scc1 .LBB31_97
; %bb.93:
	s_mul_i32 s5, s4, 0x70
	v_add_u32_e32 v58, s5, v1
	v_add_u32_e32 v2, 0xffffff90, v58
	v_add_u32_e32 v3, 0xffffff20, v58
	v_add_u32_e32 v4, 0xfffffeb0, v58
	v_add_u32_e32 v5, 0xfffffe40, v58
	v_add_u32_e32 v6, 0xfffffdd0, v58
	v_add_u32_e32 v7, 0xfffffd60, v58
	v_add_u32_e32 v8, 0xfffffcf0, v58
	ds_read_b32 v28, v58
	ds_read_b32 v29, v2
	ds_read_b32 v20, v3
	ds_read_b32 v21, v4
	ds_read_b32 v14, v5
	ds_read_b32 v15, v6
	ds_read_b32 v18, v7
	ds_read_b32 v19, v8
	v_add_u32_e32 v2, 0xfffffc80, v58
	v_add_u32_e32 v3, 0xfffffc10, v58
	v_add_u32_e32 v4, 0xfffffba0, v58
	v_add_u32_e32 v5, 0xfffffb30, v58
	v_add_u32_e32 v6, 0xfffffac0, v58
	v_add_u32_e32 v7, 0xfffffa50, v58
	v_add_u32_e32 v8, 0xfffff9e0, v58
	v_add_u32_e32 v9, 0xfffff970, v58
	ds_read_b32 v16, v2
	ds_read_b32 v17, v3
	ds_read_b32 v12, v4
	ds_read_b32 v13, v5
	ds_read_b32 v22, v6
	ds_read_b32 v23, v7
	ds_read_b32 v10, v8
	ds_read_b32 v11, v9
	;; [unrolled: 16-line block ×3, first 2 shown]
	s_cmp_le_i32 s7, s4
	s_cbranch_scc1 .LBB31_96
; %bb.94:
	s_mul_i32 s16, s26, 0x70
	s_lshl_b32 s17, s4, 2
	v_lshl_add_u32 v24, v0, 2, s16
	s_add_i32 s16, s16, s17
	v_add_u32_e32 v24, 0xbd0, v24
	s_addk_i32 s16, 0xff34
	s_mov_b32 s17, s7
.LBB31_95:                              ; =>This Inner Loop Header: Depth=1
	v_mov_b32_e32 v25, s16
	ds_read_b32 v26, v24
	ds_read2_b32 v[30:31], v25 offset0:22 offset1:23
	ds_read2_b32 v[32:33], v25 offset0:20 offset1:21
	;; [unrolled: 1-line block ×11, first 2 shown]
	ds_read2_b32 v[52:53], v25 offset1:1
	s_add_i32 s17, s17, -1
	s_addk_i32 s16, 0xff90
	v_add_u32_e32 v24, 0xffffff90, v24
	s_waitcnt lgkmcnt(11)
	v_pk_mul_f32 v[30:31], v[26:27], v[30:31] op_sel_hi:[0,1]
	s_waitcnt lgkmcnt(10)
	v_pk_mul_f32 v[32:33], v[26:27], v[32:33] op_sel_hi:[0,1]
	s_waitcnt lgkmcnt(9)
	v_pk_mul_f32 v[34:35], v[26:27], v[34:35] op_sel_hi:[0,1]
	s_waitcnt lgkmcnt(8)
	v_pk_mul_f32 v[36:37], v[26:27], v[36:37] op_sel_hi:[0,1]
	s_waitcnt lgkmcnt(7)
	v_pk_mul_f32 v[38:39], v[26:27], v[38:39] op_sel_hi:[0,1]
	s_waitcnt lgkmcnt(6)
	v_pk_mul_f32 v[40:41], v[26:27], v[40:41] op_sel_hi:[0,1]
	s_waitcnt lgkmcnt(5)
	v_pk_mul_f32 v[42:43], v[26:27], v[42:43] op_sel_hi:[0,1]
	s_waitcnt lgkmcnt(4)
	v_pk_mul_f32 v[44:45], v[26:27], v[44:45] op_sel_hi:[0,1]
	s_waitcnt lgkmcnt(3)
	v_pk_mul_f32 v[46:47], v[26:27], v[46:47] op_sel_hi:[0,1]
	s_waitcnt lgkmcnt(2)
	v_pk_mul_f32 v[48:49], v[26:27], v[48:49] op_sel_hi:[0,1]
	s_waitcnt lgkmcnt(1)
	v_pk_mul_f32 v[50:51], v[26:27], v[50:51] op_sel_hi:[0,1]
	s_waitcnt lgkmcnt(0)
	v_pk_mul_f32 v[26:27], v[26:27], v[52:53] op_sel_hi:[0,1]
	s_cmp_gt_i32 s17, s4
	v_pk_add_f32 v[28:29], v[28:29], v[30:31] op_sel:[0,1] op_sel_hi:[1,0] neg_lo:[0,1] neg_hi:[0,1]
	v_pk_add_f32 v[20:21], v[20:21], v[32:33] op_sel:[0,1] op_sel_hi:[1,0] neg_lo:[0,1] neg_hi:[0,1]
	;; [unrolled: 1-line block ×12, first 2 shown]
	s_cbranch_scc1 .LBB31_95
.LBB31_96:
	s_lshl_b32 s24, s4, 2
	s_add_i32 s16, s24, -4
	s_add_i32 s16, s16, s5
	v_mov_b32_e32 v24, s16
	s_addk_i32 s16, 0xff90
	s_add_i32 s17, s5, 0xffffff90
	s_add_i32 s18, s24, -12
	v_mov_b32_e32 v25, s16
	s_add_i32 s16, s18, s17
	v_mov_b32_e32 v27, s16
	s_add_i32 s16, s5, 0xffffff20
	s_add_i32 s19, s18, s5
	;; [unrolled: 1-line block ×3, first 2 shown]
	v_mov_b32_e32 v26, s19
	ds_read2_b32 v[56:57], v24 offset1:1
	ds_read_b32 v60, v25
	ds_read2_b32 v[44:45], v26 offset1:1
	ds_read2_b32 v[36:37], v27 offset1:1
	v_mov_b32_e32 v24, s18
	s_add_i32 s18, s19, 0xfffffeb0
	v_mov_b32_e32 v25, s18
	s_sub_i32 s18, s24, 20
	s_add_i32 s19, s18, s17
	s_add_i32 s20, s18, s5
	v_mov_b32_e32 v27, s19
	s_add_i32 s21, s5, 0xfffffeb0
	s_add_i32 s19, s18, s16
	v_mov_b32_e32 v26, s20
	ds_read2_b32 v[40:41], v24 offset1:1
	ds_read_b32 v59, v25
	ds_read2_b32 v[50:51], v26 offset1:1
	ds_read2_b32 v[38:39], v27 offset1:1
	v_mov_b32_e32 v24, s19
	s_add_i32 s19, s18, s21
	v_mov_b32_e32 v25, s19
	s_add_i32 s19, s5, 0xfffffe40
	s_add_i32 s18, s18, s19
	v_mov_b32_e32 v26, s18
	s_add_i32 s18, s20, 0xfffffdd0
	v_mov_b32_e32 v27, s18
	s_sub_i32 s18, s24, 28
	s_add_i32 s27, s18, s17
	s_waitcnt lgkmcnt(1)
	v_mov_b32_e32 v48, v51
	ds_read2_b32 v[66:67], v24 offset1:1
	ds_read2_b32 v[30:31], v25 offset1:1
	;; [unrolled: 1-line block ×3, first 2 shown]
	ds_read_b32 v51, v27
	v_mov_b32_e32 v25, s27
	s_add_i32 s27, s18, s16
	s_add_i32 s20, s18, s5
	v_mov_b32_e32 v26, s27
	s_add_i32 s27, s18, s21
	s_add_i32 s25, s5, 0xfffffdd0
	v_mov_b32_e32 v24, s20
	v_mov_b32_e32 v27, s27
	s_add_i32 s27, s18, s19
	ds_read2_b32 v[52:53], v24 offset1:1
	ds_read2_b32 v[42:43], v25 offset1:1
	;; [unrolled: 1-line block ×4, first 2 shown]
	v_mov_b32_e32 v24, s27
	s_add_i32 s27, s18, s25
	v_mov_b32_e32 v25, s27
	s_add_i32 s27, s5, 0xfffffd60
	s_add_i32 s18, s18, s27
	s_waitcnt lgkmcnt(8)
	v_mov_b32_e32 v49, v39
	v_mov_b32_e32 v39, s18
	s_add_i32 s18, s20, 0xfffffcf0
	s_sub_i32 s31, s24, 36
	v_mov_b32_e32 v47, v37
	v_mov_b32_e32 v37, v40
	;; [unrolled: 1-line block ×3, first 2 shown]
	s_add_i32 s18, s31, s17
	s_sub_i32 s29, s24, 52
	v_mov_b32_e32 v46, v45
	ds_read2_b32 v[64:65], v24 offset1:1
	ds_read2_b32 v[26:27], v25 offset1:1
	;; [unrolled: 1-line block ×3, first 2 shown]
	ds_read_b32 v45, v40
	v_mov_b32_e32 v40, s18
	s_add_i32 s18, s31, s16
	s_add_i32 s28, s29, s5
	v_mov_b32_e32 v61, s18
	s_add_i32 s18, s31, s21
	v_mov_b32_e32 v54, s28
	v_mov_b32_e32 v62, s18
	ds_read2_b32 v[54:55], v54 offset1:1
	s_add_i32 s18, s29, s17
	v_mul_f32_e32 v28, v28, v57
	v_fma_f32 v29, -v28, v56, v29
	v_mov_b32_e32 v56, s18
	s_sub_i32 s33, s24, 44
	s_add_i32 s18, s5, 0xfffffba0
	s_add_i32 s34, s33, s5
	;; [unrolled: 1-line block ×3, first 2 shown]
	v_mov_b32_e32 v57, s35
	s_add_i32 s35, s34, 0xfffffb30
	v_mov_b32_e32 v63, s35
	s_add_i32 s35, s31, s19
	s_add_i32 s30, s31, s5
	s_waitcnt lgkmcnt(0)
	v_fma_f32 v76, -v28, v55, v22
	v_mov_b32_e32 v22, s35
	s_add_i32 s35, s31, s25
	s_add_i32 s20, s5, 0xfffffcf0
	v_mov_b32_e32 v39, s30
	v_fma_f32 v77, -v28, v54, v23
	v_mul_f32_e32 v29, v29, v60
	v_mov_b32_e32 v23, s35
	s_add_i32 s35, s31, s27
	ds_read2_b32 v[70:71], v56 offset1:1
	ds_read2_b32 v[56:57], v57 offset1:1
	ds_read_b32 v63, v63
	ds_read2_b32 v[54:55], v39 offset1:1
	ds_read2_b32 v[72:73], v40 offset1:1
	;; [unrolled: 1-line block ×4, first 2 shown]
	v_mov_b32_e32 v39, s35
	s_add_i32 s35, s31, s20
	v_pk_mul_f32 v[46:47], v[28:29], v[46:47]
	v_fma_f32 v62, -v28, v44, v21
	v_mov_b32_e32 v21, s35
	v_sub_f32_e32 v20, v20, v46
	ds_read2_b32 v[86:87], v22 offset1:1
	ds_read2_b32 v[60:61], v23 offset1:1
	;; [unrolled: 1-line block ×4, first 2 shown]
	v_sub_f32_e32 v40, v20, v47
	v_mov_b32_e32 v20, v53
	v_mov_b32_e32 v21, v43
	s_add_i32 s35, s5, 0xfffffc80
	v_pk_mul_f32 v[20:21], v[28:29], v[20:21]
	s_add_i32 s31, s31, s35
	s_addk_i32 s30, 0xfc10
	v_fma_f32 v78, -v28, v52, v19
	v_sub_f32_e32 v20, v18, v20
	v_pk_mul_f32 v[18:19], v[28:29], v[48:49]
	v_mov_b32_e32 v39, s31
	v_mov_b32_e32 v44, s30
	;; [unrolled: 1-line block ×3, first 2 shown]
	s_add_i32 s30, s33, s17
	v_sub_f32_e32 v14, v14, v18
	v_fma_f32 v50, -v28, v50, v15
	v_mov_b32_e32 v43, s30
	v_sub_f32_e32 v79, v14, v19
	ds_read2_b32 v[18:19], v39 offset1:1
	ds_read_b32 v44, v44
	ds_read2_b32 v[14:15], v46 offset1:1
	ds_read2_b32 v[46:47], v43 offset1:1
	s_add_i32 s30, s33, s16
	v_sub_f32_e32 v80, v20, v21
	s_waitcnt lgkmcnt(11)
	v_mov_b32_e32 v20, v55
	s_waitcnt lgkmcnt(10)
	v_mov_b32_e32 v21, v73
	v_mov_b32_e32 v39, s30
	s_add_i32 s30, s33, s21
	v_pk_mul_f32 v[20:21], v[28:29], v[20:21]
	v_fma_f32 v54, -v28, v54, v17
	v_sub_f32_e32 v16, v16, v20
	v_mov_b32_e32 v17, s30
	s_add_i32 s30, s33, s19
	s_waitcnt lgkmcnt(1)
	v_fma_f32 v81, -v28, v14, v13
	v_mov_b32_e32 v14, v15
	s_waitcnt lgkmcnt(0)
	v_mov_b32_e32 v15, v47
	v_sub_f32_e32 v55, v16, v21
	v_mov_b32_e32 v16, s30
	s_add_i32 s30, s33, s25
	v_pk_mul_f32 v[14:15], v[28:29], v[14:15]
	v_mov_b32_e32 v13, s30
	v_sub_f32_e32 v12, v12, v14
	s_add_i32 s30, s33, s27
	v_sub_f32_e32 v82, v12, v15
	v_mov_b32_e32 v12, s30
	s_add_i32 s30, s33, s20
	s_add_i32 s36, s5, 0xfffffc10
	ds_read2_b32 v[90:91], v39 offset1:1
	ds_read2_b32 v[48:49], v17 offset1:1
	;; [unrolled: 1-line block ×4, first 2 shown]
	v_mov_b32_e32 v13, s30
	s_add_i32 s30, s33, s35
	v_mov_b32_e32 v14, s30
	s_add_i32 s30, s33, s36
	v_mov_b32_e32 v15, s30
	v_mul_f32_e32 v41, v40, v41
	v_mov_b32_e32 v40, v29
	v_fma_f32 v71, -v29, v71, v76
	v_fma_f32 v70, -v29, v70, v77
	ds_read2_b32 v[76:77], v12 offset1:1
	ds_read2_b32 v[16:17], v13 offset1:1
	;; [unrolled: 1-line block ×4, first 2 shown]
	v_pk_mul_f32 v[14:15], v[40:41], v[36:37]
	v_mov_b32_e32 v39, v66
	v_sub_f32_e32 v14, v62, v14
	s_add_i32 s30, s29, s16
	v_sub_f32_e32 v36, v14, v15
	v_pk_mul_f32 v[14:15], v[40:41], v[38:39]
	v_mov_b32_e32 v20, s30
	s_add_i32 s30, s29, s21
	v_sub_f32_e32 v14, v50, v14
	v_mov_b32_e32 v43, v68
	v_mov_b32_e32 v21, s30
	s_add_i32 s30, s29, s19
	v_sub_f32_e32 v50, v14, v15
	v_pk_mul_f32 v[14:15], v[40:41], v[42:43]
	v_mov_b32_e32 v37, s30
	s_add_i32 s30, s29, s25
	v_sub_f32_e32 v14, v78, v14
	v_mov_b32_e32 v47, s30
	v_sub_f32_e32 v62, v14, v15
	ds_read2_b32 v[14:15], v20 offset1:1
	ds_read2_b32 v[38:39], v21 offset1:1
	;; [unrolled: 1-line block ×4, first 2 shown]
	v_mov_b32_e32 v73, v84
	v_pk_mul_f32 v[20:21], v[40:41], v[72:73]
	s_waitcnt lgkmcnt(11)
	v_mov_b32_e32 v47, v90
	v_sub_f32_e32 v20, v54, v20
	v_sub_f32_e32 v66, v20, v21
	v_pk_mul_f32 v[20:21], v[40:41], v[46:47]
	s_waitcnt lgkmcnt(2)
	v_mov_b32_e32 v46, v38
	v_mov_b32_e32 v38, v15
	v_fma_f32 v70, -v41, v14, v70
	v_mov_b32_e32 v14, v67
	v_mov_b32_e32 v15, v31
	v_mul_f32_e32 v37, v36, v59
	v_mov_b32_e32 v36, v41
	v_pk_mul_f32 v[14:15], v[36:37], v[14:15]
	v_pk_mul_f32 v[38:39], v[36:37], v[38:39]
	v_sub_f32_e32 v14, v79, v14
	v_sub_f32_e32 v59, v14, v15
	v_mov_b32_e32 v14, v69
	v_mov_b32_e32 v15, v35
	v_pk_mul_f32 v[14:15], v[36:37], v[14:15]
	s_add_i32 s30, s29, s27
	v_sub_f32_e32 v14, v80, v14
	v_sub_f32_e32 v67, v14, v15
	v_mov_b32_e32 v14, v85
	v_mov_b32_e32 v15, v75
	v_pk_mul_f32 v[14:15], v[36:37], v[14:15]
	v_sub_f32_e32 v31, v71, v38
	v_sub_f32_e32 v14, v55, v14
	;; [unrolled: 1-line block ×3, first 2 shown]
	v_mov_b32_e32 v14, v91
	v_mov_b32_e32 v15, v49
	;; [unrolled: 1-line block ×3, first 2 shown]
	s_add_i32 s30, s29, s20
	v_pk_mul_f32 v[14:15], v[36:37], v[14:15]
	v_sub_f32_e32 v36, v31, v39
	v_mov_b32_e32 v31, v32
	v_mul_f32_e32 v33, v59, v33
	v_mov_b32_e32 v32, v37
	v_mov_b32_e32 v68, s30
	s_add_i32 s30, s29, s35
	v_sub_f32_e32 v14, v82, v14
	v_pk_mul_f32 v[30:31], v[32:33], v[30:31]
	v_mov_b32_e32 v35, v64
	s_sub_i32 s37, s24, 60
	v_sub_f32_e32 v72, v14, v15
	v_mov_b32_e32 v14, s30
	s_add_i32 s30, s29, s36
	v_sub_f32_e32 v30, v50, v30
	s_add_i32 s34, s37, s5
	v_pk_mul_f32 v[34:35], v[32:33], v[34:35]
	v_sub_f32_e32 v20, v81, v20
	v_mov_b32_e32 v15, s30
	v_sub_f32_e32 v50, v30, v31
	v_mov_b32_e32 v30, v26
	v_mov_b32_e32 v31, v24
	;; [unrolled: 1-line block ×4, first 2 shown]
	v_sub_f32_e32 v26, v62, v34
	v_sub_f32_e32 v40, v20, v21
	ds_read2_b32 v[78:79], v54 offset1:1
	ds_read2_b32 v[20:21], v68 offset1:1
	;; [unrolled: 1-line block ×4, first 2 shown]
	s_waitcnt lgkmcnt(5)
	v_mov_b32_e32 v47, v96
	v_mov_b32_e32 v49, v92
	v_sub_f32_e32 v59, v26, v35
	ds_read2_b32 v[34:35], v24 offset1:1
	s_add_i32 s30, s37, s17
	v_pk_mul_f32 v[54:55], v[32:33], v[74:75]
	v_mov_b32_e32 v24, s30
	s_add_i32 s30, s37, s16
	v_sub_f32_e32 v26, v66, v54
	v_pk_mul_f32 v[48:49], v[32:33], v[48:49]
	v_pk_mul_f32 v[46:47], v[32:33], v[46:47]
	v_sub_f32_e32 v62, v26, v55
	v_mov_b32_e32 v26, s30
	s_add_i32 s30, s37, s21
	v_sub_f32_e32 v40, v40, v48
	v_sub_f32_e32 v32, v70, v46
	s_waitcnt lgkmcnt(5)
	v_mov_b32_e32 v38, v42
	v_mov_b32_e32 v42, s30
	v_sub_f32_e32 v40, v40, v49
	v_sub_f32_e32 v32, v32, v47
	ds_read2_b32 v[46:47], v24 offset1:1
	ds_read2_b32 v[48:49], v26 offset1:1
	;; [unrolled: 1-line block ×3, first 2 shown]
	s_waitcnt lgkmcnt(3)
	v_fma_f32 v10, -v28, v35, v10
	v_fma_f32 v11, -v28, v34, v11
	s_waitcnt lgkmcnt(2)
	v_fma_f32 v10, -v29, v47, v10
	s_waitcnt lgkmcnt(1)
	v_fma_f32 v10, -v41, v49, v10
	s_add_i32 s30, s37, s19
	v_fma_f32 v11, -v29, v46, v11
	s_waitcnt lgkmcnt(0)
	v_fma_f32 v24, -v37, v55, v10
	v_mov_b32_e32 v10, s30
	v_mov_b32_e32 v26, v65
	v_fma_f32 v11, -v41, v48, v11
	ds_read2_b32 v[48:49], v10 offset1:1
	s_add_i32 s30, s37, s25
	v_mul_f32_e32 v51, v50, v51
	v_mov_b32_e32 v50, v33
	v_mov_b32_e32 v55, s30
	s_add_i32 s30, s37, s27
	v_fma_f32 v54, -v37, v54, v11
	v_pk_mul_f32 v[10:11], v[50:51], v[26:27]
	v_mov_b32_e32 v64, s30
	s_add_i32 s30, s37, s20
	v_sub_f32_e32 v10, v67, v10
	v_mov_b32_e32 v65, s30
	v_sub_f32_e32 v66, v10, v11
	ds_read2_b32 v[26:27], v55 offset1:1
	ds_read2_b32 v[74:75], v64 offset1:1
	;; [unrolled: 1-line block ×3, first 2 shown]
	v_mov_b32_e32 v34, v60
	v_mov_b32_e32 v60, v87
	;; [unrolled: 1-line block ×3, first 2 shown]
	s_waitcnt lgkmcnt(3)
	v_fma_f32 v64, -v33, v48, v54
	v_pk_mul_f32 v[54:55], v[50:51], v[60:61]
	v_pk_mul_f32 v[42:43], v[50:51], v[42:43]
	s_add_i32 s39, s24, 0xffffffbc
	v_mov_b32_e32 v48, v49
	s_waitcnt lgkmcnt(2)
	v_mov_b32_e32 v49, v27
	v_sub_f32_e32 v27, v69, v54
	v_sub_f32_e32 v36, v36, v42
	s_add_i32 s30, s39, s17
	v_mov_b32_e32 v46, v93
	v_mov_b32_e32 v47, v53
	v_sub_f32_e32 v65, v27, v55
	v_sub_f32_e32 v68, v36, v43
	v_pk_mul_f32 v[42:43], v[50:51], v[48:49]
	v_mov_b32_e32 v27, s30
	s_add_i32 s30, s39, s16
	v_pk_mul_f32 v[46:47], v[50:51], v[46:47]
	v_sub_f32_e32 v24, v24, v42
	s_add_i32 s31, s39, s5
	v_mov_b32_e32 v36, s30
	s_add_i32 s30, s39, s21
	v_sub_f32_e32 v46, v72, v46
	v_sub_f32_e32 v50, v24, v43
	v_mov_b32_e32 v24, s31
	v_mov_b32_e32 v54, s30
	v_sub_f32_e32 v67, v46, v47
	ds_read2_b32 v[42:43], v24 offset1:1
	ds_read2_b32 v[46:47], v27 offset1:1
	;; [unrolled: 1-line block ×4, first 2 shown]
	v_mul_f32_e32 v61, v66, v25
	s_waitcnt lgkmcnt(3)
	v_fma_f32 v8, -v28, v43, v8
	v_mov_b32_e32 v60, v51
	s_waitcnt lgkmcnt(2)
	v_fma_f32 v8, -v29, v47, v8
	v_pk_mul_f32 v[24:25], v[60:61], v[30:31]
	v_mov_b32_e32 v35, v88
	s_waitcnt lgkmcnt(1)
	v_fma_f32 v8, -v41, v49, v8
	v_sub_f32_e32 v24, v59, v24
	s_waitcnt lgkmcnt(0)
	v_fma_f32 v8, -v37, v55, v8
	s_add_i32 s30, s39, s19
	v_sub_f32_e32 v55, v24, v25
	v_pk_mul_f32 v[24:25], v[60:61], v[34:35]
	v_mov_b32_e32 v36, s30
	s_add_i32 s30, s39, s25
	v_sub_f32_e32 v24, v62, v24
	v_mov_b32_e32 v30, s30
	v_sub_f32_e32 v59, v24, v25
	ds_read2_b32 v[24:25], v36 offset1:1
	ds_read2_b32 v[34:35], v30 offset1:1
	v_mov_b32_e32 v53, v76
	v_mov_b32_e32 v27, v74
	v_pk_mul_f32 v[30:31], v[60:61], v[52:53]
	v_mov_b32_e32 v39, v78
	s_add_i32 s30, s39, s27
	v_sub_f32_e32 v30, v40, v30
	s_waitcnt lgkmcnt(1)
	v_fma_f32 v8, -v33, v25, v8
	v_pk_mul_f32 v[26:27], v[60:61], v[26:27]
	s_add_i32 s38, s24, 0xffffffb4
	v_mov_b32_e32 v36, s30
	s_add_i32 s30, s39, s20
	v_sub_f32_e32 v62, v30, v31
	v_pk_mul_f32 v[30:31], v[60:61], v[38:39]
	s_waitcnt lgkmcnt(0)
	v_fma_f32 v69, -v51, v35, v8
	v_sub_f32_e32 v8, v64, v26
	s_add_i32 s40, s38, s5
	v_mov_b32_e32 v40, s30
	v_sub_f32_e32 v30, v32, v30
	v_sub_f32_e32 v60, v8, v27
	v_fma_f32 v8, -v28, v42, v9
	v_mov_b32_e32 v9, s40
	s_add_i32 s30, s38, s17
	v_sub_f32_e32 v66, v30, v31
	ds_read2_b32 v[52:53], v36 offset1:1
	ds_read2_b32 v[30:31], v40 offset1:1
	v_mov_b32_e32 v25, s30
	ds_read2_b32 v[26:27], v9 offset1:1
	ds_read2_b32 v[42:43], v25 offset1:1
	v_fma_f32 v8, -v29, v46, v8
	v_fma_f32 v8, -v41, v48, v8
	;; [unrolled: 1-line block ×3, first 2 shown]
	s_addk_i32 s31, 0xf890
	v_fma_f32 v8, -v33, v24, v8
	v_mov_b32_e32 v24, s31
	s_waitcnt lgkmcnt(1)
	v_fma_f32 v6, -v28, v27, v6
	s_add_i32 s31, s38, s16
	s_add_i32 s30, s5, 0xfffff900
	s_waitcnt lgkmcnt(0)
	v_fma_f32 v32, -v29, v43, v6
	v_mov_b32_e32 v6, s31
	s_add_i32 s31, s38, s21
	s_add_i32 s33, s39, s30
	v_mov_b32_e32 v36, s31
	s_add_i32 s31, s38, s19
	v_fma_f32 v54, -v51, v34, v8
	v_mov_b32_e32 v8, s33
	v_mov_b32_e32 v40, s31
	s_add_i32 s31, s38, s25
	s_add_i32 s33, s24, 0xffffffac
	v_mov_b32_e32 v48, s31
	s_add_i32 s31, s33, s5
	ds_read2_b32 v[8:9], v8 offset1:1
	ds_read_b32 v38, v24
	ds_read2_b32 v[24:25], v6 offset1:1
	v_fma_f32 v6, -v28, v26, v7
	v_mov_b32_e32 v7, s31
	ds_read2_b32 v[26:27], v7 offset1:1
	s_add_i32 s31, s33, s17
	v_fma_f32 v64, -v29, v42, v6
	v_mov_b32_e32 v6, s31
	s_add_i32 s31, s5, 0xfffff820
	s_addk_i32 s40, 0xf7b0
	s_addk_i32 s24, 0xffa4
	s_add_i32 s41, s38, s31
	v_mov_b32_e32 v39, s40
	s_add_i32 s40, s24, s5
	v_mov_b32_e32 v7, s41
	s_waitcnt lgkmcnt(0)
	v_fma_f32 v70, -v28, v27, v4
	v_mov_b32_e32 v4, s40
	ds_read2_b32 v[34:35], v6 offset1:1
	ds_read2_b32 v[6:7], v7 offset1:1
	ds_read_b32 v39, v39
	v_fma_f32 v71, -v28, v26, v5
	ds_read2_b32 v[4:5], v4 offset1:1
	s_add_i32 s40, s24, s17
	v_mov_b32_e32 v26, s40
	s_add_i32 s40, s24, s16
	v_mov_b32_e32 v42, s40
	;; [unrolled: 2-line block ×3, first 2 shown]
	ds_read2_b32 v[26:27], v26 offset1:1
	ds_read2_b32 v[42:43], v42 offset1:1
	;; [unrolled: 1-line block ×3, first 2 shown]
	s_waitcnt lgkmcnt(3)
	v_fma_f32 v72, -v28, v5, v2
	v_fma_f32 v73, -v28, v4, v3
	ds_read2_b32 v[2:3], v36 offset1:1
	ds_read2_b32 v[4:5], v40 offset1:1
	;; [unrolled: 1-line block ×3, first 2 shown]
	v_fma_f32 v24, -v41, v24, v64
	v_fma_f32 v25, -v41, v25, v32
	ds_write_b32 v58, v28
	v_add_u32_e32 v28, s17, v1
	s_waitcnt lgkmcnt(3)
	v_fma_f32 v2, -v37, v2, v24
	s_add_i32 s17, s33, s16
	v_fma_f32 v3, -v37, v3, v25
	s_waitcnt lgkmcnt(2)
	v_fma_f32 v32, -v33, v4, v2
	v_mov_b32_e32 v2, s17
	s_add_i32 s17, s33, s21
	ds_write_b32 v28, v29
	v_fma_f32 v28, -v33, v5, v3
	ds_read2_b32 v[2:3], v2 offset1:1
	v_mov_b32_e32 v4, s17
	s_add_i32 s17, s33, s19
	v_mov_b32_e32 v24, s17
	s_add_i32 s17, s33, s25
	v_fma_f32 v35, -v29, v35, v70
	v_fma_f32 v34, -v29, v34, v71
	;; [unrolled: 1-line block ×4, first 2 shown]
	v_mov_b32_e32 v26, s17
	ds_read2_b32 v[4:5], v4 offset1:1
	ds_read2_b32 v[24:25], v24 offset1:1
	;; [unrolled: 1-line block ×3, first 2 shown]
	s_waitcnt lgkmcnt(3)
	v_fma_f32 v2, -v41, v2, v34
	v_fma_f32 v3, -v41, v3, v35
	s_waitcnt lgkmcnt(2)
	v_fma_f32 v2, -v37, v4, v2
	v_add_u32_e32 v4, s16, v1
	ds_write_b32 v4, v41
	v_add_u32_e32 v4, s21, v1
	ds_write_b32 v4, v37
	;; [unrolled: 2-line block ×4, first 2 shown]
	s_add_i32 s16, s38, s27
	v_fma_f32 v4, -v41, v43, v36
	s_add_i32 s17, s24, s19
	v_fma_f32 v3, -v37, v5, v3
	s_waitcnt lgkmcnt(5)
	v_fma_f32 v64, -v33, v24, v2
	v_mov_b32_e32 v2, s16
	v_fma_f32 v24, -v37, v47, v4
	v_mov_b32_e32 v4, s17
	v_fma_f32 v40, -v51, v49, v28
	v_fma_f32 v49, -v33, v25, v3
	ds_read2_b32 v[2:3], v2 offset1:1
	ds_read2_b32 v[4:5], v4 offset1:1
	v_fma_f32 v25, -v41, v42, v29
	s_add_i32 s16, s38, s20
	v_fma_f32 v25, -v37, v46, v25
	s_add_i32 s17, s24, s25
	s_waitcnt lgkmcnt(0)
	v_fma_f32 v42, -v33, v4, v25
	v_mov_b32_e32 v4, s16
	s_add_i32 s16, s38, s35
	v_mov_b32_e32 v28, s17
	s_add_i32 s17, s24, s27
	v_fma_f32 v41, -v33, v5, v24
	v_mov_b32_e32 v24, s16
	s_add_i32 s16, s38, s36
	v_mov_b32_e32 v34, s17
	s_add_i32 s17, s24, s20
	v_mov_b32_e32 v25, s16
	v_fma_f32 v43, -v51, v48, v32
	s_add_i32 s16, s33, s27
	v_mov_b32_e32 v36, s17
	v_fma_f32 v47, -v61, v2, v43
	v_mov_b32_e32 v2, s16
	ds_read2_b32 v[28:29], v28 offset1:1
	ds_read2_b32 v[34:35], v34 offset1:1
	;; [unrolled: 1-line block ×6, first 2 shown]
	v_fma_f32 v46, -v61, v3, v40
	ds_read2_b32 v[2:3], v2 offset1:1
	s_add_i32 s16, s33, s20
	v_fma_f32 v48, -v51, v26, v64
	v_mov_b32_e32 v26, s16
	s_add_i32 s16, s33, s35
	v_mov_b32_e32 v40, s16
	s_add_i32 s16, s33, s36
	v_fma_f32 v43, -v51, v27, v49
	s_waitcnt lgkmcnt(6)
	v_fma_f32 v49, -v51, v29, v41
	v_mov_b32_e32 v41, s16
	s_add_i32 s16, s29, s18
	v_fma_f32 v42, -v51, v28, v42
	s_waitcnt lgkmcnt(0)
	v_fma_f32 v48, -v61, v2, v48
	v_mov_b32_e32 v2, s16
	ds_read2_b32 v[26:27], v26 offset1:1
	ds_read2_b32 v[28:29], v40 offset1:1
	;; [unrolled: 1-line block ×3, first 2 shown]
	v_fma_f32 v51, -v61, v3, v43
	v_fma_f32 v72, -v61, v34, v42
	ds_read2_b32 v[82:83], v2 offset1:1
	v_mul_f32_e32 v3, v55, v45
	v_mov_b32_e32 v2, v61
	v_mov_b32_e32 v34, v22
	;; [unrolled: 1-line block ×3, first 2 shown]
	v_pk_mul_f32 v[22:23], v[2:3], v[22:23]
	v_mov_b32_e32 v42, v20
	v_sub_f32_e32 v22, v65, v22
	v_sub_f32_e32 v45, v22, v23
	v_mov_b32_e32 v22, v77
	v_mov_b32_e32 v23, v17
	v_pk_mul_f32 v[22:23], v[2:3], v[22:23]
	v_mov_b32_e32 v20, v79
	v_sub_f32_e32 v17, v67, v22
	v_pk_mul_f32 v[20:21], v[2:3], v[20:21]
	v_fma_f32 v52, -v61, v52, v54
	v_sub_f32_e32 v54, v17, v23
	v_sub_f32_e32 v17, v68, v20
	;; [unrolled: 1-line block ×3, first 2 shown]
	v_mov_b32_e32 v20, v75
	v_mov_b32_e32 v21, v11
	s_add_i32 s17, s5, 0xfffffb30
	v_pk_mul_f32 v[20:21], v[2:3], v[20:21]
	s_add_i32 s16, s29, s17
	v_sub_f32_e32 v11, v50, v20
	v_sub_f32_e32 v50, v11, v21
	v_mov_b32_e32 v11, s16
	s_add_i32 s16, s5, 0xfffffac0
	v_mov_b32_e32 v20, v53
	v_mov_b32_e32 v21, v31
	s_add_i32 s19, s29, s16
	v_pk_mul_f32 v[20:21], v[2:3], v[20:21]
	v_add_u32_e32 v58, s27, v1
	v_fma_f32 v71, -v61, v35, v49
	v_mov_b32_e32 v17, s19
	v_sub_f32_e32 v2, v69, v20
	v_fma_f32 v65, -v3, v5, v46
	v_fma_f32 v67, -v3, v4, v47
	s_add_i32 s19, s28, 0xfffffa50
	v_mov_b32_e32 v35, v18
	v_mul_f32_e32 v47, v45, v19
	v_mov_b32_e32 v46, v3
	ds_write_b32 v58, v61
	v_sub_f32_e32 v53, v2, v21
	v_mov_b32_e32 v2, s19
	v_pk_mul_f32 v[18:19], v[46:47], v[34:35]
	ds_read2_b32 v[20:21], v11 offset1:1
	ds_read2_b32 v[22:23], v17 offset1:1
	ds_read_b32 v69, v2
	v_sub_f32_e32 v2, v59, v18
	v_mov_b32_e32 v17, v94
	s_add_i32 s19, s37, s35
	v_sub_f32_e32 v45, v2, v19
	v_mov_b32_e32 v2, s19
	s_add_i32 s19, s37, s36
	v_pk_mul_f32 v[16:17], v[46:47], v[16:17]
	v_mov_b32_e32 v43, v80
	ds_read2_b32 v[76:77], v2 offset1:1
	v_mov_b32_e32 v2, s19
	s_add_i32 s19, s37, s18
	v_sub_f32_e32 v11, v62, v16
	v_mov_b32_e32 v49, v13
	v_mov_b32_e32 v13, v56
	v_sub_f32_e32 v56, v11, v17
	v_mov_b32_e32 v11, s19
	s_add_i32 s19, s37, s17
	v_pk_mul_f32 v[16:17], v[46:47], v[42:43]
	v_mov_b32_e32 v18, s19
	v_sub_f32_e32 v16, v66, v16
	s_add_i32 s19, s39, s35
	v_sub_f32_e32 v59, v16, v17
	ds_read2_b32 v[16:17], v2 offset1:1
	ds_read2_b32 v[78:79], v11 offset1:1
	;; [unrolled: 1-line block ×3, first 2 shown]
	v_mov_b32_e32 v2, s19
	v_mov_b32_e32 v4, v14
	;; [unrolled: 1-line block ×3, first 2 shown]
	ds_read2_b32 v[80:81], v2 offset1:1
	s_waitcnt lgkmcnt(4)
	v_mov_b32_e32 v11, v76
	s_add_i32 s19, s39, s36
	v_pk_mul_f32 v[10:11], v[46:47], v[10:11]
	v_mov_b32_e32 v2, s19
	s_add_i32 s19, s39, s18
	v_sub_f32_e32 v10, v60, v10
	v_add_u32_e32 v64, s20, v1
	v_sub_f32_e32 v60, v10, v11
	v_mov_b32_e32 v10, s19
	s_add_i32 s19, s39, s17
	v_mov_b32_e32 v11, s19
	ds_write_b32 v64, v3
	s_waitcnt lgkmcnt(1)
	v_mov_b32_e32 v31, v80
	v_fma_f32 v51, -v3, v27, v51
	v_fma_f32 v68, -v3, v26, v48
	ds_read2_b32 v[42:43], v2 offset1:1
	ds_read2_b32 v[84:85], v10 offset1:1
	;; [unrolled: 1-line block ×3, first 2 shown]
	v_pk_mul_f32 v[10:11], v[46:47], v[30:31]
	s_add_i32 s19, s24, s35
	v_sub_f32_e32 v2, v52, v10
	v_sub_f32_e32 v52, v2, v11
	v_mov_b32_e32 v2, s19
	ds_read2_b32 v[10:11], v2 offset1:1
	v_fma_f32 v37, -v3, v37, v71
	v_fma_f32 v30, -v3, v36, v72
	v_mul_f32_e32 v45, v45, v44
	v_mov_b32_e32 v44, v47
	s_waitcnt lgkmcnt(0)
	v_fma_f32 v64, -v47, v11, v37
	v_fma_f32 v66, -v47, v10, v30
	v_mov_b32_e32 v10, v77
	v_mov_b32_e32 v11, v17
	v_pk_mul_f32 v[10:11], v[44:45], v[10:11]
	s_add_i32 s19, s24, s36
	v_sub_f32_e32 v10, v50, v10
	v_sub_f32_e32 v50, v10, v11
	v_mov_b32_e32 v10, v81
	v_mov_b32_e32 v11, v43
	;; [unrolled: 1-line block ×3, first 2 shown]
	s_add_i32 s19, s24, s18
	s_add_i32 s20, s24, s17
	v_pk_mul_f32 v[14:15], v[44:45], v[14:15]
	v_pk_mul_f32 v[10:11], v[44:45], v[10:11]
	v_add_u32_e32 v70, s35, v1
	v_fma_f32 v62, -v47, v28, v68
	v_mov_b32_e32 v28, s19
	v_mov_b32_e32 v31, s20
	s_add_i32 s19, s5, 0xfffffa50
	s_add_i32 s20, s37, s16
	v_sub_f32_e32 v14, v55, v14
	v_sub_f32_e32 v10, v53, v10
	v_mov_b32_e32 v48, v95
	v_fma_f32 v51, -v47, v29, v51
	ds_read2_b32 v[2:3], v2 offset1:1
	ds_read2_b32 v[28:29], v28 offset1:1
	ds_read2_b32 v[34:35], v31 offset1:1
	v_mov_b32_e32 v31, v21
	v_mov_b32_e32 v21, v22
	ds_write_b32 v70, v47
	v_fma_f32 v22, -v47, v32, v67
	v_mov_b32_e32 v47, v19
	v_sub_f32_e32 v19, v14, v15
	v_mov_b32_e32 v14, s20
	s_add_i32 s20, s37, s19
	s_add_i32 s21, s5, 0xfffff9e0
	v_sub_f32_e32 v53, v10, v11
	v_mov_b32_e32 v10, v33
	v_mov_b32_e32 v11, v25
	v_pk_mul_f32 v[36:37], v[44:45], v[48:49]
	v_mov_b32_e32 v15, s20
	s_add_i32 s20, s37, s21
	v_pk_mul_f32 v[10:11], v[44:45], v[10:11]
	v_sub_f32_e32 v17, v54, v36
	v_mov_b32_e32 v36, s20
	s_add_i32 s20, s34, 0xfffff970
	v_sub_f32_e32 v10, v65, v10
	v_sub_f32_e32 v55, v10, v11
	v_mov_b32_e32 v10, s20
	s_add_i32 s25, s39, s16
	v_sub_f32_e32 v48, v17, v37
	ds_read2_b32 v[76:77], v14 offset1:1
	ds_read2_b32 v[32:33], v15 offset1:1
	;; [unrolled: 1-line block ×3, first 2 shown]
	ds_read_b32 v65, v10
	v_mov_b32_e32 v10, s25
	s_add_i32 s25, s39, s19
	s_add_i32 s20, s5, 0xfffff970
	s_waitcnt lgkmcnt(7)
	v_fma_f32 v66, -v45, v2, v66
	v_mov_b32_e32 v2, s25
	s_add_i32 s25, s39, s21
	v_add_u32_e32 v73, s36, v1
	v_fma_f32 v51, -v45, v41, v51
	v_fma_f32 v49, -v45, v40, v62
	;; [unrolled: 1-line block ×3, first 2 shown]
	v_mov_b32_e32 v3, s25
	s_add_i32 s25, s39, s20
	v_mul_f32_e32 v41, v48, v57
	v_mov_b32_e32 v40, v45
	ds_write_b32 v73, v45
	v_mov_b32_e32 v14, s25
	s_add_i32 s27, s38, s18
	v_pk_mul_f32 v[12:13], v[40:41], v[12:13]
	v_mov_b32_e32 v5, v82
	v_mov_b32_e32 v46, v79
	;; [unrolled: 1-line block ×3, first 2 shown]
	ds_read2_b32 v[72:73], v10 offset1:1
	ds_read2_b32 v[10:11], v2 offset1:1
	;; [unrolled: 1-line block ×4, first 2 shown]
	v_mov_b32_e32 v14, s27
	s_add_i32 s27, s38, s17
	v_sub_f32_e32 v12, v56, v12
	v_sub_f32_e32 v48, v12, v13
	v_mov_b32_e32 v12, s27
	s_add_i32 s27, s38, s16
	v_pk_mul_f32 v[4:5], v[40:41], v[4:5]
	v_mov_b32_e32 v13, s27
	s_add_i32 s27, s38, s19
	v_sub_f32_e32 v4, v59, v4
	v_sub_f32_e32 v56, v4, v5
	v_mov_b32_e32 v4, s27
	ds_read2_b32 v[70:71], v14 offset1:1
	ds_read2_b32 v[44:45], v12 offset1:1
	;; [unrolled: 1-line block ×4, first 2 shown]
	s_add_i32 s27, s38, s21
	v_pk_mul_f32 v[4:5], v[40:41], v[16:17]
	v_mov_b32_e32 v12, s27
	s_add_i32 s27, s38, s20
	v_sub_f32_e32 v4, v60, v4
	v_mov_b32_e32 v43, v84
	s_add_i32 s25, s5, 0xfffff890
	v_sub_f32_e32 v59, v4, v5
	v_mov_b32_e32 v13, s27
	s_add_i32 s27, s38, s30
	v_pk_mul_f32 v[4:5], v[40:41], v[42:43]
	v_add_u32_e32 v74, s18, v1
	v_mov_b32_e32 v16, s27
	s_add_i32 s27, s38, s25
	v_sub_f32_e32 v4, v52, v4
	s_add_i32 s18, s33, s18
	v_sub_f32_e32 v52, v4, v5
	v_mov_b32_e32 v4, s27
	v_mov_b32_e32 v42, s18
	s_waitcnt lgkmcnt(3)
	v_mov_b32_e32 v25, v70
	v_mov_b32_e32 v30, v83
	ds_read2_b32 v[82:83], v12 offset1:1
	ds_read2_b32 v[12:13], v13 offset1:1
	;; [unrolled: 1-line block ×4, first 2 shown]
	v_pk_mul_f32 v[16:17], v[40:41], v[24:25]
	ds_read2_b32 v[24:25], v42 offset1:1
	v_add_u32_e32 v58, s17, v1
	v_sub_f32_e32 v16, v22, v16
	s_add_i32 s17, s33, s17
	v_sub_f32_e32 v40, v16, v17
	v_mov_b32_e32 v16, s17
	s_add_i32 s17, s33, s16
	v_mov_b32_e32 v17, s17
	s_add_i32 s17, s33, s19
	v_fma_f32 v22, -v41, v29, v64
	v_fma_f32 v60, -v41, v28, v66
	v_mov_b32_e32 v28, s17
	ds_write_b32 v74, v41
	s_waitcnt lgkmcnt(1)
	v_fma_f32 v64, -v41, v24, v49
	v_mul_f32_e32 v49, v48, v63
	v_mov_b32_e32 v48, v41
	ds_read2_b32 v[42:43], v16 offset1:1
	ds_read2_b32 v[74:75], v17 offset1:1
	;; [unrolled: 1-line block ×3, first 2 shown]
	v_pk_mul_f32 v[16:17], v[48:49], v[30:31]
	s_add_i32 s18, s33, s21
	v_sub_f32_e32 v16, v19, v16
	v_sub_f32_e32 v19, v16, v17
	v_pk_mul_f32 v[16:17], v[48:49], v[46:47]
	v_mov_b32_e32 v24, s18
	v_sub_f32_e32 v16, v50, v16
	v_sub_f32_e32 v46, v16, v17
	v_mov_b32_e32 v16, v85
	v_mov_b32_e32 v17, v27
	v_pk_mul_f32 v[16:17], v[48:49], v[16:17]
	s_add_i32 s18, s33, s20
	v_sub_f32_e32 v16, v53, v16
	v_sub_f32_e32 v50, v16, v17
	v_mov_b32_e32 v16, v71
	v_mov_b32_e32 v17, v45
	v_pk_mul_f32 v[16:17], v[48:49], v[16:17]
	v_mov_b32_e32 v30, s18
	s_add_i32 s18, s33, s30
	v_sub_f32_e32 v16, v55, v16
	v_sub_f32_e32 v53, v16, v17
	v_mov_b32_e32 v16, s18
	s_add_i32 s18, s33, s25
	v_mov_b32_e32 v17, s18
	ds_read2_b32 v[84:85], v24 offset1:1
	ds_read2_b32 v[30:31], v30 offset1:1
	;; [unrolled: 1-line block ×4, first 2 shown]
	v_mov_b32_e32 v24, v25
	s_waitcnt lgkmcnt(6)
	v_mov_b32_e32 v25, v43
	v_pk_mul_f32 v[24:25], v[48:49], v[24:25]
	s_add_i32 s17, s5, 0xfffff7b0
	s_add_i32 s18, s33, s31
	v_sub_f32_e32 v24, v51, v24
	v_sub_f32_e32 v48, v24, v25
	v_mov_b32_e32 v24, s18
	s_add_i32 s18, s33, s17
	v_mov_b32_e32 v25, s18
	s_add_i32 s18, s5, 0xfffff740
	s_add_i32 s27, s33, s18
	v_mov_b32_e32 v27, s27
	s_add_i32 s27, s5, 0xfffff6d0
	s_add_i32 s28, s33, s27
	v_fma_f32 v47, -v49, v34, v60
	ds_write_b32 v58, v49
	v_mov_b32_e32 v34, s28
	v_fma_f32 v51, -v49, v35, v22
	v_mul_f32_e32 v35, v19, v23
	ds_read2_b32 v[90:91], v24 offset1:1
	ds_read2_b32 v[22:23], v25 offset1:1
	ds_read2_b32 v[24:25], v27 offset1:1
	ds_read_b32 v58, v34
	v_mov_b32_e32 v34, v49
	v_pk_mul_f32 v[20:21], v[34:35], v[20:21]
	v_mov_b32_e32 v27, v72
	v_sub_f32_e32 v19, v56, v20
	v_sub_f32_e32 v49, v19, v21
	v_mov_b32_e32 v19, v76
	v_pk_mul_f32 v[18:19], v[34:35], v[18:19]
	v_mov_b32_e32 v45, v80
	v_sub_f32_e32 v18, v59, v18
	v_sub_f32_e32 v56, v18, v19
	v_pk_mul_f32 v[18:19], v[34:35], v[26:27]
	v_add_u32_e32 v61, s16, v1
	v_sub_f32_e32 v18, v52, v18
	v_add_u32_e32 v68, s19, v1
	v_add_u32_e32 v54, s21, v1
	s_add_i32 s16, s24, s16
	s_add_i32 s19, s24, s19
	;; [unrolled: 1-line block ×3, first 2 shown]
	v_sub_f32_e32 v52, v18, v19
	v_pk_mul_f32 v[18:19], v[34:35], v[44:45]
	v_mov_b32_e32 v21, v33
	v_mov_b32_e32 v33, s16
	;; [unrolled: 1-line block ×4, first 2 shown]
	s_add_i32 s16, s24, s20
	v_sub_f32_e32 v18, v40, v18
	v_mov_b32_e32 v20, v77
	v_mov_b32_e32 v59, s16
	v_sub_f32_e32 v71, v18, v19
	ds_read2_b32 v[18:19], v33 offset1:1
	ds_read2_b32 v[26:27], v41 offset1:1
	;; [unrolled: 1-line block ×4, first 2 shown]
	s_waitcnt lgkmcnt(14)
	v_mov_b32_e32 v43, v74
	v_pk_mul_f32 v[42:43], v[34:35], v[42:43]
	s_add_i32 s16, s24, s30
	v_sub_f32_e32 v33, v64, v42
	v_sub_f32_e32 v59, v33, v43
	v_mul_f32_e32 v43, v49, v69
	v_mov_b32_e32 v42, v35
	v_mov_b32_e32 v64, s16
	s_add_i32 s16, s24, s25
	v_pk_mul_f32 v[20:21], v[42:43], v[20:21]
	v_mov_b32_e32 v72, s16
	s_add_i32 s16, s24, s31
	ds_write_b32 v61, v35
	s_waitcnt lgkmcnt(4)
	v_fma_f32 v69, -v35, v18, v47
	v_mov_b32_e32 v35, v11
	v_sub_f32_e32 v11, v46, v20
	v_mov_b32_e32 v61, s16
	s_add_i32 s16, s24, s17
	s_waitcnt lgkmcnt(3)
	v_mov_b32_e32 v18, v26
	v_mov_b32_e32 v26, v19
	;; [unrolled: 1-line block ×3, first 2 shown]
	v_sub_f32_e32 v11, v11, v21
	v_mov_b32_e32 v20, v81
	v_mov_b32_e32 v21, v15
	ds_write_b32 v68, v43
	v_mov_b32_e32 v44, v75
	v_mov_b32_e32 v45, v29
	;; [unrolled: 1-line block ×3, first 2 shown]
	v_mul_f32_e32 v37, v11, v37
	v_pk_mul_f32 v[26:27], v[42:43], v[26:27]
	v_pk_mul_f32 v[44:45], v[42:43], v[44:45]
	;; [unrolled: 1-line block ×4, first 2 shown]
	v_mov_b32_e32 v36, v43
	v_mov_b32_e32 v11, s16
	ds_read2_b32 v[74:75], v64 offset1:1
	ds_read2_b32 v[42:43], v72 offset1:1
	;; [unrolled: 1-line block ×4, first 2 shown]
	s_add_i32 s16, s24, s18
	s_add_i32 s28, s5, 0xfffff660
	v_mov_b32_e32 v11, s16
	s_add_i32 s16, s24, s27
	ds_read2_b32 v[80:81], v11 offset1:1
	v_mov_b32_e32 v11, s16
	s_add_i32 s16, s24, s28
	v_sub_f32_e32 v15, v50, v34
	v_sub_f32_e32 v26, v51, v26
	v_pk_mul_f32 v[32:33], v[36:37], v[32:33]
	s_addk_i32 s5, 0xf5f0
	v_sub_f32_e32 v61, v15, v35
	v_mov_b32_e32 v15, s16
	s_waitcnt lgkmcnt(8)
	v_mov_b32_e32 v19, v76
	v_sub_f32_e32 v20, v53, v20
	v_sub_f32_e32 v29, v48, v44
	s_waitcnt lgkmcnt(3)
	v_mov_b32_e32 v34, v42
	v_sub_f32_e32 v42, v26, v27
	v_sub_f32_e32 v27, v56, v32
	s_add_i32 s16, s24, s5
	v_sub_f32_e32 v53, v20, v21
	v_mov_b32_e32 v20, v40
	v_sub_f32_e32 v40, v29, v45
	s_waitcnt lgkmcnt(1)
	v_mov_b32_e32 v26, v46
	v_sub_f32_e32 v46, v27, v33
	v_mov_b32_e32 v27, s16
	ds_read2_b32 v[32:33], v11 offset1:1
	ds_read2_b32 v[44:45], v15 offset1:1
	ds_read_b32 v56, v27
	v_mov_b32_e32 v11, v78
	v_mov_b32_e32 v15, v82
	;; [unrolled: 1-line block ×3, first 2 shown]
	v_pk_mul_f32 v[18:19], v[36:37], v[18:19]
	v_pk_mul_f32 v[10:11], v[36:37], v[10:11]
	;; [unrolled: 1-line block ×4, first 2 shown]
	v_mov_b32_e32 v36, v2
	v_sub_f32_e32 v2, v69, v18
	v_mul_f32_e32 v49, v46, v65
	v_mov_b32_e32 v48, v37
	v_sub_f32_e32 v46, v2, v19
	v_mov_b32_e32 v2, v79
	v_pk_mul_f32 v[2:3], v[48:49], v[2:3]
	v_sub_f32_e32 v10, v52, v10
	v_sub_f32_e32 v2, v61, v2
	v_sub_f32_e32 v2, v2, v3
	ds_write_b32 v54, v37
	v_mov_b32_e32 v37, v8
	v_mov_b32_e32 v18, v12
	;; [unrolled: 1-line block ×3, first 2 shown]
	v_mul_f32_e32 v3, v2, v9
	v_mov_b32_e32 v2, v49
	v_sub_f32_e32 v52, v10, v11
	v_mov_b32_e32 v50, v85
	v_mov_b32_e32 v51, v31
	v_pk_mul_f32 v[12:13], v[48:49], v[12:13]
	v_pk_mul_f32 v[8:9], v[2:3], v[36:37]
	v_sub_f32_e32 v14, v71, v14
	v_mov_b32_e32 v19, v86
	v_sub_f32_e32 v12, v53, v12
	v_pk_mul_f32 v[50:51], v[48:49], v[50:51]
	v_sub_f32_e32 v8, v52, v8
	v_mov_b32_e32 v11, v23
	v_mov_b32_e32 v23, v24
	v_sub_f32_e32 v24, v14, v15
	v_mov_b32_e32 v15, v6
	v_sub_f32_e32 v6, v59, v28
	;; [unrolled: 2-line block ×4, first 2 shown]
	v_pk_mul_f32 v[12:13], v[2:3], v[18:19]
	v_sub_f32_e32 v8, v8, v9
	v_add_u32_e32 v62, s20, v1
	v_add_u32_e32 v57, s30, v1
	v_mov_b32_e32 v21, v74
	v_mov_b32_e32 v14, v4
	;; [unrolled: 1-line block ×3, first 2 shown]
	v_sub_f32_e32 v6, v6, v29
	v_mov_b32_e32 v28, v89
	v_mov_b32_e32 v29, v17
	v_pk_mul_f32 v[40:41], v[48:49], v[40:41]
	v_sub_f32_e32 v12, v24, v12
	v_pk_mul_f32 v[18:19], v[2:3], v[30:31]
	v_mul_f32_e32 v9, v8, v38
	v_mov_b32_e32 v8, v3
	ds_write_b32 v62, v49
	v_sub_f32_e32 v40, v42, v40
	v_sub_f32_e32 v24, v50, v51
	;; [unrolled: 1-line block ×3, first 2 shown]
	ds_write_b32 v57, v3
	v_pk_mul_f32 v[4:5], v[8:9], v[4:5]
	v_sub_f32_e32 v31, v12, v13
	v_pk_mul_f32 v[12:13], v[8:9], v[28:29]
	v_mov_b32_e32 v42, v75
	v_pk_mul_f32 v[2:3], v[2:3], v[20:21]
	v_sub_f32_e32 v30, v40, v41
	v_sub_f32_e32 v4, v36, v4
	;; [unrolled: 1-line block ×4, first 2 shown]
	v_pk_mul_f32 v[18:19], v[8:9], v[42:43]
	v_sub_f32_e32 v2, v46, v2
	v_sub_f32_e32 v8, v30, v18
	;; [unrolled: 1-line block ×4, first 2 shown]
	v_mul_f32_e32 v3, v2, v7
	v_mov_b32_e32 v2, v9
	v_pk_mul_f32 v[4:5], v[2:3], v[14:15]
	v_add_u32_e32 v67, s25, v1
	v_sub_f32_e32 v4, v31, v4
	v_sub_f32_e32 v4, v4, v5
	v_add_u32_e32 v63, s31, v1
	v_mov_b32_e32 v35, v72
	v_mov_b32_e32 v10, v91
	v_mov_b32_e32 v17, v90
	v_mul_f32_e32 v5, v4, v39
	v_mov_b32_e32 v4, v3
	ds_write_b32 v67, v9
	v_sub_f32_e32 v12, v12, v13
	v_pk_mul_f32 v[6:7], v[2:3], v[16:17]
	v_sub_f32_e32 v13, v8, v19
	ds_write_b32 v63, v3
	v_pk_mul_f32 v[8:9], v[4:5], v[10:11]
	v_pk_mul_f32 v[2:3], v[2:3], v[34:35]
	v_sub_f32_e32 v8, v12, v8
	v_sub_f32_e32 v2, v18, v2
	v_sub_f32_e32 v11, v2, v3
	v_sub_f32_e32 v2, v8, v9
	v_add_u32_e32 v66, s17, v1
	v_sub_f32_e32 v6, v24, v6
	v_mov_b32_e32 v46, v73
	v_mul_f32_e32 v3, v2, v25
	v_mov_b32_e32 v2, v5
	v_sub_f32_e32 v10, v6, v7
	v_pk_mul_f32 v[6:7], v[4:5], v[46:47]
	ds_write_b32 v66, v5
	v_pk_mul_f32 v[4:5], v[2:3], v[22:23]
	v_sub_f32_e32 v6, v13, v6
	v_sub_f32_e32 v4, v10, v4
	;; [unrolled: 1-line block ×3, first 2 shown]
	v_add_u32_e32 v55, s18, v1
	s_waitcnt lgkmcnt(9)
	v_mov_b32_e32 v27, v80
	v_sub_f32_e32 v8, v6, v7
	v_mul_f32_e32 v5, v4, v58
	v_mov_b32_e32 v4, v3
	v_mov_b32_e32 v6, v81
	s_waitcnt lgkmcnt(8)
	v_mov_b32_e32 v7, v33
	ds_write_b32 v55, v3
	v_pk_mul_f32 v[6:7], v[4:5], v[6:7]
	v_pk_mul_f32 v[2:3], v[2:3], v[26:27]
	v_sub_f32_e32 v4, v8, v6
	v_sub_f32_e32 v2, v11, v2
	v_sub_f32_e32 v6, v2, v3
	v_sub_f32_e32 v2, v4, v7
	v_add_u32_e32 v70, s28, v1
	s_waitcnt lgkmcnt(8)
	v_mul_f32_e32 v3, v2, v45
	v_mov_b32_e32 v2, v5
	v_mov_b32_e32 v33, v44
	ds_write_b32 v70, v3
	v_pk_mul_f32 v[2:3], v[2:3], v[32:33]
	v_add_u32_e32 v60, s27, v1
	v_sub_f32_e32 v2, v6, v2
	v_sub_f32_e32 v2, v2, v3
	s_waitcnt lgkmcnt(8)
	v_mul_f32_e32 v2, v2, v56
	v_add_u32_e32 v3, s5, v1
	s_sub_i32 s4, s4, 24
	ds_write_b32 v60, v5
	ds_write_b32 v3, v2
.LBB31_97:
	s_cmp_lt_i32 s4, 0
	s_cbranch_scc1 .LBB31_114
; %bb.98:
	s_and_b32 s5, s4, 3
	s_cmp_eq_u32 s5, 3
	s_mul_i32 s16, s26, 0x70
	s_mov_b32 s5, s4
	s_cbranch_scc1 .LBB31_103
; %bb.99:
	s_add_i32 s5, s4, 1
	s_and_b32 s17, s5, 3
	s_lshl_b32 s5, s4, 2
	s_add_i32 s5, s16, s5
	v_lshl_add_u32 v2, v0, 2, s16
	s_add_i32 s18, s5, 0xffffff90
	v_add_u32_e32 v3, 0xbd0, v2
	s_mov_b32 s19, 0
	s_mov_b32 s5, s4
	s_branch .LBB31_101
.LBB31_100:                             ;   in Loop: Header=BB31_101 Depth=1
	s_mul_i32 s20, s5, 0x74
	v_mov_b32_e32 v5, s20
	ds_read_b32 v5, v5
	s_add_i32 s5, s5, -1
	s_add_i32 s19, s19, 1
	s_add_i32 s18, s18, -4
	s_cmp_lg_u32 s19, s17
	s_waitcnt lgkmcnt(0)
	v_mul_f32_e32 v2, v2, v5
	ds_write_b32 v4, v2
	s_cbranch_scc0 .LBB31_103
.LBB31_101:                             ; =>This Loop Header: Depth=1
                                        ;     Child Loop BB31_102 Depth 2
	s_mul_i32 s20, s5, 0x70
	v_add_u32_e32 v4, s20, v1
	ds_read_b32 v2, v4
	s_cmp_le_i32 s7, s5
	v_mov_b32_e32 v5, v3
	s_mov_b32 s20, s18
	s_mov_b32 s21, s7
	s_cbranch_scc1 .LBB31_100
.LBB31_102:                             ;   Parent Loop BB31_101 Depth=1
                                        ; =>  This Inner Loop Header: Depth=2
	v_mov_b32_e32 v7, s20
	ds_read_b32 v6, v5
	ds_read_b32 v7, v7
	s_add_i32 s21, s21, -1
	s_addk_i32 s20, 0xff90
	v_add_u32_e32 v5, 0xffffff90, v5
	s_cmp_gt_i32 s21, s5
	s_waitcnt lgkmcnt(0)
	v_fma_f32 v2, -v6, v7, v2
	s_cbranch_scc1 .LBB31_102
	s_branch .LBB31_100
.LBB31_103:
	s_cmp_lt_u32 s4, 3
	s_cbranch_scc1 .LBB31_114
; %bb.104:
	s_lshl_b32 s4, s5, 2
	s_add_i32 s18, s16, s4
	v_lshl_add_u32 v2, v0, 2, s16
	s_add_i32 s4, s18, 0xffffff90
	v_add_u32_e32 v3, 0xbd0, v2
	s_add_i32 s16, s18, 0xffffff8c
	s_add_i32 s17, s18, 0xffffff88
	s_addk_i32 s18, 0xff84
	s_branch .LBB31_106
.LBB31_105:                             ;   in Loop: Header=BB31_106 Depth=1
	s_add_i32 s19, s20, 0xffffff8c
	v_mov_b32_e32 v2, s19
	ds_read_b32 v2, v2
	s_add_i32 s19, s5, -4
	s_add_i32 s4, s4, -16
	;; [unrolled: 1-line block ×5, first 2 shown]
	s_waitcnt lgkmcnt(0)
	v_mul_f32_e32 v2, v4, v2
	s_cmp_lt_i32 s5, 4
	s_mov_b32 s5, s19
	ds_write_b32 v5, v2
	s_cbranch_scc1 .LBB31_114
.LBB31_106:                             ; =>This Loop Header: Depth=1
                                        ;     Child Loop BB31_107 Depth 2
                                        ;     Child Loop BB31_109 Depth 2
	;; [unrolled: 1-line block ×4, first 2 shown]
	s_mul_i32 s19, s5, 0x70
	v_add_u32_e32 v6, s19, v1
	ds_read_b32 v2, v6
	s_cmp_le_i32 s7, s5
	v_mov_b32_e32 v4, v3
	s_mov_b32 s20, s4
	s_mov_b32 s21, s7
	s_cbranch_scc1 .LBB31_108
.LBB31_107:                             ;   Parent Loop BB31_106 Depth=1
                                        ; =>  This Inner Loop Header: Depth=2
	v_mov_b32_e32 v7, s20
	ds_read_b32 v5, v4
	ds_read_b32 v7, v7
	s_add_i32 s21, s21, -1
	s_addk_i32 s20, 0xff90
	v_add_u32_e32 v4, 0xffffff90, v4
	s_cmp_gt_i32 s21, s5
	s_waitcnt lgkmcnt(0)
	v_fma_f32 v2, -v5, v7, v2
	s_cbranch_scc1 .LBB31_107
.LBB31_108:                             ;   in Loop: Header=BB31_106 Depth=1
	s_mul_i32 s20, s5, 0x74
	v_mov_b32_e32 v4, s20
	ds_read_b32 v7, v4
	s_addk_i32 s19, 0xff90
	v_add_u32_e32 v5, s19, v1
	ds_read_b32 v4, v5
	s_cmp_le_i32 s26, s5
	s_waitcnt lgkmcnt(1)
	v_mul_f32_e32 v2, v2, v7
	ds_write_b32 v6, v2
	v_mov_b32_e32 v2, v3
	s_mov_b32 s21, s16
	s_mov_b32 s24, s26
	s_cbranch_scc1 .LBB31_110
.LBB31_109:                             ;   Parent Loop BB31_106 Depth=1
                                        ; =>  This Inner Loop Header: Depth=2
	v_mov_b32_e32 v7, s21
	ds_read_b32 v6, v2
	ds_read_b32 v7, v7
	s_add_i32 s24, s24, -1
	s_addk_i32 s21, 0xff90
	v_add_u32_e32 v2, 0xffffff90, v2
	s_cmp_gt_i32 s24, s5
	s_waitcnt lgkmcnt(0)
	v_fma_f32 v4, -v6, v7, v4
	s_cbranch_scc1 .LBB31_109
.LBB31_110:                             ;   in Loop: Header=BB31_106 Depth=1
	s_addk_i32 s20, 0xff8c
	v_mov_b32_e32 v2, s20
	ds_read_b32 v7, v2
	s_addk_i32 s19, 0xff90
	v_add_u32_e32 v6, s19, v1
	ds_read_b32 v2, v6
	s_add_i32 s21, s5, -2
	s_waitcnt lgkmcnt(1)
	v_mul_f32_e32 v4, v4, v7
	ds_write_b32 v5, v4
	s_cmp_le_i32 s7, s21
	v_mov_b32_e32 v4, v3
	s_mov_b32 s24, s17
	s_mov_b32 s25, s7
	s_cbranch_scc1 .LBB31_112
.LBB31_111:                             ;   Parent Loop BB31_106 Depth=1
                                        ; =>  This Inner Loop Header: Depth=2
	v_mov_b32_e32 v7, s24
	ds_read_b32 v5, v4
	ds_read_b32 v7, v7
	s_add_i32 s25, s25, -1
	s_addk_i32 s24, 0xff90
	v_add_u32_e32 v4, 0xffffff90, v4
	s_cmp_gt_i32 s25, s21
	s_waitcnt lgkmcnt(0)
	v_fma_f32 v2, -v5, v7, v2
	s_cbranch_scc1 .LBB31_111
.LBB31_112:                             ;   in Loop: Header=BB31_106 Depth=1
	s_addk_i32 s20, 0xff8c
	v_mov_b32_e32 v4, s20
	ds_read_b32 v7, v4
	s_addk_i32 s19, 0xff90
	v_add_u32_e32 v5, s19, v1
	ds_read_b32 v4, v5
	s_add_i32 s21, s5, -3
	s_waitcnt lgkmcnt(1)
	v_mul_f32_e32 v2, v2, v7
	ds_write_b32 v6, v2
	s_cmp_le_i32 s7, s21
	v_mov_b32_e32 v2, v3
	s_mov_b32 s19, s18
	s_mov_b32 s24, s7
	s_cbranch_scc1 .LBB31_105
.LBB31_113:                             ;   Parent Loop BB31_106 Depth=1
                                        ; =>  This Inner Loop Header: Depth=2
	v_mov_b32_e32 v7, s19
	ds_read_b32 v6, v2
	ds_read_b32 v7, v7
	s_add_i32 s24, s24, -1
	s_addk_i32 s19, 0xff90
	v_add_u32_e32 v2, 0xffffff90, v2
	s_cmp_gt_i32 s24, s21
	s_waitcnt lgkmcnt(0)
	v_fma_f32 v4, -v6, v7, v4
	s_cbranch_scc1 .LBB31_113
	s_branch .LBB31_105
.LBB31_114:
	s_waitcnt lgkmcnt(0)
	; wave barrier
	s_and_saveexec_b64 s[4:5], s[0:1]
	s_cbranch_execz .LBB31_123
; %bb.115:
	s_andn2_b64 vcc, exec, s[14:15]
	s_cbranch_vccnz .LBB31_123
; %bb.116:
	s_cmp_eq_u32 s6, 1
	s_cbranch_scc1 .LBB31_120
; %bb.117:
	v_mad_i64_i32 v[2:3], s[0:1], s22, v0, 0
	s_and_b32 s4, s26, 30
	v_lshl_add_u64 v[2:3], v[2:3], 2, s[12:13]
	s_mov_b32 s0, 1
	s_mov_b32 s1, 0
	;; [unrolled: 1-line block ×3, first 2 shown]
.LBB31_118:                             ; =>This Inner Loop Header: Depth=1
	s_mul_i32 s6, s0, 0x70
	s_mul_i32 s7, s1, 0x70
	v_add_u32_e32 v4, s7, v1
	v_add_u32_e32 v5, s6, v1
	ds_read_b32 v4, v4
	ds_read_b32 v5, v5
	s_add_i32 s1, s1, 2
	s_add_i32 s0, s0, 2
	s_add_i32 s5, s5, -2
	s_cmp_lg_u32 s5, 0
	s_waitcnt lgkmcnt(0)
	flat_store_dwordx2 v[2:3], v[4:5]
	v_lshl_add_u64 v[2:3], v[2:3], 0, 8
	s_cbranch_scc1 .LBB31_118
; %bb.119:
	s_cmp_lg_u32 s26, s4
	s_cselect_b64 s[0:1], -1, 0
	s_and_b64 vcc, exec, s[0:1]
	s_cbranch_vccnz .LBB31_121
	s_branch .LBB31_123
.LBB31_120:
	s_mov_b32 s4, 0
	s_cbranch_execz .LBB31_123
.LBB31_121:
	s_sub_i32 s0, s26, s4
	s_lshl_b32 s1, s4, 2
	v_lshlrev_b32_e32 v2, 2, v0
	v_mov_b32_e32 v3, 0
	s_add_u32 s1, s8, s1
	v_lshl_add_u64 v[4:5], s[2:3], 2, v[2:3]
	s_addc_u32 s3, s9, 0
	s_add_u32 s2, s1, s10
	s_addc_u32 s3, s3, s11
	v_mov_b64_e32 v[2:3], s[2:3]
	s_mul_i32 s1, s4, 0x70
	v_mad_u64_u32 v[2:3], s[2:3], v4, s22, v[2:3]
	v_mul_lo_u32 v1, v4, s23
	v_mul_lo_u32 v4, v5, s22
	v_lshl_add_u32 v0, v0, 2, s1
	v_add3_u32 v3, v4, v3, v1
	v_add_u32_e32 v0, 0xc40, v0
.LBB31_122:                             ; =>This Inner Loop Header: Depth=1
	ds_read_b32 v1, v0
	s_add_i32 s0, s0, -1
	v_add_u32_e32 v0, 0x70, v0
	s_cmp_lg_u32 s0, 0
	s_waitcnt lgkmcnt(0)
	flat_store_dword v[2:3], v1
	v_lshl_add_u64 v[2:3], v[2:3], 0, 4
	s_cbranch_scc1 .LBB31_122
.LBB31_123:
	s_endpgm
	.section	.rodata,"a",@progbits
	.p2align	6, 0x0
	.amdhsa_kernel _ZL38rocblas_trsm_small_left_device_sharedBILi28ELi28ELb0EffPKPKfPKPfEv13rocblas_fill_18rocblas_operation_17rocblas_diagonal_iiT3_T4_lilT5_lili
		.amdhsa_group_segment_fixed_size 6272
		.amdhsa_private_segment_fixed_size 0
		.amdhsa_kernarg_size 352
		.amdhsa_user_sgpr_count 2
		.amdhsa_user_sgpr_dispatch_ptr 0
		.amdhsa_user_sgpr_queue_ptr 0
		.amdhsa_user_sgpr_kernarg_segment_ptr 1
		.amdhsa_user_sgpr_dispatch_id 0
		.amdhsa_user_sgpr_kernarg_preload_length 0
		.amdhsa_user_sgpr_kernarg_preload_offset 0
		.amdhsa_user_sgpr_private_segment_size 0
		.amdhsa_uses_dynamic_stack 0
		.amdhsa_enable_private_segment 0
		.amdhsa_system_sgpr_workgroup_id_x 1
		.amdhsa_system_sgpr_workgroup_id_y 0
		.amdhsa_system_sgpr_workgroup_id_z 1
		.amdhsa_system_sgpr_workgroup_info 0
		.amdhsa_system_vgpr_workitem_id 0
		.amdhsa_next_free_vgpr 99
		.amdhsa_next_free_sgpr 75
		.amdhsa_accum_offset 100
		.amdhsa_reserve_vcc 1
		.amdhsa_float_round_mode_32 0
		.amdhsa_float_round_mode_16_64 0
		.amdhsa_float_denorm_mode_32 3
		.amdhsa_float_denorm_mode_16_64 3
		.amdhsa_dx10_clamp 1
		.amdhsa_ieee_mode 1
		.amdhsa_fp16_overflow 0
		.amdhsa_tg_split 0
		.amdhsa_exception_fp_ieee_invalid_op 0
		.amdhsa_exception_fp_denorm_src 0
		.amdhsa_exception_fp_ieee_div_zero 0
		.amdhsa_exception_fp_ieee_overflow 0
		.amdhsa_exception_fp_ieee_underflow 0
		.amdhsa_exception_fp_ieee_inexact 0
		.amdhsa_exception_int_div_zero 0
	.end_amdhsa_kernel
	.section	.text._ZL38rocblas_trsm_small_left_device_sharedBILi28ELi28ELb0EffPKPKfPKPfEv13rocblas_fill_18rocblas_operation_17rocblas_diagonal_iiT3_T4_lilT5_lili,"axG",@progbits,_ZL38rocblas_trsm_small_left_device_sharedBILi28ELi28ELb0EffPKPKfPKPfEv13rocblas_fill_18rocblas_operation_17rocblas_diagonal_iiT3_T4_lilT5_lili,comdat
.Lfunc_end31:
	.size	_ZL38rocblas_trsm_small_left_device_sharedBILi28ELi28ELb0EffPKPKfPKPfEv13rocblas_fill_18rocblas_operation_17rocblas_diagonal_iiT3_T4_lilT5_lili, .Lfunc_end31-_ZL38rocblas_trsm_small_left_device_sharedBILi28ELi28ELb0EffPKPKfPKPfEv13rocblas_fill_18rocblas_operation_17rocblas_diagonal_iiT3_T4_lilT5_lili
                                        ; -- End function
	.set _ZL38rocblas_trsm_small_left_device_sharedBILi28ELi28ELb0EffPKPKfPKPfEv13rocblas_fill_18rocblas_operation_17rocblas_diagonal_iiT3_T4_lilT5_lili.num_vgpr, 99
	.set _ZL38rocblas_trsm_small_left_device_sharedBILi28ELi28ELb0EffPKPKfPKPfEv13rocblas_fill_18rocblas_operation_17rocblas_diagonal_iiT3_T4_lilT5_lili.num_agpr, 0
	.set _ZL38rocblas_trsm_small_left_device_sharedBILi28ELi28ELb0EffPKPKfPKPfEv13rocblas_fill_18rocblas_operation_17rocblas_diagonal_iiT3_T4_lilT5_lili.numbered_sgpr, 42
	.set _ZL38rocblas_trsm_small_left_device_sharedBILi28ELi28ELb0EffPKPKfPKPfEv13rocblas_fill_18rocblas_operation_17rocblas_diagonal_iiT3_T4_lilT5_lili.num_named_barrier, 0
	.set _ZL38rocblas_trsm_small_left_device_sharedBILi28ELi28ELb0EffPKPKfPKPfEv13rocblas_fill_18rocblas_operation_17rocblas_diagonal_iiT3_T4_lilT5_lili.private_seg_size, 0
	.set _ZL38rocblas_trsm_small_left_device_sharedBILi28ELi28ELb0EffPKPKfPKPfEv13rocblas_fill_18rocblas_operation_17rocblas_diagonal_iiT3_T4_lilT5_lili.uses_vcc, 1
	.set _ZL38rocblas_trsm_small_left_device_sharedBILi28ELi28ELb0EffPKPKfPKPfEv13rocblas_fill_18rocblas_operation_17rocblas_diagonal_iiT3_T4_lilT5_lili.uses_flat_scratch, 0
	.set _ZL38rocblas_trsm_small_left_device_sharedBILi28ELi28ELb0EffPKPKfPKPfEv13rocblas_fill_18rocblas_operation_17rocblas_diagonal_iiT3_T4_lilT5_lili.has_dyn_sized_stack, 0
	.set _ZL38rocblas_trsm_small_left_device_sharedBILi28ELi28ELb0EffPKPKfPKPfEv13rocblas_fill_18rocblas_operation_17rocblas_diagonal_iiT3_T4_lilT5_lili.has_recursion, 0
	.set _ZL38rocblas_trsm_small_left_device_sharedBILi28ELi28ELb0EffPKPKfPKPfEv13rocblas_fill_18rocblas_operation_17rocblas_diagonal_iiT3_T4_lilT5_lili.has_indirect_call, 0
	.section	.AMDGPU.csdata,"",@progbits
; Kernel info:
; codeLenInByte = 22328
; TotalNumSgprs: 48
; NumVgprs: 99
; NumAgprs: 0
; TotalNumVgprs: 99
; ScratchSize: 0
; MemoryBound: 0
; FloatMode: 240
; IeeeMode: 1
; LDSByteSize: 6272 bytes/workgroup (compile time only)
; SGPRBlocks: 10
; VGPRBlocks: 12
; NumSGPRsForWavesPerEU: 81
; NumVGPRsForWavesPerEU: 99
; AccumOffset: 100
; Occupancy: 4
; WaveLimiterHint : 0
; COMPUTE_PGM_RSRC2:SCRATCH_EN: 0
; COMPUTE_PGM_RSRC2:USER_SGPR: 2
; COMPUTE_PGM_RSRC2:TRAP_HANDLER: 0
; COMPUTE_PGM_RSRC2:TGID_X_EN: 1
; COMPUTE_PGM_RSRC2:TGID_Y_EN: 0
; COMPUTE_PGM_RSRC2:TGID_Z_EN: 1
; COMPUTE_PGM_RSRC2:TIDIG_COMP_CNT: 0
; COMPUTE_PGM_RSRC3_GFX90A:ACCUM_OFFSET: 24
; COMPUTE_PGM_RSRC3_GFX90A:TG_SPLIT: 0
	.section	.text._ZL30rocblas_trsm_small_left_deviceILi28ELi28ELb0EffPKPKfPKPfEv13rocblas_fill_18rocblas_operation_17rocblas_diagonal_iiT3_T4_lilT5_lili,"axG",@progbits,_ZL30rocblas_trsm_small_left_deviceILi28ELi28ELb0EffPKPKfPKPfEv13rocblas_fill_18rocblas_operation_17rocblas_diagonal_iiT3_T4_lilT5_lili,comdat
	.globl	_ZL30rocblas_trsm_small_left_deviceILi28ELi28ELb0EffPKPKfPKPfEv13rocblas_fill_18rocblas_operation_17rocblas_diagonal_iiT3_T4_lilT5_lili ; -- Begin function _ZL30rocblas_trsm_small_left_deviceILi28ELi28ELb0EffPKPKfPKPfEv13rocblas_fill_18rocblas_operation_17rocblas_diagonal_iiT3_T4_lilT5_lili
	.p2align	8
	.type	_ZL30rocblas_trsm_small_left_deviceILi28ELi28ELb0EffPKPKfPKPfEv13rocblas_fill_18rocblas_operation_17rocblas_diagonal_iiT3_T4_lilT5_lili,@function
_ZL30rocblas_trsm_small_left_deviceILi28ELi28ELb0EffPKPKfPKPfEv13rocblas_fill_18rocblas_operation_17rocblas_diagonal_iiT3_T4_lilT5_lili: ; @_ZL30rocblas_trsm_small_left_deviceILi28ELi28ELb0EffPKPKfPKPfEv13rocblas_fill_18rocblas_operation_17rocblas_diagonal_iiT3_T4_lilT5_lili
; %bb.0:
	s_load_dwordx4 s[8:11], s[0:1], 0x38
	s_load_dwordx4 s[4:7], s[0:1], 0x4
	s_load_dword s16, s[0:1], 0x14
	s_mov_b32 s20, s3
	s_mov_b32 s21, 0
	s_lshl_b64 s[24:25], s[20:21], 3
	s_waitcnt lgkmcnt(0)
	s_add_u32 s8, s8, s24
	s_addc_u32 s9, s9, s25
	s_load_dwordx2 s[8:9], s[8:9], 0x0
	s_min_i32 s17, s6, 28
	v_cmp_gt_i32_e32 vcc, s17, v0
	s_and_saveexec_b64 s[18:19], vcc
	s_cbranch_execz .LBB32_11
; %bb.1:
	s_load_dwordx4 s[12:15], s[0:1], 0x18
	s_load_dword s22, s[0:1], 0x28
	v_lshlrev_b32_e32 v2, 2, v0
	v_mov_b32_e32 v3, 0
	s_mov_b32 s3, 1
	s_waitcnt lgkmcnt(0)
	s_add_u32 s12, s12, s24
	s_addc_u32 s13, s13, s25
	s_load_dwordx2 s[12:13], s[12:13], 0x0
	s_cmp_lt_u32 s17, 2
	s_cselect_b64 s[26:27], -1, 0
	s_cmp_lg_u32 s22, 1
	s_cselect_b64 s[28:29], -1, 0
	s_or_b64 s[26:27], s[26:27], s[28:29]
	s_mov_b64 s[24:25], -1
	s_and_b64 vcc, exec, s[26:27]
	s_cbranch_vccnz .LBB32_5
; %bb.2:
	s_lshl_b64 s[20:21], s[14:15], 2
	s_waitcnt lgkmcnt(0)
	s_add_u32 s20, s12, s20
	s_addc_u32 s21, s13, s21
	v_lshl_add_u64 v[4:5], s[20:21], 0, v[2:3]
	s_and_b32 s21, s17, -2
	s_mov_b32 s20, 0
	s_mov_b32 s23, s21
.LBB32_3:                               ; =>This Inner Loop Header: Depth=1
	flat_load_dwordx2 v[6:7], v[4:5]
	s_mul_i32 s24, s3, 0x70
	s_mul_i32 s25, s20, 0x70
	s_add_i32 s20, s20, 2
	s_add_i32 s3, s3, 2
	s_add_i32 s23, s23, -2
	v_lshl_add_u64 v[4:5], v[4:5], 0, 8
	v_add_u32_e32 v1, s25, v2
	s_cmp_lg_u32 s23, 0
	v_add_u32_e32 v3, s24, v2
	s_waitcnt vmcnt(0) lgkmcnt(0)
	ds_write_b32 v1, v6
	ds_write_b32 v3, v7
	s_cbranch_scc1 .LBB32_3
; %bb.4:
	s_cmp_lg_u32 s17, s21
	s_cselect_b64 s[24:25], -1, 0
.LBB32_5:
	s_and_b64 vcc, exec, s[24:25]
	s_cbranch_vccz .LBB32_8
; %bb.6:
	s_ashr_i32 s23, s22, 31
	s_mul_hi_u32 s3, s22, s21
	s_mul_i32 s20, s23, s21
	s_add_i32 s25, s3, s20
	s_mul_i32 s24, s22, s21
	s_lshl_b64 s[24:25], s[24:25], 2
	s_lshl_b64 s[14:15], s[14:15], 2
	s_add_u32 s3, s24, s14
	s_addc_u32 s14, s25, s15
	s_waitcnt lgkmcnt(0)
	s_add_u32 s12, s12, s3
	v_mov_b32_e32 v3, 0
	s_addc_u32 s13, s13, s14
	s_mul_i32 s14, s21, 0x70
	v_lshl_add_u64 v[4:5], s[12:13], 0, v[2:3]
	s_lshl_b64 s[12:13], s[22:23], 2
	s_sub_i32 s3, s17, s21
	v_lshl_add_u32 v1, v0, 2, s14
.LBB32_7:                               ; =>This Inner Loop Header: Depth=1
	flat_load_dword v3, v[4:5]
	s_add_i32 s3, s3, -1
	v_lshl_add_u64 v[4:5], v[4:5], 0, s[12:13]
	s_cmp_eq_u32 s3, 0
	s_waitcnt vmcnt(0) lgkmcnt(0)
	ds_write_b32 v1, v3
	v_add_u32_e32 v1, 0x70, v1
	s_cbranch_scc0 .LBB32_7
.LBB32_8:
	v_mul_u32_u24_e32 v1, 0x70, v0
	s_cmpk_lg_i32 s5, 0x84
	v_mov_b32_e32 v3, 1.0
	v_add_u32_e32 v1, v2, v1
	s_cbranch_scc0 .LBB32_10
; %bb.9:
	ds_read_b32 v2, v1
	s_waitcnt lgkmcnt(0)
	v_div_scale_f32 v3, s[12:13], v2, v2, 1.0
	v_rcp_f32_e32 v4, v3
	v_div_scale_f32 v5, vcc, 1.0, v2, 1.0
	v_fma_f32 v6, -v3, v4, 1.0
	v_fmac_f32_e32 v4, v6, v4
	v_mul_f32_e32 v6, v5, v4
	v_fma_f32 v7, -v3, v6, v5
	v_fmac_f32_e32 v6, v7, v4
	v_fma_f32 v3, -v3, v6, v5
	v_div_fmas_f32 v3, v3, v4, v6
	v_div_fixup_f32 v3, v3, v2, 1.0
.LBB32_10:
	ds_write_b32 v1, v3
.LBB32_11:
	s_or_b64 exec, exec, s[18:19]
	s_load_dword s3, s[0:1], 0x60
	s_mul_i32 s5, s2, 0xffffffe4
	s_add_i32 s5, s7, s5
	s_waitcnt lgkmcnt(0)
	; wave barrier
	s_add_i32 s3, s3, -1
	s_cmp_ge_u32 s2, s3
	s_cselect_b32 s3, s5, 28
	v_cmp_gt_i32_e32 vcc, s3, v0
	s_and_saveexec_b64 s[12:13], vcc
	s_cbranch_execz .LBB32_110
; %bb.12:
	s_load_dword s5, s[0:1], 0x48
	s_lshl_b64 s[0:1], s[10:11], 2
	s_add_u32 s0, s8, s0
	v_mad_u64_u32 v[0:1], s[2:3], s2, 28, v[0:1]
	s_addc_u32 s1, s9, s1
	s_waitcnt lgkmcnt(0)
	v_mad_i64_i32 v[0:1], s[2:3], s5, v0, 0
	v_lshl_add_u64 v[36:37], v[0:1], 2, s[0:1]
	s_cmpk_eq_i32 s4, 0x6f
	s_mov_b64 s[0:1], -1
	s_cbranch_scc1 .LBB32_30
; %bb.13:
	s_cmp_lt_i32 s6, 28
	s_cselect_b64 s[2:3], -1, 0
	s_cmp_gt_i32 s6, 27
	s_cbranch_scc0 .LBB32_15
; %bb.14:
	flat_load_dwordx4 v[14:17], v[36:37]
	flat_load_dwordx4 v[18:21], v[36:37] offset:16
	flat_load_dwordx4 v[44:47], v[36:37] offset:32
	;; [unrolled: 1-line block ×6, first 2 shown]
	v_mov_b32_e32 v96, 0
	v_mov_b32_e32 v35, 0x40c
	ds_read_b32 v39, v96
	ds_read_b64 v[30:31], v96 offset:112
	ds_read_b96 v[74:76], v96 offset:224
	ds_read2_b32 v[82:83], v96 offset0:116 offset1:145
	ds_read_b128 v[48:51], v96 offset:336
	ds_read_b128 v[54:57], v96 offset:448
	ds_read_b96 v[84:86], v96 offset:560
	ds_read2_b32 v[92:93], v96 offset0:143 offset1:144
	ds_read_b96 v[32:34], v96 offset:688
	ds_read_b128 v[64:67], v96 offset:672
	ds_read_b96 v[104:106], v96 offset:784
	ds_read2_b32 v[94:95], v96 offset0:199 offset1:200
	ds_read2_b32 v[62:63], v96 offset0:203 offset1:232
	;; [unrolled: 1-line block ×3, first 2 shown]
	ds_read_b128 v[70:73], v96 offset:896
	ds_read_b96 v[108:110], v96 offset:1008
	ds_read_b128 v[26:29], v96 offset:912
	ds_read2_b32 v[60:61], v35 offset1:1
	v_mov_b32_e32 v12, 0x3fc
	v_mov_b32_e32 v13, 0x404
	s_movk_i32 s0, 0x400
	v_mov_b32_e32 v38, s16
	s_waitcnt lgkmcnt(0)
	v_mov_b32_e32 v43, v30
	v_add_u32_e64 v35, s0, 0
	ds_read2_b32 v[102:103], v12 offset1:1
	ds_read2_b32 v[12:13], v13 offset1:1
	ds_read_b32 v97, v96 offset:1044
	ds_read_b64 v[40:41], v96 offset:1120
	ds_read2_b32 v[52:53], v35 offset0:34 offset1:52
	v_mov_b32_e32 v77, 0x4d4
	v_mov_b32_e32 v58, v49
	;; [unrolled: 1-line block ×15, first 2 shown]
	s_movk_i32 s0, 0x800
	v_mov_b32_e32 v130, 0x794
	s_waitcnt vmcnt(0)
	v_mul_f32_e32 v14, s16, v14
	v_mov_b32_e32 v42, v15
	v_mul_f32_e32 v39, v14, v39
	v_pk_mul_f32 v[14:15], v[38:39], v[42:43]
	v_mov_b32_e32 v42, v39
	v_sub_f32_e32 v14, v14, v15
	v_mul_f32_e32 v43, v14, v31
	v_pk_mul_f32 v[54:55], v[42:43], v[54:55]
	s_waitcnt lgkmcnt(1)
	v_pk_mul_f32 v[30:31], v[42:43], v[40:41]
	v_pk_mul_f32 v[40:41], v[42:43], v[70:71]
	;; [unrolled: 1-line block ×4, first 2 shown]
	v_fma_f32 v18, s16, v18, -v54
	v_mov_b32_e32 v48, v17
	v_mov_b32_e32 v68, v19
	v_mov_b32_e32 v80, v21
	v_mov_b32_e32 v84, v45
	s_waitcnt lgkmcnt(0)
	v_mul_f32_e32 v17, v39, v53
	flat_store_dwordx2 v[36:37], v[42:43]
	v_fma_f32 v19, s16, v46, -v30
	v_fma_f32 v21, s16, v44, -v40
	;; [unrolled: 1-line block ×4, first 2 shown]
	v_sub_f32_e32 v53, v18, v55
	v_mov_b32_e32 v18, 0x4ec
	v_pk_mul_f32 v[48:49], v[38:39], v[48:49]
	v_pk_mul_f32 v[104:105], v[38:39], v[68:69]
	;; [unrolled: 1-line block ×4, first 2 shown]
	v_fma_f32 v38, s16, v47, -v17
	ds_read2_b64 v[84:87], v96 offset0:141 offset1:142
	ds_read2_b64 v[14:17], v96 offset0:143 offset1:144
	v_sub_f32_e32 v46, v30, v71
	v_sub_f32_e32 v50, v20, v65
	;; [unrolled: 1-line block ×4, first 2 shown]
	ds_read2_b32 v[30:31], v77 offset1:1
	ds_read2_b32 v[44:45], v100 offset1:1
	ds_read2_b32 v[114:115], v101 offset1:1
	ds_read2_b32 v[70:71], v18 offset1:1
	ds_read_b128 v[18:21], v96 offset:1344
	ds_read2_b32 v[54:55], v35 offset0:63 offset1:92
	v_mov_b32_e32 v47, 0x4f4
	ds_read_b96 v[40:42], v96 offset:1456
	ds_read2_b32 v[64:65], v47 offset1:1
	v_mul_f32_e32 v47, v46, v76
	s_waitcnt lgkmcnt(0)
	v_mul_f32_e32 v18, v39, v18
	v_fma_f32 v4, s16, v4, -v18
	v_fma_f32 v100, -v43, v19, v4
	v_mul_f32_e32 v4, v39, v40
	v_fma_f32 v4, s16, v5, -v4
	v_mov_b32_e32 v46, v43
	v_fma_f32 v40, -v43, v41, v4
	v_pk_mul_f32 v[4:5], v[46:47], v[58:59]
	v_sub_f32_e32 v18, v48, v49
	v_sub_f32_e32 v4, v18, v4
	;; [unrolled: 1-line block ×3, first 2 shown]
	v_mul_f32_e32 v49, v41, v51
	v_mov_b32_e32 v48, v47
	v_pk_mul_f32 v[18:19], v[46:47], v[30:31]
	v_fma_f32 v42, -v47, v42, v40
	v_pk_mul_f32 v[40:41], v[48:49], v[66:67]
	v_sub_f32_e32 v18, v38, v18
	v_pk_mul_f32 v[30:31], v[48:49], v[72:73]
	v_sub_f32_e32 v38, v50, v40
	v_pk_mul_f32 v[50:51], v[48:49], v[56:57]
	v_pk_mul_f32 v[4:5], v[46:47], v[88:89]
	;; [unrolled: 1-line block ×4, first 2 shown]
	v_sub_f32_e32 v46, v18, v19
	v_pk_mul_f32 v[18:19], v[48:49], v[20:21]
	v_pk_mul_f32 v[20:21], v[48:49], v[84:85]
	v_sub_f32_e32 v30, v74, v30
	v_sub_f32_e32 v40, v53, v50
	;; [unrolled: 1-line block ×4, first 2 shown]
	flat_store_dwordx2 v[36:37], v[48:49] offset:8
	v_sub_f32_e32 v48, v40, v51
	v_sub_f32_e32 v74, v30, v31
	v_mov_b32_e32 v30, 0x5bc
	v_mov_b32_e32 v40, 0x5c4
	v_sub_f32_e32 v53, v38, v41
	v_sub_f32_e32 v75, v20, v21
	;; [unrolled: 1-line block ×3, first 2 shown]
	ds_read_b128 v[98:101], v96 offset:1360
	ds_read_b128 v[18:21], v96 offset:1376
	v_mov_b32_e32 v41, 0x5cc
	v_mov_b32_e32 v50, 0x5d4
	ds_read_b32 v38, v96 offset:1508
	ds_read_b128 v[56:59], v96 offset:1568
	ds_read2_b32 v[30:31], v30 offset1:1
	ds_read2_b32 v[118:119], v40 offset1:1
	;; [unrolled: 1-line block ×4, first 2 shown]
	v_mov_b32_e32 v40, 0x5dc
	ds_read2_b32 v[66:67], v40 offset1:1
	ds_read_b128 v[88:91], v96 offset:1680
	s_waitcnt lgkmcnt(0)
	v_mul_f32_e32 v40, v39, v56
	v_fma_f32 v6, s16, v6, -v40
	v_fma_f32 v6, -v43, v57, v6
	v_fma_f32 v6, -v47, v58, v6
	;; [unrolled: 1-line block ×3, first 2 shown]
	v_mul_f32_e32 v6, v39, v88
	v_fma_f32 v6, s16, v7, -v6
	v_fma_f32 v6, -v43, v89, v6
	v_mul_f32_e32 v57, v48, v82
	v_sub_f32_e32 v48, v104, v105
	v_fma_f32 v6, -v47, v90, v6
	v_mov_b32_e32 v56, v49
	v_sub_f32_e32 v4, v48, v4
	v_fma_f32 v88, -v49, v91, v6
	v_pk_mul_f32 v[6:7], v[56:57], v[92:93]
	v_sub_f32_e32 v4, v4, v5
	ds_read2_b32 v[40:41], v35 offset0:150 offset1:168
	ds_read_b64 v[50:51], v96 offset:1584
	v_sub_f32_e32 v4, v4, v6
	v_sub_f32_e32 v6, v4, v7
	v_pk_mul_f32 v[4:5], v[56:57], v[44:45]
	v_mul_f32_e32 v59, v6, v83
	v_sub_f32_e32 v4, v46, v4
	v_sub_f32_e32 v46, v4, v5
	v_pk_mul_f32 v[4:5], v[56:57], v[30:31]
	v_mov_b32_e32 v58, v57
	v_sub_f32_e32 v4, v42, v4
	v_pk_mul_f32 v[26:27], v[58:59], v[26:27]
	v_sub_f32_e32 v42, v4, v5
	s_waitcnt lgkmcnt(0)
	v_pk_mul_f32 v[4:5], v[58:59], v[50:51]
	v_pk_mul_f32 v[6:7], v[58:59], v[98:99]
	;; [unrolled: 1-line block ×3, first 2 shown]
	v_sub_f32_e32 v26, v74, v26
	v_pk_mul_f32 v[32:33], v[58:59], v[32:33]
	v_pk_mul_f32 v[120:121], v[56:57], v[94:95]
	;; [unrolled: 1-line block ×3, first 2 shown]
	v_sub_f32_e32 v4, v107, v4
	v_sub_f32_e32 v6, v106, v6
	v_sub_f32_e32 v30, v75, v30
	v_sub_f32_e32 v32, v53, v32
	flat_store_dwordx2 v[36:37], v[58:59] offset:16
	v_sub_f32_e32 v56, v26, v27
	v_mov_b32_e32 v27, 0x6ac
	v_mov_b32_e32 v44, 0x6bc
	v_mov_b32_e32 v45, 0x6c4
	v_fma_f32 v48, -v57, v41, v88
	v_sub_f32_e32 v53, v32, v33
	v_sub_f32_e32 v58, v30, v31
	;; [unrolled: 1-line block ×4, first 2 shown]
	v_mov_b32_e32 v41, 0x6b4
	ds_read2_b64 v[30:33], v96 offset0:199 offset1:200
	ds_read2_b64 v[4:7], v96 offset0:201 offset1:202
	ds_read_b128 v[86:89], v96 offset:1792
	ds_read2_b32 v[94:95], v27 offset1:1
	ds_read2_b32 v[90:91], v41 offset1:1
	;; [unrolled: 1-line block ×4, first 2 shown]
	ds_read2_b32 v[44:45], v35 offset0:179 offset1:208
	ds_read_b128 v[102:105], v96 offset:1808
	s_waitcnt lgkmcnt(0)
	v_mul_f32_e32 v27, v39, v86
	v_fma_f32 v22, s16, v22, -v27
	ds_read_b128 v[106:109], v96 offset:1904
	ds_read_b96 v[110:112], v96 offset:1920
	v_fma_f32 v22, -v43, v87, v22
	v_fma_f32 v22, -v47, v88, v22
	;; [unrolled: 1-line block ×5, first 2 shown]
	s_waitcnt lgkmcnt(0)
	v_mul_f32_e32 v22, v39, v106
	v_fma_f32 v22, s16, v23, -v22
	v_fma_f32 v22, -v43, v107, v22
	ds_read_b32 v41, v96 offset:1972
	ds_read_b128 v[86:89], v96 offset:2016
	v_fma_f32 v22, -v47, v108, v22
	v_fma_f32 v22, -v49, v109, v22
	v_mul_f32_e32 v75, v53, v34
	v_sub_f32_e32 v34, v80, v81
	v_mov_b32_e32 v26, 0x6a4
	v_fma_f32 v22, -v57, v110, v22
	v_mov_b32_e32 v74, v59
	v_sub_f32_e32 v34, v34, v116
	v_fma_f32 v102, -v59, v111, v22
	ds_read2_b32 v[22:23], v26 offset1:1
	ds_read_b128 v[106:109], v96 offset:2032
	v_sub_f32_e32 v34, v34, v117
	v_pk_mul_f32 v[124:125], v[74:75], v[12:13]
	v_pk_mul_f32 v[12:13], v[74:75], v[114:115]
	s_waitcnt lgkmcnt(0)
	v_mul_f32_e32 v27, v39, v86
	v_sub_f32_e32 v34, v34, v120
	v_sub_f32_e32 v12, v46, v12
	v_fma_f32 v24, s16, v24, -v27
	v_pk_mul_f32 v[26:27], v[74:75], v[78:79]
	v_sub_f32_e32 v34, v34, v121
	v_sub_f32_e32 v46, v12, v13
	v_pk_mul_f32 v[12:13], v[74:75], v[118:119]
	v_sub_f32_e32 v26, v34, v26
	v_sub_f32_e32 v12, v42, v12
	;; [unrolled: 1-line block ×4, first 2 shown]
	v_pk_mul_f32 v[12:13], v[74:75], v[22:23]
	v_mul_f32_e32 v79, v26, v62
	v_sub_f32_e32 v12, v48, v12
	v_mov_b32_e32 v78, v75
	v_fma_f32 v24, -v43, v87, v24
	v_sub_f32_e32 v48, v12, v13
	v_pk_mul_f32 v[12:13], v[78:79], v[104:105]
	v_pk_mul_f32 v[26:27], v[78:79], v[100:101]
	;; [unrolled: 1-line block ×4, first 2 shown]
	v_fma_f32 v24, -v47, v88, v24
	v_sub_f32_e32 v12, v35, v12
	v_sub_f32_e32 v26, v98, v26
	;; [unrolled: 1-line block ×4, first 2 shown]
	flat_store_dwordx2 v[36:37], v[78:79] offset:24
	v_fma_f32 v24, -v49, v89, v24
	v_pk_mul_f32 v[22:23], v[78:79], v[30:31]
	v_sub_f32_e32 v56, v28, v29
	v_sub_f32_e32 v58, v14, v15
	;; [unrolled: 1-line block ×4, first 2 shown]
	ds_read_b128 v[26:29], v96 offset:2048
	ds_read_b128 v[12:15], v96 offset:2064
	;; [unrolled: 1-line block ×3, first 2 shown]
	v_fma_f32 v24, -v57, v106, v24
	v_fma_f32 v24, -v59, v107, v24
	;; [unrolled: 1-line block ×3, first 2 shown]
	v_sub_f32_e32 v22, v99, v22
	v_fma_f32 v135, -v79, v109, v24
	v_add_u32_e64 v35, s0, 0
	s_waitcnt lgkmcnt(0)
	v_mul_f32_e32 v24, v39, v86
	v_sub_f32_e32 v123, v22, v23
	ds_read2_b32 v[22:23], v35 offset0:10 offset1:39
	ds_read_b128 v[98:101], v96 offset:2144
	v_fma_f32 v24, s16, v25, -v24
	v_fma_f32 v24, -v43, v87, v24
	v_fma_f32 v24, -v47, v88, v24
	;; [unrolled: 1-line block ×3, first 2 shown]
	ds_read_b96 v[118:120], v96 offset:2160
	ds_read_b128 v[86:89], v96 offset:2240
	s_waitcnt lgkmcnt(0)
	v_fma_f32 v24, -v57, v98, v24
	v_fma_f32 v24, -v59, v99, v24
	v_fma_f32 v24, -v75, v100, v24
	v_fma_f32 v136, -v79, v101, v24
	v_mul_f32_e32 v24, v39, v86
	v_fma_f32 v8, s16, v8, -v24
	ds_read_b128 v[98:101], v96 offset:2256
	v_fma_f32 v8, -v43, v87, v8
	v_fma_f32 v8, -v47, v88, v8
	;; [unrolled: 1-line block ×3, first 2 shown]
	ds_read_b128 v[86:89], v96 offset:2352
	v_fma_f32 v74, -v75, v112, v102
	ds_read_b128 v[102:105], v96 offset:2272
	s_waitcnt lgkmcnt(0)
	v_fma_f32 v8, -v57, v98, v8
	v_fma_f32 v8, -v59, v99, v8
	;; [unrolled: 1-line block ×3, first 2 shown]
	v_mov_b32_e32 v126, v119
	v_fma_f32 v119, -v79, v101, v8
	v_mul_f32_e32 v8, v39, v86
	ds_read2_b32 v[24:25], v35 offset0:68 offset1:97
	ds_read_b128 v[98:101], v96 offset:2368
	v_fma_f32 v8, s16, v9, -v8
	v_fma_f32 v8, -v43, v87, v8
	v_fma_f32 v8, -v47, v88, v8
	v_mov_b32_e32 v127, v120
	v_fma_f32 v8, -v49, v89, v8
	ds_read_b96 v[120:122], v96 offset:2384
	ds_read_b128 v[86:89], v96 offset:2464
	s_waitcnt lgkmcnt(0)
	v_fma_f32 v8, -v57, v98, v8
	v_fma_f32 v8, -v59, v99, v8
	;; [unrolled: 1-line block ×4, first 2 shown]
	v_mul_f32_e32 v8, v39, v86
	v_fma_f32 v8, s16, v10, -v8
	ds_read_b128 v[98:101], v96 offset:2480
	ds_read_b128 v[106:109], v96 offset:2496
	v_fma_f32 v8, -v43, v87, v8
	v_fma_f32 v8, -v47, v88, v8
	;; [unrolled: 1-line block ×3, first 2 shown]
	ds_read_b128 v[86:89], v96 offset:2576
	s_waitcnt lgkmcnt(0)
	v_fma_f32 v8, -v57, v98, v8
	v_fma_f32 v8, -v59, v99, v8
	;; [unrolled: 1-line block ×4, first 2 shown]
	ds_read2_b32 v[30:31], v35 offset0:126 offset1:144
	ds_read_b128 v[98:101], v96 offset:2592
	v_mul_f32_e32 v8, v39, v86
	v_fma_f32 v8, s16, v11, -v8
	v_fma_f32 v8, -v43, v87, v8
	v_fma_f32 v8, -v47, v88, v8
	;; [unrolled: 1-line block ×3, first 2 shown]
	s_waitcnt lgkmcnt(0)
	v_fma_f32 v8, -v57, v98, v8
	v_fma_f32 v8, -v59, v99, v8
	;; [unrolled: 1-line block ×3, first 2 shown]
	ds_read_b128 v[8:11], v96 offset:2688
	v_fma_f32 v139, -v79, v101, v42
	ds_read_b128 v[98:101], v96 offset:2608
	ds_read_b32 v42, v96 offset:2668
	ds_read_b128 v[86:89], v96 offset:2704
	v_mov_b32_e32 v34, 0x78c
	v_mov_b32_e32 v62, 0x79c
	s_waitcnt lgkmcnt(0)
	v_mul_f32_e32 v8, v39, v8
	v_fma_f32 v0, s16, v0, -v8
	v_fma_f32 v0, -v43, v9, v0
	v_fma_f32 v0, -v47, v10, v0
	;; [unrolled: 1-line block ×3, first 2 shown]
	ds_read2_b32 v[128:129], v34 offset1:1
	ds_read_b128 v[8:11], v96 offset:2800
	v_fma_f32 v0, -v57, v86, v0
	v_fma_f32 v0, -v59, v87, v0
	;; [unrolled: 1-line block ×4, first 2 shown]
	ds_read_b128 v[110:113], v96 offset:2720
	ds_read_b64 v[86:87], v96 offset:2736
	ds_read2_b32 v[34:35], v35 offset0:184 offset1:192
	s_waitcnt lgkmcnt(0)
	v_mul_f32_e32 v0, v39, v8
	v_fma_f32 v0, s16, v1, -v0
	v_fma_f32 v0, -v43, v9, v0
	v_fma_f32 v0, -v47, v10, v0
	;; [unrolled: 1-line block ×4, first 2 shown]
	v_mov_b32_e32 v0, 0x7ac
	v_mov_b32_e32 v1, 0x7a4
	v_mul_f32_e32 v133, v56, v63
	v_mov_b32_e32 v132, v79
	ds_read_b128 v[114:117], v96 offset:1824
	ds_read_b128 v[8:11], v96 offset:1840
	ds_read2_b32 v[80:81], v0 offset1:1
	ds_read2_b32 v[88:89], v1 offset1:1
	ds_read2_b32 v[0:1], v62 offset1:1
	ds_read2_b32 v[130:131], v130 offset1:1
	v_pk_mul_f32 v[62:63], v[132:133], v[128:129]
	v_pk_mul_f32 v[60:61], v[132:133], v[60:61]
	v_sub_f32_e32 v56, v74, v62
	v_sub_f32_e32 v62, v68, v69
	;; [unrolled: 1-line block ×10, first 2 shown]
	v_mul_f32_e32 v69, v62, v97
	v_mov_b32_e32 v68, v133
	v_pk_mul_f32 v[16:17], v[68:69], v[16:17]
	v_pk_mul_f32 v[32:33], v[68:69], v[32:33]
	v_sub_f32_e32 v16, v58, v16
	v_pk_mul_f32 v[60:61], v[132:133], v[70:71]
	v_sub_f32_e32 v32, v123, v32
	v_sub_f32_e32 v58, v16, v17
	;; [unrolled: 1-line block ×4, first 2 shown]
	v_mul_f32_e32 v33, v58, v52
	v_mov_b32_e32 v32, v69
	v_sub_f32_e32 v46, v46, v61
	v_pk_mul_f32 v[60:61], v[132:133], v[84:85]
	v_pk_mul_f32 v[16:17], v[68:69], v[26:27]
	;; [unrolled: 1-line block ×3, first 2 shown]
	v_sub_f32_e32 v53, v53, v60
	v_pk_mul_f32 v[18:19], v[68:69], v[18:19]
	v_sub_f32_e32 v26, v46, v26
	v_sub_f32_e32 v53, v53, v61
	v_pk_mul_f32 v[60:61], v[132:133], v[94:95]
	v_sub_f32_e32 v18, v78, v18
	;; [unrolled: 3-line block ×3, first 2 shown]
	v_sub_f32_e32 v56, v56, v63
	v_sub_f32_e32 v78, v18, v19
	s_waitcnt lgkmcnt(0)
	v_pk_mul_f32 v[18:19], v[32:33], v[130:131]
	v_sub_f32_e32 v26, v53, v26
	v_mul_f32_e32 v65, v46, v54
	v_mov_b32_e32 v64, v33
	v_sub_f32_e32 v48, v48, v61
	v_fma_f32 v71, -v133, v120, v137
	v_sub_f32_e32 v16, v135, v16
	v_sub_f32_e32 v18, v56, v18
	;; [unrolled: 1-line block ×3, first 2 shown]
	v_pk_mul_f32 v[26:27], v[32:33], v[90:91]
	v_pk_mul_f32 v[20:21], v[64:65], v[20:21]
	v_fma_f32 v63, -v133, v118, v136
	v_pk_mul_f32 v[60:61], v[68:69], v[114:115]
	flat_store_dwordx2 v[36:37], v[68:69] offset:32
	v_sub_f32_e32 v68, v16, v17
	v_pk_mul_f32 v[16:17], v[32:33], v[126:127]
	v_fma_f32 v52, -v69, v121, v71
	v_sub_f32_e32 v26, v48, v26
	v_sub_f32_e32 v20, v78, v20
	v_fma_f32 v70, -v133, v102, v119
	v_fma_f32 v76, -v133, v98, v139
	;; [unrolled: 1-line block ×3, first 2 shown]
	v_sub_f32_e32 v60, v134, v60
	v_sub_f32_e32 v16, v63, v16
	;; [unrolled: 1-line block ×3, first 2 shown]
	v_fma_f32 v71, -v33, v122, v52
	v_mov_b32_e32 v26, 0x87c
	v_mov_b32_e32 v52, 0x884
	v_mov_b32_e32 v53, 0x95c
	v_sub_f32_e32 v20, v20, v21
	v_sub_f32_e32 v62, v60, v61
	v_fma_f32 v58, -v69, v103, v70
	v_fma_f32 v61, -v69, v99, v76
	;; [unrolled: 1-line block ×3, first 2 shown]
	v_sub_f32_e32 v48, v18, v19
	v_sub_f32_e32 v70, v16, v17
	ds_read_b128 v[16:19], v96 offset:2288
	ds_read_b64 v[76:77], v96 offset:2512
	ds_read2_b32 v[26:27], v26 offset1:1
	ds_read2_b32 v[84:85], v52 offset1:1
	;; [unrolled: 1-line block ×3, first 2 shown]
	v_mul_f32_e32 v21, v20, v55
	v_mov_b32_e32 v20, v65
	v_pk_mul_f32 v[4:5], v[64:65], v[4:5]
	v_pk_mul_f32 v[0:1], v[20:21], v[0:1]
	v_sub_f32_e32 v4, v92, v4
	v_sub_f32_e32 v0, v48, v0
	flat_store_dwordx2 v[36:37], v[64:65] offset:40
	v_sub_f32_e32 v97, v4, v5
	v_pk_mul_f32 v[4:5], v[64:65], v[28:29]
	v_sub_f32_e32 v126, v0, v1
	v_mov_b32_e32 v0, 0xb04
	v_sub_f32_e32 v4, v68, v4
	v_pk_mul_f32 v[28:29], v[20:21], v[66:67]
	ds_read2_b32 v[0:1], v0 offset1:1
	v_fma_f32 v74, -v133, v106, v138
	v_sub_f32_e32 v121, v4, v5
	s_waitcnt lgkmcnt(0)
	v_pk_mul_f32 v[4:5], v[20:21], v[52:53]
	v_sub_f32_e32 v28, v56, v28
	v_fma_f32 v60, -v69, v107, v74
	v_fma_f32 v74, -v33, v112, v63
	v_sub_f32_e32 v4, v71, v4
	v_pk_mul_f32 v[26:27], v[20:21], v[26:27]
	v_sub_f32_e32 v124, v28, v29
	v_pk_mul_f32 v[28:29], v[20:21], v[82:83]
	v_fma_f32 v52, -v65, v113, v74
	v_sub_f32_e32 v26, v70, v26
	v_sub_f32_e32 v20, v32, v28
	;; [unrolled: 1-line block ×3, first 2 shown]
	v_mov_b32_e32 v4, 0xb0c
	v_sub_f32_e32 v125, v20, v29
	v_sub_f32_e32 v127, v26, v27
	v_fma_f32 v86, -v21, v86, v52
	v_mov_b32_e32 v20, 0xb14
	v_mov_b32_e32 v28, 0xb1c
	ds_read2_b32 v[4:5], v4 offset1:1
	ds_read2_b32 v[26:27], v20 offset1:1
	;; [unrolled: 1-line block ×3, first 2 shown]
	v_fma_f32 v0, -v59, v0, v35
	v_fma_f32 v0, -v75, v1, v0
	s_waitcnt lgkmcnt(0)
	v_fma_f32 v0, -v79, v4, v0
	v_fma_f32 v0, -v133, v5, v0
	;; [unrolled: 1-line block ×4, first 2 shown]
	ds_read_b128 v[26:29], v96 offset:2912
	v_fma_f32 v72, -v33, v108, v60
	v_fma_f32 v73, -v33, v100, v61
	v_pk_mul_f32 v[60:61], v[64:65], v[116:117]
	v_fma_f32 v0, -v65, v52, v0
	v_sub_f32_e32 v46, v62, v60
	v_pk_mul_f32 v[62:63], v[64:65], v[104:105]
	v_fma_f32 v35, -v21, v53, v0
	v_sub_f32_e32 v54, v58, v62
	v_sub_f32_e32 v122, v54, v63
	ds_read_b128 v[52:55], v96 offset:2928
	s_waitcnt lgkmcnt(0)
	v_mul_f32_e32 v0, v39, v26
	v_fma_f32 v0, s16, v2, -v0
	v_fma_f32 v0, -v43, v27, v0
	v_fma_f32 v0, -v47, v28, v0
	;; [unrolled: 1-line block ×3, first 2 shown]
	ds_read_b128 v[26:29], v96 offset:2944
	v_fma_f32 v0, -v57, v52, v0
	v_fma_f32 v0, -v59, v53, v0
	;; [unrolled: 1-line block ×3, first 2 shown]
	v_sub_f32_e32 v120, v46, v61
	v_fma_f32 v0, -v79, v55, v0
	ds_read_b128 v[52:55], v96 offset:2960
	ds_read_b32 v129, v96 offset:3016
	ds_read_b128 v[60:63], v96 offset:3024
	s_waitcnt lgkmcnt(0)
	v_fma_f32 v0, -v133, v26, v0
	v_fma_f32 v0, -v69, v27, v0
	;; [unrolled: 1-line block ×5, first 2 shown]
	v_mul_f32_e32 v0, v39, v60
	v_fma_f32 v5, s16, v3, -v0
	ds_read_b128 v[0:3], v96 offset:3040
	ds_read_b128 v[26:29], v96 offset:3056
	v_fma_f32 v5, -v43, v61, v5
	v_fma_f32 v5, -v47, v62, v5
	;; [unrolled: 1-line block ×3, first 2 shown]
	s_waitcnt lgkmcnt(0)
	v_fma_f32 v0, -v57, v0, v5
	v_fma_f32 v0, -v59, v1, v0
	;; [unrolled: 1-line block ×6, first 2 shown]
	ds_read_b128 v[46:49], v96 offset:3072
	v_fma_f32 v0, -v133, v26, v0
	v_fma_f32 v0, -v69, v27, v0
	;; [unrolled: 1-line block ×4, first 2 shown]
	ds_read_b96 v[72:74], v96 offset:3088
	v_fma_f32 v0, -v65, v29, v0
	v_mov_b32_e32 v4, 0xb24
	s_waitcnt lgkmcnt(0)
	v_fma_f32 v43, -v21, v46, v0
	v_mov_b32_e32 v0, 0x88c
	ds_read2_b32 v[32:33], v4 offset1:1
	ds_read2_b32 v[78:79], v0 offset1:1
	v_mov_b32_e32 v0, 0x9d8
	v_mov_b32_e32 v1, 0x964
	ds_read2_b64 v[26:29], v0 offset1:1
	ds_read2_b32 v[82:83], v1 offset1:1
	v_mov_b32_e32 v0, 0x894
	v_mov_b32_e32 v91, v74
	;; [unrolled: 1-line block ×5, first 2 shown]
	ds_read2_b32 v[74:75], v0 offset1:1
	ds_read2_b32 v[92:93], v1 offset1:1
	;; [unrolled: 1-line block ×4, first 2 shown]
	v_mov_b32_e32 v0, 0xbb8
	v_mov_b32_e32 v20, 0xb4c
	ds_read2_b64 v[0:3], v0 offset1:1
	ds_read2_b32 v[98:99], v20 offset1:1
	v_mov_b32_e32 v20, 0xa64
	v_mov_b32_e32 v39, 0xb44
	ds_read_b64 v[100:101], v96 offset:2080
	ds_read_b128 v[56:59], v96 offset:2304
	ds_read2_b32 v[102:103], v20 offset1:1
	ds_read2_b32 v[104:105], v39 offset1:1
	v_mov_b32_e32 v20, 0x9e8
	v_mov_b32_e32 v39, 0xac8
	ds_read2_b64 v[60:63], v20 offset1:1
	ds_read2_b64 v[64:67], v39 offset1:1
	v_mov_b32_e32 v20, 0xba8
	v_mov_b32_e32 v39, 0x97c
	ds_read2_b64 v[68:71], v20 offset1:1
	ds_read2_b32 v[106:107], v39 offset1:1
	v_mov_b32_e32 v20, 0xa5c
	v_mov_b32_e32 v39, 0xb3c
	;; [unrolled: 1-line block ×5, first 2 shown]
	ds_read_b32 v73, v96 offset:2900
	ds_read_b64 v[108:109], v96 offset:2776
	ds_read_b64 v[110:111], v96 offset:2744
	ds_read2_b32 v[112:113], v20 offset1:1
	ds_read2_b32 v[114:115], v39 offset1:1
	;; [unrolled: 1-line block ×4, first 2 shown]
	v_mul_f32_e32 v39, v124, v38
	v_mov_b32_e32 v38, v21
	v_pk_mul_f32 v[6:7], v[38:39], v[6:7]
	v_pk_mul_f32 v[8:9], v[38:39], v[8:9]
	v_sub_f32_e32 v6, v97, v6
	v_sub_f32_e32 v8, v120, v8
	;; [unrolled: 1-line block ×3, first 2 shown]
	v_pk_mul_f32 v[6:7], v[38:39], v[12:13]
	v_pk_mul_f32 v[20:21], v[38:39], v[76:77]
	;; [unrolled: 1-line block ×3, first 2 shown]
	v_sub_f32_e32 v76, v8, v9
	v_sub_f32_e32 v6, v121, v6
	v_mul_f32_e32 v9, v46, v40
	v_mov_b32_e32 v8, v39
	v_sub_f32_e32 v20, v123, v20
	v_sub_f32_e32 v16, v122, v16
	;; [unrolled: 1-line block ×3, first 2 shown]
	s_waitcnt lgkmcnt(0)
	v_pk_mul_f32 v[6:7], v[8:9], v[118:119]
	flat_store_dwordx2 v[36:37], v[38:39] offset:48
	v_sub_f32_e32 v97, v16, v17
	v_sub_f32_e32 v120, v20, v21
	;; [unrolled: 1-line block ×3, first 2 shown]
	v_fma_f32 v31, -v39, v87, v86
	v_fma_f32 v32, -v39, v32, v35
	;; [unrolled: 1-line block ×4, first 2 shown]
	v_pk_mul_f32 v[12:13], v[8:9], v[82:83]
	v_pk_mul_f32 v[16:17], v[8:9], v[84:85]
	;; [unrolled: 1-line block ×4, first 2 shown]
	v_sub_f32_e32 v12, v128, v12
	v_sub_f32_e32 v16, v127, v16
	;; [unrolled: 1-line block ×5, first 2 shown]
	v_mov_b32_e32 v6, 0x974
	v_sub_f32_e32 v8, v8, v39
	v_sub_f32_e32 v43, v20, v21
	v_sub_f32_e32 v52, v16, v17
	v_sub_f32_e32 v53, v12, v13
	v_fma_f32 v83, -v9, v33, v32
	v_mov_b32_e32 v7, 0xa4c
	v_mov_b32_e32 v38, 0xa54
	ds_read2_b32 v[12:13], v6 offset1:1
	ds_read_b64 v[16:17], v96 offset:2752
	ds_read2_b32 v[20:21], v7 offset1:1
	ds_read_b64 v[32:33], v96 offset:2976
	v_mov_b32_e32 v6, 0xb2c
	ds_read2_b32 v[38:39], v38 offset1:1
	ds_read2_b32 v[46:47], v6 offset1:1
	v_mul_f32_e32 v7, v8, v44
	v_mov_b32_e32 v6, v9
	v_pk_mul_f32 v[10:11], v[6:7], v[10:11]
	v_pk_mul_f32 v[50:51], v[6:7], v[110:111]
	v_sub_f32_e32 v10, v76, v10
	v_sub_f32_e32 v8, v31, v50
	;; [unrolled: 1-line block ×3, first 2 shown]
	v_pk_mul_f32 v[10:11], v[6:7], v[14:15]
	v_pk_mul_f32 v[26:27], v[6:7], v[26:27]
	;; [unrolled: 1-line block ×3, first 2 shown]
	v_sub_f32_e32 v6, v77, v10
	v_fma_f32 v40, -v9, v48, v40
	v_sub_f32_e32 v18, v97, v18
	v_sub_f32_e32 v48, v6, v11
	v_mul_f32_e32 v11, v31, v45
	v_mov_b32_e32 v10, v7
	v_sub_f32_e32 v50, v18, v19
	s_waitcnt lgkmcnt(0)
	v_pk_mul_f32 v[14:15], v[10:11], v[46:47]
	v_pk_mul_f32 v[18:19], v[10:11], v[20:21]
	v_sub_f32_e32 v26, v120, v26
	v_sub_f32_e32 v51, v8, v51
	;; [unrolled: 1-line block ×4, first 2 shown]
	v_pk_mul_f32 v[44:45], v[10:11], v[80:81]
	v_fma_f32 v35, -v9, v54, v35
	v_sub_f32_e32 v54, v26, v27
	v_pk_mul_f32 v[20:21], v[10:11], v[116:117]
	v_pk_mul_f32 v[26:27], v[10:11], v[78:79]
	v_sub_f32_e32 v10, v43, v44
	v_sub_f32_e32 v43, v8, v19
	;; [unrolled: 1-line block ×3, first 2 shown]
	v_mov_b32_e32 v6, v9
	v_mov_b32_e32 v8, v11
	v_fma_f32 v14, -v7, v49, v40
	v_sub_f32_e32 v10, v10, v45
	flat_store_dwordx3 v[36:37], v[6:8] offset:56
	v_fma_f32 v45, -v11, v72, v14
	v_mul_f32_e32 v15, v10, v41
	v_mov_b32_e32 v6, 0xb34
	ds_read2_b32 v[8:9], v6 offset1:1
	v_mov_b32_e32 v14, v11
	v_fma_f32 v31, -v7, v55, v35
	v_pk_mul_f32 v[6:7], v[14:15], v[100:101]
	v_sub_f32_e32 v18, v53, v20
	v_sub_f32_e32 v6, v48, v6
	;; [unrolled: 1-line block ×3, first 2 shown]
	v_mul_f32_e32 v7, v6, v22
	v_mov_b32_e32 v6, v15
	v_sub_f32_e32 v20, v52, v26
	s_waitcnt lgkmcnt(0)
	v_pk_mul_f32 v[8:9], v[6:7], v[8:9]
	v_sub_f32_e32 v35, v20, v27
	v_sub_f32_e32 v40, v18, v21
	v_pk_mul_f32 v[10:11], v[14:15], v[32:33]
	v_pk_mul_f32 v[18:19], v[14:15], v[28:29]
	;; [unrolled: 1-line block ×4, first 2 shown]
	v_sub_f32_e32 v8, v44, v8
	v_sub_f32_e32 v10, v31, v10
	v_pk_mul_f32 v[16:17], v[14:15], v[16:17]
	v_sub_f32_e32 v18, v54, v18
	v_sub_f32_e32 v14, v50, v20
	;; [unrolled: 1-line block ×4, first 2 shown]
	v_pk_mul_f32 v[8:9], v[6:7], v[90:91]
	v_sub_f32_e32 v14, v14, v21
	v_pk_mul_f32 v[12:13], v[6:7], v[12:13]
	v_sub_f32_e32 v21, v18, v19
	;; [unrolled: 2-line block ×3, first 2 shown]
	v_sub_f32_e32 v10, v20, v27
	v_sub_f32_e32 v6, v45, v8
	;; [unrolled: 1-line block ×3, first 2 shown]
	v_mul_f32_e32 v9, v10, v23
	v_mov_b32_e32 v8, v7
	v_pk_mul_f32 v[10:11], v[8:9], v[58:59]
	v_sub_f32_e32 v12, v40, v12
	v_sub_f32_e32 v6, v14, v10
	;; [unrolled: 1-line block ×7, first 2 shown]
	v_pk_mul_f32 v[12:13], v[8:9], v[60:61]
	v_pk_mul_f32 v[18:19], v[8:9], v[68:69]
	v_mul_f32_e32 v11, v6, v24
	v_mov_b32_e32 v10, v9
	v_sub_f32_e32 v22, v16, v17
	v_sub_f32_e32 v12, v21, v12
	v_pk_mul_f32 v[16:17], v[8:9], v[64:65]
	v_sub_f32_e32 v8, v26, v18
	v_pk_mul_f32 v[20:21], v[10:11], v[106:107]
	v_sub_f32_e32 v14, v22, v16
	v_sub_f32_e32 v18, v27, v20
	;; [unrolled: 1-line block ×3, first 2 shown]
	v_mov_b32_e32 v6, v15
	v_mov_b32_e32 v8, v9
	;; [unrolled: 1-line block ×3, first 2 shown]
	v_sub_f32_e32 v14, v14, v17
	v_pk_mul_f32 v[16:17], v[10:11], v[114:115]
	flat_store_dwordx4 v[36:37], v[6:9] offset:68
	v_sub_f32_e32 v16, v29, v16
	v_sub_f32_e32 v20, v12, v13
	;; [unrolled: 1-line block ×3, first 2 shown]
	v_pk_mul_f32 v[6:7], v[10:11], v[92:93]
	v_mul_f32_e32 v9, v8, v25
	v_sub_f32_e32 v6, v31, v6
	v_mov_b32_e32 v8, v11
	v_sub_f32_e32 v16, v16, v17
	v_sub_f32_e32 v17, v6, v7
	v_pk_mul_f32 v[6:7], v[8:9], v[62:63]
	v_pk_mul_f32 v[12:13], v[10:11], v[112:113]
	v_sub_f32_e32 v6, v20, v6
	v_sub_f32_e32 v6, v6, v7
	;; [unrolled: 1-line block ×3, first 2 shown]
	v_pk_mul_f32 v[10:11], v[8:9], v[66:67]
	v_mul_f32_e32 v7, v6, v30
	v_mov_b32_e32 v6, v9
	v_sub_f32_e32 v18, v12, v13
	v_sub_f32_e32 v10, v14, v10
	v_pk_mul_f32 v[12:13], v[8:9], v[70:71]
	v_pk_mul_f32 v[14:15], v[6:7], v[102:103]
	v_sub_f32_e32 v8, v19, v12
	v_sub_f32_e32 v12, v18, v14
	v_sub_f32_e32 v14, v10, v11
	v_pk_mul_f32 v[10:11], v[6:7], v[104:105]
	v_sub_f32_e32 v12, v12, v15
	v_sub_f32_e32 v10, v16, v10
	v_sub_f32_e32 v16, v10, v11
	;; [unrolled: 4-line block ×3, first 2 shown]
	v_mul_f32_e32 v11, v12, v42
	v_mov_b32_e32 v10, v7
	v_pk_mul_f32 v[12:13], v[10:11], v[108:109]
	v_pk_mul_f32 v[0:1], v[10:11], v[0:1]
	v_sub_f32_e32 v6, v14, v12
	v_sub_f32_e32 v6, v6, v13
	v_mul_f32_e32 v13, v6, v34
	v_mov_b32_e32 v12, v11
	v_pk_mul_f32 v[14:15], v[12:13], v[98:99]
	v_sub_f32_e32 v0, v8, v0
	v_sub_f32_e32 v10, v16, v14
	;; [unrolled: 1-line block ×4, first 2 shown]
	v_mul_f32_e32 v1, v0, v73
	v_mov_b32_e32 v0, v13
	v_pk_mul_f32 v[2:3], v[0:1], v[2:3]
	v_mov_b32_e32 v6, v9
	v_sub_f32_e32 v0, v14, v2
	v_sub_f32_e32 v0, v0, v3
	v_mov_b32_e32 v8, v11
	v_mov_b32_e32 v9, v13
	v_mul_f32_e32 v3, v0, v129
	v_mov_b32_e32 v2, v1
	flat_store_dwordx4 v[36:37], v[6:9] offset:84
	flat_store_dwordx2 v[36:37], v[2:3] offset:100
	v_mov_b32_e32 v0, 0xc34
	ds_read2_b32 v[0:1], v0 offset1:1
	ds_read_b32 v6, v96 offset:3132
	v_pk_mul_f32 v[4:5], v[12:13], v[4:5]
	s_mov_b32 s0, 28
	v_sub_f32_e32 v4, v17, v4
	v_sub_f32_e32 v4, v4, v5
	s_waitcnt lgkmcnt(0)
	v_pk_mul_f32 v[0:1], v[2:3], v[0:1]
	s_nop 0
	v_sub_f32_e32 v0, v4, v0
	v_sub_f32_e32 v0, v0, v1
	v_mul_f32_e32 v0, v0, v6
	flat_store_dword v[36:37], v0 offset:108
	s_cmp_lt_i32 s0, s17
	s_cbranch_scc1 .LBB32_16
	s_branch .LBB32_29
.LBB32_15:
	s_mov_b32 s0, 0
	s_cmp_lt_i32 s0, s17
	s_cbranch_scc0 .LBB32_29
.LBB32_16:
	s_add_i32 s1, s0, 23
	s_cmp_ge_u32 s1, s17
	s_cbranch_scc1 .LBB32_24
; %bb.17:
	s_lshl_b32 s4, s0, 2
	s_mov_b32 s5, 0
	v_lshl_add_u64 v[20:21], v[36:37], 0, s[4:5]
	flat_load_dwordx4 v[0:3], v[20:21]
	flat_load_dwordx4 v[4:7], v[20:21] offset:16
	flat_load_dwordx4 v[12:15], v[20:21] offset:32
	;; [unrolled: 1-line block ×5, first 2 shown]
	s_andn2_b64 vcc, exec, s[2:3]
	s_waitcnt vmcnt(0) lgkmcnt(0)
	v_pk_mul_f32 v[32:33], s[16:17], v[0:1] op_sel_hi:[0,1]
	v_pk_mul_f32 v[0:1], s[16:17], v[2:3] op_sel_hi:[0,1]
	;; [unrolled: 1-line block ×12, first 2 shown]
	s_cbranch_vccnz .LBB32_19
; %bb.18:
	s_mul_i32 s5, s0, 0x70
	s_mov_b64 s[2:3], 0
	s_branch .LBB32_20
.LBB32_19:
	s_mov_b64 s[2:3], -1
                                        ; implicit-def: $sgpr5
.LBB32_20:
	s_andn2_b64 vcc, exec, s[2:3]
	s_cbranch_vccnz .LBB32_23
; %bb.21:
	s_mul_i32 s5, s0, 0x70
	s_mov_b32 s1, s0
	v_mov_b64_e32 v[4:5], v[36:37]
	s_mov_b32 s2, s5
.LBB32_22:                              ; =>This Inner Loop Header: Depth=1
	flat_load_dwordx2 v[6:7], v[4:5]
	v_mov_b32_e32 v34, s2
	v_add_u32_e32 v35, 0x400, v34
	ds_read2_b64 v[12:15], v34 offset1:14
	ds_read2_b64 v[38:41], v34 offset0:28 offset1:42
	ds_read2_b64 v[42:45], v34 offset0:56 offset1:70
	ds_read2_b64 v[46:49], v34 offset0:84 offset1:98
	ds_read2_b64 v[50:53], v34 offset0:112 offset1:126
	ds_read2_b64 v[54:57], v34 offset0:140 offset1:154
	ds_read2_b64 v[58:61], v34 offset0:168 offset1:182
	ds_read2_b64 v[62:65], v34 offset0:196 offset1:210
	ds_read2_b64 v[66:69], v34 offset0:224 offset1:238
	v_add_u32_e32 v34, 0x800, v34
	ds_read2_b64 v[70:73], v35 offset0:124 offset1:138
	ds_read2_b64 v[74:77], v34 offset0:24 offset1:38
	;; [unrolled: 1-line block ×3, first 2 shown]
	s_waitcnt lgkmcnt(0)
	v_mov_b32_e32 v34, v12
	v_mov_b32_e32 v35, v14
	;; [unrolled: 1-line block ×27, first 2 shown]
	s_add_i32 s2, s2, 8
	s_add_i32 s1, s1, -2
	v_mov_b32_e32 v48, v47
	v_mov_b32_e32 v52, v51
	v_mov_b32_e32 v56, v55
	v_mov_b32_e32 v60, v59
	v_mov_b32_e32 v64, v63
	v_mov_b32_e32 v68, v67
	v_mov_b32_e32 v72, v71
	v_mov_b32_e32 v76, v75
	v_mov_b32_e32 v80, v79
	v_lshl_add_u64 v[4:5], v[4:5], 0, 8
	s_cmp_lg_u32 s1, 0
	s_waitcnt vmcnt(0)
	v_pk_fma_f32 v[32:33], v[6:7], v[34:35], v[32:33] op_sel_hi:[0,1,1] neg_lo:[1,0,0] neg_hi:[1,0,0]
	v_pk_fma_f32 v[0:1], v[6:7], v[82:83], v[0:1] op_sel_hi:[0,1,1] neg_lo:[1,0,0] neg_hi:[1,0,0]
	;; [unrolled: 1-line block ×12, first 2 shown]
	v_pk_fma_f32 v[32:33], v[6:7], v[14:15], v[32:33] op_sel:[1,0,0] neg_lo:[1,0,0] neg_hi:[1,0,0]
	v_pk_fma_f32 v[0:1], v[6:7], v[40:41], v[0:1] op_sel:[1,0,0] neg_lo:[1,0,0] neg_hi:[1,0,0]
	;; [unrolled: 1-line block ×12, first 2 shown]
	s_cbranch_scc1 .LBB32_22
.LBB32_23:
	s_or_b32 s1, s0, 1
	s_mulk_i32 s1, 0x70
	s_add_i32 s1, s4, s1
	s_add_i32 s2, s4, s5
	v_mov_b32_e32 v67, s1
	v_mov_b32_e32 v66, s2
	ds_read_b96 v[84:86], v67 offset:112
	ds_read_b128 v[40:43], v67 offset:224
	ds_read2_b32 v[90:91], v66 offset1:116
	ds_read2_b64 v[56:59], v67 offset1:126
	ds_read_b96 v[44:46], v67 offset:448
	ds_read_b96 v[12:14], v67 offset:576
	;; [unrolled: 1-line block ×3, first 2 shown]
	ds_read_b128 v[60:63], v67 offset:336
	v_add_u32_e32 v4, 0x200, v66
	ds_read2_b32 v[48:49], v66 offset0:145 offset1:203
	s_waitcnt lgkmcnt(7)
	v_mov_b32_e32 v65, v42
	s_waitcnt lgkmcnt(2)
	v_mov_b32_e32 v95, v52
	ds_read2_b32 v[96:97], v67 offset0:115 offset1:116
	ds_read_b128 v[70:73], v67 offset:560
	ds_read_b96 v[78:80], v67 offset:896
	ds_read2_b32 v[98:99], v67 offset0:171 offset1:172
	ds_read2_b32 v[52:53], v67 offset0:173 offset1:174
	;; [unrolled: 1-line block ×4, first 2 shown]
	ds_read_b128 v[74:77], v67 offset:784
	ds_read_b128 v[4:7], v67 offset:800
	ds_read_b32 v68, v66 offset:1160
	ds_read2_b32 v[54:55], v67 offset0:229 offset1:230
	ds_read2_b32 v[38:39], v67 offset0:231 offset1:232
	ds_read_b32 v15, v67 offset:1120
	v_mov_b32_e32 v93, v46
	v_mul_f32_e32 v46, v32, v90
	v_fma_f32 v32, -v46, v56, v33
	v_mul_f32_e32 v47, v32, v57
	v_pk_mul_f32 v[32:33], v[46:47], v[58:59]
	v_fma_f32 v42, -v46, v40, v1
	v_sub_f32_e32 v1, v30, v32
	s_waitcnt lgkmcnt(0)
	v_fma_f32 v15, -v46, v15, v31
	v_pk_mul_f32 v[30:31], v[46:47], v[74:75]
	v_mov_b32_e32 v92, v45
	v_fma_f32 v45, -v46, v50, v11
	v_fma_f32 v50, -v46, v78, v29
	v_sub_f32_e32 v30, v28, v30
	v_pk_mul_f32 v[28:29], v[46:47], v[70:71]
	s_add_i32 s2, s1, 0x464
	v_sub_f32_e32 v28, v10, v28
	v_pk_mul_f32 v[10:11], v[46:47], v[60:61]
	v_fma_f32 v44, -v46, v44, v3
	v_sub_f32_e32 v10, v2, v10
	v_sub_f32_e32 v69, v10, v11
	v_mov_b32_e32 v10, s2
	s_add_i32 s2, s1, 0x46c
	v_pk_mul_f32 v[2:3], v[46:47], v[84:85]
	v_sub_f32_e32 v70, v28, v29
	v_mov_b32_e32 v28, s2
	s_add_i32 s2, s1, 0x474
	v_sub_f32_e32 v0, v0, v2
	flat_store_dwordx2 v[20:21], v[46:47]
	v_mov_b32_e32 v29, s2
	s_add_i32 s2, s1, 0x47c
	v_mov_b32_e32 v64, v41
	v_mov_b32_e32 v94, v51
	;; [unrolled: 1-line block ×4, first 2 shown]
	v_sub_f32_e32 v51, v0, v3
	v_sub_f32_e32 v71, v30, v31
	;; [unrolled: 1-line block ×3, first 2 shown]
	ds_read2_b64 v[78:81], v67 offset0:127 offset1:128
	ds_read2_b64 v[0:3], v67 offset0:129 offset1:130
	v_mov_b32_e32 v31, s2
	ds_read2_b32 v[10:11], v10 offset1:1
	ds_read2_b32 v[74:75], v28 offset1:1
	;; [unrolled: 1-line block ×4, first 2 shown]
	v_add_u32_e32 v87, 0x400, v66
	ds_read_b128 v[82:85], v67 offset:1232
	ds_read2_b32 v[28:29], v87 offset0:63 offset1:92
	ds_read_b96 v[88:90], v67 offset:1344
	s_add_i32 s2, s1, 0x484
	v_mov_b32_e32 v31, s2
	s_waitcnt lgkmcnt(0)
	v_fma_f32 v8, -v46, v82, v8
	ds_read2_b32 v[32:33], v31 offset1:1
	v_fma_f32 v31, -v47, v83, v8
	v_fma_f32 v8, -v46, v88, v9
	v_mul_f32_e32 v57, v51, v86
	v_mov_b32_e32 v56, v47
	v_fma_f32 v82, -v47, v89, v8
	v_pk_mul_f32 v[8:9], v[56:57], v[64:65]
	v_mov_b32_e32 v58, v57
	v_sub_f32_e32 v8, v42, v8
	v_sub_f32_e32 v42, v8, v9
	v_pk_mul_f32 v[8:9], v[56:57], v[92:93]
	v_mul_f32_e32 v59, v42, v43
	v_sub_f32_e32 v8, v44, v8
	v_sub_f32_e32 v83, v8, v9
	v_pk_mul_f32 v[8:9], v[56:57], v[94:95]
	s_add_i32 s2, s1, 0x54c
	v_sub_f32_e32 v8, v45, v8
	v_sub_f32_e32 v86, v8, v9
	v_pk_mul_f32 v[8:9], v[56:57], v[102:103]
	v_pk_mul_f32 v[42:43], v[58:59], v[72:73]
	v_sub_f32_e32 v8, v50, v8
	v_sub_f32_e32 v88, v8, v9
	v_pk_mul_f32 v[8:9], v[56:57], v[10:11]
	v_pk_mul_f32 v[10:11], v[58:59], v[78:79]
	v_sub_f32_e32 v8, v15, v8
	v_sub_f32_e32 v15, v8, v9
	v_pk_mul_f32 v[8:9], v[58:59], v[84:85]
	v_sub_f32_e32 v10, v30, v10
	v_sub_f32_e32 v8, v31, v8
	v_pk_mul_f32 v[30:31], v[58:59], v[76:77]
	v_fma_f32 v56, -v57, v90, v82
	v_sub_f32_e32 v30, v71, v30
	v_sub_f32_e32 v82, v30, v31
	v_mov_b32_e32 v30, s2
	s_add_i32 s2, s1, 0x554
	v_sub_f32_e32 v42, v70, v42
	v_pk_mul_f32 v[44:45], v[58:59], v[62:63]
	v_mov_b32_e32 v31, s2
	s_add_i32 s2, s1, 0x55c
	v_sub_f32_e32 v44, v69, v44
	v_sub_f32_e32 v69, v42, v43
	v_mov_b32_e32 v42, s2
	s_add_i32 s2, s1, 0x564
	flat_store_dwordx2 v[20:21], v[58:59] offset:8
	v_mov_b32_e32 v43, s2
	v_sub_f32_e32 v58, v44, v45
	v_sub_f32_e32 v84, v10, v11
	;; [unrolled: 1-line block ×3, first 2 shown]
	ds_read_b128 v[8:11], v67 offset:1248
	ds_read_b64 v[44:45], v67 offset:1264
	ds_read_b128 v[62:65], v67 offset:1456
	ds_read2_b32 v[76:77], v30 offset1:1
	ds_read2_b32 v[102:103], v31 offset1:1
	;; [unrolled: 1-line block ×4, first 2 shown]
	ds_read2_b32 v[30:31], v87 offset0:121 offset1:150
	ds_read_b64 v[78:79], v67 offset:1472
	ds_read_b128 v[70:73], v67 offset:1568
	ds_read_b32 v90, v67 offset:1584
	s_waitcnt lgkmcnt(0)
	v_fma_f32 v26, -v46, v62, v26
	v_fma_f32 v26, -v47, v63, v26
	;; [unrolled: 1-line block ×7, first 2 shown]
	v_mul_f32_e32 v63, v58, v91
	v_mov_b32_e32 v62, v59
	v_fma_f32 v70, -v59, v73, v26
	v_pk_mul_f32 v[26:27], v[62:63], v[96:97]
	v_mov_b32_e32 v64, v63
	v_sub_f32_e32 v26, v83, v26
	v_sub_f32_e32 v58, v26, v27
	v_pk_mul_f32 v[26:27], v[62:63], v[98:99]
	v_mul_f32_e32 v65, v58, v48
	v_sub_f32_e32 v26, v86, v26
	v_sub_f32_e32 v104, v26, v27
	v_pk_mul_f32 v[26:27], v[62:63], v[100:101]
	v_pk_mul_f32 v[4:5], v[64:65], v[4:5]
	v_sub_f32_e32 v26, v88, v26
	v_sub_f32_e32 v100, v26, v27
	v_pk_mul_f32 v[26:27], v[62:63], v[74:75]
	s_add_i32 s2, s1, 0x634
	v_sub_f32_e32 v15, v15, v26
	v_sub_f32_e32 v101, v15, v27
	v_pk_mul_f32 v[26:27], v[62:63], v[76:77]
	v_sub_f32_e32 v4, v82, v4
	v_sub_f32_e32 v15, v56, v26
	;; [unrolled: 1-line block ×3, first 2 shown]
	v_pk_mul_f32 v[26:27], v[64:65], v[78:79]
	v_fma_f32 v48, -v63, v90, v70
	v_pk_mul_f32 v[70:71], v[64:65], v[80:81]
	v_sub_f32_e32 v62, v4, v5
	v_mov_b32_e32 v4, s2
	s_add_i32 s2, s1, 0x63c
	v_sub_f32_e32 v15, v89, v26
	v_sub_f32_e32 v26, v84, v70
	flat_store_dwordx2 v[20:21], v[64:65] offset:16
	v_mov_b32_e32 v5, s2
	v_pk_mul_f32 v[8:9], v[64:65], v[8:9]
	v_pk_mul_f32 v[12:13], v[64:65], v[12:13]
	v_sub_f32_e32 v64, v26, v71
	v_sub_f32_e32 v105, v15, v27
	ds_read2_b32 v[26:27], v5 offset1:1
	ds_read_b128 v[70:73], v67 offset:1680
	v_sub_f32_e32 v8, v85, v8
	v_sub_f32_e32 v12, v69, v12
	;; [unrolled: 1-line block ×3, first 2 shown]
	ds_read2_b32 v[8:9], v87 offset0:179 offset1:208
	ds_read_b128 v[74:77], v67 offset:1696
	s_waitcnt lgkmcnt(0)
	v_fma_f32 v5, -v46, v70, v24
	ds_read_b128 v[78:81], v67 offset:1792
	v_fma_f32 v5, -v47, v71, v5
	v_fma_f32 v5, -v57, v72, v5
	;; [unrolled: 1-line block ×4, first 2 shown]
	ds_read_b96 v[72:74], v67 offset:1808
	v_fma_f32 v75, -v65, v75, v5
	s_waitcnt lgkmcnt(0)
	v_fma_f32 v5, -v46, v78, v25
	v_fma_f32 v5, -v47, v79, v5
	;; [unrolled: 1-line block ×6, first 2 shown]
	ds_read_b128 v[70:73], v67 offset:1904
	v_add_u32_e32 v5, 0x600, v66
	v_sub_f32_e32 v58, v12, v13
	ds_read2_b32 v[12:13], v5 offset0:109 offset1:138
	ds_read_b128 v[78:81], v67 offset:1920
	ds_read_b128 v[82:85], v67 offset:2016
	s_waitcnt lgkmcnt(0)
	v_fma_f32 v5, -v46, v70, v18
	v_fma_f32 v5, -v47, v71, v5
	;; [unrolled: 1-line block ×6, first 2 shown]
	ds_read_b128 v[70:73], v67 offset:2032
	v_fma_f32 v5, -v46, v82, v19
	v_fma_f32 v5, -v47, v83, v5
	;; [unrolled: 1-line block ×4, first 2 shown]
	ds_read_b32 v124, v67 offset:2048
	ds_read_b128 v[82:85], v67 offset:2128
	s_waitcnt lgkmcnt(0)
	v_fma_f32 v5, -v63, v70, v5
	v_fma_f32 v19, -v65, v71, v5
	v_add_u32_e32 v5, 0x800, v66
	ds_read2_b32 v[24:25], v5 offset0:39 offset1:68
	v_fma_f32 v5, -v46, v82, v16
	v_fma_f32 v5, -v47, v83, v5
	ds_read_b128 v[86:89], v67 offset:2144
	v_fma_f32 v5, -v57, v84, v5
	v_fma_f32 v5, -v59, v85, v5
	ds_read_b64 v[98:99], v67 offset:2160
	ds_read_b128 v[82:85], v67 offset:2240
	ds_read_b128 v[90:93], v67 offset:2256
	s_waitcnt lgkmcnt(0)
	v_fma_f32 v5, -v63, v86, v5
	v_fma_f32 v70, -v65, v87, v5
	s_add_i32 s14, s1, 0x644
	v_fma_f32 v5, -v46, v82, v17
	v_fma_f32 v5, -v47, v83, v5
	;; [unrolled: 1-line block ×4, first 2 shown]
	ds_read_b96 v[16:18], v67 offset:2272
	ds_read_b128 v[82:85], v67 offset:2352
	v_fma_f32 v5, -v63, v90, v5
	v_fma_f32 v71, -v65, v91, v5
	ds_read_b32 v125, v66 offset:2436
	ds_read2_b32 v[4:5], v4 offset1:1
	ds_read_b128 v[94:97], v67 offset:2368
	s_add_i32 s15, s1, 0x71c
	s_waitcnt lgkmcnt(0)
	v_fma_f32 v15, -v46, v82, v22
	v_fma_f32 v15, -v47, v83, v15
	;; [unrolled: 1-line block ×6, first 2 shown]
	v_mul_f32_e32 v15, v58, v14
	v_mov_b32_e32 v14, v65
	v_pk_mul_f32 v[52:53], v[14:15], v[52:53]
	v_pk_mul_f32 v[4:5], v[14:15], v[4:5]
	v_sub_f32_e32 v52, v104, v52
	v_sub_f32_e32 v58, v52, v53
	v_pk_mul_f32 v[52:53], v[14:15], v[54:55]
	v_sub_f32_e32 v4, v48, v4
	v_sub_f32_e32 v52, v100, v52
	;; [unrolled: 1-line block ×3, first 2 shown]
	v_pk_mul_f32 v[52:53], v[14:15], v[60:61]
	v_mov_b32_e32 v100, v15
	v_sub_f32_e32 v52, v101, v52
	v_sub_f32_e32 v127, v52, v53
	v_pk_mul_f32 v[52:53], v[14:15], v[102:103]
	v_mul_f32_e32 v101, v58, v49
	v_sub_f32_e32 v52, v56, v52
	v_sub_f32_e32 v129, v4, v5
	v_pk_mul_f32 v[4:5], v[100:101], v[76:77]
	v_pk_mul_f32 v[6:7], v[100:101], v[6:7]
	ds_read2_b64 v[82:85], v67 offset0:185 offset1:186
	ds_read_b64 v[94:95], v67 offset:1272
	v_sub_f32_e32 v128, v52, v53
	v_sub_f32_e32 v4, v75, v4
	v_fma_f32 v52, -v15, v88, v70
	v_fma_f32 v53, -v15, v92, v71
	v_pk_mul_f32 v[10:11], v[100:101], v[10:11]
	v_sub_f32_e32 v6, v62, v6
	flat_store_dwordx2 v[20:21], v[100:101] offset:24
	v_sub_f32_e32 v10, v69, v10
	v_sub_f32_e32 v69, v6, v7
	;; [unrolled: 1-line block ×3, first 2 shown]
	v_fma_f32 v136, -v101, v89, v52
	v_fma_f32 v137, -v101, v93, v53
	ds_read_b128 v[52:55], v67 offset:2384
	ds_read_b128 v[4:7], v67 offset:2464
	v_fma_f32 v19, -v15, v72, v19
	v_fma_f32 v19, -v101, v73, v19
	ds_read_b128 v[70:73], v67 offset:2480
	s_waitcnt lgkmcnt(0)
	v_pk_mul_f32 v[48:49], v[100:101], v[82:83]
	v_fma_f32 v4, -v46, v4, v23
	v_fma_f32 v4, -v47, v5, v4
	v_pk_mul_f32 v[0:1], v[100:101], v[0:1]
	v_fma_f32 v4, -v57, v6, v4
	v_sub_f32_e32 v48, v105, v48
	v_sub_f32_e32 v0, v64, v0
	v_fma_f32 v4, -v59, v7, v4
	s_add_i32 s5, s1, 0x56c
	s_add_i32 s12, s1, 0x64c
	;; [unrolled: 1-line block ×3, first 2 shown]
	v_fma_f32 v22, -v15, v96, v22
	v_sub_f32_e32 v131, v0, v1
	v_sub_f32_e32 v133, v48, v49
	v_mov_b32_e32 v0, s15
	v_mov_b32_e32 v1, s14
	ds_read_b128 v[46:49], v67 offset:2496
	v_fma_f32 v4, -v63, v70, v4
	v_fma_f32 v130, -v15, v74, v106
	v_sub_f32_e32 v132, v10, v11
	v_fma_f32 v138, -v101, v97, v22
	v_mov_b32_e32 v10, s5
	ds_read_b32 v139, v66 offset:2552
	v_mov_b32_e32 v5, s12
	v_mov_b32_e32 v6, s18
	ds_read2_b32 v[22:23], v1 offset1:1
	ds_read2_b32 v[82:83], v10 offset1:1
	;; [unrolled: 1-line block ×4, first 2 shown]
	ds_read2_b64 v[56:59], v67 offset0:187 offset1:188
	ds_read_b128 v[60:63], v67 offset:1712
	ds_read2_b32 v[104:105], v0 offset1:1
	ds_read_b96 v[90:92], v67 offset:2512
	ds_read2_b64 v[74:77], v67 offset0:217 offset1:242
	v_fma_f32 v0, -v65, v71, v4
	v_fma_f32 v0, -v15, v72, v0
	s_add_i32 s5, s1, 0x9dc
	v_fma_f32 v140, -v101, v73, v0
	v_mov_b32_e32 v0, s5
	s_add_i32 s5, s1, 0x9e4
	v_mul_f32_e32 v123, v69, v34
	v_mov_b32_e32 v122, v101
	v_mov_b32_e32 v1, s5
	s_add_i32 s5, s1, 0x9ec
	v_pk_mul_f32 v[38:39], v[122:123], v[38:39]
	s_add_i32 s9, s1, 0x72c
	s_add_i32 s11, s1, 0x73c
	s_add_i32 s19, s1, 0x81c
	s_add_i32 s20, s1, 0x824
	s_add_i32 s21, s1, 0x888
	s_add_i32 s22, s1, 0x8fc
	s_add_i32 s23, s1, 0x904
	s_add_i32 s24, s1, 0x90c
	s_add_i32 s25, s1, 0x968
	s_add_i32 s26, s1, 0x978
	v_fma_f32 v14, -v15, v80, v78
	v_mov_b32_e32 v4, s5
	v_sub_f32_e32 v38, v126, v38
	v_pk_mul_f32 v[26:27], v[122:123], v[26:27]
	s_add_i32 s13, s1, 0x804
	v_fma_f32 v135, -v101, v81, v14
	s_waitcnt lgkmcnt(0)
	v_mov_b32_e32 v64, v91
	v_mov_b32_e32 v65, v92
	ds_read2_b32 v[92:93], v0 offset1:1
	ds_read2_b32 v[14:15], v1 offset1:1
	;; [unrolled: 1-line block ×3, first 2 shown]
	v_mov_b32_e32 v4, s26
	v_mov_b32_e32 v10, s24
	;; [unrolled: 1-line block ×10, first 2 shown]
	v_sub_f32_e32 v69, v38, v39
	v_pk_mul_f32 v[38:39], v[122:123], v[40:41]
	v_sub_f32_e32 v26, v129, v26
	ds_read2_b64 v[4:7], v4 offset1:1
	ds_read2_b32 v[10:11], v10 offset1:1
	ds_read2_b32 v[106:107], v70 offset1:1
	;; [unrolled: 1-line block ×3, first 2 shown]
	ds_read_b64 v[110:111], v67 offset:2200
	ds_read2_b64 v[70:73], v67 offset0:245 offset1:246
	ds_read2_b64 v[78:81], v78 offset1:1
	ds_read2_b64 v[86:89], v86 offset1:1
	ds_read2_b32 v[112:113], v91 offset1:1
	ds_read2_b32 v[114:115], v100 offset1:1
	;; [unrolled: 1-line block ×4, first 2 shown]
	v_mov_b32_e32 v91, s13
	v_pk_mul_f32 v[100:101], v[122:123], v[104:105]
	v_sub_f32_e32 v38, v127, v38
	v_sub_f32_e32 v104, v26, v27
	v_mul_f32_e32 v27, v69, v35
	v_mov_b32_e32 v26, v123
	ds_read2_b32 v[120:121], v91 offset1:1
	v_sub_f32_e32 v91, v38, v39
	v_pk_mul_f32 v[38:39], v[122:123], v[50:51]
	v_pk_mul_f32 v[2:3], v[26:27], v[2:3]
	v_sub_f32_e32 v34, v130, v100
	v_sub_f32_e32 v38, v128, v38
	v_pk_mul_f32 v[44:45], v[26:27], v[44:45]
	v_sub_f32_e32 v2, v131, v2
	s_add_i32 s2, s1, 0x654
	s_add_i32 s3, s1, 0x734
	;; [unrolled: 1-line block ×5, first 2 shown]
	v_sub_f32_e32 v100, v38, v39
	v_sub_f32_e32 v101, v34, v101
	v_pk_mul_f32 v[34:35], v[26:27], v[76:77]
	v_fma_f32 v50, -v123, v98, v136
	v_fma_f32 v16, -v123, v16, v137
	;; [unrolled: 1-line block ×3, first 2 shown]
	v_pk_mul_f32 v[38:39], v[26:27], v[60:61]
	v_pk_mul_f32 v[40:41], v[26:27], v[84:85]
	v_sub_f32_e32 v44, v132, v44
	flat_store_dwordx2 v[20:21], v[26:27] offset:32
	v_sub_f32_e32 v26, v2, v3
	v_sub_f32_e32 v34, v135, v34
	v_fma_f32 v51, -v123, v52, v138
	v_sub_f32_e32 v38, v134, v38
	v_sub_f32_e32 v40, v133, v40
	;; [unrolled: 1-line block ×3, first 2 shown]
	v_fma_f32 v98, -v27, v99, v50
	v_fma_f32 v99, -v27, v17, v16
	;; [unrolled: 1-line block ×3, first 2 shown]
	v_mov_b32_e32 v44, s2
	v_mov_b32_e32 v46, s3
	;; [unrolled: 1-line block ×5, first 2 shown]
	v_mul_f32_e32 v61, v26, v68
	v_mov_b32_e32 v60, v27
	v_sub_f32_e32 v77, v40, v41
	v_sub_f32_e32 v84, v38, v39
	;; [unrolled: 1-line block ×3, first 2 shown]
	v_fma_f32 v105, -v27, v53, v51
	ds_read_b64 v[2:3], v67 offset:1728
	ds_read2_b64 v[38:41], v67 offset0:243 offset1:244
	ds_read2_b32 v[34:35], v16 offset1:1
	ds_read2_b32 v[16:17], v17 offset1:1
	;; [unrolled: 1-line block ×5, first 2 shown]
	ds_read_b64 v[52:53], v67 offset:2168
	v_pk_mul_f32 v[32:33], v[60:61], v[32:33]
	v_fma_f32 v19, -v123, v124, v19
	s_waitcnt lgkmcnt(0)
	v_pk_mul_f32 v[26:27], v[60:61], v[120:121]
	v_pk_mul_f32 v[68:69], v[60:61], v[102:103]
	;; [unrolled: 1-line block ×3, first 2 shown]
	v_sub_f32_e32 v32, v91, v32
	v_sub_f32_e32 v19, v19, v26
	;; [unrolled: 1-line block ×6, first 2 shown]
	v_mul_f32_e32 v23, v68, v28
	v_mov_b32_e32 v22, v61
	v_pk_mul_f32 v[32:33], v[60:61], v[42:43]
	v_pk_mul_f32 v[42:43], v[22:23], v[94:95]
	v_sub_f32_e32 v32, v100, v32
	v_sub_f32_e32 v69, v26, v69
	;; [unrolled: 1-line block ×3, first 2 shown]
	v_pk_mul_f32 v[26:27], v[22:23], v[52:53]
	v_fma_f32 v52, -v61, v18, v99
	v_pk_mul_f32 v[18:19], v[22:23], v[38:39]
	v_sub_f32_e32 v42, v76, v42
	s_add_i32 s4, s1, 0x8f4
	v_sub_f32_e32 v60, v32, v33
	v_fma_f32 v28, -v61, v54, v105
	v_sub_f32_e32 v18, v85, v18
	v_pk_mul_f32 v[32:33], v[22:23], v[62:63]
	v_pk_mul_f32 v[38:39], v[22:23], v[56:57]
	flat_store_dwordx2 v[20:21], v[22:23] offset:40
	v_sub_f32_e32 v22, v42, v43
	v_sub_f32_e32 v26, v98, v26
	;; [unrolled: 1-line block ×4, first 2 shown]
	v_fma_f32 v55, -v23, v55, v28
	v_mov_b32_e32 v18, s4
	v_mul_f32_e32 v29, v22, v29
	v_mov_b32_e32 v28, v23
	v_fma_f32 v48, -v61, v48, v122
	v_sub_f32_e32 v54, v32, v33
	v_sub_f32_e32 v57, v26, v27
	ds_read2_b32 v[18:19], v18 offset1:1
	ds_read_b64 v[26:27], v67 offset:2176
	ds_read_b64 v[32:33], v67 offset:2400
	v_pk_mul_f32 v[42:43], v[28:29], v[82:83]
	v_sub_f32_e32 v38, v77, v38
	v_fma_f32 v61, -v23, v49, v48
	v_pk_mul_f32 v[22:23], v[28:29], v[16:17]
	v_pk_mul_f32 v[16:17], v[28:29], v[50:51]
	v_sub_f32_e32 v42, v60, v42
	v_sub_f32_e32 v53, v38, v39
	;; [unrolled: 1-line block ×3, first 2 shown]
	v_pk_mul_f32 v[38:39], v[28:29], v[118:119]
	v_pk_mul_f32 v[48:49], v[28:29], v[96:97]
	v_sub_f32_e32 v42, v42, v43
	v_sub_f32_e32 v38, v69, v38
	;; [unrolled: 1-line block ×4, first 2 shown]
	v_mul_f32_e32 v17, v42, v30
	v_mov_b32_e32 v16, v29
	v_sub_f32_e32 v22, v52, v22
	v_sub_f32_e32 v43, v38, v39
	v_pk_mul_f32 v[38:39], v[16:17], v[58:59]
	s_waitcnt lgkmcnt(0)
	v_pk_mul_f32 v[26:27], v[16:17], v[26:27]
	v_sub_f32_e32 v42, v22, v23
	v_pk_mul_f32 v[22:23], v[16:17], v[32:33]
	v_pk_mul_f32 v[32:33], v[16:17], v[40:41]
	v_pk_mul_f32 v[2:3], v[16:17], v[2:3]
	v_sub_f32_e32 v16, v53, v38
	v_sub_f32_e32 v16, v16, v39
	v_mul_f32_e32 v31, v16, v31
	v_mov_b32_e32 v30, v17
	v_sub_f32_e32 v28, v28, v49
	v_pk_mul_f32 v[38:39], v[30:31], v[44:45]
	v_sub_f32_e32 v26, v57, v26
	v_sub_f32_e32 v16, v28, v38
	;; [unrolled: 1-line block ×7, first 2 shown]
	v_pk_mul_f32 v[2:3], v[30:31], v[46:47]
	v_sub_f32_e32 v38, v32, v33
	v_pk_mul_f32 v[32:33], v[30:31], v[34:35]
	v_sub_f32_e32 v34, v26, v27
	v_pk_mul_f32 v[26:27], v[30:31], v[18:19]
	v_mul_f32_e32 v19, v16, v8
	v_mov_b32_e32 v18, v31
	v_sub_f32_e32 v2, v43, v2
	v_sub_f32_e32 v35, v22, v23
	v_pk_mul_f32 v[22:23], v[18:19], v[74:75]
	v_sub_f32_e32 v32, v48, v32
	v_sub_f32_e32 v26, v42, v26
	;; [unrolled: 1-line block ×4, first 2 shown]
	v_pk_mul_f32 v[2:3], v[18:19], v[70:71]
	v_sub_f32_e32 v28, v32, v33
	v_sub_f32_e32 v2, v38, v2
	v_pk_mul_f32 v[32:33], v[18:19], v[78:79]
	v_sub_f32_e32 v38, v26, v27
	v_pk_mul_f32 v[26:27], v[18:19], v[86:87]
	v_fma_f32 v49, -v29, v90, v61
	v_sub_f32_e32 v32, v34, v32
	v_sub_f32_e32 v26, v35, v26
	v_pk_mul_f32 v[34:35], v[30:31], v[64:65]
	v_sub_f32_e32 v8, v8, v23
	v_sub_f32_e32 v16, v49, v34
	;; [unrolled: 1-line block ×3, first 2 shown]
	v_mov_b32_e32 v16, v29
	v_sub_f32_e32 v29, v2, v3
	v_mul_f32_e32 v3, v8, v9
	v_mov_b32_e32 v2, v19
	v_pk_mul_f32 v[8:9], v[2:3], v[112:113]
	flat_store_dwordx4 v[20:21], v[16:19] offset:48
	v_sub_f32_e32 v8, v22, v8
	v_sub_f32_e32 v8, v8, v9
	v_pk_mul_f32 v[18:19], v[2:3], v[114:115]
	v_mul_f32_e32 v17, v8, v12
	v_mov_b32_e32 v16, v3
	v_sub_f32_e32 v18, v28, v18
	v_pk_mul_f32 v[22:23], v[2:3], v[116:117]
	v_pk_mul_f32 v[8:9], v[16:17], v[72:73]
	v_sub_f32_e32 v31, v32, v33
	v_sub_f32_e32 v22, v38, v22
	;; [unrolled: 1-line block ×4, first 2 shown]
	v_pk_mul_f32 v[18:19], v[16:17], v[80:81]
	v_sub_f32_e32 v26, v26, v27
	v_sub_f32_e32 v12, v31, v18
	;; [unrolled: 1-line block ×3, first 2 shown]
	v_pk_mul_f32 v[22:23], v[16:17], v[88:89]
	v_sub_f32_e32 v8, v8, v9
	v_sub_f32_e32 v16, v26, v22
	v_pk_mul_f32 v[26:27], v[2:3], v[92:93]
	v_mul_f32_e32 v9, v8, v13
	v_mov_b32_e32 v8, v17
	v_sub_f32_e32 v2, v30, v26
	v_sub_f32_e32 v26, v12, v19
	v_pk_mul_f32 v[12:13], v[8:9], v[106:107]
	v_sub_f32_e32 v16, v16, v23
	v_sub_f32_e32 v12, v28, v12
	v_pk_mul_f32 v[22:23], v[8:9], v[108:109]
	v_sub_f32_e32 v12, v12, v13
	v_sub_f32_e32 v22, v18, v22
	v_mul_f32_e32 v19, v12, v24
	v_mov_b32_e32 v18, v9
	v_sub_f32_e32 v2, v2, v27
	v_pk_mul_f32 v[12:13], v[18:19], v[110:111]
	v_pk_mul_f32 v[14:15], v[8:9], v[14:15]
	v_sub_f32_e32 v12, v26, v12
	v_sub_f32_e32 v2, v2, v14
	v_pk_mul_f32 v[4:5], v[18:19], v[4:5]
	v_sub_f32_e32 v8, v2, v15
	v_sub_f32_e32 v2, v12, v13
	;; [unrolled: 1-line block ×3, first 2 shown]
	v_mov_b32_e32 v16, v3
	v_mul_f32_e32 v3, v2, v25
	v_mov_b32_e32 v2, v19
	v_sub_f32_e32 v22, v22, v23
	v_sub_f32_e32 v9, v4, v5
	v_pk_mul_f32 v[4:5], v[2:3], v[10:11]
	v_pk_mul_f32 v[0:1], v[2:3], v[0:1]
	v_sub_f32_e32 v4, v22, v4
	v_sub_f32_e32 v4, v4, v5
	s_addk_i32 s1, 0x9f4
	v_mul_f32_e32 v5, v4, v125
	v_mov_b32_e32 v4, v3
	v_sub_f32_e32 v0, v8, v0
	flat_store_dwordx4 v[20:21], v[16:19] offset:64
	v_sub_f32_e32 v8, v0, v1
	flat_store_dwordx2 v[20:21], v[4:5] offset:80
	v_mov_b32_e32 v0, s1
	ds_read2_b32 v[0:1], v0 offset1:1
	v_pk_mul_f32 v[6:7], v[4:5], v[6:7]
	ds_read_b32 v4, v66 offset:2668
	v_sub_f32_e32 v6, v9, v6
	v_sub_f32_e32 v2, v6, v7
	v_mul_f32_e32 v3, v2, v139
	v_mov_b32_e32 v2, v5
	s_waitcnt lgkmcnt(0)
	v_pk_mul_f32 v[0:1], v[2:3], v[0:1]
	s_add_i32 s0, s0, 24
	v_sub_f32_e32 v0, v8, v0
	v_sub_f32_e32 v0, v0, v1
	v_mul_f32_e32 v1, v0, v4
	v_mov_b32_e32 v0, v3
	flat_store_dwordx2 v[20:21], v[0:1] offset:88
.LBB32_24:
	s_cmp_ge_i32 s0, s17
	s_cbranch_scc1 .LBB32_29
; %bb.25:
	s_mul_i32 s2, s0, 0x70
	s_mov_b32 s1, 0
	s_branch .LBB32_27
.LBB32_26:                              ;   in Loop: Header=BB32_27 Depth=1
	s_mul_i32 s3, s0, 0x74
	v_mov_b32_e32 v2, s3
	ds_read_b32 v2, v2
	s_add_i32 s0, s0, 1
	s_addk_i32 s2, 0x70
	s_cmp_ge_i32 s0, s17
	s_waitcnt lgkmcnt(0)
	v_mul_f32_e32 v2, v4, v2
	flat_store_dword v[0:1], v2
	s_cbranch_scc1 .LBB32_29
.LBB32_27:                              ; =>This Loop Header: Depth=1
                                        ;     Child Loop BB32_28 Depth 2
	v_lshl_add_u64 v[0:1], s[0:1], 2, v[36:37]
	flat_load_dword v4, v[0:1]
	s_cmp_eq_u32 s0, 0
	v_mov_b64_e32 v[2:3], v[36:37]
	s_mov_b32 s3, s0
	s_mov_b32 s4, s2
	s_waitcnt vmcnt(0) lgkmcnt(0)
	v_mul_f32_e32 v4, s16, v4
	s_cbranch_scc1 .LBB32_26
.LBB32_28:                              ;   Parent Loop BB32_27 Depth=1
                                        ; =>  This Inner Loop Header: Depth=2
	flat_load_dword v5, v[2:3]
	v_mov_b32_e32 v6, s4
	ds_read_b32 v6, v6
	s_add_i32 s4, s4, 4
	s_add_i32 s3, s3, -1
	v_lshl_add_u64 v[2:3], v[2:3], 0, 4
	s_cmp_lg_u32 s3, 0
	s_waitcnt vmcnt(0) lgkmcnt(0)
	v_fma_f32 v4, -v5, v6, v4
	s_cbranch_scc1 .LBB32_28
	s_branch .LBB32_26
.LBB32_29:
	s_mov_b64 s[0:1], 0
.LBB32_30:
	s_and_b64 vcc, exec, s[0:1]
	s_cbranch_vccz .LBB32_110
; %bb.31:
	s_add_i32 s20, s17, -1
	s_cmp_gt_i32 s6, 27
	s_cbranch_scc0 .LBB32_87
; %bb.32:
	flat_load_dwordx4 v[0:3], v[36:37] offset:96
	flat_load_dwordx4 v[4:7], v[36:37] offset:80
	flat_load_dwordx4 v[8:11], v[36:37] offset:64
	flat_load_dwordx4 v[12:15], v[36:37] offset:48
	flat_load_dwordx4 v[16:19], v[36:37] offset:32
	flat_load_dwordx4 v[20:23], v[36:37] offset:16
	flat_load_dwordx4 v[24:27], v[36:37]
	v_mov_b32_e32 v28, 0
	ds_read_b32 v46, v28 offset:3132
	s_mov_b64 s[0:1], 0
	s_movk_i32 s2, 0xc38
	s_waitcnt vmcnt(0) lgkmcnt(0)
	v_pk_mul_f32 v[28:29], s[16:17], v[2:3] op_sel_hi:[0,1]
	v_pk_mul_f32 v[30:31], s[16:17], v[0:1] op_sel_hi:[0,1]
	;; [unrolled: 1-line block ×14, first 2 shown]
	v_mul_f32_e32 v0, v29, v46
	v_mov_b32_e32 v2, v31
	v_mov_b32_e32 v3, v30
	;; [unrolled: 1-line block ×27, first 2 shown]
	flat_store_dword v[36:37], v0 offset:108
.LBB32_33:                              ; =>This Inner Loop Header: Depth=1
	s_set_gpr_idx_on s0, gpr_idx(SRC0)
	v_mov_b32_e32 v28, v0
	s_set_gpr_idx_off
	v_mov_b32_e32 v29, s2
	ds_read_b32 v29, v29
	s_add_u32 s0, s0, 1
	s_addc_u32 s1, s1, 0
	s_addk_i32 s2, 0xff90
	s_cmp_lg_u32 s0, 1
	s_waitcnt lgkmcnt(0)
	v_fma_f32 v1, -v28, v29, v1
	s_cbranch_scc1 .LBB32_33
; %bb.34:
	v_mov_b32_e32 v28, 0
	ds_read_b32 v28, v28 offset:3016
	s_mov_b64 s[0:1], 0
	s_movk_i32 s2, 0xc34
	s_waitcnt lgkmcnt(0)
	v_mul_f32_e32 v1, v1, v28
	flat_store_dword v[36:37], v1 offset:104
.LBB32_35:                              ; =>This Inner Loop Header: Depth=1
	s_set_gpr_idx_on s0, gpr_idx(SRC0)
	v_mov_b32_e32 v28, v0
	s_set_gpr_idx_off
	v_mov_b32_e32 v29, s2
	ds_read_b32 v29, v29
	s_add_u32 s0, s0, 1
	s_addc_u32 s1, s1, 0
	s_addk_i32 s2, 0xff90
	s_cmp_lg_u32 s0, 2
	s_waitcnt lgkmcnt(0)
	v_fma_f32 v2, -v28, v29, v2
	s_cbranch_scc1 .LBB32_35
; %bb.36:
	v_mov_b32_e32 v28, 0
	ds_read_b32 v28, v28 offset:2900
	s_mov_b64 s[0:1], 0
	s_movk_i32 s2, 0xc30
	s_waitcnt lgkmcnt(0)
	v_mul_f32_e32 v2, v2, v28
	flat_store_dword v[36:37], v2 offset:100
.LBB32_37:                              ; =>This Inner Loop Header: Depth=1
	s_set_gpr_idx_on s0, gpr_idx(SRC0)
	v_mov_b32_e32 v28, v0
	s_set_gpr_idx_off
	v_mov_b32_e32 v29, s2
	ds_read_b32 v29, v29
	s_add_u32 s0, s0, 1
	s_addc_u32 s1, s1, 0
	s_addk_i32 s2, 0xff90
	s_cmp_lg_u32 s0, 3
	s_waitcnt lgkmcnt(0)
	v_fma_f32 v3, -v28, v29, v3
	s_cbranch_scc1 .LBB32_37
; %bb.38:
	v_mov_b32_e32 v28, 0
	ds_read_b32 v28, v28 offset:2784
	s_mov_b64 s[0:1], 0
	s_movk_i32 s2, 0xc2c
	s_waitcnt lgkmcnt(0)
	v_mul_f32_e32 v3, v3, v28
	flat_store_dword v[36:37], v3 offset:96
.LBB32_39:                              ; =>This Inner Loop Header: Depth=1
	s_set_gpr_idx_on s0, gpr_idx(SRC0)
	v_mov_b32_e32 v28, v0
	s_set_gpr_idx_off
	v_mov_b32_e32 v29, s2
	ds_read_b32 v29, v29
	s_add_u32 s0, s0, 1
	s_addc_u32 s1, s1, 0
	s_addk_i32 s2, 0xff90
	s_cmp_lg_u32 s0, 4
	s_waitcnt lgkmcnt(0)
	v_fma_f32 v4, -v28, v29, v4
	s_cbranch_scc1 .LBB32_39
; %bb.40:
	v_mov_b32_e32 v28, 0
	ds_read_b32 v28, v28 offset:2668
	s_mov_b64 s[0:1], 0
	s_movk_i32 s2, 0xc28
	s_waitcnt lgkmcnt(0)
	v_mul_f32_e32 v4, v4, v28
	flat_store_dword v[36:37], v4 offset:92
.LBB32_41:                              ; =>This Inner Loop Header: Depth=1
	s_set_gpr_idx_on s0, gpr_idx(SRC0)
	v_mov_b32_e32 v28, v0
	s_set_gpr_idx_off
	v_mov_b32_e32 v29, s2
	ds_read_b32 v29, v29
	s_add_u32 s0, s0, 1
	s_addc_u32 s1, s1, 0
	s_addk_i32 s2, 0xff90
	s_cmp_lg_u32 s0, 5
	s_waitcnt lgkmcnt(0)
	v_fma_f32 v5, -v28, v29, v5
	s_cbranch_scc1 .LBB32_41
; %bb.42:
	v_mov_b32_e32 v28, 0
	ds_read_b32 v28, v28 offset:2552
	s_mov_b64 s[0:1], 0
	s_movk_i32 s2, 0xc24
	s_waitcnt lgkmcnt(0)
	v_mul_f32_e32 v5, v5, v28
	flat_store_dword v[36:37], v5 offset:88
.LBB32_43:                              ; =>This Inner Loop Header: Depth=1
	s_set_gpr_idx_on s0, gpr_idx(SRC0)
	v_mov_b32_e32 v28, v0
	s_set_gpr_idx_off
	v_mov_b32_e32 v29, s2
	ds_read_b32 v29, v29
	s_add_u32 s0, s0, 1
	s_addc_u32 s1, s1, 0
	s_addk_i32 s2, 0xff90
	s_cmp_lg_u32 s0, 6
	s_waitcnt lgkmcnt(0)
	v_fma_f32 v6, -v28, v29, v6
	s_cbranch_scc1 .LBB32_43
; %bb.44:
	v_mov_b32_e32 v28, 0
	ds_read_b32 v28, v28 offset:2436
	s_mov_b64 s[0:1], 0
	s_movk_i32 s2, 0xc20
	s_waitcnt lgkmcnt(0)
	v_mul_f32_e32 v6, v6, v28
	flat_store_dword v[36:37], v6 offset:84
.LBB32_45:                              ; =>This Inner Loop Header: Depth=1
	s_set_gpr_idx_on s0, gpr_idx(SRC0)
	v_mov_b32_e32 v28, v0
	s_set_gpr_idx_off
	v_mov_b32_e32 v29, s2
	ds_read_b32 v29, v29
	s_add_u32 s0, s0, 1
	s_addc_u32 s1, s1, 0
	s_addk_i32 s2, 0xff90
	s_cmp_lg_u32 s0, 7
	s_waitcnt lgkmcnt(0)
	v_fma_f32 v7, -v28, v29, v7
	s_cbranch_scc1 .LBB32_45
; %bb.46:
	v_mov_b32_e32 v28, 0
	ds_read_b32 v28, v28 offset:2320
	s_mov_b64 s[0:1], 0
	s_movk_i32 s2, 0xc1c
	s_waitcnt lgkmcnt(0)
	v_mul_f32_e32 v7, v7, v28
	flat_store_dword v[36:37], v7 offset:80
.LBB32_47:                              ; =>This Inner Loop Header: Depth=1
	s_set_gpr_idx_on s0, gpr_idx(SRC0)
	v_mov_b32_e32 v28, v0
	s_set_gpr_idx_off
	v_mov_b32_e32 v29, s2
	ds_read_b32 v29, v29
	s_add_u32 s0, s0, 1
	s_addc_u32 s1, s1, 0
	s_addk_i32 s2, 0xff90
	s_cmp_lg_u32 s0, 8
	s_waitcnt lgkmcnt(0)
	v_fma_f32 v8, -v28, v29, v8
	s_cbranch_scc1 .LBB32_47
; %bb.48:
	v_mov_b32_e32 v28, 0
	ds_read_b32 v28, v28 offset:2204
	s_mov_b64 s[0:1], 0
	s_movk_i32 s2, 0xc18
	s_waitcnt lgkmcnt(0)
	v_mul_f32_e32 v8, v8, v28
	flat_store_dword v[36:37], v8 offset:76
.LBB32_49:                              ; =>This Inner Loop Header: Depth=1
	s_set_gpr_idx_on s0, gpr_idx(SRC0)
	v_mov_b32_e32 v28, v0
	s_set_gpr_idx_off
	v_mov_b32_e32 v29, s2
	ds_read_b32 v29, v29
	s_add_u32 s0, s0, 1
	s_addc_u32 s1, s1, 0
	s_addk_i32 s2, 0xff90
	s_cmp_lg_u32 s0, 9
	s_waitcnt lgkmcnt(0)
	v_fma_f32 v9, -v28, v29, v9
	s_cbranch_scc1 .LBB32_49
; %bb.50:
	v_mov_b32_e32 v28, 0
	ds_read_b32 v28, v28 offset:2088
	s_mov_b64 s[0:1], 0
	s_movk_i32 s2, 0xc14
	s_waitcnt lgkmcnt(0)
	v_mul_f32_e32 v9, v9, v28
	flat_store_dword v[36:37], v9 offset:72
.LBB32_51:                              ; =>This Inner Loop Header: Depth=1
	s_set_gpr_idx_on s0, gpr_idx(SRC0)
	v_mov_b32_e32 v28, v0
	s_set_gpr_idx_off
	v_mov_b32_e32 v29, s2
	ds_read_b32 v29, v29
	s_add_u32 s0, s0, 1
	s_addc_u32 s1, s1, 0
	s_addk_i32 s2, 0xff90
	s_cmp_lg_u32 s0, 10
	s_waitcnt lgkmcnt(0)
	v_fma_f32 v10, -v28, v29, v10
	s_cbranch_scc1 .LBB32_51
; %bb.52:
	v_mov_b32_e32 v28, 0
	ds_read_b32 v28, v28 offset:1972
	s_mov_b64 s[0:1], 0
	s_movk_i32 s2, 0xc10
	s_waitcnt lgkmcnt(0)
	v_mul_f32_e32 v10, v10, v28
	flat_store_dword v[36:37], v10 offset:68
.LBB32_53:                              ; =>This Inner Loop Header: Depth=1
	s_set_gpr_idx_on s0, gpr_idx(SRC0)
	v_mov_b32_e32 v28, v0
	s_set_gpr_idx_off
	v_mov_b32_e32 v29, s2
	ds_read_b32 v29, v29
	s_add_u32 s0, s0, 1
	s_addc_u32 s1, s1, 0
	s_addk_i32 s2, 0xff90
	s_cmp_lg_u32 s0, 11
	s_waitcnt lgkmcnt(0)
	v_fma_f32 v11, -v28, v29, v11
	s_cbranch_scc1 .LBB32_53
; %bb.54:
	v_mov_b32_e32 v28, 0
	ds_read_b32 v28, v28 offset:1856
	s_mov_b64 s[0:1], 0
	s_movk_i32 s2, 0xc0c
	s_waitcnt lgkmcnt(0)
	v_mul_f32_e32 v11, v11, v28
	flat_store_dword v[36:37], v11 offset:64
.LBB32_55:                              ; =>This Inner Loop Header: Depth=1
	s_set_gpr_idx_on s0, gpr_idx(SRC0)
	v_mov_b32_e32 v28, v0
	s_set_gpr_idx_off
	v_mov_b32_e32 v29, s2
	ds_read_b32 v29, v29
	s_add_u32 s0, s0, 1
	s_addc_u32 s1, s1, 0
	s_addk_i32 s2, 0xff90
	s_cmp_lg_u32 s0, 12
	s_waitcnt lgkmcnt(0)
	v_fma_f32 v12, -v28, v29, v12
	s_cbranch_scc1 .LBB32_55
; %bb.56:
	v_mov_b32_e32 v28, 0
	ds_read_b32 v28, v28 offset:1740
	s_mov_b64 s[0:1], 0
	s_movk_i32 s2, 0xc08
	s_waitcnt lgkmcnt(0)
	v_mul_f32_e32 v12, v12, v28
	flat_store_dword v[36:37], v12 offset:60
.LBB32_57:                              ; =>This Inner Loop Header: Depth=1
	s_set_gpr_idx_on s0, gpr_idx(SRC0)
	v_mov_b32_e32 v28, v0
	s_set_gpr_idx_off
	v_mov_b32_e32 v29, s2
	ds_read_b32 v29, v29
	s_add_u32 s0, s0, 1
	s_addc_u32 s1, s1, 0
	s_addk_i32 s2, 0xff90
	s_cmp_lg_u32 s0, 13
	s_waitcnt lgkmcnt(0)
	v_fma_f32 v13, -v28, v29, v13
	s_cbranch_scc1 .LBB32_57
; %bb.58:
	v_mov_b32_e32 v28, 0
	ds_read_b32 v28, v28 offset:1624
	s_mov_b64 s[0:1], 0
	s_movk_i32 s2, 0xc04
	s_waitcnt lgkmcnt(0)
	v_mul_f32_e32 v13, v13, v28
	flat_store_dword v[36:37], v13 offset:56
.LBB32_59:                              ; =>This Inner Loop Header: Depth=1
	s_set_gpr_idx_on s0, gpr_idx(SRC0)
	v_mov_b32_e32 v28, v0
	s_set_gpr_idx_off
	v_mov_b32_e32 v29, s2
	ds_read_b32 v29, v29
	s_add_u32 s0, s0, 1
	s_addc_u32 s1, s1, 0
	s_addk_i32 s2, 0xff90
	s_cmp_lg_u32 s0, 14
	s_waitcnt lgkmcnt(0)
	v_fma_f32 v14, -v28, v29, v14
	s_cbranch_scc1 .LBB32_59
; %bb.60:
	v_mov_b32_e32 v28, 0
	ds_read_b32 v28, v28 offset:1508
	s_mov_b64 s[0:1], 0
	s_movk_i32 s2, 0xc00
	s_waitcnt lgkmcnt(0)
	v_mul_f32_e32 v14, v14, v28
	flat_store_dword v[36:37], v14 offset:52
.LBB32_61:                              ; =>This Inner Loop Header: Depth=1
	s_set_gpr_idx_on s0, gpr_idx(SRC0)
	v_mov_b32_e32 v28, v0
	s_set_gpr_idx_off
	v_mov_b32_e32 v29, s2
	ds_read_b32 v29, v29
	s_add_u32 s0, s0, 1
	s_addc_u32 s1, s1, 0
	s_addk_i32 s2, 0xff90
	s_cmp_lg_u32 s0, 15
	s_waitcnt lgkmcnt(0)
	v_fma_f32 v15, -v28, v29, v15
	s_cbranch_scc1 .LBB32_61
; %bb.62:
	v_mov_b32_e32 v28, 0
	ds_read_b32 v28, v28 offset:1392
	s_mov_b64 s[0:1], 0
	s_movk_i32 s2, 0xbfc
	s_waitcnt lgkmcnt(0)
	v_mul_f32_e32 v15, v15, v28
	flat_store_dword v[36:37], v15 offset:48
.LBB32_63:                              ; =>This Inner Loop Header: Depth=1
	s_set_gpr_idx_on s0, gpr_idx(SRC0)
	v_mov_b32_e32 v28, v0
	s_set_gpr_idx_off
	v_mov_b32_e32 v29, s2
	ds_read_b32 v29, v29
	s_add_u32 s0, s0, 1
	s_addc_u32 s1, s1, 0
	s_addk_i32 s2, 0xff90
	s_cmp_lg_u32 s0, 16
	s_waitcnt lgkmcnt(0)
	v_fma_f32 v16, -v28, v29, v16
	s_cbranch_scc1 .LBB32_63
; %bb.64:
	v_mov_b32_e32 v28, 0
	ds_read_b32 v28, v28 offset:1276
	s_mov_b64 s[0:1], 0
	s_movk_i32 s2, 0xbf8
	s_waitcnt lgkmcnt(0)
	v_mul_f32_e32 v16, v16, v28
	flat_store_dword v[36:37], v16 offset:44
.LBB32_65:                              ; =>This Inner Loop Header: Depth=1
	s_set_gpr_idx_on s0, gpr_idx(SRC0)
	v_mov_b32_e32 v28, v0
	s_set_gpr_idx_off
	v_mov_b32_e32 v29, s2
	ds_read_b32 v29, v29
	s_add_u32 s0, s0, 1
	s_addc_u32 s1, s1, 0
	s_addk_i32 s2, 0xff90
	s_cmp_lg_u32 s0, 17
	s_waitcnt lgkmcnt(0)
	v_fma_f32 v17, -v28, v29, v17
	s_cbranch_scc1 .LBB32_65
; %bb.66:
	v_mov_b32_e32 v28, 0
	ds_read_b32 v28, v28 offset:1160
	s_mov_b64 s[0:1], 0
	s_movk_i32 s2, 0xbf4
	s_waitcnt lgkmcnt(0)
	v_mul_f32_e32 v17, v17, v28
	flat_store_dword v[36:37], v17 offset:40
.LBB32_67:                              ; =>This Inner Loop Header: Depth=1
	s_set_gpr_idx_on s0, gpr_idx(SRC0)
	v_mov_b32_e32 v28, v0
	s_set_gpr_idx_off
	v_mov_b32_e32 v29, s2
	ds_read_b32 v29, v29
	s_add_u32 s0, s0, 1
	s_addc_u32 s1, s1, 0
	s_addk_i32 s2, 0xff90
	s_cmp_lg_u32 s0, 18
	s_waitcnt lgkmcnt(0)
	v_fma_f32 v18, -v28, v29, v18
	s_cbranch_scc1 .LBB32_67
; %bb.68:
	v_mov_b32_e32 v28, 0
	ds_read_b32 v28, v28 offset:1044
	s_mov_b64 s[0:1], 0
	s_movk_i32 s2, 0xbf0
	s_waitcnt lgkmcnt(0)
	v_mul_f32_e32 v18, v18, v28
	flat_store_dword v[36:37], v18 offset:36
.LBB32_69:                              ; =>This Inner Loop Header: Depth=1
	s_set_gpr_idx_on s0, gpr_idx(SRC0)
	v_mov_b32_e32 v28, v0
	s_set_gpr_idx_off
	v_mov_b32_e32 v29, s2
	ds_read_b32 v29, v29
	s_add_u32 s0, s0, 1
	s_addc_u32 s1, s1, 0
	s_addk_i32 s2, 0xff90
	s_cmp_lg_u32 s0, 19
	s_waitcnt lgkmcnt(0)
	v_fma_f32 v19, -v28, v29, v19
	s_cbranch_scc1 .LBB32_69
; %bb.70:
	v_mov_b32_e32 v28, 0
	ds_read_b32 v28, v28 offset:928
	s_mov_b64 s[0:1], 0
	s_movk_i32 s2, 0xbec
	s_waitcnt lgkmcnt(0)
	v_mul_f32_e32 v19, v19, v28
	flat_store_dword v[36:37], v19 offset:32
.LBB32_71:                              ; =>This Inner Loop Header: Depth=1
	s_set_gpr_idx_on s0, gpr_idx(SRC0)
	v_mov_b32_e32 v28, v0
	s_set_gpr_idx_off
	v_mov_b32_e32 v29, s2
	ds_read_b32 v29, v29
	s_add_u32 s0, s0, 1
	s_addc_u32 s1, s1, 0
	s_addk_i32 s2, 0xff90
	s_cmp_lg_u32 s0, 20
	s_waitcnt lgkmcnt(0)
	v_fma_f32 v20, -v28, v29, v20
	s_cbranch_scc1 .LBB32_71
; %bb.72:
	v_mov_b32_e32 v28, 0
	ds_read_b32 v28, v28 offset:812
	s_mov_b64 s[0:1], 0
	s_movk_i32 s2, 0xbe8
	s_waitcnt lgkmcnt(0)
	v_mul_f32_e32 v20, v20, v28
	flat_store_dword v[36:37], v20 offset:28
.LBB32_73:                              ; =>This Inner Loop Header: Depth=1
	s_set_gpr_idx_on s0, gpr_idx(SRC0)
	v_mov_b32_e32 v28, v0
	s_set_gpr_idx_off
	v_mov_b32_e32 v29, s2
	ds_read_b32 v29, v29
	s_add_u32 s0, s0, 1
	s_addc_u32 s1, s1, 0
	s_addk_i32 s2, 0xff90
	s_cmp_lg_u32 s0, 21
	s_waitcnt lgkmcnt(0)
	v_fma_f32 v21, -v28, v29, v21
	s_cbranch_scc1 .LBB32_73
; %bb.74:
	v_mov_b32_e32 v28, 0
	ds_read_b32 v28, v28 offset:696
	s_mov_b64 s[0:1], 0
	s_movk_i32 s2, 0xbe4
	s_waitcnt lgkmcnt(0)
	v_mul_f32_e32 v21, v21, v28
	flat_store_dword v[36:37], v21 offset:24
.LBB32_75:                              ; =>This Inner Loop Header: Depth=1
	s_set_gpr_idx_on s0, gpr_idx(SRC0)
	v_mov_b32_e32 v28, v0
	s_set_gpr_idx_off
	v_mov_b32_e32 v29, s2
	ds_read_b32 v29, v29
	s_add_u32 s0, s0, 1
	s_addc_u32 s1, s1, 0
	s_addk_i32 s2, 0xff90
	s_cmp_lg_u32 s0, 22
	s_waitcnt lgkmcnt(0)
	v_fma_f32 v22, -v28, v29, v22
	s_cbranch_scc1 .LBB32_75
; %bb.76:
	v_mov_b32_e32 v28, 0
	ds_read_b32 v28, v28 offset:580
	s_mov_b64 s[0:1], 0
	s_movk_i32 s2, 0xbe0
	s_waitcnt lgkmcnt(0)
	v_mul_f32_e32 v22, v22, v28
	flat_store_dword v[36:37], v22 offset:20
.LBB32_77:                              ; =>This Inner Loop Header: Depth=1
	s_set_gpr_idx_on s0, gpr_idx(SRC0)
	v_mov_b32_e32 v28, v0
	s_set_gpr_idx_off
	v_mov_b32_e32 v29, s2
	ds_read_b32 v29, v29
	s_add_u32 s0, s0, 1
	s_addc_u32 s1, s1, 0
	s_addk_i32 s2, 0xff90
	s_cmp_lg_u32 s0, 23
	s_waitcnt lgkmcnt(0)
	v_fma_f32 v23, -v28, v29, v23
	s_cbranch_scc1 .LBB32_77
; %bb.78:
	v_mov_b32_e32 v28, 0
	ds_read_b32 v28, v28 offset:464
	s_mov_b64 s[0:1], 0
	s_movk_i32 s2, 0xbdc
	s_waitcnt lgkmcnt(0)
	v_mul_f32_e32 v23, v23, v28
	flat_store_dword v[36:37], v23 offset:16
.LBB32_79:                              ; =>This Inner Loop Header: Depth=1
	s_set_gpr_idx_on s0, gpr_idx(SRC0)
	v_mov_b32_e32 v28, v0
	s_set_gpr_idx_off
	v_mov_b32_e32 v29, s2
	ds_read_b32 v29, v29
	s_add_u32 s0, s0, 1
	s_addc_u32 s1, s1, 0
	s_addk_i32 s2, 0xff90
	s_cmp_lg_u32 s0, 24
	s_waitcnt lgkmcnt(0)
	v_fma_f32 v24, -v28, v29, v24
	s_cbranch_scc1 .LBB32_79
; %bb.80:
	v_mov_b32_e32 v28, 0
	ds_read_b32 v28, v28 offset:348
	s_mov_b64 s[0:1], 0
	s_movk_i32 s2, 0xbd8
	s_waitcnt lgkmcnt(0)
	v_mul_f32_e32 v24, v24, v28
	flat_store_dword v[36:37], v24 offset:12
.LBB32_81:                              ; =>This Inner Loop Header: Depth=1
	s_set_gpr_idx_on s0, gpr_idx(SRC0)
	v_mov_b32_e32 v28, v0
	s_set_gpr_idx_off
	v_mov_b32_e32 v29, s2
	ds_read_b32 v29, v29
	s_add_u32 s0, s0, 1
	s_addc_u32 s1, s1, 0
	s_addk_i32 s2, 0xff90
	s_cmp_lg_u32 s0, 25
	s_waitcnt lgkmcnt(0)
	v_fma_f32 v25, -v28, v29, v25
	s_cbranch_scc1 .LBB32_81
; %bb.82:
	v_mov_b32_e32 v28, 0
	ds_read_b32 v28, v28 offset:232
	s_mov_b64 s[0:1], 0
	s_movk_i32 s2, 0xbd4
	s_waitcnt lgkmcnt(0)
	v_mul_f32_e32 v25, v25, v28
	flat_store_dword v[36:37], v25 offset:8
.LBB32_83:                              ; =>This Inner Loop Header: Depth=1
	s_set_gpr_idx_on s0, gpr_idx(SRC0)
	v_mov_b32_e32 v28, v0
	s_set_gpr_idx_off
	v_mov_b32_e32 v29, s2
	ds_read_b32 v29, v29
	s_add_u32 s0, s0, 1
	s_addc_u32 s1, s1, 0
	s_addk_i32 s2, 0xff90
	s_cmp_lg_u32 s0, 26
	s_waitcnt lgkmcnt(0)
	v_fma_f32 v26, -v28, v29, v26
	s_cbranch_scc1 .LBB32_83
; %bb.84:
	v_mov_b32_e32 v28, 0
	ds_read_b32 v28, v28 offset:116
	s_mov_b64 s[0:1], 0
	s_movk_i32 s2, 0xbd0
	s_waitcnt lgkmcnt(0)
	v_mul_f32_e32 v26, v26, v28
	flat_store_dword v[36:37], v26 offset:4
.LBB32_85:                              ; =>This Inner Loop Header: Depth=1
	s_set_gpr_idx_on s0, gpr_idx(SRC0)
	v_mov_b32_e32 v28, v0
	s_set_gpr_idx_off
	v_mov_b32_e32 v29, s2
	ds_read_b32 v29, v29
	s_add_u32 s0, s0, 1
	s_addc_u32 s1, s1, 0
	s_addk_i32 s2, 0xff90
	s_cmp_lg_u32 s0, 27
	s_waitcnt lgkmcnt(0)
	v_fma_f32 v27, -v28, v29, v27
	s_cbranch_scc1 .LBB32_85
; %bb.86:
	v_mov_b32_e32 v0, 0
	ds_read_b32 v0, v0
	s_mov_b32 s0, -1
	s_waitcnt lgkmcnt(0)
	v_mul_f32_e32 v0, v27, v0
	flat_store_dword v[36:37], v0
	s_cmp_gt_i32 s0, -1
	s_cbranch_scc1 .LBB32_88
	s_branch .LBB32_110
.LBB32_87:
	s_mov_b32 s0, s20
	s_cmp_gt_i32 s0, -1
	s_cbranch_scc0 .LBB32_110
.LBB32_88:
	s_cmp_lt_u32 s0, 23
	s_cbranch_scc1 .LBB32_93
; %bb.89:
	s_mov_b32 s3, 0
	s_mov_b32 s1, s3
	v_lshl_add_u64 v[18:19], s[0:1], 2, v[36:37]
	v_add_co_u32_e32 v0, vcc, -12, v18
	s_cmp_le_i32 s20, s0
	s_nop 0
	v_addc_co_u32_e32 v1, vcc, -1, v19, vcc
	v_add_co_u32_e32 v4, vcc, 0xffffffe4, v18
	flat_load_dwordx4 v[0:3], v[0:1]
	s_nop 0
	v_addc_co_u32_e32 v5, vcc, -1, v19, vcc
	v_add_co_u32_e32 v8, vcc, 0xffffffd4, v18
	flat_load_dwordx4 v[4:7], v[4:5]
	;; [unrolled: 4-line block ×4, first 2 shown]
	s_nop 0
	v_addc_co_u32_e32 v17, vcc, -1, v19, vcc
	flat_load_dwordx4 v[20:23], v[16:17]
	v_add_co_u32_e32 v16, vcc, 0xffffffa4, v18
	s_waitcnt vmcnt(0) lgkmcnt(0)
	v_pk_mul_f32 v[2:3], s[16:17], v[2:3] op_sel_hi:[0,1]
	v_addc_co_u32_e32 v17, vcc, -1, v19, vcc
	flat_load_dwordx4 v[26:29], v[16:17]
	v_pk_mul_f32 v[0:1], s[16:17], v[0:1] op_sel_hi:[0,1]
	v_pk_mul_f32 v[6:7], s[16:17], v[6:7] op_sel_hi:[0,1]
	;; [unrolled: 1-line block ×3, first 2 shown]
	v_mov_b32_e32 v4, v3
	v_mov_b32_e32 v5, v2
	;; [unrolled: 1-line block ×4, first 2 shown]
	v_pk_mul_f32 v[0:1], s[16:17], v[10:11] op_sel_hi:[0,1]
	v_pk_mul_f32 v[2:3], s[16:17], v[8:9] op_sel_hi:[0,1]
	v_mov_b32_e32 v52, v7
	v_mov_b32_e32 v53, v6
	v_pk_mul_f32 v[8:9], s[16:17], v[14:15] op_sel_hi:[0,1]
	v_pk_mul_f32 v[10:11], s[16:17], v[12:13] op_sel_hi:[0,1]
	v_mov_b32_e32 v24, v1
	v_mov_b32_e32 v25, v0
	;; [unrolled: 1-line block ×4, first 2 shown]
	v_pk_mul_f32 v[2:3], s[16:17], v[22:23] op_sel_hi:[0,1]
	v_pk_mul_f32 v[12:13], s[16:17], v[20:21] op_sel_hi:[0,1]
	v_mov_b32_e32 v6, v9
	v_mov_b32_e32 v7, v8
	;; [unrolled: 1-line block ×10, first 2 shown]
	s_waitcnt vmcnt(0) lgkmcnt(0)
	v_pk_mul_f32 v[8:9], s[16:17], v[28:29] op_sel_hi:[0,1]
	v_pk_mul_f32 v[10:11], s[16:17], v[26:27] op_sel_hi:[0,1]
	v_mov_b32_e32 v12, v9
	v_mov_b32_e32 v13, v8
	;; [unrolled: 1-line block ×4, first 2 shown]
	s_cbranch_scc1 .LBB32_92
; %bb.90:
	s_mul_i32 s1, s17, 0x70
	s_lshl_b32 s2, s0, 2
	s_add_i32 s1, s1, s2
	s_addk_i32 s1, 0xff34
	s_mov_b32 s2, s20
.LBB32_91:                              ; =>This Inner Loop Header: Depth=1
	v_lshl_add_u64 v[8:9], s[2:3], 2, v[36:37]
	flat_load_dword v8, v[8:9]
	v_mov_b32_e32 v9, s1
	ds_read2_b32 v[10:11], v9 offset0:22 offset1:23
	ds_read2_b32 v[16:17], v9 offset0:20 offset1:21
	;; [unrolled: 1-line block ×11, first 2 shown]
	ds_read2_b32 v[42:43], v9 offset1:1
	s_add_i32 s2, s2, -1
	s_addk_i32 s1, 0xff90
	s_cmp_gt_i32 s2, s0
	s_waitcnt vmcnt(0) lgkmcnt(0)
	v_pk_mul_f32 v[10:11], v[8:9], v[10:11] op_sel_hi:[0,1]
	v_pk_mul_f32 v[16:17], v[8:9], v[16:17] op_sel_hi:[0,1]
	;; [unrolled: 1-line block ×12, first 2 shown]
	v_pk_add_f32 v[4:5], v[4:5], v[10:11] op_sel:[0,1] op_sel_hi:[1,0] neg_lo:[0,1] neg_hi:[0,1]
	v_pk_add_f32 v[54:55], v[54:55], v[16:17] op_sel:[0,1] op_sel_hi:[1,0] neg_lo:[0,1] neg_hi:[0,1]
	;; [unrolled: 1-line block ×12, first 2 shown]
	s_cbranch_scc1 .LBB32_91
.LBB32_92:
	s_add_i32 s2, s0, -1
	s_mul_i32 s29, s0, 0x70
	s_lshl_b32 s1, s2, 2
	s_add_i32 s27, s29, 0xffffff90
	s_add_i32 s3, s1, s29
	;; [unrolled: 1-line block ×3, first 2 shown]
	s_add_i32 s10, s0, -3
	v_mov_b32_e32 v10, s1
	s_lshl_b32 s1, s10, 2
	v_mov_b32_e32 v8, s3
	s_add_i32 s3, s1, s29
	v_mov_b32_e32 v11, s3
	s_add_i32 s3, s1, s27
	s_add_i32 s26, s29, 0xffffff20
	;; [unrolled: 1-line block ×3, first 2 shown]
	v_mov_b32_e32 v16, s3
	s_add_i32 s3, s1, s26
	s_add_i32 s1, s1, s24
	s_add_i32 s12, s0, -5
	ds_read2_b32 v[8:9], v8 offset1:1
	ds_read_b32 v23, v10
	ds_read2_b32 v[72:73], v11 offset1:1
	ds_read2_b32 v[56:57], v16 offset1:1
	v_mov_b32_e32 v11, s1
	s_lshl_b32 s1, s12, 2
	v_mov_b32_e32 v10, s3
	s_add_i32 s3, s1, s29
	v_mov_b32_e32 v16, s3
	s_add_i32 s3, s1, s27
	;; [unrolled: 2-line block ×3, first 2 shown]
	ds_read2_b32 v[64:65], v10 offset1:1
	ds_read_b32 v83, v11
	ds_read2_b32 v[74:75], v16 offset1:1
	ds_read2_b32 v[62:63], v17 offset1:1
	v_mov_b32_e32 v10, s3
	s_add_i32 s3, s1, s24
	s_add_i32 s25, s29, 0xfffffe40
	v_mov_b32_e32 v11, s3
	s_add_i32 s3, s1, s25
	s_add_i32 s6, s0, -11
	v_mov_b32_e32 v16, s3
	s_lshl_b32 s3, s6, 2
	s_add_i32 s5, s29, 0xfffffba0
	s_add_i32 s23, s29, 0xfffffdd0
	s_add_i32 s14, s0, -7
	s_add_i32 s4, s3, s5
	s_add_i32 s7, s29, 0xfffffb30
	s_add_i32 s1, s1, s23
	s_lshl_b32 s8, s14, 2
	v_mov_b32_e32 v29, s4
	s_add_i32 s4, s3, s7
	v_mov_b32_e32 v17, s1
	s_add_i32 s1, s8, s29
	v_mov_b32_e32 v30, s4
	s_add_i32 s4, s0, -13
	ds_read2_b32 v[102:103], v10 offset1:1
	ds_read2_b32 v[58:59], v11 offset1:1
	ds_read2_b32 v[60:61], v16 offset1:1
	ds_read_b32 v82, v17
	v_mov_b32_e32 v16, s1
	s_add_i32 s1, s8, s27
	s_lshl_b32 s11, s4, 2
	v_mov_b32_e32 v17, s1
	s_add_i32 s1, s8, s26
	s_add_i32 s9, s11, s29
	v_mov_b32_e32 v20, s1
	s_add_i32 s1, s8, s24
	v_mov_b32_e32 v10, s9
	v_mov_b32_e32 v21, s1
	s_add_i32 s1, s8, s25
	ds_read2_b32 v[10:11], v10 offset1:1
	v_mov_b32_e32 v26, s1
	s_add_i32 s1, s8, s23
	s_add_i32 s28, s29, 0xfffffd60
	v_mov_b32_e32 v27, s1
	s_add_i32 s1, s8, s28
	v_mov_b32_e32 v28, s1
	s_add_i32 s1, s29, 0xfffffcf0
	s_add_i32 s8, s8, s1
	s_waitcnt lgkmcnt(12)
	v_mul_f32_e32 v22, v4, v9
	s_waitcnt lgkmcnt(0)
	v_fma_f32 v93, -v22, v11, v6
	v_mov_b32_e32 v6, s8
	s_add_i32 s8, s0, -9
	s_add_i32 s9, s11, s27
	s_lshl_b32 s13, s8, 2
	v_mov_b32_e32 v31, s9
	s_add_i32 s9, s13, s26
	v_fma_f32 v92, -v22, v8, v5
	ds_read2_b32 v[4:5], v29 offset1:1
	ds_read2_b32 v[84:85], v31 offset1:1
	ds_read_b32 v170, v30
	ds_read2_b32 v[104:105], v26 offset1:1
	ds_read2_b32 v[70:71], v27 offset1:1
	;; [unrolled: 1-line block ×3, first 2 shown]
	ds_read_b32 v95, v6
	v_mov_b32_e32 v6, s9
	s_add_i32 s9, s13, s25
	s_add_i32 s19, s3, s26
	v_fma_f32 v98, -v22, v10, v7
	v_mov_b32_e32 v7, s9
	s_add_i32 s9, s13, s28
	v_mov_b32_e32 v9, s19
	s_add_i32 s19, s3, s25
	;; [unrolled: 2-line block ×4, first 2 shown]
	s_add_i32 s15, s13, s29
	s_add_i32 s18, s13, s27
	;; [unrolled: 1-line block ×5, first 2 shown]
	v_mov_b32_e32 v11, s19
	s_add_i32 s19, s3, s9
	s_add_i32 s31, s13, s1
	;; [unrolled: 1-line block ×4, first 2 shown]
	v_mov_b32_e32 v26, s19
	s_add_i32 s19, s11, s25
	ds_read2_b32 v[106:107], v20 offset1:1
	ds_read2_b32 v[86:87], v16 offset1:1
	ds_read2_b32 v[76:77], v21 offset1:1
	ds_read2_b32 v[90:91], v17 offset1:1
	v_mov_b32_e32 v16, s15
	v_mov_b32_e32 v17, s18
	v_mov_b32_e32 v20, s21
	ds_read2_b32 v[226:227], v6 offset1:1
	ds_read2_b32 v[88:89], v16 offset1:1
	;; [unrolled: 1-line block ×4, first 2 shown]
	v_mov_b32_e32 v6, s30
	v_mov_b32_e32 v27, s19
	s_add_i32 s19, s11, s28
	v_mov_b32_e32 v28, s13
	s_add_i32 s13, s3, s29
	s_add_i32 s34, s3, s27
	;; [unrolled: 1-line block ×3, first 2 shown]
	v_mov_b32_e32 v16, s31
	ds_read2_b32 v[220:221], v7 offset1:1
	ds_read2_b32 v[214:215], v8 offset1:1
	;; [unrolled: 1-line block ×4, first 2 shown]
	v_mov_b32_e32 v6, s33
	v_mov_b32_e32 v99, s19
	s_add_i32 s19, s11, s9
	s_add_i32 s36, s3, s23
	;; [unrolled: 1-line block ×3, first 2 shown]
	v_mov_b32_e32 v7, s13
	v_mov_b32_e32 v8, s34
	ds_read_b32 v94, v28
	ds_read2_b32 v[50:51], v7 offset1:1
	ds_read2_b32 v[42:43], v8 offset1:1
	;; [unrolled: 1-line block ×3, first 2 shown]
	v_mov_b32_e32 v6, s35
	v_mov_b32_e32 v100, s19
	s_add_i32 s19, s11, s5
	s_add_i32 s3, s3, s22
	;; [unrolled: 1-line block ×3, first 2 shown]
	v_mov_b32_e32 v7, s36
	ds_read2_b32 v[224:225], v9 offset1:1
	ds_read2_b32 v[218:219], v10 offset1:1
	ds_read2_b32 v[28:29], v7 offset1:1
	ds_read2_b32 v[34:35], v6 offset1:1
	v_mov_b32_e32 v6, s37
	v_mov_b32_e32 v101, s19
	s_add_i32 s39, s11, s24
	s_add_i32 s40, s11, s23
	;; [unrolled: 1-line block ×4, first 2 shown]
	v_mov_b32_e32 v7, s3
	ds_read2_b32 v[212:213], v11 offset1:1
	ds_read2_b32 v[208:209], v26 offset1:1
	;; [unrolled: 1-line block ×4, first 2 shown]
	v_mov_b32_e32 v6, s38
	s_add_i32 s42, s11, s22
	s_add_i32 s43, s11, s7
	;; [unrolled: 1-line block ×3, first 2 shown]
	v_mov_b32_e32 v7, s39
	v_mov_b32_e32 v8, s40
	ds_read2_b32 v[222:223], v27 offset1:1
	ds_read2_b32 v[46:47], v6 offset1:1
	;; [unrolled: 1-line block ×4, first 2 shown]
	v_mov_b32_e32 v6, s41
	v_mov_b32_e32 v7, s42
	ds_read2_b32 v[216:217], v99 offset1:1
	ds_read2_b32 v[210:211], v100 offset1:1
	;; [unrolled: 1-line block ×4, first 2 shown]
	v_mov_b32_e32 v6, s43
	v_mov_b32_e32 v8, s11
	s_mov_b32 s3, 0
	ds_read2_b32 v[206:207], v101 offset1:1
	ds_read2_b32 v[6:7], v6 offset1:1
	;; [unrolled: 1-line block ×3, first 2 shown]
	flat_store_dword v[18:19], v22
	v_mul_f32_e32 v23, v92, v23
	v_lshl_add_u64 v[18:19], s[2:3], 2, v[36:37]
	flat_store_dword v[18:19], v23
	v_mov_b32_e32 v18, v73
	v_mov_b32_e32 v19, v57
	v_pk_mul_f32 v[18:19], v[22:23], v[18:19]
	s_add_i32 s2, s0, -2
	v_sub_f32_e32 v18, v54, v18
	v_sub_f32_e32 v54, v18, v19
	v_mov_b32_e32 v18, v75
	v_mov_b32_e32 v19, v63
	v_pk_mul_f32 v[18:19], v[22:23], v[18:19]
	v_fma_f32 v55, -v22, v72, v55
	v_sub_f32_e32 v18, v52, v18
	v_sub_f32_e32 v73, v18, v19
	s_waitcnt lgkmcnt(0)
	v_mov_b32_e32 v18, v87
	v_mov_b32_e32 v19, v91
	v_pk_mul_f32 v[18:19], v[22:23], v[18:19]
	v_fma_f32 v72, -v22, v74, v53
	v_sub_f32_e32 v18, v48, v18
	v_sub_f32_e32 v48, v18, v19
	v_mov_b32_e32 v18, v89
	v_mov_b32_e32 v19, v39
	v_pk_mul_f32 v[18:19], v[22:23], v[18:19]
	v_mov_b32_e32 v57, v64
	v_sub_f32_e32 v18, v24, v18
	v_sub_f32_e32 v24, v18, v19
	v_mul_f32_e32 v53, v54, v65
	v_lshl_add_u64 v[18:19], s[2:3], 2, v[36:37]
	v_mov_b32_e32 v52, v23
	flat_store_dword v[18:19], v53
	v_pk_mul_f32 v[18:19], v[52:53], v[56:57]
	v_mov_b32_e32 v63, v102
	v_sub_f32_e32 v18, v55, v18
	v_fma_f32 v88, -v22, v88, v25
	v_sub_f32_e32 v25, v18, v19
	v_pk_mul_f32 v[18:19], v[52:53], v[62:63]
	v_mov_b32_e32 v91, v106
	v_sub_f32_e32 v18, v72, v18
	v_fma_f32 v49, -v22, v86, v49
	v_sub_f32_e32 v54, v18, v19
	v_pk_mul_f32 v[18:19], v[52:53], v[90:91]
	s_mov_b32 s11, s3
	v_sub_f32_e32 v18, v49, v18
	v_sub_f32_e32 v55, v18, v19
	v_mul_f32_e32 v57, v25, v83
	v_lshl_add_u64 v[18:19], s[10:11], 2, v[36:37]
	flat_store_dword v[18:19], v57
	v_mov_b32_e32 v18, v103
	v_mov_b32_e32 v19, v59
	;; [unrolled: 1-line block ×3, first 2 shown]
	v_pk_mul_f32 v[18:19], v[56:57], v[18:19]
	s_add_i32 s2, s0, -4
	v_sub_f32_e32 v18, v73, v18
	v_sub_f32_e32 v39, v18, v19
	v_mov_b32_e32 v18, v107
	v_mov_b32_e32 v19, v77
	v_pk_mul_f32 v[18:19], v[56:57], v[18:19]
	s_mul_i32 s21, s0, 0x74
	v_sub_f32_e32 v18, v48, v18
	v_lshl_add_u64 v[48:49], s[2:3], 2, v[36:37]
	s_add_i32 s2, s0, -6
	v_sub_f32_e32 v72, v18, v19
	v_mov_b32_e32 v18, v227
	v_mov_b32_e32 v19, v31
	v_lshl_add_u64 v[86:87], s[2:3], 2, v[36:37]
	s_add_i32 s2, s0, -8
	v_pk_mul_f32 v[18:19], v[56:57], v[18:19]
	v_lshl_add_u64 v[100:101], s[2:3], 2, v[36:37]
	s_add_i32 s2, s0, -10
	v_sub_f32_e32 v18, v24, v18
	v_lshl_add_u64 v[24:25], s[2:3], 2, v[36:37]
	s_add_i32 s2, s0, -12
	v_sub_f32_e32 v73, v18, v19
	v_lshl_add_u64 v[18:19], s[2:3], 2, v[36:37]
	s_add_i32 s2, s0, -14
	s_lshl_b32 s18, s2, 2
	s_add_i32 s10, s18, s25
	v_mov_b32_e32 v31, s10
	s_add_i32 s10, s21, 0xfffffa1c
	v_mul_f32_e32 v63, v39, v61
	v_mov_b32_e32 v39, s10
	s_add_i32 s10, s18, s29
	v_mov_b32_e32 v64, s10
	s_add_i32 s10, s18, s27
	s_add_i32 s11, s18, s23
	v_mov_b32_e32 v65, s10
	s_add_i32 s10, s18, s26
	v_mov_b32_e32 v62, s11
	v_mov_b32_e32 v74, s10
	s_add_i32 s10, s18, s24
	v_fma_f32 v75, -v23, v85, v93
	v_mov_b32_e32 v59, v60
	v_mov_b32_e32 v77, s10
	ds_read_b32 v60, v31
	ds_read_b32 v61, v62
	ds_read_b32 v171, v39
	ds_read_b32 v64, v64
	ds_read_b32 v39, v65
	ds_read_b32 v93, v74
	ds_read_b32 v31, v77
	v_mov_b32_e32 v62, v57
	flat_store_dword v[48:49], v63
	v_pk_mul_f32 v[48:49], v[62:63], v[58:59]
	s_add_i32 s10, s0, -15
	v_sub_f32_e32 v48, v54, v48
	v_mov_b32_e32 v77, v104
	s_lshl_b32 s15, s10, 2
	v_sub_f32_e32 v54, v48, v49
	v_pk_mul_f32 v[48:49], v[62:63], v[76:77]
	s_add_i32 s11, s15, s29
	v_sub_f32_e32 v48, v55, v48
	s_waitcnt lgkmcnt(0)
	v_fma_f32 v76, -v22, v64, v44
	v_mov_b32_e32 v44, s11
	s_add_i32 s11, s15, s27
	v_fma_f32 v85, -v23, v84, v98
	v_sub_f32_e32 v98, v48, v49
	v_mov_b32_e32 v48, s11
	s_add_i32 s11, s15, s26
	v_mov_b32_e32 v49, s11
	s_add_i32 s11, s15, s24
	;; [unrolled: 2-line block ×5, first 2 shown]
	v_mov_b32_e32 v64, s11
	ds_read_b32 v44, v44
	ds_read_b32 v175, v48
	;; [unrolled: 1-line block ×7, first 2 shown]
	s_add_i32 s11, s15, s28
	s_waitcnt lgkmcnt(0)
	v_fma_f32 v176, -v22, v44, v45
	v_mov_b32_e32 v44, s11
	s_add_i32 s11, s18, s9
	s_add_i32 s13, s18, s22
	v_mov_b32_e32 v45, s11
	s_add_i32 s11, s18, s5
	v_mov_b32_e32 v48, s13
	;; [unrolled: 2-line block ×4, first 2 shown]
	s_add_i32 s13, s18, s19
	s_add_i32 s30, s18, s11
	;; [unrolled: 1-line block ×3, first 2 shown]
	v_mov_b32_e32 v58, s13
	s_mov_b32 s13, s3
	v_mov_b32_e32 v77, s18
	v_mov_b32_e32 v59, s30
	v_mul_f32_e32 v83, v54, v82
	ds_read2_b32 v[228:229], v44 offset1:1
	ds_read_b32 v64, v45
	ds_read_b32 v65, v48
	;; [unrolled: 1-line block ×7, first 2 shown]
	v_lshl_add_u64 v[44:45], s[12:13], 2, v[36:37]
	v_mov_b32_e32 v102, v70
	v_mov_b32_e32 v70, v105
	v_mov_b32_e32 v82, v63
	flat_store_dword v[44:45], v83
	v_pk_mul_f32 v[44:45], v[82:83], v[70:71]
	v_mov_b32_e32 v84, v80
	v_sub_f32_e32 v44, v72, v44
	v_mov_b32_e32 v80, v221
	v_sub_f32_e32 v58, v44, v45
	v_pk_mul_f32 v[44:45], v[82:83], v[80:81]
	s_add_i32 s13, s15, s5
	v_sub_f32_e32 v44, v73, v44
	v_sub_f32_e32 v105, v44, v45
	v_lshl_add_u64 v[44:45], s[2:3], 2, v[36:37]
	s_add_i32 s2, s0, -16
	s_lshl_b32 s18, s2, 2
	s_add_i32 s12, s18, s1
	v_mov_b32_e32 v59, s12
	s_add_i32 s12, s15, s22
	v_mov_b32_e32 v70, s12
	v_mov_b32_e32 v71, s13
	s_add_i32 s12, s15, s7
	s_add_i32 s13, s15, s19
	v_mov_b32_e32 v80, s12
	v_mov_b32_e32 v81, s13
	s_add_i32 s12, s15, s11
	s_add_i32 s13, s29, 0xfffff9e0
	;; [unrolled: 1-line block ×3, first 2 shown]
	v_mov_b32_e32 v89, s12
	s_add_i32 s12, s15, s9
	s_add_i32 s15, s21, 0xfffff934
	v_mov_b32_e32 v92, s15
	s_add_i32 s15, s18, s29
	v_mov_b32_e32 v104, s15
	;; [unrolled: 2-line block ×7, first 2 shown]
	v_mov_b32_e32 v110, s15
	s_add_i32 s15, s18, s28
	v_mov_b32_e32 v111, s12
	s_sub_i32 s12, s0, 17
	v_mov_b32_e32 v103, v66
	v_mul_f32_e32 v91, v58, v67
	ds_read2_b32 v[230:231], v59 offset1:1
	ds_read_b32 v72, v70
	ds_read_b32 v73, v71
	;; [unrolled: 1-line block ×7, first 2 shown]
	v_mov_b32_e32 v70, s15
	v_mov_b32_e32 v90, v83
	s_lshl_b32 s34, s12, 2
	ds_read_b32 v173, v92
	ds_read_b32 v80, v104
	;; [unrolled: 1-line block ×8, first 2 shown]
	v_pk_mul_f32 v[70:71], v[90:91], v[102:103]
	s_add_i32 s15, s34, s29
	v_sub_f32_e32 v70, v98, v70
	s_waitcnt lgkmcnt(0)
	v_fma_f32 v183, -v22, v80, v68
	v_mov_b32_e32 v68, s15
	s_add_i32 s15, s34, s27
	v_sub_f32_e32 v70, v70, v71
	v_mov_b32_e32 v71, s15
	s_add_i32 s15, s34, s26
	v_mov_b32_e32 v80, s15
	s_add_i32 s15, s34, s24
	;; [unrolled: 2-line block ×3, first 2 shown]
	flat_store_dword v[86:87], v91
	v_mov_b32_e32 v86, s15
	s_add_i32 s15, s34, s23
	v_mov_b32_e32 v87, s15
	s_add_i32 s15, s34, s28
	;; [unrolled: 2-line block ×3, first 2 shown]
	v_mov_b32_e32 v102, s15
	ds_read_b32 v68, v68
	ds_read_b32 v189, v71
	;; [unrolled: 1-line block ×8, first 2 shown]
	s_add_i32 s15, s34, s9
	s_add_i32 s30, s18, s7
	s_waitcnt lgkmcnt(0)
	v_fma_f32 v190, -v22, v68, v69
	v_mov_b32_e32 v68, s15
	s_add_i32 s15, s18, s5
	v_mov_b32_e32 v71, s30
	s_add_i32 s30, s18, s11
	;; [unrolled: 2-line block ×5, first 2 shown]
	s_add_i32 s31, s18, s30
	s_add_i32 s18, s18, s22
	v_mov_b32_e32 v102, s31
	s_add_i32 s31, s34, s1
	v_mul_f32_e32 v103, v70, v95
	v_mov_b32_e32 v95, s18
	v_mov_b32_e32 v98, s15
	s_mov_b32 s15, s3
	ds_read2_b32 v[232:233], v68 offset1:1
	ds_read_b32 v86, v69
	ds_read_b32 v87, v71
	;; [unrolled: 1-line block ×7, first 2 shown]
	v_mov_b32_e32 v68, s31
	ds_read_b32 v98, v68
	v_lshl_add_u64 v[68:69], s[14:15], 2, v[36:37]
	v_mov_b32_e32 v104, v78
	v_mov_b32_e32 v78, v215
	;; [unrolled: 1-line block ×3, first 2 shown]
	flat_store_dword v[68:69], v103
	v_pk_mul_f32 v[68:69], v[102:103], v[78:79]
	s_add_i32 s15, s29, 0xfffff900
	v_sub_f32_e32 v68, v105, v68
	v_sub_f32_e32 v116, v68, v69
	v_lshl_add_u64 v[68:69], s[2:3], 2, v[36:37]
	s_sub_i32 s2, s0, 18
	s_lshl_b32 s35, s2, 2
	s_add_i32 s14, s35, s29
	v_mov_b32_e32 v105, s14
	s_add_i32 s14, s35, s27
	v_mov_b32_e32 v106, s14
	;; [unrolled: 2-line block ×4, first 2 shown]
	s_add_i32 s14, s35, s25
	v_lshl_add_u64 v[78:79], s[2:3], 2, v[36:37]
	s_sub_i32 s2, s0, 20
	v_mov_b32_e32 v111, s14
	s_add_i32 s14, s35, s23
	s_lshl_b32 s37, s2, 2
	v_mov_b32_e32 v112, s14
	s_add_i32 s14, s37, s29
	v_mov_b32_e32 v108, s14
	s_add_i32 s14, s35, s28
	v_mov_b32_e32 v113, s14
	s_add_i32 s14, s21, 0xfffff84c
	ds_read2_b32 v[108:109], v108 offset1:1
	v_mov_b32_e32 v114, s14
	s_sub_i32 s14, s0, 19
	s_lshl_b32 s38, s14, 2
	s_add_i32 s18, s38, s15
	s_add_i32 s33, s29, 0xfffff820
	;; [unrolled: 1-line block ×3, first 2 shown]
	ds_read_b32 v105, v105
	ds_read_b32 v198, v106
	ds_read_b32 v197, v107
	ds_read_b32 v196, v110
	ds_read_b32 v195, v111
	ds_read_b32 v194, v112
	ds_read_b32 v193, v113
	ds_read_b32 v184, v114
	s_waitcnt lgkmcnt(0)
	v_fma_f32 v199, -v22, v105, v14
	v_mov_b32_e32 v14, s18
	s_add_i32 s18, s38, s31
	s_add_i32 s36, s38, s33
	v_mov_b32_e32 v105, s18
	v_mov_b32_e32 v106, s36
	s_add_i32 s18, s37, s27
	ds_read2_b32 v[234:235], v14 offset1:1
	ds_read2_b32 v[110:111], v105 offset1:1
	ds_read2_b32 v[106:107], v106 offset1:1
	v_fma_f32 v14, -v22, v109, v15
	v_mov_b32_e32 v15, s18
	v_fma_f32 v12, -v22, v108, v12
	ds_read2_b32 v[108:109], v15 offset1:1
	s_add_i32 s18, s37, s26
	s_add_i32 s36, s37, s24
	;; [unrolled: 1-line block ×3, first 2 shown]
	v_mov_b32_e32 v15, s18
	v_mov_b32_e32 v105, s36
	v_mov_b32_e32 v112, s39
	ds_read2_b32 v[152:153], v15 offset1:1
	ds_read2_b32 v[150:151], v105 offset1:1
	;; [unrolled: 1-line block ×3, first 2 shown]
	s_waitcnt lgkmcnt(0)
	v_fma_f32 v201, -v23, v109, v14
	v_lshl_add_u64 v[14:15], s[2:3], 2, v[36:37]
	s_sub_i32 s2, s0, 22
	s_lshl_b32 s39, s2, 2
	s_add_i32 s18, s39, s29
	s_add_i32 s36, s39, s27
	v_mov_b32_e32 v105, s18
	s_sub_i32 s18, s0, 21
	ds_read2_b32 v[112:113], v105 offset1:1
	v_mov_b32_e32 v105, s36
	s_lshl_b32 s41, s18, 2
	s_add_i32 s36, s29, 0xfffff740
	s_add_i32 s42, s41, s36
	v_fma_f32 v202, -v23, v108, v12
	s_add_i32 s40, s39, s26
	v_mov_b32_e32 v108, s42
	v_mov_b32_e32 v12, s40
	ds_read2_b32 v[114:115], v105 offset1:1
	ds_read2_b32 v[156:157], v12 offset1:1
	;; [unrolled: 1-line block ×3, first 2 shown]
	s_waitcnt lgkmcnt(0)
	v_fma_f32 v2, -v22, v112, v2
	s_add_i32 s40, s35, s22
	v_fma_f32 v12, -v22, v113, v13
	v_fma_f32 v204, -v23, v114, v2
	v_mov_b32_e32 v2, s40
	s_add_i32 s40, s34, s7
	v_fma_f32 v203, -v23, v115, v12
	v_mov_b32_e32 v12, s40
	s_add_i32 s40, s34, s11
	v_mov_b32_e32 v112, s40
	s_add_i32 s40, s34, s30
	;; [unrolled: 2-line block ×7, first 2 shown]
	s_add_i32 s42, s34, s19
	v_mov_b32_e32 v125, s40
	s_add_i32 s40, s41, s15
	v_mov_b32_e32 v13, s42
	;; [unrolled: 2-line block ×5, first 2 shown]
	s_add_i32 s40, s34, s5
	s_add_i32 s57, s39, s1
	;; [unrolled: 1-line block ×4, first 2 shown]
	v_mov_b32_e32 v115, s42
	v_mul_f32_e32 v141, v116, v97
	s_add_i32 s34, s35, s1
	s_add_i32 s35, s35, s9
	;; [unrolled: 1-line block ×8, first 2 shown]
	v_mov_b32_e32 v116, s59
	v_mov_b32_e32 v122, s40
	ds_read2_b32 v[250:251], v2 offset1:1
	ds_read_b32 v126, v12
	ds_read_b32 v127, v13
	;; [unrolled: 1-line block ×7, first 2 shown]
	v_mov_b32_e32 v2, s57
	v_mov_b32_e32 v12, s58
	s_add_i32 s43, s38, s11
	s_add_i32 s38, s38, s30
	v_mov_b32_e32 v13, s39
	ds_read_b32 v191, v116
	ds_read2_b32 v[148:149], v2 offset1:1
	ds_read2_b32 v[142:143], v12 offset1:1
	;; [unrolled: 1-line block ×3, first 2 shown]
	v_mov_b32_e32 v2, s35
	v_mov_b32_e32 v12, s42
	v_mov_b32_e32 v105, v96
	v_mov_b32_e32 v96, s34
	s_add_i32 s44, s37, s23
	s_add_i32 s45, s37, s28
	ds_read2_b32 v[248:249], v117 offset1:1
	ds_read_b32 v200, v96
	ds_read2_b32 v[128:129], v12 offset1:1
	ds_read_b32 v2, v2
	v_mov_b32_e32 v12, s43
	v_mov_b32_e32 v13, s38
	s_add_i32 s46, s37, s1
	s_add_i32 s47, s37, s9
	;; [unrolled: 1-line block ×5, first 2 shown]
	ds_read2_b32 v[244:245], v118 offset1:1
	ds_read2_b32 v[240:241], v119 offset1:1
	;; [unrolled: 1-line block ×4, first 2 shown]
	v_mov_b32_e32 v12, s44
	v_mov_b32_e32 v13, s45
	;; [unrolled: 1-line block ×3, first 2 shown]
	s_add_i32 s49, s41, s7
	s_add_i32 s50, s41, s11
	;; [unrolled: 1-line block ×4, first 2 shown]
	v_mov_b32_e32 v96, s46
	v_mov_b32_e32 v114, s47
	ds_read2_b32 v[160:161], v12 offset1:1
	ds_read2_b32 v[158:159], v13 offset1:1
	;; [unrolled: 1-line block ×4, first 2 shown]
	v_mov_b32_e32 v12, s37
	v_mov_b32_e32 v13, s48
	s_add_i32 s52, s41, s31
	s_add_i32 s41, s41, s34
	v_mov_b32_e32 v96, s49
	ds_read_b32 v192, v97
	ds_read2_b32 v[132:133], v13 offset1:1
	ds_read2_b32 v[130:131], v96 offset1:1
	ds_read2_b32 v[136:137], v12 offset1:1
	v_mov_b32_e32 v12, s50
	v_mov_b32_e32 v13, s51
	ds_read2_b32 v[246:247], v124 offset1:1
	ds_read2_b32 v[242:243], v125 offset1:1
	;; [unrolled: 1-line block ×4, first 2 shown]
	v_mov_b32_e32 v12, s52
	v_mov_b32_e32 v13, s41
	ds_read2_b32 v[236:237], v162 offset1:1
	ds_read2_b32 v[238:239], v163 offset1:1
	;; [unrolled: 1-line block ×4, first 2 shown]
	v_mov_b32_e32 v12, s53
	v_mov_b32_e32 v13, s54
	;; [unrolled: 1-line block ×4, first 2 shown]
	ds_read2_b32 v[168:169], v12 offset1:1
	ds_read2_b32 v[166:167], v13 offset1:1
	;; [unrolled: 1-line block ×4, first 2 shown]
	v_lshl_add_u64 v[12:13], s[2:3], 2, v[36:37]
	s_sub_i32 s2, s0, 23
	s_lshl_b32 s35, s2, 2
	s_add_i32 s23, s35, s23
	s_add_i32 s24, s35, s24
	v_mov_b32_e32 v227, s23
	s_add_i32 s23, s35, s28
	s_add_i32 s29, s35, s29
	;; [unrolled: 1-line block ×4, first 2 shown]
	v_mov_b32_e32 v215, s24
	s_add_i32 s24, s35, s25
	v_mov_b32_e32 v252, s23
	s_add_i32 s23, s35, s36
	flat_store_dword v[100:101], v141
	v_mov_b32_e32 v100, s29
	v_mov_b32_e32 v101, s27
	v_mov_b32_e32 v205, s26
	v_mov_b32_e32 v221, s24
	s_add_i32 s24, s23, 0xffffff20
	v_mov_b32_e32 v253, s24
	ds_read_b32 v254, v100
	ds_read_b32 v255, v101
	;; [unrolled: 1-line block ×7, first 2 shown]
	ds_read2_b32 v[100:101], v253 offset1:1
	s_waitcnt lgkmcnt(0)
	v_fma_f32 v3, -v22, v254, v3
	v_fma_f32 v175, -v23, v175, v176
	;; [unrolled: 1-line block ×5, first 2 shown]
	v_mov_b32_e32 v50, v51
	v_mov_b32_e32 v51, v43
	v_fma_f32 v76, -v23, v39, v76
	v_fma_f32 v183, -v23, v198, v199
	;; [unrolled: 1-line block ×3, first 2 shown]
	v_pk_mul_f32 v[22:23], v[22:23], v[50:51]
	v_mov_b32_e32 v39, v226
	v_sub_f32_e32 v0, v0, v22
	v_sub_f32_e32 v50, v0, v23
	v_pk_mul_f32 v[0:1], v[52:53], v[38:39]
	v_mov_b32_e32 v43, v224
	v_sub_f32_e32 v0, v88, v0
	v_sub_f32_e32 v51, v0, v1
	v_pk_mul_f32 v[0:1], v[52:53], v[42:43]
	v_fma_f32 v22, -v53, v153, v201
	v_sub_f32_e32 v0, v189, v0
	v_fma_f32 v23, -v53, v152, v202
	v_sub_f32_e32 v1, v0, v1
	v_fma_f32 v38, -v53, v157, v203
	v_fma_f32 v39, -v53, v156, v204
	;; [unrolled: 1-line block ×9, first 2 shown]
	v_mov_b32_e32 v0, v40
	v_mov_b32_e32 v40, v47
	v_fma_f32 v47, -v57, v151, v22
	v_fma_f32 v53, -v57, v150, v23
	v_mov_b32_e32 v22, v225
	v_mov_b32_e32 v23, v35
	v_pk_mul_f32 v[22:23], v[56:57], v[22:23]
	v_fma_f32 v85, -v57, v169, v38
	v_fma_f32 v93, -v57, v168, v39
	v_pk_mul_f32 v[38:39], v[56:57], v[40:41]
	v_sub_f32_e32 v22, v50, v22
	v_fma_f32 v42, -v57, v31, v42
	v_sub_f32_e32 v40, v22, v23
	v_sub_f32_e32 v22, v75, v38
	v_mov_b32_e32 v31, v220
	v_sub_f32_e32 v38, v22, v39
	v_pk_mul_f32 v[22:23], v[62:63], v[30:31]
	v_mov_b32_e32 v35, v218
	v_sub_f32_e32 v22, v51, v22
	v_sub_f32_e32 v30, v22, v23
	v_pk_mul_f32 v[22:23], v[62:63], v[34:35]
	v_fma_f32 v39, -v63, v167, v85
	v_sub_f32_e32 v1, v1, v22
	v_sub_f32_e32 v31, v1, v23
	v_mov_b32_e32 v1, v222
	v_pk_mul_f32 v[0:1], v[62:63], v[0:1]
	v_mov_b32_e32 v85, v214
	v_sub_f32_e32 v0, v46, v0
	v_sub_f32_e32 v46, v0, v1
	v_mov_b32_e32 v0, v219
	v_mov_b32_e32 v1, v29
	v_pk_mul_f32 v[0:1], v[82:83], v[0:1]
	v_mov_b32_e32 v29, v212
	v_sub_f32_e32 v0, v40, v0
	v_sub_f32_e32 v40, v0, v1
	v_mov_b32_e32 v0, v32
	v_mov_b32_e32 v32, v223
	v_pk_mul_f32 v[22:23], v[82:83], v[32:33]
	v_fma_f32 v43, -v57, v134, v43
	v_sub_f32_e32 v1, v38, v22
	v_sub_f32_e32 v32, v1, v23
	v_pk_mul_f32 v[22:23], v[82:83], v[60:61]
	v_mov_b32_e32 v75, v228
	v_sub_f32_e32 v1, v42, v22
	v_sub_f32_e32 v42, v1, v23
	v_pk_mul_f32 v[22:23], v[90:91], v[84:85]
	v_fma_f32 v43, -v63, v99, v43
	v_sub_f32_e32 v1, v30, v22
	v_sub_f32_e32 v30, v1, v23
	v_pk_mul_f32 v[22:23], v[90:91], v[28:29]
	v_fma_f32 v52, -v57, v179, v52
	v_sub_f32_e32 v1, v31, v22
	v_sub_f32_e32 v28, v1, v23
	v_mov_b32_e32 v1, v216
	v_pk_mul_f32 v[0:1], v[90:91], v[0:1]
	v_fma_f32 v76, -v57, v187, v76
	v_sub_f32_e32 v0, v46, v0
	v_sub_f32_e32 v29, v0, v1
	v_pk_mul_f32 v[0:1], v[90:91], v[74:75]
	v_fma_f32 v88, -v57, v196, v88
	v_sub_f32_e32 v0, v43, v0
	v_sub_f32_e32 v43, v0, v1
	v_mov_b32_e32 v0, v213
	v_mov_b32_e32 v1, v21
	v_pk_mul_f32 v[0:1], v[102:103], v[0:1]
	v_fma_f32 v34, -v63, v145, v47
	v_sub_f32_e32 v0, v40, v0
	v_sub_f32_e32 v46, v0, v1
	v_mov_b32_e32 v0, v26
	v_mov_b32_e32 v26, v217
	v_fma_f32 v35, -v63, v144, v53
	v_fma_f32 v41, -v63, v166, v93
	;; [unrolled: 1-line block ×5, first 2 shown]
	v_pk_mul_f32 v[22:23], v[102:103], v[26:27]
	v_fma_f32 v33, -v83, v161, v34
	v_fma_f32 v34, -v83, v160, v35
	;; [unrolled: 1-line block ×7, first 2 shown]
	v_sub_f32_e32 v1, v32, v22
	v_mov_b32_e32 v76, v229
	v_fma_f32 v31, -v91, v159, v33
	v_fma_f32 v33, -v91, v158, v34
	;; [unrolled: 1-line block ×6, first 2 shown]
	v_sub_f32_e32 v47, v1, v23
	v_pk_mul_f32 v[22:23], v[102:103], v[76:77]
	v_mov_b32_e32 v93, v230
	v_sub_f32_e32 v1, v42, v22
	v_sub_f32_e32 v42, v1, v23
	v_pk_mul_f32 v[22:23], v[102:103], v[92:93]
	s_add_i32 s1, s35, s1
	v_sub_f32_e32 v1, v39, v22
	v_sub_f32_e32 v50, v1, v23
	v_mov_b32_e32 v1, s1
	ds_read_b32 v1, v1
	v_fma_f32 v3, -v57, v215, v3
	v_fma_f32 v3, -v63, v221, v3
	s_add_i32 s9, s35, s9
	s_add_i32 s22, s35, s22
	v_fma_f32 v3, -v83, v227, v3
	v_mov_b32_e32 v21, s9
	v_mov_b32_e32 v22, s22
	;; [unrolled: 1-line block ×3, first 2 shown]
	v_fma_f32 v3, -v91, v252, v3
	v_fma_f32 v27, -v103, v154, v33
	ds_read_b32 v33, v21
	ds_read_b32 v52, v22
	v_pk_mul_f32 v[22:23], v[140:141], v[104:105]
	v_mov_b32_e32 v21, v208
	s_waitcnt lgkmcnt(0)
	v_fma_f32 v3, -v103, v1, v3
	v_sub_f32_e32 v1, v30, v22
	v_pk_mul_f32 v[20:21], v[140:141], v[20:21]
	v_sub_f32_e32 v22, v1, v23
	v_sub_f32_e32 v1, v28, v20
	;; [unrolled: 1-line block ×3, first 2 shown]
	v_mov_b32_e32 v1, v210
	v_pk_mul_f32 v[0:1], v[140:141], v[0:1]
	v_mov_b32_e32 v88, v231
	v_sub_f32_e32 v0, v29, v0
	v_sub_f32_e32 v56, v0, v1
	v_pk_mul_f32 v[0:1], v[140:141], v[88:89]
	v_mov_b32_e32 v99, v232
	v_sub_f32_e32 v0, v43, v0
	v_sub_f32_e32 v43, v0, v1
	v_pk_mul_f32 v[0:1], v[140:141], v[98:99]
	s_add_i32 s1, s35, s13
	v_sub_f32_e32 v0, v38, v0
	v_sub_f32_e32 v57, v0, v1
	v_mov_b32_e32 v0, s1
	s_add_i32 s1, s35, s15
	v_mov_b32_e32 v1, s1
	s_add_i32 s1, s35, s33
	v_fma_f32 v74, -v141, v33, v3
	v_mov_b32_e32 v3, s1
	s_add_i32 s1, s35, s5
	s_add_i32 s5, s35, s7
	v_fma_f32 v26, -v103, v155, v31
	v_fma_f32 v31, -v103, v149, v34
	v_fma_f32 v32, -v103, v148, v35
	v_mul_f32_e32 v29, v22, v94
	s_add_i32 s7, s35, s19
	s_add_i32 s11, s35, s11
	;; [unrolled: 1-line block ×4, first 2 shown]
	v_mov_b32_e32 v21, s1
	v_mov_b32_e32 v22, s5
	v_fma_f32 v60, -v141, v147, v26
	v_fma_f32 v62, -v141, v143, v31
	;; [unrolled: 1-line block ×3, first 2 shown]
	s_mov_b32 s9, s3
	s_add_i32 s19, s35, s34
	s_add_i32 s22, s23, 0xffffff90
	v_mov_b32_e32 v23, s7
	v_mov_b32_e32 v26, s11
	ds_read2_b32 v[30:31], v21 offset1:1
	ds_read2_b32 v[32:33], v22 offset1:1
	ds_read2_b32 v[34:35], v23 offset1:1
	ds_read2_b32 v[38:39], v26 offset1:1
	v_mov_b32_e32 v21, s13
	v_mov_b32_e32 v22, s15
	v_fma_f32 v51, -v103, v200, v41
	v_fma_f32 v61, -v141, v146, v27
	v_mov_b32_e32 v20, s23
	ds_read2_b32 v[76:77], v0 offset1:1
	ds_read2_b32 v[82:83], v1 offset1:1
	;; [unrolled: 1-line block ×4, first 2 shown]
	v_mov_b32_e32 v21, s19
	v_mov_b32_e32 v0, s22
	v_lshl_add_u64 v[40:41], s[8:9], 2, v[36:37]
	v_mov_b32_e32 v28, v141
	ds_read2_b32 v[84:85], v3 offset1:1
	ds_read2_b32 v[88:89], v20 offset1:1
	;; [unrolled: 1-line block ×4, first 2 shown]
	flat_store_dword v[40:41], v29
	v_mov_b32_e32 v40, v209
	v_mov_b32_e32 v41, v11
	v_pk_mul_f32 v[40:41], v[28:29], v[40:41]
	v_mov_b32_e32 v94, v233
	v_sub_f32_e32 v3, v46, v40
	v_mov_b32_e32 v40, v16
	v_mov_b32_e32 v16, v211
	v_pk_mul_f32 v[16:17], v[28:29], v[16:17]
	v_sub_f32_e32 v41, v3, v41
	v_sub_f32_e32 v3, v47, v16
	;; [unrolled: 1-line block ×3, first 2 shown]
	v_pk_mul_f32 v[16:17], v[28:29], v[64:65]
	v_mov_b32_e32 v11, v4
	v_sub_f32_e32 v3, v42, v16
	v_sub_f32_e32 v42, v3, v17
	v_pk_mul_f32 v[16:17], v[28:29], v[94:95]
	v_mov_b32_e32 v134, v251
	v_sub_f32_e32 v3, v50, v16
	v_sub_f32_e32 v16, v3, v17
	v_mov_b32_e32 v3, v250
	v_pk_mul_f32 v[2:3], v[28:29], v[2:3]
	v_fma_f32 v28, -v29, v139, v62
	v_sub_f32_e32 v2, v51, v2
	v_sub_f32_e32 v17, v2, v3
	v_mul_f32_e32 v3, v41, v5
	v_mov_b32_e32 v2, v29
	v_pk_mul_f32 v[4:5], v[2:3], v[10:11]
	v_mov_b32_e32 v41, v206
	v_sub_f32_e32 v4, v53, v4
	v_sub_f32_e32 v10, v4, v5
	v_pk_mul_f32 v[4:5], v[2:3], v[40:41]
	flat_store_dword v[24:25], v3
	v_sub_f32_e32 v4, v56, v4
	v_sub_f32_e32 v11, v4, v5
	v_pk_mul_f32 v[4:5], v[2:3], v[72:73]
	v_fma_f32 v47, -v29, v138, v63
	v_sub_f32_e32 v4, v43, v4
	v_sub_f32_e32 v24, v4, v5
	v_pk_mul_f32 v[4:5], v[2:3], v[134:135]
	v_fma_f32 v50, -v29, v52, v74
	v_sub_f32_e32 v4, v57, v4
	v_sub_f32_e32 v25, v4, v5
	v_mov_b32_e32 v4, v137
	v_mov_b32_e32 v5, v248
	v_pk_mul_f32 v[4:5], v[2:3], v[4:5]
	s_mov_b32 s7, s3
	v_sub_f32_e32 v2, v60, v4
	v_fma_f32 v51, -v29, v136, v61
	v_sub_f32_e32 v29, v2, v5
	s_waitcnt lgkmcnt(0)
	v_fma_f32 v31, -v3, v31, v47
	v_fma_f32 v30, -v3, v30, v50
	;; [unrolled: 1-line block ×3, first 2 shown]
	v_mul_f32_e32 v5, v10, v170
	v_mov_b32_e32 v4, v3
	v_lshl_add_u64 v[2:3], s[6:7], 2, v[36:37]
	flat_store_dword v[2:3], v5
	v_mov_b32_e32 v2, v207
	v_mov_b32_e32 v3, v7
	v_pk_mul_f32 v[2:3], v[4:5], v[2:3]
	v_mov_b32_e32 v7, v8
	v_sub_f32_e32 v2, v46, v2
	v_sub_f32_e32 v10, v2, v3
	v_pk_mul_f32 v[2:3], v[4:5], v[54:55]
	v_fma_f32 v31, -v5, v33, v31
	v_sub_f32_e32 v2, v42, v2
	v_sub_f32_e32 v40, v2, v3
	v_pk_mul_f32 v[2:3], v[4:5], v[86:87]
	s_mov_b32 s5, s3
	v_sub_f32_e32 v2, v16, v2
	v_sub_f32_e32 v41, v2, v3
	v_mov_b32_e32 v2, v249
	v_mov_b32_e32 v3, v129
	v_pk_mul_f32 v[2:3], v[4:5], v[2:3]
	v_fma_f32 v16, -v5, v32, v30
	v_sub_f32_e32 v2, v17, v2
	v_sub_f32_e32 v42, v2, v3
	v_mov_b32_e32 v2, v133
	v_mov_b32_e32 v3, v131
	v_pk_mul_f32 v[2:3], v[4:5], v[2:3]
	v_mov_b32_e32 v129, v244
	v_sub_f32_e32 v2, v51, v2
	v_sub_f32_e32 v43, v2, v3
	v_mul_f32_e32 v3, v10, v9
	v_mov_b32_e32 v2, v5
	v_pk_mul_f32 v[4:5], v[2:3], v[6:7]
	v_mov_b32_e32 v131, v246
	v_sub_f32_e32 v4, v11, v4
	v_sub_f32_e32 v6, v4, v5
	v_pk_mul_f32 v[4:5], v[2:3], v[66:67]
	flat_store_dword v[18:19], v3
	v_sub_f32_e32 v4, v24, v4
	v_sub_f32_e32 v24, v4, v5
	v_pk_mul_f32 v[4:5], v[2:3], v[126:127]
	v_fma_f32 v30, -v3, v34, v16
	v_sub_f32_e32 v4, v25, v4
	v_sub_f32_e32 v25, v4, v5
	v_pk_mul_f32 v[4:5], v[2:3], v[128:129]
	v_mov_b32_e32 v8, v247
	v_sub_f32_e32 v4, v29, v4
	v_sub_f32_e32 v29, v4, v5
	v_pk_mul_f32 v[4:5], v[2:3], v[130:131]
	v_mov_b32_e32 v9, v125
	v_sub_f32_e32 v2, v28, v4
	v_sub_f32_e32 v28, v2, v5
	v_mul_f32_e32 v5, v6, v171
	v_mov_b32_e32 v4, v3
	v_lshl_add_u64 v[6:7], s[4:5], 2, v[36:37]
	flat_store_dword v[6:7], v5
	v_pk_mul_f32 v[6:7], v[4:5], v[48:49]
	v_pk_mul_f32 v[16:17], v[4:5], v[80:81]
	v_sub_f32_e32 v3, v40, v6
	v_sub_f32_e32 v3, v3, v7
	v_mov_b32_e32 v6, v245
	v_mov_b32_e32 v7, v123
	v_pk_mul_f32 v[6:7], v[4:5], v[6:7]
	v_mul_f32_e32 v19, v3, v172
	v_sub_f32_e32 v3, v41, v16
	v_mov_b32_e32 v2, v38
	v_mov_b32_e32 v38, v35
	v_pk_mul_f32 v[8:9], v[4:5], v[8:9]
	v_sub_f32_e32 v32, v3, v17
	v_sub_f32_e32 v3, v42, v6
	v_pk_mul_f32 v[10:11], v[4:5], v[38:39]
	v_mov_b32_e32 v18, v5
	v_sub_f32_e32 v33, v3, v7
	v_sub_f32_e32 v3, v43, v8
	;; [unrolled: 1-line block ×4, first 2 shown]
	v_pk_mul_f32 v[4:5], v[18:19], v[58:59]
	v_sub_f32_e32 v31, v3, v11
	v_sub_f32_e32 v3, v24, v4
	v_sub_f32_e32 v8, v3, v5
	v_pk_mul_f32 v[4:5], v[18:19], v[120:121]
	v_mov_b32_e32 v123, v240
	v_sub_f32_e32 v3, v25, v4
	v_sub_f32_e32 v35, v3, v5
	v_pk_mul_f32 v[4:5], v[18:19], v[122:123]
	v_mov_b32_e32 v125, v242
	v_sub_f32_e32 v3, v29, v4
	v_pk_mul_f32 v[6:7], v[18:19], v[124:125]
	v_sub_f32_e32 v38, v3, v5
	v_sub_f32_e32 v3, v28, v6
	;; [unrolled: 1-line block ×3, first 2 shown]
	v_mov_b32_e32 v3, v76
	s_mov_b32 s11, s3
	v_mul_f32_e32 v9, v8, v173
	v_mov_b32_e32 v8, v19
	v_pk_mul_f32 v[2:3], v[18:19], v[2:3]
	v_lshl_add_u64 v[4:5], s[10:11], 2, v[36:37]
	v_sub_f32_e32 v2, v30, v2
	v_pk_mul_f32 v[16:17], v[8:9], v[70:71]
	v_sub_f32_e32 v40, v2, v3
	flat_store_dword v[4:5], v9
	v_mov_b32_e32 v4, v118
	v_mov_b32_e32 v118, v241
	v_sub_f32_e32 v3, v32, v16
	flat_store_dword v[44:45], v19
	v_sub_f32_e32 v3, v3, v17
	v_mov_b32_e32 v16, v243
	v_mov_b32_e32 v17, v117
	v_pk_mul_f32 v[18:19], v[8:9], v[118:119]
	v_mov_b32_e32 v2, v26
	v_pk_mul_f32 v[16:17], v[8:9], v[16:17]
	v_mov_b32_e32 v26, v77
	v_sub_f32_e32 v5, v33, v18
	v_pk_mul_f32 v[24:25], v[8:9], v[26:27]
	v_mul_f32_e32 v27, v3, v174
	v_mov_b32_e32 v26, v9
	v_sub_f32_e32 v41, v5, v19
	v_sub_f32_e32 v5, v34, v16
	v_mov_b32_e32 v18, v22
	v_sub_f32_e32 v22, v5, v17
	v_sub_f32_e32 v5, v31, v24
	v_pk_mul_f32 v[30:31], v[26:27], v[112:113]
	v_mov_b32_e32 v16, v20
	v_sub_f32_e32 v20, v5, v25
	v_sub_f32_e32 v5, v35, v30
	;; [unrolled: 1-line block ×3, first 2 shown]
	v_mov_b32_e32 v5, v234
	v_mov_b32_e32 v117, v236
	;; [unrolled: 1-line block ×5, first 2 shown]
	v_pk_mul_f32 v[4:5], v[26:27], v[4:5]
	v_pk_mul_f32 v[32:33], v[26:27], v[116:117]
	v_mul_f32_e32 v35, v34, v184
	v_mov_b32_e32 v34, v27
	v_sub_f32_e32 v4, v38, v4
	v_sub_f32_e32 v32, v39, v32
	v_pk_mul_f32 v[38:39], v[34:35], v[110:111]
	v_pk_mul_f32 v[2:3], v[26:27], v[2:3]
	v_sub_f32_e32 v38, v41, v38
	v_sub_f32_e32 v2, v40, v2
	s_mov_b32 s13, s3
	v_sub_f32_e32 v26, v2, v3
	v_sub_f32_e32 v2, v38, v39
	v_lshl_add_u64 v[6:7], s[12:13], 2, v[36:37]
	v_mov_b32_e32 v29, v106
	v_mov_b32_e32 v30, v237
	;; [unrolled: 1-line block ×3, first 2 shown]
	v_mul_f32_e32 v3, v2, v107
	v_mov_b32_e32 v2, v35
	v_sub_f32_e32 v41, v4, v5
	v_pk_mul_f32 v[4:5], v[34:35], v[30:31]
	flat_store_dword v[6:7], v35
	v_pk_mul_f32 v[6:7], v[2:3], v[28:29]
	v_sub_f32_e32 v4, v22, v4
	v_mov_b32_e32 v22, v83
	v_sub_f32_e32 v6, v41, v6
	v_pk_mul_f32 v[22:23], v[34:35], v[22:23]
	v_sub_f32_e32 v6, v6, v7
	v_mov_b32_e32 v19, v84
	v_mov_b32_e32 v24, v239
	;; [unrolled: 1-line block ×4, first 2 shown]
	v_sub_f32_e32 v20, v20, v22
	v_mul_f32_e32 v7, v6, v192
	v_mov_b32_e32 v6, v3
	flat_store_dword v[68:69], v27
	v_sub_f32_e32 v27, v4, v5
	v_pk_mul_f32 v[4:5], v[2:3], v[114:115]
	v_sub_f32_e32 v28, v20, v23
	flat_store_dword v[78:79], v3
	v_pk_mul_f32 v[22:23], v[6:7], v[24:25]
	v_pk_mul_f32 v[2:3], v[2:3], v[18:19]
	v_sub_f32_e32 v22, v27, v22
	v_sub_f32_e32 v2, v26, v2
	s_mov_b32 s15, s3
	v_sub_f32_e32 v30, v32, v33
	v_sub_f32_e32 v18, v2, v3
	v_sub_f32_e32 v2, v22, v23
	v_lshl_add_u64 v[10:11], s[14:15], 2, v[36:37]
	v_mov_b32_e32 v97, v108
	v_sub_f32_e32 v4, v30, v4
	v_mov_b32_e32 v20, v85
	v_mul_f32_e32 v3, v2, v109
	v_mov_b32_e32 v2, v7
	v_sub_f32_e32 v24, v4, v5
	v_pk_mul_f32 v[4:5], v[6:7], v[20:21]
	flat_store_dword v[10:11], v7
	v_pk_mul_f32 v[6:7], v[2:3], v[96:97]
	v_sub_f32_e32 v4, v28, v4
	v_sub_f32_e32 v6, v24, v6
	;; [unrolled: 1-line block ×4, first 2 shown]
	v_mul_f32_e32 v5, v4, v191
	v_mov_b32_e32 v4, v3
	v_mov_b32_e32 v6, v89
	;; [unrolled: 1-line block ×4, first 2 shown]
	v_pk_mul_f32 v[6:7], v[4:5], v[6:7]
	flat_store_dword v[14:15], v3
	v_sub_f32_e32 v1, v10, v6
	v_pk_mul_f32 v[2:3], v[2:3], v[16:17]
	s_mov_b32 s19, s3
	v_sub_f32_e32 v2, v18, v2
	v_sub_f32_e32 v1, v1, v7
	v_lshl_add_u64 v[8:9], s[18:19], 2, v[36:37]
	v_sub_f32_e32 v4, v2, v3
	v_mul_f32_e32 v3, v1, v101
	s_add_i32 s1, s21, 0xfffff594
	flat_store_dword v[8:9], v5
	flat_store_dword v[12:13], v3
	v_mov_b32_e32 v1, s1
	v_mov_b32_e32 v2, v5
	ds_read_b32 v5, v1
	v_mov_b32_e32 v1, v100
	v_pk_mul_f32 v[0:1], v[2:3], v[0:1]
	s_sub_i32 s0, s0, 24
	v_sub_f32_e32 v0, v4, v0
	v_sub_f32_e32 v0, v0, v1
	s_waitcnt lgkmcnt(0)
	v_mul_f32_e32 v2, v0, v5
	v_lshl_add_u64 v[0:1], s[2:3], 2, v[36:37]
	flat_store_dword v[0:1], v2
.LBB32_93:
	s_cmp_lt_i32 s0, 0
	s_cbranch_scc1 .LBB32_110
; %bb.94:
	s_and_b32 s1, s0, 3
	s_cmp_eq_u32 s1, 3
	s_mul_i32 s1, s17, 0x70
	s_mov_b32 s2, s0
	s_cbranch_scc1 .LBB32_99
; %bb.95:
	s_add_i32 s2, s0, 1
	s_and_b32 s6, s2, 3
	s_lshl_b32 s2, s0, 2
	s_add_i32 s2, s1, s2
	s_add_i32 s7, s2, 0xffffff90
	s_mov_b32 s5, 0
	s_mov_b32 s2, s0
	;; [unrolled: 1-line block ×3, first 2 shown]
	s_branch .LBB32_97
.LBB32_96:                              ;   in Loop: Header=BB32_97 Depth=1
	s_mul_i32 s3, s2, 0x74
	v_mov_b32_e32 v1, s3
	ds_read_b32 v1, v1
	s_add_i32 s2, s2, -1
	s_add_i32 s8, s8, 1
	s_add_i32 s7, s7, -4
	s_cmp_lg_u32 s8, s6
	s_waitcnt lgkmcnt(0)
	v_mul_f32_e32 v0, v0, v1
	flat_store_dword v[2:3], v0
	s_cbranch_scc0 .LBB32_99
.LBB32_97:                              ; =>This Loop Header: Depth=1
                                        ;     Child Loop BB32_98 Depth 2
	s_mov_b32 s3, s5
	v_lshl_add_u64 v[2:3], s[2:3], 2, v[36:37]
	flat_load_dword v0, v[2:3]
	s_cmp_le_i32 s20, s2
	s_mov_b32 s3, s7
	s_mov_b32 s4, s20
	s_waitcnt vmcnt(0) lgkmcnt(0)
	v_mul_f32_e32 v0, s16, v0
	s_cbranch_scc1 .LBB32_96
.LBB32_98:                              ;   Parent Loop BB32_97 Depth=1
                                        ; =>  This Inner Loop Header: Depth=2
	v_lshl_add_u64 v[4:5], s[4:5], 2, v[36:37]
	flat_load_dword v1, v[4:5]
	v_mov_b32_e32 v4, s3
	ds_read_b32 v4, v4
	s_add_i32 s4, s4, -1
	s_addk_i32 s3, 0xff90
	s_cmp_gt_i32 s4, s2
	s_waitcnt vmcnt(0) lgkmcnt(0)
	v_fma_f32 v0, -v1, v4, v0
	s_cbranch_scc1 .LBB32_98
	s_branch .LBB32_96
.LBB32_99:
	s_cmp_lt_u32 s0, 3
	s_cbranch_scc1 .LBB32_110
; %bb.100:
	s_lshl_b32 s0, s2, 2
	s_add_i32 s0, s1, s0
	s_add_i32 s6, s0, 0xffffff90
	;; [unrolled: 1-line block ×5, first 2 shown]
	s_mov_b32 s1, 0
	s_branch .LBB32_102
.LBB32_101:                             ;   in Loop: Header=BB32_102 Depth=1
	s_add_i32 s0, s3, 0xffffff8c
	v_mov_b32_e32 v1, s0
	ds_read_b32 v1, v1
	s_add_i32 s0, s2, -4
	s_add_i32 s6, s6, -16
	;; [unrolled: 1-line block ×5, first 2 shown]
	s_waitcnt lgkmcnt(0)
	v_mul_f32_e32 v0, v0, v1
	s_cmp_lt_i32 s2, 4
	s_mov_b32 s2, s0
	flat_store_dword v[2:3], v0
	s_cbranch_scc1 .LBB32_110
.LBB32_102:                             ; =>This Loop Header: Depth=1
                                        ;     Child Loop BB32_103 Depth 2
                                        ;     Child Loop BB32_105 Depth 2
	;; [unrolled: 1-line block ×4, first 2 shown]
	s_mov_b32 s3, s1
	v_lshl_add_u64 v[4:5], s[2:3], 2, v[36:37]
	flat_load_dword v0, v[4:5]
	s_cmp_le_i32 s20, s2
	s_mov_b32 s3, s6
	s_mov_b32 s0, s20
	s_waitcnt vmcnt(0) lgkmcnt(0)
	v_mul_f32_e32 v0, s16, v0
	s_cbranch_scc1 .LBB32_104
.LBB32_103:                             ;   Parent Loop BB32_102 Depth=1
                                        ; =>  This Inner Loop Header: Depth=2
	v_lshl_add_u64 v[2:3], s[0:1], 2, v[36:37]
	flat_load_dword v1, v[2:3]
	v_mov_b32_e32 v2, s3
	ds_read_b32 v2, v2
	s_add_i32 s0, s0, -1
	s_addk_i32 s3, 0xff90
	s_cmp_gt_i32 s0, s2
	s_waitcnt vmcnt(0) lgkmcnt(0)
	v_fma_f32 v0, -v1, v2, v0
	s_cbranch_scc1 .LBB32_103
.LBB32_104:                             ;   in Loop: Header=BB32_102 Depth=1
	s_add_i32 s0, s2, -1
	v_lshl_add_u64 v[2:3], s[0:1], 2, v[36:37]
	flat_load_dword v1, v[2:3]
	s_mul_i32 s3, s2, 0x74
	v_mov_b32_e32 v6, s3
	ds_read_b32 v6, v6
	s_mov_b32 s4, s7
	s_cmp_le_i32 s17, s2
	s_mov_b32 s0, s17
	s_waitcnt lgkmcnt(0)
	v_mul_f32_e32 v0, v0, v6
	flat_store_dword v[4:5], v0
	s_waitcnt vmcnt(0)
	v_mul_f32_e32 v0, s16, v1
	s_cbranch_scc1 .LBB32_106
.LBB32_105:                             ;   Parent Loop BB32_102 Depth=1
                                        ; =>  This Inner Loop Header: Depth=2
	s_add_i32 s0, s0, -1
	v_lshl_add_u64 v[4:5], s[0:1], 2, v[36:37]
	flat_load_dword v1, v[4:5]
	v_mov_b32_e32 v4, s4
	ds_read_b32 v4, v4
	s_addk_i32 s4, 0xff90
	s_cmp_gt_i32 s0, s2
	s_waitcnt vmcnt(0) lgkmcnt(0)
	v_fma_f32 v0, -v1, v4, v0
	s_cbranch_scc1 .LBB32_105
.LBB32_106:                             ;   in Loop: Header=BB32_102 Depth=1
	s_add_i32 s4, s2, -2
	s_mov_b32 s5, s1
	v_lshl_add_u64 v[4:5], s[4:5], 2, v[36:37]
	flat_load_dword v1, v[4:5]
	s_addk_i32 s3, 0xff8c
	v_mov_b32_e32 v6, s3
	ds_read_b32 v6, v6
	s_mov_b32 s5, s8
	s_cmp_le_i32 s20, s4
	s_mov_b32 s0, s20
	s_waitcnt lgkmcnt(0)
	v_mul_f32_e32 v0, v0, v6
	flat_store_dword v[2:3], v0
	s_waitcnt vmcnt(0)
	v_mul_f32_e32 v0, s16, v1
	s_cbranch_scc1 .LBB32_108
.LBB32_107:                             ;   Parent Loop BB32_102 Depth=1
                                        ; =>  This Inner Loop Header: Depth=2
	v_lshl_add_u64 v[2:3], s[0:1], 2, v[36:37]
	flat_load_dword v1, v[2:3]
	v_mov_b32_e32 v2, s5
	ds_read_b32 v2, v2
	s_add_i32 s0, s0, -1
	s_addk_i32 s5, 0xff90
	s_cmp_gt_i32 s0, s4
	s_waitcnt vmcnt(0) lgkmcnt(0)
	v_fma_f32 v0, -v1, v2, v0
	s_cbranch_scc1 .LBB32_107
.LBB32_108:                             ;   in Loop: Header=BB32_102 Depth=1
	s_add_i32 s4, s2, -3
	s_mov_b32 s5, s1
	v_lshl_add_u64 v[2:3], s[4:5], 2, v[36:37]
	flat_load_dword v1, v[2:3]
	s_addk_i32 s3, 0xff8c
	v_mov_b32_e32 v6, s3
	ds_read_b32 v6, v6
	s_mov_b32 s5, s9
	s_cmp_le_i32 s20, s4
	s_mov_b32 s0, s20
	s_waitcnt lgkmcnt(0)
	v_mul_f32_e32 v0, v0, v6
	flat_store_dword v[4:5], v0
	s_waitcnt vmcnt(0)
	v_mul_f32_e32 v0, s16, v1
	s_cbranch_scc1 .LBB32_101
.LBB32_109:                             ;   Parent Loop BB32_102 Depth=1
                                        ; =>  This Inner Loop Header: Depth=2
	v_lshl_add_u64 v[4:5], s[0:1], 2, v[36:37]
	flat_load_dword v1, v[4:5]
	v_mov_b32_e32 v4, s5
	ds_read_b32 v4, v4
	s_add_i32 s0, s0, -1
	s_addk_i32 s5, 0xff90
	s_cmp_gt_i32 s0, s4
	s_waitcnt vmcnt(0) lgkmcnt(0)
	v_fma_f32 v0, -v1, v4, v0
	s_cbranch_scc1 .LBB32_109
	s_branch .LBB32_101
.LBB32_110:
	s_endpgm
	.section	.rodata,"a",@progbits
	.p2align	6, 0x0
	.amdhsa_kernel _ZL30rocblas_trsm_small_left_deviceILi28ELi28ELb0EffPKPKfPKPfEv13rocblas_fill_18rocblas_operation_17rocblas_diagonal_iiT3_T4_lilT5_lili
		.amdhsa_group_segment_fixed_size 3136
		.amdhsa_private_segment_fixed_size 0
		.amdhsa_kernarg_size 352
		.amdhsa_user_sgpr_count 2
		.amdhsa_user_sgpr_dispatch_ptr 0
		.amdhsa_user_sgpr_queue_ptr 0
		.amdhsa_user_sgpr_kernarg_segment_ptr 1
		.amdhsa_user_sgpr_dispatch_id 0
		.amdhsa_user_sgpr_kernarg_preload_length 0
		.amdhsa_user_sgpr_kernarg_preload_offset 0
		.amdhsa_user_sgpr_private_segment_size 0
		.amdhsa_uses_dynamic_stack 0
		.amdhsa_enable_private_segment 0
		.amdhsa_system_sgpr_workgroup_id_x 1
		.amdhsa_system_sgpr_workgroup_id_y 0
		.amdhsa_system_sgpr_workgroup_id_z 1
		.amdhsa_system_sgpr_workgroup_info 0
		.amdhsa_system_vgpr_workitem_id 0
		.amdhsa_next_free_vgpr 256
		.amdhsa_next_free_sgpr 60
		.amdhsa_accum_offset 256
		.amdhsa_reserve_vcc 1
		.amdhsa_float_round_mode_32 0
		.amdhsa_float_round_mode_16_64 0
		.amdhsa_float_denorm_mode_32 3
		.amdhsa_float_denorm_mode_16_64 3
		.amdhsa_dx10_clamp 1
		.amdhsa_ieee_mode 1
		.amdhsa_fp16_overflow 0
		.amdhsa_tg_split 0
		.amdhsa_exception_fp_ieee_invalid_op 0
		.amdhsa_exception_fp_denorm_src 0
		.amdhsa_exception_fp_ieee_div_zero 0
		.amdhsa_exception_fp_ieee_overflow 0
		.amdhsa_exception_fp_ieee_underflow 0
		.amdhsa_exception_fp_ieee_inexact 0
		.amdhsa_exception_int_div_zero 0
	.end_amdhsa_kernel
	.section	.text._ZL30rocblas_trsm_small_left_deviceILi28ELi28ELb0EffPKPKfPKPfEv13rocblas_fill_18rocblas_operation_17rocblas_diagonal_iiT3_T4_lilT5_lili,"axG",@progbits,_ZL30rocblas_trsm_small_left_deviceILi28ELi28ELb0EffPKPKfPKPfEv13rocblas_fill_18rocblas_operation_17rocblas_diagonal_iiT3_T4_lilT5_lili,comdat
.Lfunc_end32:
	.size	_ZL30rocblas_trsm_small_left_deviceILi28ELi28ELb0EffPKPKfPKPfEv13rocblas_fill_18rocblas_operation_17rocblas_diagonal_iiT3_T4_lilT5_lili, .Lfunc_end32-_ZL30rocblas_trsm_small_left_deviceILi28ELi28ELb0EffPKPKfPKPfEv13rocblas_fill_18rocblas_operation_17rocblas_diagonal_iiT3_T4_lilT5_lili
                                        ; -- End function
	.set _ZL30rocblas_trsm_small_left_deviceILi28ELi28ELb0EffPKPKfPKPfEv13rocblas_fill_18rocblas_operation_17rocblas_diagonal_iiT3_T4_lilT5_lili.num_vgpr, 256
	.set _ZL30rocblas_trsm_small_left_deviceILi28ELi28ELb0EffPKPKfPKPfEv13rocblas_fill_18rocblas_operation_17rocblas_diagonal_iiT3_T4_lilT5_lili.num_agpr, 0
	.set _ZL30rocblas_trsm_small_left_deviceILi28ELi28ELb0EffPKPKfPKPfEv13rocblas_fill_18rocblas_operation_17rocblas_diagonal_iiT3_T4_lilT5_lili.numbered_sgpr, 60
	.set _ZL30rocblas_trsm_small_left_deviceILi28ELi28ELb0EffPKPKfPKPfEv13rocblas_fill_18rocblas_operation_17rocblas_diagonal_iiT3_T4_lilT5_lili.num_named_barrier, 0
	.set _ZL30rocblas_trsm_small_left_deviceILi28ELi28ELb0EffPKPKfPKPfEv13rocblas_fill_18rocblas_operation_17rocblas_diagonal_iiT3_T4_lilT5_lili.private_seg_size, 0
	.set _ZL30rocblas_trsm_small_left_deviceILi28ELi28ELb0EffPKPKfPKPfEv13rocblas_fill_18rocblas_operation_17rocblas_diagonal_iiT3_T4_lilT5_lili.uses_vcc, 1
	.set _ZL30rocblas_trsm_small_left_deviceILi28ELi28ELb0EffPKPKfPKPfEv13rocblas_fill_18rocblas_operation_17rocblas_diagonal_iiT3_T4_lilT5_lili.uses_flat_scratch, 0
	.set _ZL30rocblas_trsm_small_left_deviceILi28ELi28ELb0EffPKPKfPKPfEv13rocblas_fill_18rocblas_operation_17rocblas_diagonal_iiT3_T4_lilT5_lili.has_dyn_sized_stack, 0
	.set _ZL30rocblas_trsm_small_left_deviceILi28ELi28ELb0EffPKPKfPKPfEv13rocblas_fill_18rocblas_operation_17rocblas_diagonal_iiT3_T4_lilT5_lili.has_recursion, 0
	.set _ZL30rocblas_trsm_small_left_deviceILi28ELi28ELb0EffPKPKfPKPfEv13rocblas_fill_18rocblas_operation_17rocblas_diagonal_iiT3_T4_lilT5_lili.has_indirect_call, 0
	.section	.AMDGPU.csdata,"",@progbits
; Kernel info:
; codeLenInByte = 22192
; TotalNumSgprs: 66
; NumVgprs: 256
; NumAgprs: 0
; TotalNumVgprs: 256
; ScratchSize: 0
; MemoryBound: 0
; FloatMode: 240
; IeeeMode: 1
; LDSByteSize: 3136 bytes/workgroup (compile time only)
; SGPRBlocks: 8
; VGPRBlocks: 31
; NumSGPRsForWavesPerEU: 66
; NumVGPRsForWavesPerEU: 256
; AccumOffset: 256
; Occupancy: 2
; WaveLimiterHint : 1
; COMPUTE_PGM_RSRC2:SCRATCH_EN: 0
; COMPUTE_PGM_RSRC2:USER_SGPR: 2
; COMPUTE_PGM_RSRC2:TRAP_HANDLER: 0
; COMPUTE_PGM_RSRC2:TGID_X_EN: 1
; COMPUTE_PGM_RSRC2:TGID_Y_EN: 0
; COMPUTE_PGM_RSRC2:TGID_Z_EN: 1
; COMPUTE_PGM_RSRC2:TIDIG_COMP_CNT: 0
; COMPUTE_PGM_RSRC3_GFX90A:ACCUM_OFFSET: 63
; COMPUTE_PGM_RSRC3_GFX90A:TG_SPLIT: 0
	.section	.text._ZL38rocblas_trsm_small_left_device_sharedBILi28ELi28ELb1EffPKPKfPKPfEv13rocblas_fill_18rocblas_operation_17rocblas_diagonal_iiT3_T4_lilT5_lili,"axG",@progbits,_ZL38rocblas_trsm_small_left_device_sharedBILi28ELi28ELb1EffPKPKfPKPfEv13rocblas_fill_18rocblas_operation_17rocblas_diagonal_iiT3_T4_lilT5_lili,comdat
	.globl	_ZL38rocblas_trsm_small_left_device_sharedBILi28ELi28ELb1EffPKPKfPKPfEv13rocblas_fill_18rocblas_operation_17rocblas_diagonal_iiT3_T4_lilT5_lili ; -- Begin function _ZL38rocblas_trsm_small_left_device_sharedBILi28ELi28ELb1EffPKPKfPKPfEv13rocblas_fill_18rocblas_operation_17rocblas_diagonal_iiT3_T4_lilT5_lili
	.p2align	8
	.type	_ZL38rocblas_trsm_small_left_device_sharedBILi28ELi28ELb1EffPKPKfPKPfEv13rocblas_fill_18rocblas_operation_17rocblas_diagonal_iiT3_T4_lilT5_lili,@function
_ZL38rocblas_trsm_small_left_device_sharedBILi28ELi28ELb1EffPKPKfPKPfEv13rocblas_fill_18rocblas_operation_17rocblas_diagonal_iiT3_T4_lilT5_lili: ; @_ZL38rocblas_trsm_small_left_device_sharedBILi28ELi28ELb1EffPKPKfPKPfEv13rocblas_fill_18rocblas_operation_17rocblas_diagonal_iiT3_T4_lilT5_lili
; %bb.0:
	s_load_dwordx4 s[8:11], s[0:1], 0x38
	s_load_dwordx4 s[4:7], s[0:1], 0x4
	s_load_dword s16, s[0:1], 0x14
	s_mov_b32 s20, s3
	s_mov_b32 s21, 0
	s_lshl_b64 s[24:25], s[20:21], 3
	s_waitcnt lgkmcnt(0)
	s_add_u32 s8, s8, s24
	s_addc_u32 s9, s9, s25
	s_load_dwordx2 s[8:9], s[8:9], 0x0
	s_min_i32 s26, s6, 28
	v_cmp_gt_i32_e32 vcc, s26, v0
	s_and_saveexec_b64 s[18:19], vcc
	s_cbranch_execz .LBB33_11
; %bb.1:
	s_load_dwordx4 s[12:15], s[0:1], 0x18
	s_load_dword s22, s[0:1], 0x28
	v_lshlrev_b32_e32 v2, 2, v0
	v_mov_b32_e32 v3, 0
	s_mov_b32 s3, 1
	s_waitcnt lgkmcnt(0)
	s_add_u32 s12, s12, s24
	s_addc_u32 s13, s13, s25
	s_load_dwordx2 s[12:13], s[12:13], 0x0
	s_cmp_lt_u32 s26, 2
	s_cselect_b64 s[28:29], -1, 0
	s_cmp_lg_u32 s22, 1
	s_cselect_b64 s[30:31], -1, 0
	s_or_b64 s[28:29], s[28:29], s[30:31]
	s_mov_b64 s[24:25], -1
	s_and_b64 vcc, exec, s[28:29]
	s_cbranch_vccnz .LBB33_5
; %bb.2:
	s_lshl_b64 s[20:21], s[14:15], 2
	s_waitcnt lgkmcnt(0)
	s_add_u32 s20, s12, s20
	s_addc_u32 s21, s13, s21
	v_lshl_add_u64 v[4:5], s[20:21], 0, v[2:3]
	s_and_b32 s21, s26, -2
	s_mov_b32 s17, 0
	s_mov_b32 s20, s21
.LBB33_3:                               ; =>This Inner Loop Header: Depth=1
	flat_load_dwordx2 v[6:7], v[4:5]
	s_mul_i32 s23, s3, 0x70
	s_mul_i32 s24, s17, 0x70
	s_add_i32 s17, s17, 2
	s_add_i32 s3, s3, 2
	s_add_i32 s20, s20, -2
	v_lshl_add_u64 v[4:5], v[4:5], 0, 8
	v_add_u32_e32 v1, s24, v2
	s_cmp_lg_u32 s20, 0
	v_add_u32_e32 v3, s23, v2
	s_waitcnt vmcnt(0) lgkmcnt(0)
	ds_write_b32 v1, v6
	ds_write_b32 v3, v7
	s_cbranch_scc1 .LBB33_3
; %bb.4:
	s_cmp_lg_u32 s26, s21
	s_cselect_b64 s[24:25], -1, 0
.LBB33_5:
	s_and_b64 vcc, exec, s[24:25]
	s_cbranch_vccz .LBB33_8
; %bb.6:
	s_ashr_i32 s23, s22, 31
	s_mul_hi_u32 s3, s22, s21
	s_mul_i32 s17, s23, s21
	s_add_i32 s25, s3, s17
	s_mul_i32 s24, s22, s21
	s_lshl_b64 s[24:25], s[24:25], 2
	s_lshl_b64 s[14:15], s[14:15], 2
	s_add_u32 s3, s24, s14
	s_addc_u32 s14, s25, s15
	s_waitcnt lgkmcnt(0)
	s_add_u32 s12, s12, s3
	v_mov_b32_e32 v3, 0
	s_addc_u32 s13, s13, s14
	s_mul_i32 s14, s21, 0x70
	v_lshl_add_u64 v[4:5], s[12:13], 0, v[2:3]
	s_lshl_b64 s[12:13], s[22:23], 2
	s_sub_i32 s3, s26, s21
	v_lshl_add_u32 v1, v0, 2, s14
.LBB33_7:                               ; =>This Inner Loop Header: Depth=1
	flat_load_dword v3, v[4:5]
	s_add_i32 s3, s3, -1
	v_lshl_add_u64 v[4:5], v[4:5], 0, s[12:13]
	s_cmp_eq_u32 s3, 0
	s_waitcnt vmcnt(0) lgkmcnt(0)
	ds_write_b32 v1, v3
	v_add_u32_e32 v1, 0x70, v1
	s_cbranch_scc0 .LBB33_7
.LBB33_8:
	v_mul_u32_u24_e32 v1, 0x70, v0
	s_cmpk_lg_i32 s5, 0x84
	v_mov_b32_e32 v3, 1.0
	v_add_u32_e32 v1, v2, v1
	s_cbranch_scc0 .LBB33_10
; %bb.9:
	ds_read_b32 v2, v1
	s_waitcnt lgkmcnt(0)
	v_div_scale_f32 v3, s[12:13], v2, v2, 1.0
	v_rcp_f32_e32 v4, v3
	v_div_scale_f32 v5, vcc, 1.0, v2, 1.0
	v_fma_f32 v6, -v3, v4, 1.0
	v_fmac_f32_e32 v4, v6, v4
	v_mul_f32_e32 v6, v5, v4
	v_fma_f32 v7, -v3, v6, v5
	v_fmac_f32_e32 v6, v7, v4
	v_fma_f32 v3, -v3, v6, v5
	v_div_fmas_f32 v3, v3, v4, v6
	v_div_fixup_f32 v3, v3, v2, 1.0
.LBB33_10:
	ds_write_b32 v1, v3
.LBB33_11:
	s_or_b64 exec, exec, s[18:19]
	s_load_dword s3, s[0:1], 0x60
	s_load_dword s22, s[0:1], 0x48
	s_lshl_b64 s[10:11], s[10:11], 2
	s_mul_i32 s0, s2, 0xffffffe4
	s_waitcnt lgkmcnt(0)
	s_ashr_i32 s23, s22, 31
	s_add_u32 s5, s8, s10
	s_addc_u32 s13, s9, s11
	s_add_i32 s3, s3, -1
	s_add_i32 s0, s7, s0
	s_cmp_ge_u32 s2, s3
	s_mul_i32 s2, s2, 28
	s_cselect_b32 s7, s0, 28
	s_mul_hi_i32 s1, s22, s2
	s_mul_i32 s0, s22, s2
	s_ashr_i32 s3, s2, 31
	s_lshl_b64 s[0:1], s[0:1], 2
	s_add_u32 s12, s5, s0
	s_addc_u32 s13, s13, s1
	s_cmp_gt_i32 s6, 0
	v_cmp_gt_i32_e64 s[0:1], s7, v0
	s_cselect_b64 s[14:15], -1, 0
	s_mov_b32 s5, 0
	s_and_b64 s[20:21], s[0:1], s[14:15]
	s_and_saveexec_b64 s[18:19], s[20:21]
	s_cbranch_execz .LBB33_19
; %bb.12:
	s_cmp_lt_i32 s6, 2
	s_mov_b64 s[20:21], -1
	s_cbranch_scc1 .LBB33_16
; %bb.13:
	v_mad_i64_i32 v[2:3], s[20:21], s22, v0, 0
	v_mov_b32_e32 v1, 0xc40
	s_and_b32 s5, s26, 30
	v_lshl_add_u64 v[2:3], v[2:3], 2, s[12:13]
	v_lshl_add_u32 v1, v0, 2, v1
	s_mov_b32 s17, s16
	s_mov_b32 s7, 1
	;; [unrolled: 1-line block ×4, first 2 shown]
.LBB33_14:                              ; =>This Inner Loop Header: Depth=1
	flat_load_dwordx2 v[4:5], v[2:3]
	s_mul_i32 s24, s7, 0x70
	s_mul_i32 s25, s20, 0x70
	s_add_i32 s20, s20, 2
	s_add_i32 s7, s7, 2
	s_add_i32 s21, s21, -2
	v_lshl_add_u64 v[2:3], v[2:3], 0, 8
	v_add_u32_e32 v6, s25, v1
	s_cmp_lg_u32 s21, 0
	v_add_u32_e32 v7, s24, v1
	s_waitcnt vmcnt(0) lgkmcnt(0)
	v_pk_mul_f32 v[4:5], s[16:17], v[4:5]
	ds_write_b32 v6, v4
	ds_write_b32 v7, v5
	s_cbranch_scc1 .LBB33_14
; %bb.15:
	s_cmp_lg_u32 s26, s5
	s_cselect_b64 s[20:21], -1, 0
.LBB33_16:
	s_and_b64 vcc, exec, s[20:21]
	s_cbranch_vccz .LBB33_19
; %bb.17:
	s_sub_i32 s7, s26, s5
	s_lshl_b32 s17, s5, 2
	s_add_u32 s17, s8, s17
	s_addc_u32 s21, s9, 0
	s_add_u32 s20, s17, s10
	v_lshlrev_b32_e32 v2, 2, v0
	v_mov_b32_e32 v3, 0
	s_addc_u32 s21, s21, s11
	v_lshl_add_u64 v[4:5], s[2:3], 2, v[2:3]
	v_mov_b64_e32 v[2:3], s[20:21]
	v_mad_u64_u32 v[2:3], s[20:21], v4, s22, v[2:3]
	v_mul_lo_u32 v1, v4, s23
	v_mul_lo_u32 v4, v5, s22
	s_mulk_i32 s5, 0x70
	v_add3_u32 v3, v4, v3, v1
	v_lshl_add_u32 v1, v0, 2, s5
	v_add_u32_e32 v1, 0xc40, v1
.LBB33_18:                              ; =>This Inner Loop Header: Depth=1
	flat_load_dword v4, v[2:3]
	s_add_i32 s7, s7, -1
	v_lshl_add_u64 v[2:3], v[2:3], 0, 4
	s_cmp_lg_u32 s7, 0
	s_waitcnt vmcnt(0) lgkmcnt(0)
	v_mul_f32_e32 v4, s16, v4
	ds_write_b32 v1, v4
	v_add_u32_e32 v1, 0x70, v1
	s_cbranch_scc1 .LBB33_18
.LBB33_19:
	s_or_b64 exec, exec, s[18:19]
	v_mov_b32_e32 v1, 0xc40
	s_cmpk_eq_i32 s4, 0x6f
	v_lshl_add_u32 v1, v0, 2, v1
	s_mov_b64 s[4:5], -1
	s_waitcnt lgkmcnt(0)
	; wave barrier
	s_cbranch_scc1 .LBB33_96
; %bb.20:
	s_add_i32 s7, s26, -1
	s_cmp_gt_i32 s6, 27
	s_cbranch_scc0 .LBB33_76
; %bb.21:
	v_add_u32_e32 v4, 0x800, v1
	ds_read2_b32 v[2:3], v4 offset0:160 offset1:188
	ds_read2_b32 v[8:9], v4 offset0:104 offset1:132
	;; [unrolled: 1-line block ×4, first 2 shown]
	v_add_u32_e32 v18, 0x400, v1
	s_waitcnt lgkmcnt(3)
	v_mov_b32_e32 v5, v2
	v_add_u32_e32 v2, 0x600, v1
	v_mov_b32_e32 v4, v3
	ds_read2_b32 v[2:3], v2 offset0:120 offset1:148
	s_waitcnt lgkmcnt(3)
	v_mov_b32_e32 v6, v9
	v_mov_b32_e32 v7, v8
	s_waitcnt lgkmcnt(1)
	v_mov_b32_e32 v8, v11
	ds_read2_b32 v[14:15], v18 offset0:192 offset1:220
	v_mov_b32_e32 v9, v10
	s_waitcnt lgkmcnt(1)
	v_mov_b32_e32 v10, v3
	ds_read2_b32 v[16:17], v18 offset0:136 offset1:164
	v_mov_b32_e32 v11, v2
	ds_read2_b32 v[2:3], v18 offset0:80 offset1:108
	ds_read2_b32 v[24:25], v1 offset0:168 offset1:196
	;; [unrolled: 1-line block ×3, first 2 shown]
	s_waitcnt lgkmcnt(4)
	v_mov_b32_e32 v12, v15
	v_mov_b32_e32 v13, v14
	s_waitcnt lgkmcnt(3)
	v_mov_b32_e32 v14, v17
	ds_read2_b32 v[20:21], v18 offset0:24 offset1:52
	v_mov_b32_e32 v15, v16
	s_waitcnt lgkmcnt(3)
	v_mov_b32_e32 v16, v3
	v_mov_b32_e32 v17, v2
	ds_read2_b32 v[2:3], v1 offset0:224 offset1:252
	s_waitcnt lgkmcnt(3)
	v_mov_b32_e32 v22, v25
	s_waitcnt lgkmcnt(2)
	v_mov_b32_e32 v25, v26
	v_mov_b32_e32 v26, 0
	s_waitcnt lgkmcnt(1)
	v_mov_b32_e32 v18, v21
	;; [unrolled: 3-line block ×3, first 2 shown]
	v_mov_b32_e32 v21, v2
	ds_read2_b32 v[2:3], v1 offset0:56 offset1:84
	ds_read2_b32 v[32:33], v1 offset1:28
	ds_read_b32 v34, v26 offset:3132
	v_mov_b32_e32 v23, v24
	v_mov_b32_e32 v24, v27
	s_waitcnt lgkmcnt(2)
	v_mov_b32_e32 v26, v3
	v_mov_b32_e32 v27, v2
	s_waitcnt lgkmcnt(1)
	;; [unrolled: 3-line block ×3, first 2 shown]
	v_mul_f32_e32 v2, v31, v34
	s_movk_i32 s16, 0xbcc
	s_mov_b64 s[4:5], 0
	v_mov_b32_e32 v3, v30
	ds_write_b32 v1, v2 offset:3024
.LBB33_22:                              ; =>This Inner Loop Header: Depth=1
	s_set_gpr_idx_on s4, gpr_idx(SRC0)
	v_mov_b32_e32 v30, v2
	s_set_gpr_idx_off
	v_mov_b32_e32 v31, s16
	ds_read_b32 v31, v31
	s_add_i32 s16, s16, -4
	s_add_u32 s4, s4, 1
	s_addc_u32 s5, s5, 0
	s_cmp_lg_u32 s4, 1
	s_waitcnt lgkmcnt(0)
	v_fma_f32 v3, -v30, v31, v3
	s_cbranch_scc1 .LBB33_22
; %bb.23:
	v_mov_b32_e32 v30, 0
	ds_read_b32 v30, v30 offset:3016
	s_movk_i32 s16, 0xb5c
	s_mov_b64 s[4:5], 0
	s_waitcnt lgkmcnt(0)
	v_mul_f32_e32 v3, v3, v30
	ds_write_b32 v1, v3 offset:2912
.LBB33_24:                              ; =>This Inner Loop Header: Depth=1
	s_set_gpr_idx_on s4, gpr_idx(SRC0)
	v_mov_b32_e32 v30, v2
	s_set_gpr_idx_off
	v_mov_b32_e32 v31, s16
	ds_read_b32 v31, v31
	s_add_i32 s16, s16, -4
	s_add_u32 s4, s4, 1
	s_addc_u32 s5, s5, 0
	s_cmp_lg_u32 s4, 2
	s_waitcnt lgkmcnt(0)
	v_fma_f32 v4, -v30, v31, v4
	s_cbranch_scc1 .LBB33_24
; %bb.25:
	v_mov_b32_e32 v30, 0
	ds_read_b32 v30, v30 offset:2900
	s_movk_i32 s16, 0xaec
	s_mov_b64 s[4:5], 0
	s_waitcnt lgkmcnt(0)
	v_mul_f32_e32 v4, v4, v30
	;; [unrolled: 21-line block ×26, first 2 shown]
	ds_write_b32 v1, v28 offset:112
.LBB33_74:                              ; =>This Inner Loop Header: Depth=1
	s_set_gpr_idx_on s4, gpr_idx(SRC0)
	v_mov_b32_e32 v30, v2
	s_set_gpr_idx_off
	v_mov_b32_e32 v31, s16
	ds_read_b32 v31, v31
	s_add_i32 s16, s16, -4
	s_add_u32 s4, s4, 1
	s_addc_u32 s5, s5, 0
	s_cmp_lg_u32 s4, 27
	s_waitcnt lgkmcnt(0)
	v_fma_f32 v29, -v30, v31, v29
	s_cbranch_scc1 .LBB33_74
; %bb.75:
	v_mov_b32_e32 v2, 0
	ds_read_b32 v2, v2
	s_mov_b32 s4, -1
	s_waitcnt lgkmcnt(0)
	v_mul_f32_e32 v2, v29, v2
	ds_write_b32 v1, v2
	s_cmp_gt_i32 s4, -1
	s_cbranch_scc1 .LBB33_77
	s_branch .LBB33_95
.LBB33_76:
	s_mov_b32 s4, s7
	s_cmp_gt_i32 s4, -1
	s_cbranch_scc0 .LBB33_95
.LBB33_77:
	s_cmp_lt_u32 s4, 23
	s_cbranch_scc1 .LBB33_82
; %bb.78:
	s_mul_i32 s5, s4, 0x70
	v_add_u32_e32 v70, s5, v1
	v_add_u32_e32 v2, 0xffffff90, v70
	v_add_u32_e32 v3, 0xffffff20, v70
	v_add_u32_e32 v6, 0xfffffdd0, v70
	v_add_u32_e32 v7, 0xfffffd60, v70
	v_add_u32_e32 v4, 0xfffffeb0, v70
	v_add_u32_e32 v5, 0xfffffe40, v70
	v_add_u32_e32 v8, 0xfffffcf0, v70
	ds_read_b32 v10, v70
	ds_read_b32 v11, v2
	ds_read_b32 v16, v3
	ds_read_b32 v17, v4
	ds_read_b32 v20, v5
	ds_read_b32 v21, v6
	ds_read_b32 v22, v7
	ds_read_b32 v23, v8
	v_add_u32_e32 v2, 0xfffffc80, v70
	v_add_u32_e32 v3, 0xfffffc10, v70
	v_add_u32_e32 v6, 0xfffffac0, v70
	v_add_u32_e32 v7, 0xfffffa50, v70
	v_add_u32_e32 v4, 0xfffffba0, v70
	v_add_u32_e32 v5, 0xfffffb30, v70
	v_add_u32_e32 v8, 0xfffff9e0, v70
	v_add_u32_e32 v9, 0xfffff970, v70
	ds_read_b32 v34, v2
	ds_read_b32 v35, v3
	ds_read_b32 v32, v4
	ds_read_b32 v33, v5
	ds_read_b32 v30, v6
	ds_read_b32 v31, v7
	ds_read_b32 v28, v8
	ds_read_b32 v29, v9
	;; [unrolled: 16-line block ×3, first 2 shown]
	s_cmp_le_i32 s7, s4
	s_cbranch_scc1 .LBB33_81
; %bb.79:
	s_mul_i32 s16, s26, 0x70
	v_lshl_add_u32 v4, v0, 2, s16
	s_lshl_b32 s16, s26, 2
	s_add_i32 s16, s5, s16
	v_add_u32_e32 v4, 0xbd0, v4
	s_addk_i32 s16, 0xf5ec
	s_mov_b32 s17, s7
.LBB33_80:                              ; =>This Inner Loop Header: Depth=1
	v_mov_b32_e32 v5, s16
	v_add_u32_e32 v9, 0x800, v5
	ds_read_b32 v8, v4
	v_add_u32_e32 v12, 0x600, v5
	v_add_u32_e32 v13, 0x400, v5
	ds_read2_b32 v[14:15], v5 offset0:224 offset1:252
	ds_read2_b32 v[26:27], v5 offset0:168 offset1:196
	ds_read2_b32 v[36:37], v5 offset0:112 offset1:140
	ds_read2_b32 v[38:39], v5 offset0:56 offset1:84
	ds_read2_b32 v[40:41], v5 offset1:28
	ds_read2_b32 v[42:43], v9 offset0:104 offset1:132
	ds_read2_b32 v[44:45], v9 offset0:48 offset1:76
	;; [unrolled: 1-line block ×7, first 2 shown]
	s_add_i32 s17, s17, -1
	s_add_i32 s16, s16, -4
	s_waitcnt lgkmcnt(11)
	v_mov_b32_e32 v12, v15
	v_mov_b32_e32 v13, v14
	s_waitcnt lgkmcnt(10)
	v_mov_b32_e32 v14, v27
	v_mov_b32_e32 v15, v26
	;; [unrolled: 3-line block ×12, first 2 shown]
	v_add_u32_e32 v4, 0xffffff90, v4
	s_cmp_gt_i32 s17, s4
	v_pk_fma_f32 v[28:29], v[8:9], v[12:13], v[28:29] op_sel_hi:[0,1,1] neg_lo:[1,0,0] neg_hi:[1,0,0]
	v_pk_fma_f32 v[24:25], v[8:9], v[14:15], v[24:25] op_sel_hi:[0,1,1] neg_lo:[1,0,0] neg_hi:[1,0,0]
	;; [unrolled: 1-line block ×12, first 2 shown]
	s_cbranch_scc1 .LBB33_80
.LBB33_81:
	s_mul_i32 s16, s4, 0x74
	s_lshl_b32 s18, s4, 2
	v_mov_b32_e32 v4, s16
	s_add_i32 s16, s5, 0xffffff90
	s_add_i32 s19, s18, -4
	s_add_i32 s17, s16, s19
	v_add_u32_e32 v58, s16, v1
	s_add_i32 s16, s5, 0xffffff20
	s_add_i32 s43, s16, s19
	;; [unrolled: 1-line block ×3, first 2 shown]
	s_add_i32 s16, s16, -8
	v_mov_b32_e32 v8, s16
	s_add_i32 s16, s5, 0xfffffeb0
	s_add_i32 s20, s18, -12
	v_mov_b32_e32 v5, s17
	s_add_i32 s17, s16, s18
	s_add_i32 s16, s16, s20
	v_mov_b32_e32 v12, s16
	s_add_i32 s16, s5, 0xfffffe40
	v_mov_b32_e32 v9, s17
	s_add_i32 s44, s17, -8
	s_add_i32 s17, s16, s19
	s_add_i32 s45, s16, s20
	;; [unrolled: 1-line block ×3, first 2 shown]
	s_add_i32 s16, s16, -16
	ds_read_b32 v26, v4
	ds_read2_b32 v[14:15], v5 offset1:1
	ds_read_b32 v57, v8
	ds_read_b32 v78, v9
	;; [unrolled: 1-line block ×3, first 2 shown]
	v_mov_b32_e32 v5, s16
	s_add_i32 s16, s5, 0xfffffdd0
	s_sub_i32 s21, s18, 20
	v_mov_b32_e32 v4, s17
	s_add_i32 s17, s16, s18
	s_add_i32 s16, s16, s21
	v_mov_b32_e32 v9, s16
	s_add_i32 s16, s5, 0xfffffd60
	s_add_i32 s47, s16, s19
	;; [unrolled: 1-line block ×5, first 2 shown]
	v_mov_b32_e32 v8, s17
	s_add_i32 s46, s17, -8
	s_add_i32 s27, s17, -16
	s_sub_i32 s16, s16, 24
	s_add_i32 s17, s5, 0xfffffcf0
	s_sub_i32 s31, s18, 28
	v_mov_b32_e32 v12, s16
	s_add_i32 s16, s17, s18
	s_add_i32 s17, s17, s31
	v_mov_b32_e32 v27, s17
	s_add_i32 s17, s5, 0xfffffc80
	s_add_i32 s42, s17, s19
	;; [unrolled: 1-line block ×7, first 2 shown]
	s_sub_i32 s17, s17, 32
	s_add_i32 s34, s33, s18
	v_mov_b32_e32 v13, s16
	v_mov_b32_e32 v36, s17
	ds_read2_b32 v[50:51], v4 offset1:1
	ds_read_b32 v87, v5
	ds_read_b32 v79, v8
	;; [unrolled: 1-line block ×7, first 2 shown]
	v_mov_b32_e32 v4, s34
	s_add_i32 s41, s34, -8
	s_add_i32 s36, s34, -16
	s_sub_i32 s17, s34, 24
	s_sub_i32 s48, s34, 32
	;; [unrolled: 1-line block ×3, first 2 shown]
	s_addk_i32 s5, 0xfba0
	s_add_i32 s49, s5, s19
	s_add_i32 s38, s5, s20
	s_add_i32 s20, s5, s21
	s_add_i32 s35, s5, s31
	s_add_i32 s50, s5, s34
	s_add_i32 s5, s5, s18
	s_add_i32 s33, s33, s34
	s_sub_i32 s18, s5, 40
	v_mov_b32_e32 v5, s33
	ds_read_b32 v81, v4
	ds_read_b32 v67, v5
	v_mov_b32_e32 v4, s18
	s_add_i32 s18, s5, 0xffffff90
	s_add_i32 s19, s5, 0xffffff64
	ds_read_b32 v64, v4
	v_mov_b32_e32 v4, s18
	v_mov_b32_e32 v5, s19
	s_add_i32 s19, s5, 0xffffff1c
	ds_read_b32 v82, v4
	ds_read_b32 v63, v5
	v_mov_b32_e32 v4, s19
	s_add_i32 s19, s5, 0xfffffef0
	ds_read2_b32 v[42:43], v4 offset1:1
	v_mov_b32_e32 v4, s19
	s_add_i32 s19, s5, 0xfffffeb0
	ds_read_b32 v61, v4
	v_mov_b32_e32 v4, s19
	s_add_i32 s19, s5, 0xfffffea8
	ds_read_b32 v88, v4
	v_mov_b32_e32 v4, s19
	ds_read2_b32 v[36:37], v4 offset1:1
	v_mov_b32_e32 v4, s44
	v_mov_b32_e32 v5, s43
	;; [unrolled: 1-line block ×4, first 2 shown]
	ds_read2_b32 v[48:49], v4 offset1:1
	ds_read2_b32 v[52:53], v5 offset1:1
	;; [unrolled: 1-line block ×4, first 2 shown]
	s_waitcnt lgkmcnt(14)
	v_mul_f32_e32 v27, v10, v26
	s_add_i32 s19, s5, 0xfffffea0
	v_mov_b32_e32 v4, s47
	v_fma_f32 v10, -v27, v15, v11
	ds_read2_b32 v[54:55], v4 offset1:1
	v_mov_b32_e32 v4, s19
	s_add_i32 s19, s5, 0xfffffe98
	v_mul_f32_e32 v26, v10, v14
	v_mov_b32_e32 v5, s19
	s_add_i32 s19, s5, 0xfffffe90
	s_waitcnt lgkmcnt(3)
	v_pk_mul_f32 v[52:53], v[26:27], v[52:53]
	v_mov_b32_e32 v8, s19
	s_add_i32 s19, s5, 0xfffffe88
	v_sub_f32_e32 v16, v16, v53
	v_mov_b32_e32 v9, s19
	v_sub_f32_e32 v90, v16, v52
	v_mov_b32_e32 v52, s48
	v_pk_mul_f32 v[50:51], v[26:27], v[50:51]
	ds_read2_b32 v[38:39], v4 offset1:1
	ds_read2_b32 v[44:45], v5 offset1:1
	;; [unrolled: 1-line block ×4, first 2 shown]
	v_fma_f32 v91, -v27, v79, v21
	v_sub_f32_e32 v51, v20, v51
	ds_read2_b32 v[20:21], v52 offset1:1
	v_mov_b32_e32 v52, s42
	ds_read2_b32 v[52:53], v52 offset1:1
	v_sub_f32_e32 v92, v51, v50
	s_waitcnt lgkmcnt(6)
	v_pk_mul_f32 v[50:51], v[26:27], v[54:55]
	s_add_i32 s39, s16, -8
	s_add_i32 s51, s5, 0xffffff70
	v_sub_f32_e32 v22, v22, v51
	v_fma_f32 v89, -v27, v78, v17
	v_mov_b32_e32 v78, s51
	v_sub_f32_e32 v94, v22, v50
	v_mov_b32_e32 v54, s49
	v_fma_f32 v95, -v27, v81, v35
	v_mov_b32_e32 v35, s39
	s_waitcnt lgkmcnt(0)
	v_pk_mul_f32 v[50:51], v[26:27], v[52:53]
	v_fma_f32 v93, -v27, v80, v23
	ds_read2_b32 v[22:23], v78 offset1:1
	ds_read2_b32 v[78:79], v35 offset1:1
	v_sub_f32_e32 v51, v34, v51
	ds_read2_b32 v[34:35], v54 offset1:1
	s_add_i32 s52, s5, 0xffffff68
	s_add_i32 s53, s5, 0xfffffefc
	s_add_i32 s54, s5, 0xfffffef4
	v_mov_b32_e32 v52, s36
	s_waitcnt lgkmcnt(0)
	v_pk_mul_f32 v[34:35], v[26:27], v[34:35]
	s_add_i32 s36, s5, 0xfffffe3c
	v_sub_f32_e32 v32, v32, v35
	v_mov_b32_e32 v4, s54
	v_mov_b32_e32 v11, s52
	;; [unrolled: 1-line block ×4, first 2 shown]
	v_sub_f32_e32 v96, v51, v50
	v_fma_f32 v97, -v27, v82, v33
	v_mov_b32_e32 v33, s41
	v_mov_b32_e32 v51, s38
	v_sub_f32_e32 v98, v32, v34
	v_mov_b32_e32 v32, s36
	ds_read2_b32 v[4:5], v4 offset1:1
	ds_read2_b32 v[10:11], v11 offset1:1
	;; [unrolled: 1-line block ×8, first 2 shown]
	v_fma_f32 v30, -v27, v43, v30
	s_add_i32 s36, s5, 0xfffffe34
	v_fma_f32 v99, -v26, v42, v30
	v_mov_b32_e32 v30, s36
	v_fma_f32 v88, -v27, v88, v31
	ds_read2_b32 v[30:31], v30 offset1:1
	s_waitcnt lgkmcnt(1)
	v_fma_f32 v28, -v27, v33, v28
	v_fma_f32 v28, -v26, v32, v28
	v_mov_b32_e32 v32, s35
	ds_read2_b32 v[52:53], v32 offset1:1
	v_mul_f32_e32 v32, v90, v57
	v_mov_b32_e32 v33, v26
	v_pk_mul_f32 v[34:35], v[32:33], v[48:49]
	s_add_i32 s37, s5, 0xffffff04
	v_sub_f32_e32 v35, v89, v35
	v_sub_f32_e32 v48, v35, v34
	v_mov_b32_e32 v34, s37
	ds_read2_b32 v[54:55], v34 offset1:1
	v_pk_mul_f32 v[34:35], v[32:33], v[46:47]
	v_mov_b32_e32 v50, s40
	v_sub_f32_e32 v35, v91, v35
	v_sub_f32_e32 v57, v35, v34
	v_mov_b32_e32 v34, s30
	ds_read2_b32 v[50:51], v50 offset1:1
	ds_read2_b32 v[42:43], v34 offset1:1
	v_pk_mul_f32 v[34:35], v[32:33], v[78:79]
	s_add_i32 s34, s5, 0xffffff88
	v_sub_f32_e32 v35, v93, v35
	v_sub_f32_e32 v78, v35, v34
	v_mov_b32_e32 v34, s34
	ds_read2_b32 v[34:35], v34 offset1:1
	v_pk_mul_f32 v[46:47], v[32:33], v[84:85]
	s_add_i32 s33, s5, 0xffffff80
	v_sub_f32_e32 v47, v95, v47
	v_sub_f32_e32 v79, v47, v46
	v_mov_b32_e32 v46, s33
	ds_read2_b32 v[46:47], v46 offset1:1
	s_waitcnt lgkmcnt(1)
	v_pk_mul_f32 v[34:35], v[32:33], v[34:35]
	s_add_i32 s31, s5, 0xffffff14
	v_sub_f32_e32 v33, v97, v35
	v_sub_f32_e32 v33, v33, v34
	v_fma_f32 v34, -v26, v37, v88
	v_fma_f32 v84, -v32, v36, v34
	v_mul_f32_e32 v34, v48, v86
	v_mov_b32_e32 v35, v32
	v_pk_mul_f32 v[36:37], v[34:35], v[40:41]
	v_pk_mul_f32 v[42:43], v[34:35], v[42:43]
	v_sub_f32_e32 v37, v92, v37
	v_sub_f32_e32 v85, v37, v36
	v_mov_b32_e32 v36, s29
	ds_read2_b32 v[36:37], v36 offset1:1
	s_add_i32 s28, s16, -16
	v_sub_f32_e32 v43, v94, v43
	v_mov_b32_e32 v48, s31
	v_mov_b32_e32 v40, s27
	v_sub_f32_e32 v86, v43, v42
	v_mov_b32_e32 v42, s28
	ds_read2_b32 v[48:49], v48 offset1:1
	ds_read2_b32 v[40:41], v40 offset1:1
	;; [unrolled: 1-line block ×3, first 2 shown]
	s_waitcnt lgkmcnt(3)
	v_pk_mul_f32 v[36:37], v[34:35], v[36:37]
	v_fma_f32 v28, -v32, v31, v28
	v_sub_f32_e32 v37, v96, v37
	v_sub_f32_e32 v88, v37, v36
	v_pk_mul_f32 v[36:37], v[34:35], v[80:81]
	v_fma_f32 v81, -v34, v30, v28
	v_sub_f32_e32 v37, v98, v37
	v_sub_f32_e32 v80, v37, v36
	s_waitcnt lgkmcnt(2)
	v_pk_mul_f32 v[36:37], v[34:35], v[48:49]
	s_add_i32 s21, s5, 0xffffff0c
	v_sub_f32_e32 v35, v99, v37
	v_sub_f32_e32 v35, v35, v36
	v_mul_f32_e32 v36, v85, v87
	v_mov_b32_e32 v37, v34
	s_waitcnt lgkmcnt(1)
	v_pk_mul_f32 v[30:31], v[36:37], v[40:41]
	s_sub_i32 s16, s16, 24
	v_sub_f32_e32 v28, v57, v31
	v_sub_f32_e32 v57, v28, v30
	s_waitcnt lgkmcnt(0)
	v_pk_mul_f32 v[30:31], v[36:37], v[42:43]
	v_mov_b32_e32 v42, s24
	v_sub_f32_e32 v28, v78, v31
	v_sub_f32_e32 v87, v28, v30
	v_pk_mul_f32 v[30:31], v[36:37], v[82:83]
	s_add_i32 s24, s5, 0xfffffdd0
	v_sub_f32_e32 v28, v79, v31
	v_sub_f32_e32 v89, v28, v30
	v_pk_mul_f32 v[30:31], v[36:37], v[46:47]
	v_mov_b32_e32 v43, v36
	v_sub_f32_e32 v28, v33, v31
	v_sub_f32_e32 v90, v28, v30
	v_pk_mul_f32 v[30:31], v[36:37], v[38:39]
	v_mov_b32_e32 v33, s25
	v_sub_f32_e32 v28, v84, v31
	v_mov_b32_e32 v31, s24
	s_add_i32 s24, s5, 0xfffffdc8
	ds_read_b32 v37, v31
	v_sub_f32_e32 v91, v28, v30
	v_mov_b32_e32 v28, s24
	ds_read2_b32 v[30:31], v28 offset1:1
	s_add_i32 s24, s5, 0xfffffdc0
	v_mov_b32_e32 v28, s24
	s_add_i32 s24, s5, 0xfffffdb8
	s_waitcnt lgkmcnt(1)
	v_fma_f32 v37, -v27, v37, v29
	v_mov_b32_e32 v38, s24
	s_add_i32 s24, s5, 0xfffffdb0
	v_mov_b32_e32 v39, s24
	s_waitcnt lgkmcnt(0)
	v_fma_f32 v31, -v26, v31, v37
	ds_read2_b32 v[28:29], v28 offset1:1
	ds_read2_b32 v[48:49], v38 offset1:1
	;; [unrolled: 1-line block ×3, first 2 shown]
	v_fma_f32 v37, -v32, v30, v31
	ds_read2_b32 v[30:31], v42 offset1:1
	ds_read2_b32 v[38:39], v33 offset1:1
	s_waitcnt lgkmcnt(4)
	v_fma_f32 v29, -v34, v29, v37
	v_mul_f32_e32 v42, v57, v56
	v_fma_f32 v92, -v36, v28, v29
	v_mov_b32_e32 v28, s20
	s_waitcnt lgkmcnt(1)
	v_pk_mul_f32 v[30:31], v[42:43], v[30:31]
	ds_read2_b32 v[28:29], v28 offset1:1
	v_sub_f32_e32 v31, v86, v31
	v_sub_f32_e32 v33, v31, v30
	v_mov_b32_e32 v30, s21
	s_waitcnt lgkmcnt(1)
	v_pk_mul_f32 v[38:39], v[42:43], v[38:39]
	ds_read2_b32 v[30:31], v30 offset1:1
	s_add_i32 s20, s5, 0xfffffe2c
	v_sub_f32_e32 v37, v88, v39
	v_sub_f32_e32 v86, v37, v38
	v_mov_b32_e32 v37, s20
	ds_read2_b32 v[46:47], v37 offset1:1
	s_waitcnt lgkmcnt(2)
	v_pk_mul_f32 v[28:29], v[42:43], v[28:29]
	s_add_i32 s20, s5, 0xfffffe24
	v_sub_f32_e32 v29, v80, v29
	v_sub_f32_e32 v88, v29, v28
	s_waitcnt lgkmcnt(1)
	v_pk_mul_f32 v[28:29], v[42:43], v[30:31]
	v_mov_b32_e32 v38, s20
	s_add_i32 s20, s5, 0xfffffe1c
	v_sub_f32_e32 v29, v35, v29
	v_sub_f32_e32 v93, v29, v28
	v_mov_b32_e32 v28, s20
	s_add_i32 s20, s5, 0xfffffe14
	s_waitcnt lgkmcnt(0)
	v_pk_mul_f32 v[30:31], v[42:43], v[46:47]
	v_mov_b32_e32 v29, s20
	v_sub_f32_e32 v31, v81, v31
	s_add_i32 s20, s5, 0xfffffd5c
	v_sub_f32_e32 v94, v31, v30
	v_mov_b32_e32 v30, s20
	ds_read2_b32 v[56:57], v38 offset1:1
	ds_read2_b32 v[38:39], v28 offset1:1
	;; [unrolled: 1-line block ×4, first 2 shown]
	s_add_i32 s20, s5, 0xfffffd54
	v_mov_b32_e32 v35, s20
	s_add_i32 s20, s5, 0xfffffd4c
	v_mov_b32_e32 v37, s20
	;; [unrolled: 2-line block ×3, first 2 shown]
	ds_read2_b32 v[46:47], v35 offset1:1
	ds_read2_b32 v[78:79], v37 offset1:1
	;; [unrolled: 1-line block ×3, first 2 shown]
	s_waitcnt lgkmcnt(3)
	v_fma_f32 v24, -v27, v31, v24
	v_fma_f32 v24, -v26, v30, v24
	v_mov_b32_e32 v30, s16
	s_waitcnt lgkmcnt(2)
	v_fma_f32 v24, -v32, v47, v24
	ds_read2_b32 v[82:83], v30 offset1:1
	v_fma_f32 v24, -v34, v46, v24
	s_add_i32 s18, s5, 0xffffff78
	v_mov_b32_e32 v30, s17
	s_waitcnt lgkmcnt(2)
	v_fma_f32 v24, -v36, v79, v24
	ds_read2_b32 v[84:85], v30 offset1:1
	v_fma_f32 v95, -v42, v78, v24
	v_mov_b32_e32 v24, s18
	s_add_i32 s19, s5, 0xfffffe80
	ds_read2_b32 v[78:79], v24 offset1:1
	v_add_u32_e32 v76, 0xfffffeb0, v58
	v_mov_b32_e32 v24, s19
	s_add_i32 s16, s5, 0xfffffe7c
	v_mul_f32_e32 v46, v33, v77
	v_mov_b32_e32 v47, v42
	ds_read2_b32 v[30:31], v24 offset1:1
	v_mov_b32_e32 v24, s16
	ds_write_b32 v76, v36
	s_waitcnt lgkmcnt(4)
	v_pk_mul_f32 v[76:77], v[46:47], v[82:83]
	ds_read_b32 v43, v24
	v_sub_f32_e32 v24, v87, v77
	s_add_i32 s16, s5, 0xfffffe08
	v_sub_f32_e32 v87, v24, v76
	v_mov_b32_e32 v24, s16
	s_waitcnt lgkmcnt(4)
	v_pk_mul_f32 v[76:77], v[46:47], v[84:85]
	ds_read_b32 v37, v24
	v_sub_f32_e32 v24, v89, v77
	s_waitcnt lgkmcnt(4)
	v_pk_mul_f32 v[78:79], v[46:47], v[78:79]
	v_add_u32_e32 v75, 0xffffff20, v58
	v_sub_f32_e32 v76, v24, v76
	v_sub_f32_e32 v24, v90, v79
	v_pk_mul_f32 v[44:45], v[46:47], v[44:45]
	v_add_u32_e32 v74, 0xfffffe40, v58
	ds_write_b32 v75, v34
	v_sub_f32_e32 v75, v24, v78
	s_add_i32 s16, s5, 0xfffffda8
	v_sub_f32_e32 v24, v91, v45
	ds_write_b32 v74, v42
	v_sub_f32_e32 v74, v24, v44
	v_mov_b32_e32 v24, s16
	v_pk_mul_f32 v[44:45], v[46:47], v[48:49]
	s_add_i32 s16, s5, 0xfffffcf0
	v_add_u32_e32 v73, 0xffffff90, v58
	v_sub_f32_e32 v45, v92, v45
	v_mov_b32_e32 v47, s16
	s_add_i32 s16, s5, 0xfffffce8
	ds_write_b32 v73, v32
	ds_read_b32 v47, v47
	v_sub_f32_e32 v73, v45, v44
	v_mov_b32_e32 v44, s16
	ds_read2_b32 v[48:49], v44 offset1:1
	s_add_i32 s16, s5, 0xfffffce0
	v_mov_b32_e32 v44, s16
	s_add_i32 s16, s5, 0xfffffcd8
	s_waitcnt lgkmcnt(1)
	v_fma_f32 v25, -v27, v47, v25
	v_mov_b32_e32 v45, s16
	s_add_i32 s16, s5, 0xfffffcd0
	ds_write_b32 v70, v27
	ds_write_b32 v58, v26
	v_mov_b32_e32 v47, s16
	s_waitcnt lgkmcnt(2)
	v_fma_f32 v25, -v26, v49, v25
	s_add_i32 s19, s5, 0xfffffd94
	ds_read2_b32 v[78:79], v44 offset1:1
	ds_read2_b32 v[82:83], v45 offset1:1
	ds_read2_b32 v[44:45], v47 offset1:1
	v_fma_f32 v47, -v32, v48, v25
	v_mov_b32_e32 v48, s19
	ds_read_b32 v70, v48
	v_mul_f32_e32 v48, v87, v72
	v_mov_b32_e32 v49, v46
	v_pk_mul_f32 v[50:51], v[48:49], v[50:51]
	v_add_u32_e32 v71, 0xfffffdd0, v58
	v_sub_f32_e32 v51, v86, v51
	ds_write_b32 v71, v46
	v_sub_f32_e32 v71, v51, v50
	v_pk_mul_f32 v[50:51], v[48:49], v[52:53]
	s_add_i32 s19, s5, 0xfffffd3c
	v_sub_f32_e32 v51, v88, v51
	v_sub_f32_e32 v52, v51, v50
	v_pk_mul_f32 v[50:51], v[48:49], v[54:55]
	v_pk_mul_f32 v[54:55], v[48:49], v[56:57]
	v_sub_f32_e32 v51, v93, v51
	v_sub_f32_e32 v51, v51, v50
	;; [unrolled: 1-line block ×3, first 2 shown]
	v_mov_b32_e32 v72, s19
	v_sub_f32_e32 v50, v50, v54
	v_pk_mul_f32 v[54:55], v[48:49], v[80:81]
	s_add_i32 s19, s5, 0xfffffc7c
	v_sub_f32_e32 v49, v95, v55
	v_mov_b32_e32 v53, s19
	v_sub_f32_e32 v49, v49, v54
	ds_read2_b32 v[54:55], v53 offset1:1
	s_add_i32 s19, s5, 0xfffffc74
	s_waitcnt lgkmcnt(5)
	v_fma_f32 v47, -v34, v79, v47
	v_mov_b32_e32 v53, s19
	s_add_i32 s19, s5, 0xfffffc6c
	v_fma_f32 v47, -v36, v78, v47
	v_mov_b32_e32 v78, s19
	s_add_i32 s19, s5, 0xfffffc64
	v_mov_b32_e32 v80, s19
	ds_read2_b32 v[24:25], v24 offset1:1
	ds_read2_b32 v[56:57], v53 offset1:1
	;; [unrolled: 1-line block ×4, first 2 shown]
	s_waitcnt lgkmcnt(4)
	v_fma_f32 v18, -v27, v55, v18
	v_fma_f32 v18, -v26, v54, v18
	s_add_i32 s19, s5, 0xfffffc10
	s_waitcnt lgkmcnt(2)
	v_fma_f32 v18, -v32, v57, v18
	v_mov_b32_e32 v53, s19
	v_fma_f32 v18, -v34, v56, v18
	ds_read_b32 v54, v53
	s_waitcnt lgkmcnt(2)
	v_fma_f32 v18, -v36, v79, v18
	v_fma_f32 v18, -v42, v78, v18
	s_waitcnt lgkmcnt(1)
	v_fma_f32 v18, -v46, v81, v18
	s_add_i32 s19, s5, 0xfffffc08
	v_fma_f32 v53, -v48, v80, v18
	v_mov_b32_e32 v18, s19
	s_waitcnt lgkmcnt(0)
	v_fma_f32 v80, -v27, v54, v19
	ds_read2_b32 v[54:55], v18 offset1:1
	s_add_i32 s19, s5, 0xfffffc00
	v_mov_b32_e32 v18, s19
	s_add_i32 s19, s5, 0xfffffbf8
	v_mov_b32_e32 v19, s19
	;; [unrolled: 2-line block ×3, first 2 shown]
	ds_read2_b32 v[56:57], v18 offset1:1
	ds_read2_b32 v[78:79], v19 offset1:1
	;; [unrolled: 1-line block ×3, first 2 shown]
	s_waitcnt lgkmcnt(3)
	v_fma_f32 v55, -v26, v55, v80
	v_fma_f32 v54, -v32, v54, v55
	s_waitcnt lgkmcnt(2)
	v_fma_f32 v54, -v34, v57, v54
	v_fma_f32 v54, -v36, v56, v54
	s_waitcnt lgkmcnt(1)
	v_fma_f32 v54, -v42, v79, v54
	s_add_i32 s19, s5, 0xfffffb9c
	v_fma_f32 v86, -v46, v78, v54
	v_mov_b32_e32 v54, s19
	ds_read2_b32 v[54:55], v54 offset1:1
	s_add_i32 s19, s5, 0xfffffb94
	v_mov_b32_e32 v56, s19
	s_add_i32 s19, s5, 0xfffffb8c
	v_mov_b32_e32 v78, s19
	;; [unrolled: 2-line block ×3, first 2 shown]
	ds_read2_b32 v[56:57], v56 offset1:1
	ds_read2_b32 v[78:79], v78 offset1:1
	ds_read2_b32 v[80:81], v80 offset1:1
	s_waitcnt lgkmcnt(3)
	v_fma_f32 v6, -v27, v55, v6
	v_fma_f32 v6, -v26, v54, v6
	s_add_i32 s19, s5, 0xfffffb30
	s_waitcnt lgkmcnt(2)
	v_fma_f32 v6, -v32, v57, v6
	v_mov_b32_e32 v54, s19
	v_fma_f32 v6, -v34, v56, v6
	ds_read_b32 v54, v54
	s_waitcnt lgkmcnt(2)
	v_fma_f32 v6, -v36, v79, v6
	v_fma_f32 v6, -v42, v78, v6
	s_waitcnt lgkmcnt(1)
	v_fma_f32 v6, -v46, v81, v6
	s_add_i32 s19, s5, 0xfffffb28
	v_fma_f32 v90, -v48, v80, v6
	v_mov_b32_e32 v6, s19
	s_waitcnt lgkmcnt(0)
	v_fma_f32 v80, -v27, v54, v7
	ds_read2_b32 v[54:55], v6 offset1:1
	s_add_i32 s19, s5, 0xfffffb20
	v_mov_b32_e32 v6, s19
	s_add_i32 s19, s5, 0xfffffb18
	v_mov_b32_e32 v7, s19
	;; [unrolled: 2-line block ×3, first 2 shown]
	ds_read2_b32 v[56:57], v6 offset1:1
	ds_read2_b32 v[78:79], v7 offset1:1
	;; [unrolled: 1-line block ×3, first 2 shown]
	s_waitcnt lgkmcnt(3)
	v_fma_f32 v55, -v26, v55, v80
	v_fma_f32 v54, -v32, v54, v55
	s_waitcnt lgkmcnt(2)
	v_fma_f32 v54, -v34, v57, v54
	v_fma_f32 v54, -v36, v56, v54
	s_waitcnt lgkmcnt(1)
	v_fma_f32 v54, -v42, v79, v54
	s_add_i32 s19, s5, 0xfffffabc
	v_fma_f32 v88, -v46, v78, v54
	v_mov_b32_e32 v54, s19
	ds_read2_b32 v[54:55], v54 offset1:1
	s_add_i32 s19, s5, 0xfffffab4
	v_mov_b32_e32 v56, s19
	s_add_i32 s19, s5, 0xfffffaac
	v_fma_f32 v47, -v42, v83, v47
	v_mov_b32_e32 v57, s19
	s_add_i32 s19, s5, 0xfffffaa4
	v_fma_f32 v77, -v46, v82, v47
	v_mov_b32_e32 v82, s19
	s_add_i32 s19, s5, 0xfffffa50
	s_waitcnt lgkmcnt(0)
	v_fma_f32 v2, -v27, v55, v2
	v_mov_b32_e32 v55, s19
	ds_read2_b32 v[78:79], v56 offset1:1
	ds_read2_b32 v[80:81], v57 offset1:1
	;; [unrolled: 1-line block ×3, first 2 shown]
	ds_read_b32 v56, v55
	s_add_i32 s19, s5, 0xfffffa48
	v_fma_f32 v57, -v26, v54, v2
	v_mov_b32_e32 v2, s19
	ds_read2_b32 v[54:55], v2 offset1:1
	s_add_i32 s19, s5, 0xfffffa40
	s_waitcnt lgkmcnt(1)
	v_fma_f32 v2, -v27, v56, v3
	v_mov_b32_e32 v3, s19
	ds_read2_b32 v[84:85], v3 offset1:1
	s_add_i32 s19, s5, 0xfffffd20
	v_mov_b32_e32 v27, s19
	s_add_i32 s20, s5, 0xfffffcac
	v_add_u32_e32 v69, 0xfffffd60, v58
	s_waitcnt lgkmcnt(1)
	v_fma_f32 v26, -v26, v55, v2
	ds_read2_b32 v[2:3], v72 offset1:1
	ds_read_b32 v72, v27
	v_mov_b32_e32 v27, s20
	ds_write_b32 v69, v48
	v_fma_f32 v26, -v32, v54, v26
	ds_read_b32 v69, v27
	v_fma_f32 v27, -v32, v79, v57
	v_fma_f32 v27, -v34, v78, v27
	s_waitcnt lgkmcnt(4)
	v_fma_f32 v26, -v34, v85, v26
	v_fma_f32 v19, -v48, v19, v86
	;; [unrolled: 1-line block ×4, first 2 shown]
	s_add_i32 s38, s5, 0xfffffa38
	v_fma_f32 v36, -v42, v80, v26
	v_mov_b32_e32 v26, s38
	ds_read2_b32 v[78:79], v26 offset1:1
	s_add_i32 s36, s5, 0xfffffbc4
	s_add_i32 s39, s5, 0xfffffa28
	;; [unrolled: 1-line block ×3, first 2 shown]
	v_mov_b32_e32 v57, s36
	s_add_i32 s36, s5, 0xfffffb7c
	s_add_i32 s38, s5, 0xfffffa30
	;; [unrolled: 1-line block ×3, first 2 shown]
	v_mov_b32_e32 v27, s39
	v_fma_f32 v36, -v46, v83, v36
	s_add_i32 s39, s5, 0xfffffadc
	v_mov_b32_e32 v32, s20
	v_mov_b32_e32 v26, s38
	;; [unrolled: 1-line block ×3, first 2 shown]
	s_waitcnt lgkmcnt(0)
	v_fma_f32 v42, -v42, v79, v86
	v_mov_b32_e32 v79, s36
	v_fma_f32 v36, -v48, v82, v36
	v_mov_b32_e32 v82, s39
	ds_read_b32 v56, v32
	ds_read_b32 v57, v57
	ds_read2_b32 v[80:81], v26 offset1:1
	ds_read2_b32 v[84:85], v27 offset1:1
	;; [unrolled: 1-line block ×4, first 2 shown]
	ds_read_b32 v92, v82
	v_mul_f32_e32 v82, v71, v68
	v_mov_b32_e32 v83, v48
	v_pk_mul_f32 v[20:21], v[82:83], v[20:21]
	s_add_i32 s38, s5, 0xfffffb50
	v_sub_f32_e32 v21, v76, v21
	v_pk_mul_f32 v[12:13], v[82:83], v[12:13]
	v_fma_f32 v42, -v46, v78, v42
	v_mov_b32_e32 v78, s38
	s_add_i32 s38, s5, 0xfffffb08
	v_sub_f32_e32 v68, v21, v20
	s_add_i32 s39, s5, 0xfffffa9c
	v_pk_mul_f32 v[20:21], v[82:83], v[22:23]
	v_sub_f32_e32 v13, v74, v13
	s_add_i32 s55, s5, 0xfffffa68
	ds_read_b32 v91, v78
	v_mov_b32_e32 v78, s38
	v_mov_b32_e32 v76, s39
	s_add_i32 s39, s5, 0xfffffa94
	v_sub_f32_e32 v21, v75, v21
	v_sub_f32_e32 v94, v13, v12
	v_mov_b32_e32 v12, s55
	v_fma_f32 v7, -v48, v7, v88
	ds_read2_b32 v[78:79], v78 offset1:1
	v_sub_f32_e32 v93, v21, v20
	v_mov_b32_e32 v20, s39
	ds_read2_b32 v[74:75], v76 offset1:1
	ds_read2_b32 v[88:89], v20 offset1:1
	ds_read_b32 v95, v12
	v_pk_mul_f32 v[12:13], v[82:83], v[40:41]
	s_add_i32 s40, s5, 0xfffffd34
	v_sub_f32_e32 v13, v73, v13
	v_sub_f32_e32 v73, v13, v12
	v_pk_mul_f32 v[12:13], v[82:83], v[44:45]
	s_add_i32 s18, s5, 0xfffffda0
	s_add_i32 s42, s5, 0xfffffcc8
	v_sub_f32_e32 v13, v77, v13
	v_fma_f32 v98, -v82, v6, v7
	v_mov_b32_e32 v6, s40
	s_add_i32 s43, s5, 0xfffffc5c
	v_sub_f32_e32 v83, v13, v12
	v_fma_f32 v97, -v82, v18, v19
	v_mov_b32_e32 v12, s18
	ds_read2_b32 v[44:45], v6 offset1:1
	v_mov_b32_e32 v6, s42
	v_mul_f32_e32 v18, v68, v67
	v_mov_b32_e32 v19, v82
	ds_read2_b32 v[40:41], v12 offset1:1
	s_waitcnt lgkmcnt(11)
	v_fma_f32 v7, -v48, v81, v42
	ds_read2_b32 v[76:77], v6 offset1:1
	v_mov_b32_e32 v6, s43
	v_pk_mul_f32 v[12:13], v[18:19], v[14:15]
	v_fma_f32 v42, -v82, v80, v7
	ds_read2_b32 v[6:7], v6 offset1:1
	v_sub_f32_e32 v13, v52, v13
	v_sub_f32_e32 v52, v13, v12
	v_pk_mul_f32 v[12:13], v[18:19], v[16:17]
	v_add_u32_e32 v66, 0xfffffcf0, v58
	s_add_i32 s17, s5, 0xfffffe0c
	v_sub_f32_e32 v13, v51, v13
	v_mov_b32_e32 v20, s17
	ds_write_b32 v66, v82
	v_sub_f32_e32 v66, v13, v12
	s_add_i32 s17, s5, 0xfffffa10
	v_pk_mul_f32 v[12:13], v[18:19], v[38:39]
	v_pk_mul_f32 v[2:3], v[18:19], v[2:3]
	v_mov_b32_e32 v15, s17
	s_add_i32 s17, s5, 0xfffffa08
	v_sub_f32_e32 v13, v50, v13
	v_sub_f32_e32 v3, v49, v3
	s_add_i32 s55, s5, 0xfffffa18
	v_sub_f32_e32 v67, v13, v12
	v_mov_b32_e32 v12, s17
	s_add_i32 s17, s5, 0xfffffa00
	v_sub_f32_e32 v68, v3, v2
	s_waitcnt lgkmcnt(1)
	v_pk_mul_f32 v[2:3], v[18:19], v[6:7]
	v_mov_b32_e32 v14, s55
	v_mov_b32_e32 v38, s17
	v_sub_f32_e32 v3, v53, v3
	ds_read2_b32 v[20:21], v20 offset1:1
	v_fma_f32 v36, -v82, v75, v36
	v_sub_f32_e32 v75, v3, v2
	ds_read2_b32 v[22:23], v14 offset1:1
	ds_read2_b32 v[16:17], v15 offset1:1
	;; [unrolled: 1-line block ×4, first 2 shown]
	v_mul_f32_e32 v38, v52, v64
	v_mov_b32_e32 v39, v18
	v_pk_mul_f32 v[10:11], v[38:39], v[10:11]
	v_add_u32_e32 v62, 0xfffffc10, v58
	v_sub_f32_e32 v11, v93, v11
	v_fma_f32 v36, -v18, v74, v36
	v_sub_f32_e32 v74, v11, v10
	ds_write_b32 v62, v38
	v_mul_f32_e32 v62, v74, v63
	v_mov_b32_e32 v63, v38
	v_pk_mul_f32 v[4:5], v[62:63], v[4:5]
	v_add_u32_e32 v60, 0xfffffba0, v58
	v_sub_f32_e32 v5, v66, v5
	v_pk_mul_f32 v[8:9], v[38:39], v[8:9]
	v_pk_mul_f32 v[24:25], v[38:39], v[24:25]
	v_sub_f32_e32 v74, v5, v4
	v_pk_mul_f32 v[28:29], v[62:63], v[28:29]
	s_add_i32 s30, s5, 0xfffffc54
	s_add_i32 s35, s5, 0xfffffbe8
	v_sub_f32_e32 v9, v94, v9
	v_sub_f32_e32 v25, v73, v25
	v_sub_f32_e32 v29, v67, v29
	ds_write_b32 v60, v62
	v_mul_f32_e32 v60, v74, v61
	v_mov_b32_e32 v61, v62
	v_fma_f32 v50, -v18, v79, v98
	v_fma_f32 v42, -v18, v85, v42
	v_sub_f32_e32 v79, v9, v8
	v_sub_f32_e32 v73, v25, v24
	v_mov_b32_e32 v24, s35
	v_sub_f32_e32 v81, v29, v28
	v_mov_b32_e32 v28, s30
	v_pk_mul_f32 v[30:31], v[60:61], v[30:31]
	s_add_i32 s25, s5, 0xfffffcc0
	ds_read2_b32 v[24:25], v24 offset1:1
	v_fma_f32 v42, -v38, v84, v42
	ds_read2_b32 v[28:29], v28 offset1:1
	v_sub_f32_e32 v31, v79, v31
	s_add_i32 s53, s5, 0xfffffa74
	v_fma_f32 v48, -v82, v87, v90
	v_fma_f32 v27, -v62, v27, v42
	v_sub_f32_e32 v42, v31, v30
	v_mov_b32_e32 v30, s25
	s_add_i32 s37, s5, 0xfffffbc8
	v_fma_f32 v80, -v18, v86, v48
	v_mov_b32_e32 v48, s53
	ds_read2_b32 v[30:31], v30 offset1:1
	ds_read2_b32 v[10:11], v48 offset1:1
	v_mov_b32_e32 v48, s37
	s_add_i32 s38, s5, 0xfffffaf8
	s_add_i32 s49, s5, 0xfffffae8
	ds_read2_b32 v[8:9], v48 offset1:1
	v_pk_mul_f32 v[48:49], v[38:39], v[76:77]
	v_pk_mul_f32 v[44:45], v[62:63], v[44:45]
	s_add_i32 s34, s5, 0xfffffc3c
	s_add_i32 s45, s5, 0xfffffb74
	;; [unrolled: 1-line block ×3, first 2 shown]
	v_mov_b32_e32 v51, s49
	v_sub_f32_e32 v49, v83, v49
	s_waitcnt lgkmcnt(4)
	v_pk_mul_f32 v[24:25], v[38:39], v[24:25]
	v_sub_f32_e32 v45, v68, v45
	s_waitcnt lgkmcnt(3)
	v_pk_mul_f32 v[28:29], v[62:63], v[28:29]
	v_mov_b32_e32 v74, s38
	s_add_i32 s52, s5, 0xfffffa7c
	v_sub_f32_e32 v76, v49, v48
	ds_read2_b32 v[48:49], v51 offset1:1
	v_sub_f32_e32 v25, v97, v25
	v_mov_b32_e32 v39, s46
	v_sub_f32_e32 v68, v45, v44
	v_mov_b32_e32 v44, s45
	v_sub_f32_e32 v29, v75, v29
	v_pk_mul_f32 v[40:41], v[60:61], v[40:41]
	ds_read2_b32 v[74:75], v74 offset1:1
	v_mov_b32_e32 v51, s34
	s_add_i32 s31, s5, 0xfffffcb0
	s_add_i32 s27, s5, 0xfffffbe0
	;; [unrolled: 1-line block ×3, first 2 shown]
	v_sub_f32_e32 v77, v25, v24
	ds_read2_b32 v[24:25], v51 offset1:1
	v_fma_f32 v78, -v38, v78, v50
	ds_read2_b32 v[50:51], v39 offset1:1
	ds_read2_b32 v[44:45], v44 offset1:1
	v_mov_b32_e32 v39, s52
	v_sub_f32_e32 v41, v73, v41
	s_waitcnt lgkmcnt(7)
	v_pk_mul_f32 v[30:31], v[60:61], v[30:31]
	v_add_u32_e32 v65, 0xfffffc80, v58
	s_add_i32 s41, s5, 0xfffffb00
	ds_read2_b32 v[52:53], v39 offset1:1
	v_mov_b32_e32 v39, s31
	v_fma_f32 v36, -v38, v89, v36
	v_mov_b32_e32 v38, s33
	v_sub_f32_e32 v73, v41, v40
	v_mov_b32_e32 v40, s27
	v_sub_f32_e32 v31, v76, v31
	ds_write_b32 v65, v18
	ds_read2_b32 v[64:65], v39 offset1:1
	ds_read2_b32 v[38:39], v38 offset1:1
	;; [unrolled: 1-line block ×3, first 2 shown]
	v_sub_f32_e32 v79, v31, v30
	v_mov_b32_e32 v30, s41
	ds_read2_b32 v[30:31], v30 offset1:1
	s_add_i32 s44, s5, 0xfffffb64
	s_add_i32 s51, s5, 0xfffffa84
	v_fma_f32 v83, -v62, v88, v36
	v_mov_b32_e32 v36, s44
	s_add_i32 s16, s5, 0xfffffd98
	ds_read2_b32 v[66:67], v36 offset1:1
	v_mov_b32_e32 v36, s51
	s_waitcnt lgkmcnt(2)
	v_pk_mul_f32 v[40:41], v[60:61], v[40:41]
	s_add_i32 s24, s5, 0xfffffd2c
	v_pk_mul_f32 v[44:45], v[62:63], v[44:45]
	ds_read2_b32 v[62:63], v36 offset1:1
	v_mov_b32_e32 v36, s16
	v_sub_f32_e32 v41, v77, v41
	s_waitcnt lgkmcnt(2)
	v_pk_mul_f32 v[30:31], v[60:61], v[30:31]
	v_mul_f32_e32 v42, v42, v43
	v_mov_b32_e32 v43, v60
	v_add_u32_e32 v59, 0xfffffb30, v58
	s_add_i32 s28, s5, 0xfffffd24
	s_add_i32 s19, s5, 0xfffffcb8
	;; [unrolled: 1-line block ×9, first 2 shown]
	v_sub_f32_e32 v45, v80, v45
	v_sub_f32_e32 v84, v41, v40
	ds_read2_b32 v[40:41], v36 offset1:1
	v_mov_b32_e32 v36, s24
	v_sub_f32_e32 v31, v78, v31
	v_pk_mul_f32 v[20:21], v[42:43], v[20:21]
	s_add_i32 s21, s5, 0xfffffc4c
	v_mov_b32_e32 v6, s54
	v_mov_b32_e32 v14, s50
	;; [unrolled: 1-line block ×4, first 2 shown]
	v_sub_f32_e32 v82, v29, v28
	v_mov_b32_e32 v28, s28
	v_sub_f32_e32 v80, v45, v44
	v_mov_b32_e32 v44, s29
	v_sub_f32_e32 v78, v31, v30
	ds_read2_b32 v[30:31], v36 offset1:1
	v_mov_b32_e32 v36, s19
	v_fma_f32 v85, -v60, v26, v27
	ds_write_b32 v59, v60
	v_mov_b32_e32 v59, s36
	v_mov_b32_e32 v60, s39
	v_sub_f32_e32 v21, v81, v21
	ds_read2_b32 v[6:7], v6 offset1:1
	ds_read2_b32 v[14:15], v14 offset1:1
	;; [unrolled: 1-line block ×7, first 2 shown]
	v_mov_b32_e32 v36, s21
	ds_read2_b32 v[60:61], v60 offset1:1
	v_sub_f32_e32 v81, v21, v20
	ds_read2_b32 v[20:21], v59 offset1:1
	ds_read2_b32 v[76:77], v36 offset1:1
	v_add_u32_e32 v35, 0xfffffac0, v58
	s_add_i32 s20, s5, 0xfffffbd8
	ds_write_b32 v35, v42
	v_mov_b32_e32 v35, s20
	s_waitcnt lgkmcnt(3)
	v_pk_mul_f32 v[60:61], v[42:43], v[60:61]
	s_waitcnt lgkmcnt(2)
	v_pk_mul_f32 v[20:21], v[42:43], v[20:21]
	;; [unrolled: 2-line block ×3, first 2 shown]
	v_pk_mul_f32 v[30:31], v[42:43], v[30:31]
	v_mul_f32_e32 v36, v81, v37
	v_mov_b32_e32 v37, v42
	ds_read2_b32 v[42:43], v35 offset1:1
	v_sub_f32_e32 v31, v68, v31
	v_sub_f32_e32 v35, v31, v30
	v_pk_mul_f32 v[30:31], v[36:37], v[40:41]
	v_sub_f32_e32 v21, v80, v21
	v_sub_f32_e32 v31, v73, v31
	;; [unrolled: 1-line block ×3, first 2 shown]
	s_waitcnt lgkmcnt(0)
	v_pk_mul_f32 v[40:41], v[36:37], v[42:43]
	v_mul_f32_e32 v30, v30, v70
	v_mov_b32_e32 v31, v36
	v_pk_mul_f32 v[26:27], v[36:37], v[26:27]
	v_sub_f32_e32 v41, v84, v41
	v_sub_f32_e32 v42, v21, v20
	v_pk_mul_f32 v[20:21], v[36:37], v[74:75]
	v_pk_mul_f32 v[28:29], v[30:31], v[28:29]
	;; [unrolled: 1-line block ×3, first 2 shown]
	v_add_u32_e32 v33, 0xfffffa50, v58
	v_sub_f32_e32 v27, v79, v27
	v_sub_f32_e32 v21, v78, v21
	;; [unrolled: 1-line block ×4, first 2 shown]
	v_pk_mul_f32 v[40:41], v[30:31], v[66:67]
	v_sub_f32_e32 v23, v85, v23
	v_sub_f32_e32 v59, v83, v61
	;; [unrolled: 1-line block ×3, first 2 shown]
	ds_write_b32 v33, v36
	v_sub_f32_e32 v33, v27, v26
	v_pk_mul_f32 v[26:27], v[30:31], v[44:45]
	v_sub_f32_e32 v41, v42, v41
	v_sub_f32_e32 v42, v21, v20
	v_pk_mul_f32 v[20:21], v[30:31], v[62:63]
	v_sub_f32_e32 v31, v23, v22
	v_sub_f32_e32 v22, v29, v28
	;; [unrolled: 1-line block ×3, first 2 shown]
	v_mul_f32_e32 v22, v22, v72
	v_mov_b32_e32 v23, v30
	v_add_u32_e32 v47, 0xfffff9e0, v58
	v_sub_f32_e32 v43, v59, v60
	v_sub_f32_e32 v27, v61, v27
	v_pk_mul_f32 v[28:29], v[22:23], v[64:65]
	v_sub_f32_e32 v21, v43, v21
	ds_write_b32 v47, v30
	v_sub_f32_e32 v29, v33, v29
	v_sub_f32_e32 v30, v27, v26
	v_pk_mul_f32 v[26:27], v[22:23], v[38:39]
	v_pk_mul_f32 v[16:17], v[22:23], v[16:17]
	v_sub_f32_e32 v27, v35, v27
	v_sub_f32_e32 v35, v21, v20
	;; [unrolled: 1-line block ×3, first 2 shown]
	v_mul_f32_e32 v20, v20, v69
	v_mov_b32_e32 v21, v22
	v_pk_mul_f32 v[24:25], v[20:21], v[24:25]
	v_add_u32_e32 v55, 0xfffff970, v58
	v_sub_f32_e32 v25, v30, v25
	v_sub_f32_e32 v17, v31, v17
	v_pk_mul_f32 v[4:5], v[22:23], v[4:5]
	ds_write_b32 v55, v22
	v_sub_f32_e32 v22, v17, v16
	v_sub_f32_e32 v16, v25, v24
	;; [unrolled: 1-line block ×3, first 2 shown]
	v_mul_f32_e32 v16, v16, v56
	v_mov_b32_e32 v17, v20
	v_sub_f32_e32 v28, v27, v26
	v_sub_f32_e32 v29, v5, v4
	v_pk_mul_f32 v[4:5], v[20:21], v[52:53]
	v_pk_mul_f32 v[8:9], v[16:17], v[8:9]
	v_sub_f32_e32 v5, v35, v5
	v_sub_f32_e32 v9, v28, v9
	;; [unrolled: 1-line block ×3, first 2 shown]
	v_pk_mul_f32 v[26:27], v[20:21], v[50:51]
	v_sub_f32_e32 v24, v5, v4
	v_sub_f32_e32 v4, v9, v8
	;; [unrolled: 1-line block ×3, first 2 shown]
	v_mul_f32_e32 v4, v4, v57
	v_mov_b32_e32 v5, v16
	v_sub_f32_e32 v23, v27, v26
	v_pk_mul_f32 v[8:9], v[4:5], v[18:19]
	v_pk_mul_f32 v[12:13], v[16:17], v[12:13]
	v_add_u32_e32 v54, 0xfffff900, v58
	v_sub_f32_e32 v9, v23, v9
	v_pk_mul_f32 v[10:11], v[4:5], v[10:11]
	v_sub_f32_e32 v5, v22, v13
	ds_write_b32 v54, v20
	v_pk_mul_f32 v[20:21], v[16:17], v[48:49]
	v_sub_f32_e32 v12, v5, v12
	v_sub_f32_e32 v5, v9, v8
	v_add_u32_e32 v32, 0xfffff890, v58
	v_add_u32_e32 v34, 0xfffff820, v58
	v_sub_f32_e32 v21, v29, v21
	v_mul_f32_e32 v8, v5, v91
	v_mov_b32_e32 v9, v4
	ds_write_b32 v32, v16
	v_sub_f32_e32 v18, v21, v20
	ds_write_b32 v34, v4
	v_pk_mul_f32 v[4:5], v[8:9], v[14:15]
	v_sub_f32_e32 v11, v24, v11
	v_sub_f32_e32 v5, v18, v5
	;; [unrolled: 1-line block ×3, first 2 shown]
	v_mul_f32_e32 v4, v4, v92
	v_mov_b32_e32 v5, v8
	v_pk_mul_f32 v[2:3], v[8:9], v[2:3]
	v_add_u32_e32 v46, 0xfffff7b0, v58
	s_add_i32 s17, s5, 0xfffff9f8
	v_sub_f32_e32 v10, v11, v10
	v_pk_mul_f32 v[6:7], v[4:5], v[6:7]
	v_sub_f32_e32 v3, v12, v3
	ds_write_b32 v46, v8
	v_sub_f32_e32 v5, v10, v7
	v_sub_f32_e32 v8, v3, v2
	v_mov_b32_e32 v3, s17
	v_sub_f32_e32 v2, v5, v6
	ds_read2_b32 v[6:7], v3 offset1:1
	s_addk_i32 s5, 0xf9f4
	v_mov_b32_e32 v3, s5
	ds_read_b32 v5, v3
	v_add_u32_e32 v71, 0xfffff740, v58
	v_add_u32_e32 v96, 0xfffff6d0, v58
	v_mul_f32_e32 v2, v2, v95
	v_mov_b32_e32 v3, v4
	ds_write_b32 v71, v4
	ds_write_b32 v96, v2
	s_waitcnt lgkmcnt(3)
	v_pk_mul_f32 v[2:3], v[2:3], v[6:7]
	s_sub_i32 s4, s4, 24
	v_sub_f32_e32 v3, v8, v3
	v_sub_f32_e32 v2, v3, v2
	s_waitcnt lgkmcnt(2)
	v_mul_f32_e32 v2, v2, v5
	v_add_u32_e32 v3, 0xfffff660, v58
	ds_write_b32 v3, v2
.LBB33_82:
	s_cmp_lt_i32 s4, 0
	s_cbranch_scc1 .LBB33_95
; %bb.83:
	s_bitcmp1_b32 s4, 0
	s_cselect_b64 s[16:17], -1, 0
	s_and_b64 vcc, exec, s[16:17]
	s_mov_b32 s5, s4
	s_cbranch_vccnz .LBB33_88
; %bb.84:
	s_mul_i32 s5, s4, 0x70
	v_add_u32_e32 v3, s5, v1
	ds_read_b32 v2, v3
	s_cmp_le_i32 s7, s4
	s_cbranch_scc1 .LBB33_87
; %bb.85:
	s_lshl_b32 s16, s26, 2
	s_add_i32 s5, s5, s16
	s_mul_i32 s16, s26, 0x70
	v_lshl_add_u32 v4, v0, 2, s16
	s_add_i32 s5, s5, -4
	v_add_u32_e32 v4, 0xbd0, v4
	s_mov_b32 s16, s7
.LBB33_86:                              ; =>This Inner Loop Header: Depth=1
	v_mov_b32_e32 v6, s5
	ds_read_b32 v5, v4
	ds_read_b32 v6, v6
	s_add_i32 s16, s16, -1
	s_add_i32 s5, s5, -4
	v_add_u32_e32 v4, 0xffffff90, v4
	s_cmp_gt_i32 s16, s4
	s_waitcnt lgkmcnt(0)
	v_fma_f32 v2, -v5, v6, v2
	s_cbranch_scc1 .LBB33_86
.LBB33_87:
	s_mul_i32 s5, s4, 0x74
	v_mov_b32_e32 v4, s5
	ds_read_b32 v4, v4
	s_add_i32 s5, s4, -1
	s_waitcnt lgkmcnt(0)
	v_mul_f32_e32 v2, v2, v4
	ds_write_b32 v3, v2
.LBB33_88:
	s_cmp_eq_u32 s4, 0
	s_cbranch_scc1 .LBB33_95
; %bb.89:
	s_mul_i32 s4, s5, 0x70
	s_lshl_b32 s16, s26, 2
	s_mul_i32 s17, s26, 0x70
	s_add_i32 s16, s4, s16
	v_lshl_add_u32 v2, v0, 2, s17
	s_add_i32 s4, s16, -4
	v_add_u32_e32 v3, 0xbd0, v2
	s_addk_i32 s16, 0xff8c
	s_branch .LBB33_91
.LBB33_90:                              ;   in Loop: Header=BB33_91 Depth=1
	s_addk_i32 s17, 0xff8c
	v_mov_b32_e32 v2, s17
	ds_read_b32 v2, v2
	s_add_i32 s17, s5, -2
	s_addk_i32 s4, 0xff20
	s_addk_i32 s16, 0xff20
	s_cmp_lt_i32 s5, 2
	s_waitcnt lgkmcnt(0)
	v_mul_f32_e32 v2, v4, v2
	s_mov_b32 s5, s17
	ds_write_b32 v5, v2
	s_cbranch_scc1 .LBB33_95
.LBB33_91:                              ; =>This Loop Header: Depth=1
                                        ;     Child Loop BB33_92 Depth 2
                                        ;     Child Loop BB33_94 Depth 2
	s_mul_i32 s18, s5, 0x70
	v_add_u32_e32 v6, s18, v1
	ds_read_b32 v2, v6
	s_cmp_le_i32 s7, s5
	v_mov_b32_e32 v4, v3
	s_mov_b32 s17, s4
	s_mov_b32 s19, s7
	s_cbranch_scc1 .LBB33_93
.LBB33_92:                              ;   Parent Loop BB33_91 Depth=1
                                        ; =>  This Inner Loop Header: Depth=2
	v_mov_b32_e32 v7, s17
	ds_read_b32 v5, v4
	ds_read_b32 v7, v7
	s_add_i32 s19, s19, -1
	s_add_i32 s17, s17, -4
	v_add_u32_e32 v4, 0xffffff90, v4
	s_cmp_gt_i32 s19, s5
	s_waitcnt lgkmcnt(0)
	v_fma_f32 v2, -v5, v7, v2
	s_cbranch_scc1 .LBB33_92
.LBB33_93:                              ;   in Loop: Header=BB33_91 Depth=1
	s_mul_i32 s17, s5, 0x74
	v_mov_b32_e32 v4, s17
	ds_read_b32 v7, v4
	s_addk_i32 s18, 0xff90
	v_add_u32_e32 v5, s18, v1
	ds_read_b32 v4, v5
	s_cmp_le_i32 s26, s5
	s_waitcnt lgkmcnt(1)
	v_mul_f32_e32 v2, v2, v7
	ds_write_b32 v6, v2
	v_mov_b32_e32 v2, v3
	s_mov_b32 s18, s16
	s_mov_b32 s19, s26
	s_cbranch_scc1 .LBB33_90
.LBB33_94:                              ;   Parent Loop BB33_91 Depth=1
                                        ; =>  This Inner Loop Header: Depth=2
	v_mov_b32_e32 v7, s18
	ds_read_b32 v6, v2
	ds_read_b32 v7, v7
	s_add_i32 s19, s19, -1
	s_add_i32 s18, s18, -4
	v_add_u32_e32 v2, 0xffffff90, v2
	s_cmp_gt_i32 s19, s5
	s_waitcnt lgkmcnt(0)
	v_fma_f32 v4, -v6, v7, v4
	s_cbranch_scc1 .LBB33_94
	s_branch .LBB33_90
.LBB33_95:
	s_mov_b64 s[4:5], 0
.LBB33_96:
	s_and_b64 vcc, exec, s[4:5]
	s_cbranch_vccz .LBB33_110
; %bb.97:
	s_cmp_gt_i32 s6, 27
	s_cselect_b64 s[4:5], -1, 0
	s_mov_b32 s7, 0
	s_and_b64 vcc, exec, s[4:5]
	s_cbranch_vccz .LBB33_99
; %bb.98:
	ds_read2_b32 v[42:43], v1 offset1:28
	ds_read2_b32 v[40:41], v1 offset0:56 offset1:84
	ds_read2_b32 v[38:39], v1 offset0:112 offset1:140
	;; [unrolled: 1-line block ×3, first 2 shown]
	v_add_u32_e32 v64, 0x400, v1
	v_add_u32_e32 v63, 0x600, v1
	;; [unrolled: 1-line block ×3, first 2 shown]
	v_mov_b32_e32 v65, 0
	ds_read2_b32 v[34:35], v64 offset0:80 offset1:108
	ds_read2_b32 v[32:33], v64 offset0:136 offset1:164
	;; [unrolled: 1-line block ×8, first 2 shown]
	ds_read_b128 v[10:13], v65
	ds_read_b128 v[6:9], v65 offset:16
	ds_read2_b64 v[2:5], v65 offset0:29 offset1:30
	ds_read2_b32 v[46:47], v65 offset0:29 offset1:30
	ds_read2_b32 v[44:45], v65 offset0:31 offset1:32
	;; [unrolled: 1-line block ×3, first 2 shown]
	ds_read_b32 v80, v65 offset:220
	ds_read2_b32 v[66:67], v65 offset0:89 offset1:90
	ds_read2_b32 v[50:51], v65 offset0:91 offset1:92
	;; [unrolled: 1-line block ×6, first 2 shown]
	s_waitcnt lgkmcnt(12)
	v_mul_f32_e32 v42, v42, v10
	s_waitcnt lgkmcnt(10)
	v_mov_b32_e32 v60, v4
	s_waitcnt lgkmcnt(8)
	v_mov_b32_e32 v78, v44
	v_mov_b32_e32 v79, v3
	ds_read_b128 v[56:59], v65 offset:96
	v_mov_b32_e32 v44, v6
	s_waitcnt lgkmcnt(3)
	v_mov_b32_e32 v4, v68
	v_mov_b32_e32 v68, v8
	ds_read_b128 v[70:73], v65 offset:464
	ds_read_b128 v[14:17], v65 offset:480
	v_fma_f32 v3, -v42, v11, v43
	v_fma_f32 v81, -v42, v7, v39
	;; [unrolled: 1-line block ×3, first 2 shown]
	ds_read_b128 v[6:9], v65 offset:48
	v_mov_b32_e32 v74, v12
	v_mov_b32_e32 v75, v47
	v_mul_f32_e32 v43, v3, v46
	v_mov_b32_e32 v61, v31
	v_fma_f32 v31, -v42, v13, v41
	v_pk_mul_f32 v[10:11], v[42:43], v[74:75]
	v_pk_mul_f32 v[12:13], v[42:43], v[44:45]
	v_sub_f32_e32 v3, v40, v10
	v_sub_f32_e32 v10, v38, v12
	v_pk_mul_f32 v[38:39], v[42:43], v[68:69]
	v_sub_f32_e32 v3, v3, v11
	v_sub_f32_e32 v12, v36, v38
	;; [unrolled: 1-line block ×3, first 2 shown]
	ds_read_b128 v[44:47], v65 offset:64
	ds_read2_b32 v[10:11], v65 offset0:41 offset1:42
	v_sub_f32_e32 v83, v12, v39
	s_waitcnt lgkmcnt(2)
	v_fma_f32 v84, -v42, v6, v34
	v_fma_f32 v85, -v42, v7, v35
	ds_read2_b32 v[6:7], v65 offset0:43 offset1:44
	ds_read2_b32 v[12:13], v65 offset0:45 offset1:46
	ds_read2_b64 v[34:37], v65 offset0:35 offset1:36
	ds_read2_b32 v[38:39], v65 offset0:99 offset1:100
	v_mul_f32_e32 v41, v3, v2
	v_mov_b32_e32 v40, v43
	v_fma_f32 v8, -v42, v8, v32
	v_pk_mul_f32 v[2:3], v[40:41], v[78:79]
	s_waitcnt lgkmcnt(4)
	v_fma_f32 v11, -v43, v11, v8
	v_fma_f32 v8, -v42, v9, v33
	;; [unrolled: 1-line block ×3, first 2 shown]
	v_sub_f32_e32 v2, v31, v2
	s_waitcnt lgkmcnt(3)
	v_fma_f32 v32, -v43, v6, v8
	v_fma_f32 v6, -v42, v44, v28
	s_waitcnt lgkmcnt(2)
	v_fma_f32 v12, -v43, v12, v29
	v_sub_f32_e32 v29, v2, v3
	ds_read2_b32 v[2:3], v65 offset0:101 offset1:102
	v_fma_f32 v28, -v43, v7, v6
	ds_read_b128 v[6:9], v65 offset:512
	v_mul_f32_e32 v31, v29, v30
	v_mov_b32_e32 v30, v41
	s_waitcnt lgkmcnt(3)
	v_fma_f32 v86, -v41, v34, v11
	v_fma_f32 v11, -v41, v36, v28
	v_pk_mul_f32 v[28:29], v[30:31], v[60:61]
	v_fma_f32 v87, -v41, v35, v32
	v_fma_f32 v12, -v41, v37, v12
	ds_read2_b64 v[34:37], v65 offset0:37 offset1:38
	v_sub_f32_e32 v28, v68, v28
	v_sub_f32_e32 v28, v28, v29
	s_waitcnt lgkmcnt(2)
	v_fma_f32 v2, -v31, v2, v12
	v_mul_f32_e32 v33, v28, v70
	s_waitcnt lgkmcnt(1)
	v_fma_f32 v69, -v33, v7, v2
	v_fma_f32 v2, -v42, v46, v26
	;; [unrolled: 1-line block ×4, first 2 shown]
	s_waitcnt lgkmcnt(0)
	v_fma_f32 v2, -v41, v34, v2
	ds_read_b128 v[74:77], v65 offset:80
	v_fma_f32 v70, -v33, v6, v11
	v_fma_f32 v6, -v31, v3, v2
	ds_read2_b32 v[2:3], v65 offset0:47 offset1:48
	ds_read2_b32 v[12:13], v65 offset0:103 offset1:104
	;; [unrolled: 1-line block ×3, first 2 shown]
	v_fma_f32 v11, -v33, v8, v6
	v_fma_f32 v6, -v42, v47, v27
	ds_read2_b32 v[78:79], v65 offset0:105 offset1:106
	s_waitcnt lgkmcnt(3)
	v_fma_f32 v2, -v43, v2, v6
	v_fma_f32 v2, -v41, v35, v2
	s_waitcnt lgkmcnt(2)
	v_fma_f32 v2, -v31, v12, v2
	v_fma_f32 v2, -v33, v9, v2
	ds_read2_b64 v[6:9], v65 offset0:31 offset1:32
	v_pk_mul_f32 v[4:5], v[40:41], v[4:5]
	v_fma_f32 v26, -v42, v75, v25
	v_sub_f32_e32 v4, v81, v4
	v_fma_f32 v76, -v42, v76, v22
	s_waitcnt lgkmcnt(0)
	v_mov_b32_e32 v75, v7
	v_mov_b32_e32 v7, v67
	v_sub_f32_e32 v22, v4, v5
	v_pk_mul_f32 v[4:5], v[30:31], v[6:7]
	v_fma_f32 v12, -v42, v74, v24
	v_sub_f32_e32 v4, v83, v4
	v_sub_f32_e32 v24, v4, v5
	ds_read2_b32 v[4:5], v65 offset0:145 offset1:146
	v_mov_b32_e32 v67, v71
	v_mov_b32_e32 v32, v31
	v_pk_mul_f32 v[6:7], v[32:33], v[66:67]
	v_fma_f32 v77, -v42, v77, v23
	v_sub_f32_e32 v6, v22, v6
	v_sub_f32_e32 v6, v6, v7
	v_mov_b32_e32 v7, v73
	v_fma_f32 v81, -v42, v56, v20
	v_fma_f32 v83, -v42, v57, v21
	;; [unrolled: 1-line block ×4, first 2 shown]
	v_mov_b32_e32 v22, v33
	ds_read_b128 v[18:21], v65 offset:528
	s_waitcnt lgkmcnt(1)
	v_mov_b32_e32 v73, v5
	v_mul_f32_e32 v23, v6, v4
	v_pk_mul_f32 v[4:5], v[22:23], v[72:73]
	ds_read2_b32 v[34:35], v65 offset0:147 offset1:148
	ds_read2_b32 v[28:29], v65 offset0:157 offset1:158
	v_sub_f32_e32 v4, v24, v4
	ds_read2_b32 v[24:25], v65 offset0:159 offset1:160
	v_fma_f32 v3, -v43, v3, v12
	v_fma_f32 v3, -v41, v36, v3
	v_sub_f32_e32 v6, v4, v5
	v_fma_f32 v12, -v31, v13, v3
	s_waitcnt lgkmcnt(0)
	v_fma_f32 v13, -v23, v24, v2
	ds_read2_b64 v[2:5], v65 offset0:87 offset1:88
	ds_read2_b64 v[44:47], v65 offset0:93 offset1:94
	v_fma_f32 v24, -v43, v60, v26
	ds_read2_b32 v[26:27], v65 offset0:161 offset1:162
	v_fma_f32 v24, -v41, v37, v24
	v_fma_f32 v12, -v33, v18, v12
	;; [unrolled: 1-line block ×3, first 2 shown]
	s_waitcnt lgkmcnt(2)
	v_mul_f32_e32 v25, v6, v2
	v_fma_f32 v2, -v31, v78, v24
	v_fma_f32 v2, -v33, v19, v2
	v_mov_b32_e32 v74, v54
	s_waitcnt lgkmcnt(1)
	v_fma_f32 v18, -v25, v45, v13
	v_fma_f32 v36, -v25, v46, v12
	s_waitcnt lgkmcnt(0)
	v_fma_f32 v2, -v23, v26, v2
	v_pk_mul_f32 v[12:13], v[40:41], v[74:75]
	v_fma_f32 v19, -v25, v47, v2
	v_sub_f32_e32 v2, v82, v12
	v_mov_b32_e32 v6, v50
	v_sub_f32_e32 v2, v2, v13
	v_pk_mul_f32 v[6:7], v[32:33], v[6:7]
	v_fma_f32 v11, -v23, v29, v11
	v_sub_f32_e32 v2, v2, v6
	v_fma_f32 v11, -v25, v44, v11
	v_sub_f32_e32 v12, v2, v7
	v_mov_b32_e32 v2, v34
	v_mov_b32_e32 v24, v23
	ds_read2_b32 v[6:7], v65 offset0:203 offset1:204
	ds_read2_b64 v[44:47], v65 offset0:107 offset1:108
	v_pk_mul_f32 v[2:3], v[24:25], v[2:3]
	v_mov_b32_e32 v50, v8
	v_sub_f32_e32 v2, v12, v2
	v_sub_f32_e32 v2, v2, v3
	s_waitcnt lgkmcnt(1)
	v_mul_f32_e32 v29, v2, v6
	s_waitcnt lgkmcnt(0)
	v_fma_f32 v39, -v29, v44, v11
	v_fma_f32 v66, -v29, v45, v18
	;; [unrolled: 1-line block ×4, first 2 shown]
	ds_read2_b64 v[44:47], v65 offset0:39 offset1:40
	ds_read2_b32 v[12:13], v65 offset0:51 offset1:52
	ds_read2_b32 v[18:19], v65 offset0:53 offset1:54
	v_fma_f32 v6, -v43, v61, v76
	ds_read2_b32 v[2:3], v65 offset0:107 offset1:108
	ds_read_b128 v[56:59], v65 offset:32
	s_waitcnt lgkmcnt(4)
	v_fma_f32 v6, -v41, v44, v6
	v_fma_f32 v6, -v31, v79, v6
	;; [unrolled: 1-line block ×3, first 2 shown]
	s_waitcnt lgkmcnt(3)
	v_fma_f32 v6, -v43, v12, v77
	v_fma_f32 v6, -v41, v45, v6
	s_waitcnt lgkmcnt(1)
	v_fma_f32 v2, -v31, v2, v6
	ds_read2_b32 v[36:37], v65 offset0:109 offset1:110
	v_fma_f32 v2, -v33, v21, v2
	v_fma_f32 v6, -v43, v13, v81
	ds_read2_b32 v[12:13], v1 offset0:224 offset1:252
	ds_read2_b32 v[20:21], v64 offset0:24 offset1:52
	s_waitcnt lgkmcnt(3)
	v_mov_b32_e32 v54, v56
	v_fma_f32 v72, -v41, v46, v6
	v_fma_f32 v6, -v43, v18, v83
	v_mov_b32_e32 v8, v52
	v_mov_b32_e32 v52, v58
	v_pk_mul_f32 v[54:55], v[42:43], v[54:55]
	v_fma_f32 v73, -v41, v47, v6
	s_waitcnt lgkmcnt(1)
	v_fma_f32 v6, -v42, v57, v13
	v_sub_f32_e32 v11, v12, v54
	v_pk_mul_f32 v[12:13], v[42:43], v[52:53]
	ds_read2_b64 v[44:47], v65 offset0:33 offset1:34
	v_sub_f32_e32 v26, v11, v55
	s_waitcnt lgkmcnt(1)
	v_sub_f32_e32 v11, v20, v12
	v_fma_f32 v18, -v42, v59, v21
	ds_read2_b32 v[58:59], v65 offset0:149 offset1:150
	v_sub_f32_e32 v56, v11, v13
	ds_read2_b32 v[12:13], v65 offset0:39 offset1:40
	ds_read2_b32 v[52:53], v65 offset0:151 offset1:152
	v_mov_b32_e32 v34, v14
	v_mov_b32_e32 v14, v48
	s_waitcnt lgkmcnt(3)
	v_mov_b32_e32 v48, v44
	s_waitcnt lgkmcnt(1)
	v_mov_b32_e32 v44, v12
	ds_read2_b32 v[20:21], v65 offset0:95 offset1:96
	v_pk_mul_f32 v[44:45], v[40:41], v[44:45]
	v_fma_f32 v60, -v43, v10, v85
	v_sub_f32_e32 v18, v18, v44
	v_sub_f32_e32 v78, v18, v45
	ds_read_b64 v[44:45], v65 offset:328
	v_mov_b32_e32 v54, v4
	v_mov_b32_e32 v4, v58
	;; [unrolled: 1-line block ×3, first 2 shown]
	s_waitcnt lgkmcnt(1)
	v_mov_b32_e32 v16, v20
	v_mov_b32_e32 v20, v46
	v_fma_f32 v75, -v41, v47, v60
	v_pk_mul_f32 v[46:47], v[30:31], v[50:51]
	v_pk_mul_f32 v[8:9], v[40:41], v[8:9]
	v_sub_f32_e32 v18, v26, v46
	v_sub_f32_e32 v81, v18, v47
	v_fma_f32 v18, -v43, v19, v88
	s_waitcnt lgkmcnt(0)
	v_fma_f32 v82, -v41, v44, v18
	v_fma_f32 v18, -v43, v80, v89
	;; [unrolled: 1-line block ×3, first 2 shown]
	v_pk_mul_f32 v[18:19], v[30:31], v[48:49]
	v_sub_f32_e32 v6, v6, v8
	v_sub_f32_e32 v18, v56, v18
	v_fma_f32 v57, -v43, v13, v84
	ds_read_b128 v[10:13], v65 offset:544
	ds_read2_b32 v[50:51], v65 offset0:97 offset1:98
	v_sub_f32_e32 v74, v6, v9
	v_mov_b32_e32 v55, v7
	ds_read2_b64 v[6:9], v65 offset0:89 offset1:90
	ds_write2_b32 v1, v42, v43 offset1:28
	ds_write2_b32 v1, v41, v31 offset0:56 offset1:84
	v_sub_f32_e32 v80, v18, v19
	v_pk_mul_f32 v[18:19], v[30:31], v[20:21]
	ds_read2_b32 v[40:41], v65 offset0:205 offset1:206
	ds_read2_b32 v[42:43], v65 offset0:207 offset1:208
	ds_read_b128 v[46:49], v65 offset:496
	ds_read2_b32 v[76:77], v65 offset0:153 offset1:154
	v_sub_f32_e32 v18, v57, v18
	v_sub_f32_e32 v30, v18, v19
	ds_read_b128 v[18:21], v65 offset:928
	v_pk_mul_f32 v[14:15], v[32:33], v[14:15]
	s_waitcnt lgkmcnt(4)
	v_mov_b32_e32 v26, v40
	v_mov_b32_e32 v40, v6
	;; [unrolled: 1-line block ×3, first 2 shown]
	s_waitcnt lgkmcnt(2)
	v_mov_b32_e32 v52, v46
	v_mov_b32_e32 v46, v50
	v_fma_f32 v38, -v31, v38, v87
	v_pk_mul_f32 v[16:17], v[32:33], v[16:17]
	v_sub_f32_e32 v14, v74, v14
	s_waitcnt lgkmcnt(0)
	v_mov_b32_e32 v44, v20
	v_mov_b32_e32 v20, v42
	;; [unrolled: 1-line block ×5, first 2 shown]
	v_fma_f32 v84, -v33, v49, v38
	v_pk_mul_f32 v[48:49], v[32:33], v[46:47]
	v_sub_f32_e32 v85, v14, v15
	v_sub_f32_e32 v14, v78, v16
	v_fma_f32 v83, -v31, v51, v86
	v_sub_f32_e32 v86, v14, v17
	v_sub_f32_e32 v14, v75, v48
	;; [unrolled: 1-line block ×3, first 2 shown]
	v_pk_mul_f32 v[14:15], v[22:23], v[34:35]
	ds_read2_b32 v[34:35], v65 offset0:111 offset1:167
	v_sub_f32_e32 v14, v81, v14
	v_sub_f32_e32 v87, v14, v15
	v_pk_mul_f32 v[14:15], v[22:23], v[58:59]
	ds_read2_b32 v[60:61], v65 offset0:163 offset1:164
	ds_read2_b32 v[46:47], v65 offset0:165 offset1:166
	;; [unrolled: 1-line block ×3, first 2 shown]
	v_sub_f32_e32 v14, v80, v14
	v_sub_f32_e32 v58, v14, v15
	v_mov_b32_e32 v14, 0x41c
	ds_read2_b32 v[50:51], v14 offset1:1
	v_fma_f32 v14, -v31, v36, v73
	v_fma_f32 v15, -v31, v37, v82
	ds_read2_b32 v[56:57], v65 offset0:209 offset1:210
	v_fma_f32 v3, -v31, v3, v72
	v_fma_f32 v36, -v33, v11, v14
	;; [unrolled: 1-line block ×3, first 2 shown]
	ds_read_b128 v[72:75], v65 offset:944
	ds_read2_b64 v[14:17], v65 offset0:91 offset1:92
	v_fma_f32 v3, -v33, v10, v3
	s_waitcnt lgkmcnt(7)
	v_fma_f32 v10, -v31, v34, v45
	v_fma_f32 v45, -v33, v13, v10
	v_pk_mul_f32 v[10:11], v[22:23], v[52:53]
	v_pk_mul_f32 v[4:5], v[24:25], v[4:5]
	v_sub_f32_e32 v10, v30, v10
	v_pk_mul_f32 v[6:7], v[24:25], v[6:7]
	v_sub_f32_e32 v4, v85, v4
	v_sub_f32_e32 v34, v10, v11
	s_waitcnt lgkmcnt(3)
	v_mov_b32_e32 v48, v50
	s_waitcnt lgkmcnt(1)
	v_mov_b32_e32 v50, v72
	v_mov_b32_e32 v72, v56
	v_pk_mul_f32 v[10:11], v[22:23], v[76:77]
	s_waitcnt lgkmcnt(0)
	v_mov_b32_e32 v56, v14
	v_mov_b32_e32 v14, v78
	v_pk_mul_f32 v[8:9], v[24:25], v[8:9]
	v_sub_f32_e32 v85, v4, v5
	v_sub_f32_e32 v4, v86, v6
	ds_write2_b32 v1, v33, v23 offset0:112 offset1:140
	v_sub_f32_e32 v10, v83, v10
	v_mov_b32_e32 v22, 0x424
	v_pk_mul_f32 v[14:15], v[24:25], v[14:15]
	v_sub_f32_e32 v86, v4, v7
	v_sub_f32_e32 v4, v49, v8
	;; [unrolled: 1-line block ×3, first 2 shown]
	ds_read2_b64 v[10:13], v65 offset0:145 offset1:146
	ds_read2_b32 v[52:53], v22 offset1:1
	v_fma_f32 v89, -v23, v79, v70
	ds_read2_b32 v[32:33], v65 offset0:211 offset1:212
	ds_read2_b64 v[76:79], v65 offset0:95 offset1:96
	v_fma_f32 v22, -v23, v28, v69
	v_sub_f32_e32 v91, v4, v9
	v_sub_f32_e32 v4, v84, v14
	v_mov_b32_e32 v28, v25
	v_sub_f32_e32 v84, v4, v15
	v_pk_mul_f32 v[4:5], v[28:29], v[54:55]
	v_fma_f32 v2, -v23, v60, v2
	v_sub_f32_e32 v4, v87, v4
	v_sub_f32_e32 v87, v4, v5
	v_pk_mul_f32 v[4:5], v[28:29], v[40:41]
	v_fma_f32 v90, -v25, v17, v22
	v_sub_f32_e32 v4, v58, v4
	v_sub_f32_e32 v22, v4, v5
	v_fma_f32 v3, -v23, v61, v3
	s_waitcnt lgkmcnt(0)
	v_fma_f32 v5, -v25, v77, v2
	v_fma_f32 v2, -v23, v46, v36
	;; [unrolled: 1-line block ×5, first 2 shown]
	v_pk_mul_f32 v[2:3], v[28:29], v[42:43]
	ds_read2_b64 v[80:83], v65 offset0:109 offset1:110
	v_sub_f32_e32 v2, v34, v2
	v_sub_f32_e32 v24, v2, v3
	v_pk_mul_f32 v[2:3], v[28:29], v[56:57]
	v_mov_b32_e32 v6, 0x504
	v_mov_b32_e32 v7, 0x5e4
	;; [unrolled: 1-line block ×4, first 2 shown]
	v_sub_f32_e32 v2, v59, v2
	v_mov_b32_e32 v38, v12
	v_mov_b32_e32 v12, v52
	;; [unrolled: 1-line block ×5, first 2 shown]
	ds_read_b128 v[14:17], v65 offset:960
	ds_read2_b32 v[40:41], v6 offset1:1
	ds_read2_b32 v[30:31], v7 offset1:1
	ds_read2_b64 v[6:9], v65 offset0:147 offset1:148
	v_fma_f32 v4, -v25, v76, v4
	ds_read2_b32 v[76:77], v65 offset0:213 offset1:214
	ds_read2_b32 v[36:37], v36 offset1:1
	ds_read2_b32 v[42:43], v49 offset1:1
	v_sub_f32_e32 v49, v2, v3
	v_mov_b32_e32 v2, 0x434
	ds_read2_b32 v[54:55], v2 offset1:1
	v_pk_mul_f32 v[2:3], v[28:29], v[32:33]
	s_waitcnt lgkmcnt(8)
	v_fma_f32 v59, -v29, v80, v4
	v_sub_f32_e32 v2, v89, v2
	v_fma_f32 v71, -v29, v81, v5
	v_sub_f32_e32 v60, v2, v3
	ds_read_b128 v[2:5], v65 offset:1392
	s_waitcnt lgkmcnt(1)
	v_mov_b32_e32 v55, v9
	v_mov_b32_e32 v9, v43
	v_mul_f32_e32 v43, v87, v18
	v_fma_f32 v70, -v29, v82, v27
	s_waitcnt lgkmcnt(0)
	v_mov_b32_e32 v28, v4
	v_mov_b32_e32 v4, v42
	v_mov_b32_e32 v42, v29
	v_mov_b32_e32 v27, v19
	v_pk_mul_f32 v[18:19], v[42:43], v[20:21]
	v_pk_mul_f32 v[20:21], v[42:43], v[72:73]
	v_sub_f32_e32 v18, v86, v18
	v_pk_mul_f32 v[74:75], v[42:43], v[74:75]
	v_pk_mul_f32 v[26:27], v[42:43], v[26:27]
	v_sub_f32_e32 v61, v18, v19
	v_sub_f32_e32 v18, v91, v20
	v_mov_b32_e32 v77, v15
	v_mov_b32_e32 v34, v40
	;; [unrolled: 1-line block ×6, first 2 shown]
	v_sub_f32_e32 v26, v85, v26
	v_sub_f32_e32 v72, v18, v21
	;; [unrolled: 1-line block ×3, first 2 shown]
	ds_read2_b32 v[32:33], v32 offset1:1
	v_sub_f32_e32 v57, v26, v27
	ds_read2_b32 v[26:27], v36 offset1:1
	v_mov_b32_e32 v36, 0x514
	v_sub_f32_e32 v73, v18, v75
	v_pk_mul_f32 v[18:19], v[42:43], v[76:77]
	v_mov_b32_e32 v15, v37
	ds_read2_b32 v[36:37], v36 offset1:1
	v_sub_f32_e32 v18, v90, v18
	v_fma_f32 v69, -v29, v83, v46
	s_waitcnt lgkmcnt(0)
	v_mov_b32_e32 v37, 0x414
	v_sub_f32_e32 v84, v18, v19
	ds_read2_b64 v[18:21], v65 offset0:97 offset1:111
	ds_read2_b32 v[82:83], v37 offset1:1
	v_fma_f32 v42, -v23, v47, v88
	v_fma_f32 v23, -v23, v35, v45
	ds_write2_b32 v1, v25, v29 offset0:168 offset1:196
	s_waitcnt lgkmcnt(2)
	v_fma_f32 v18, -v25, v18, v42
	v_fma_f32 v19, -v25, v19, v23
	ds_read2_b64 v[74:77], v65 offset0:149 offset1:150
	v_fma_f32 v35, -v29, v20, v18
	v_fma_f32 v85, -v29, v21, v19
	ds_read2_b64 v[78:81], v65 offset0:135 offset1:136
	ds_read_b128 v[18:21], v65 offset:976
	s_waitcnt lgkmcnt(4)
	v_mul_f32_e32 v57, v57, v82
	v_mov_b32_e32 v46, 0x5f4
	v_mov_b32_e32 v56, 0x6d4
	;; [unrolled: 1-line block ×3, first 2 shown]
	s_waitcnt lgkmcnt(0)
	v_fma_f32 v18, -v43, v18, v68
	v_fma_f32 v82, -v57, v80, v18
	;; [unrolled: 1-line block ×4, first 2 shown]
	ds_read2_b32 v[46:47], v46 offset1:1
	ds_read2_b32 v[18:19], v56 offset1:1
	v_mov_b32_e32 v56, v43
	v_pk_mul_f32 v[80:81], v[56:57], v[14:15]
	v_pk_mul_f32 v[14:15], v[56:57], v[44:45]
	v_mov_b32_e32 v58, v74
	v_sub_f32_e32 v14, v22, v14
	s_waitcnt lgkmcnt(0)
	v_sub_f32_e32 v19, v14, v15
	v_pk_mul_f32 v[22:23], v[56:57], v[50:51]
	v_mul_f32_e32 v51, v19, v10
	v_sub_f32_e32 v22, v24, v22
	v_mov_b32_e32 v50, v57
	v_sub_f32_e32 v83, v22, v23
	v_pk_mul_f32 v[22:23], v[56:57], v[52:53]
	v_pk_mul_f32 v[6:7], v[50:51], v[6:7]
	v_sub_f32_e32 v22, v49, v22
	v_mov_b32_e32 v49, v11
	v_sub_f32_e32 v6, v73, v6
	v_pk_mul_f32 v[48:49], v[50:51], v[48:49]
	v_sub_f32_e32 v37, v6, v7
	v_pk_mul_f32 v[6:7], v[50:51], v[54:55]
	v_mov_b32_e32 v74, v79
	v_mov_b32_e32 v79, v78
	v_mov_b32_e32 v78, v16
	v_sub_f32_e32 v19, v61, v48
	v_sub_f32_e32 v6, v84, v6
	v_pk_mul_f32 v[44:45], v[56:57], v[78:79]
	v_sub_f32_e32 v52, v19, v49
	v_mov_b32_e32 v19, 0x51c
	v_sub_f32_e32 v29, v6, v7
	v_mov_b32_e32 v6, 0x4fc
	v_sub_f32_e32 v11, v39, v44
	ds_read2_b32 v[48:49], v19 offset1:1
	ds_read2_b32 v[6:7], v6 offset1:1
	v_sub_f32_e32 v56, v11, v45
	v_pk_mul_f32 v[44:45], v[50:51], v[12:13]
	v_fma_f32 v68, -v43, v17, v66
	v_sub_f32_e32 v19, v72, v44
	v_sub_f32_e32 v47, v19, v45
	v_pk_mul_f32 v[44:45], v[50:51], v[74:75]
	v_sub_f32_e32 v86, v22, v23
	v_sub_f32_e32 v39, v68, v44
	;; [unrolled: 1-line block ×3, first 2 shown]
	v_fma_f32 v19, -v51, v77, v67
	v_sub_f32_e32 v67, v39, v45
	s_waitcnt lgkmcnt(0)
	v_mov_b32_e32 v39, v7
	v_mul_f32_e32 v61, v52, v6
	v_mov_b32_e32 v60, v51
	ds_read2_b64 v[10:13], v65 offset0:137 offset1:138
	ds_read_b128 v[72:75], v65 offset:992
	v_pk_mul_f32 v[6:7], v[60:61], v[8:9]
	v_pk_mul_f32 v[8:9], v[60:61], v[38:39]
	s_movk_i32 s7, 0x400
	v_mov_b32_e32 v44, 0x5fc
	v_mov_b32_e32 v45, 0x6dc
	v_sub_f32_e32 v8, v83, v8
	v_add_u32_e64 v84, s7, 0
	ds_read_b128 v[14:17], v65 offset:1408
	ds_read_b32 v66, v65 offset:3132
	v_sub_f32_e32 v80, v22, v81
	ds_read2_b64 v[22:25], v65 offset0:151 offset1:152
	v_mov_b32_e32 v50, 0x7bc
	v_sub_f32_e32 v81, v8, v9
	ds_read2_b32 v[52:53], v44 offset1:1
	ds_read2_b32 v[44:45], v45 offset1:1
	v_pk_mul_f32 v[8:9], v[60:61], v[40:41]
	ds_read2_b32 v[40:41], v84 offset0:70 offset1:79
	ds_read2_b32 v[38:39], v50 offset1:1
	v_fma_f32 v20, -v43, v20, v59
	s_waitcnt lgkmcnt(8)
	v_fma_f32 v20, -v57, v10, v20
	s_waitcnt lgkmcnt(7)
	v_fma_f32 v10, -v43, v72, v70
	v_fma_f32 v21, -v43, v21, v71
	s_waitcnt lgkmcnt(1)
	v_mov_b32_e32 v59, v40
	v_fma_f32 v12, -v57, v12, v10
	v_fma_f32 v10, -v43, v73, v69
	;; [unrolled: 1-line block ×4, first 2 shown]
	v_pk_mul_f32 v[10:11], v[60:61], v[58:59]
	v_mov_b32_e32 v42, v16
	v_mov_b32_e32 v16, v48
	v_mov_b32_e32 v48, v76
	v_sub_f32_e32 v10, v56, v10
	v_sub_f32_e32 v8, v86, v8
	;; [unrolled: 1-line block ×3, first 2 shown]
	v_pk_mul_f32 v[10:11], v[60:61], v[48:49]
	v_sub_f32_e32 v6, v80, v6
	v_sub_f32_e32 v10, v82, v10
	;; [unrolled: 1-line block ×3, first 2 shown]
	v_mov_b32_e32 v10, 0x524
	v_sub_f32_e32 v83, v8, v9
	v_sub_f32_e32 v80, v6, v7
	ds_read2_b64 v[6:9], v65 offset0:205 offset1:206
	ds_read_b128 v[76:79], v65 offset:1440
	ds_read_b128 v[68:71], v65 offset:1424
	ds_read2_b32 v[10:11], v10 offset1:1
	v_fma_f32 v20, -v51, v22, v20
	s_waitcnt lgkmcnt(3)
	v_mov_b32_e32 v40, v6
	v_mov_b32_e32 v6, v52
	v_fma_f32 v24, -v51, v24, v12
	v_fma_f32 v25, -v51, v25, v13
	s_waitcnt lgkmcnt(1)
	v_mov_b32_e32 v52, v68
	s_waitcnt lgkmcnt(0)
	v_mov_b32_e32 v68, v10
	v_fma_f32 v82, -v61, v11, v20
	ds_read2_b64 v[10:13], v65 offset0:139 offset1:153
	v_mov_b32_e32 v20, 0x604
	ds_write2_b32 v1, v43, v57 offset0:224 offset1:252
	v_fma_f32 v22, -v51, v23, v21
	v_fma_f32 v21, -v43, v74, v35
	v_mov_b32_e32 v35, 0x6e4
	ds_read2_b32 v[54:55], v20 offset1:1
	ds_read2_b32 v[48:49], v35 offset1:1
	v_mov_b32_e32 v20, 0x52c
	s_waitcnt lgkmcnt(3)
	v_fma_f32 v10, -v57, v10, v21
	ds_read2_b32 v[20:21], v20 offset1:1
	v_fma_f32 v23, -v43, v75, v85
	v_mov_b32_e32 v35, v3
	v_mov_b32_e32 v3, 0x60c
	v_fma_f32 v11, -v57, v11, v23
	ds_read2_b32 v[72:73], v3 offset1:1
	s_waitcnt lgkmcnt(1)
	v_fma_f32 v74, -v61, v20, v22
	v_mov_b32_e32 v20, 0x534
	v_fma_f32 v43, -v51, v12, v10
	v_fma_f32 v50, -v51, v13, v11
	ds_read2_b64 v[10:13], v65 offset0:203 offset1:204
	ds_read2_b32 v[22:23], v20 offset1:1
	v_mov_b32_e32 v58, v61
	v_mul_f32_e32 v59, v81, v2
	v_pk_mul_f32 v[2:3], v[58:59], v[4:5]
	v_pk_mul_f32 v[4:5], v[58:59], v[34:35]
	v_mov_b32_e32 v20, 0x89c
	s_waitcnt lgkmcnt(0)
	v_fma_f32 v25, -v61, v22, v25
	v_fma_f32 v43, -v61, v23, v43
	v_mov_b32_e32 v22, 0x6ec
	v_mov_b32_e32 v23, 0x7cc
	v_sub_f32_e32 v4, v47, v4
	ds_write2_b32 v64, v51, v61 offset0:24 offset1:52
	v_fma_f32 v24, -v61, v21, v24
	ds_read2_b32 v[20:21], v20 offset1:1
	ds_read2_b32 v[56:57], v22 offset1:1
	v_fma_f32 v41, -v61, v41, v50
	ds_read2_b32 v[50:51], v23 offset1:1
	v_mov_b32_e32 v22, 0x8ac
	v_sub_f32_e32 v61, v4, v5
	v_mov_b32_e32 v4, 0x98c
	v_sub_f32_e32 v2, v37, v2
	;; [unrolled: 2-line block ×3, first 2 shown]
	ds_read2_b32 v[34:35], v22 offset1:1
	ds_read2_b32 v[22:23], v4 offset1:1
	v_fma_f32 v85, -v59, v76, v24
	v_fma_f32 v87, -v59, v77, v25
	ds_read_b128 v[2:5], v65 offset:1856
	v_pk_mul_f32 v[24:25], v[58:59], v[36:37]
	v_pk_mul_f32 v[16:17], v[58:59], v[16:17]
	v_sub_f32_e32 v15, v29, v24
	v_sub_f32_e32 v37, v15, v25
	;; [unrolled: 1-line block ×4, first 2 shown]
	v_fma_f32 v88, -v59, v71, v74
	v_pk_mul_f32 v[16:17], v[58:59], v[68:69]
	ds_read2_b32 v[74:75], v84 offset0:126 offset1:135
	v_sub_f32_e32 v15, v19, v16
	v_sub_f32_e32 v89, v15, v17
	ds_read_b64 v[16:17], v65 offset:3016
	s_waitcnt lgkmcnt(2)
	v_mov_b32_e32 v36, v4
	v_mov_b32_e32 v4, v44
	;; [unrolled: 1-line block ×6, first 2 shown]
	v_mul_f32_e32 v71, v61, v30
	v_mov_b32_e32 v70, v59
	v_pk_mul_f32 v[14:15], v[70:71], v[14:15]
	v_mov_b32_e32 v47, 0xa6c
	v_sub_f32_e32 v14, v80, v14
	v_fma_f32 v78, -v59, v78, v43
	v_mov_b32_e32 v29, v31
	s_waitcnt lgkmcnt(1)
	v_mov_b32_e32 v43, v74
	v_sub_f32_e32 v80, v14, v15
	v_mov_b32_e32 v14, 0x614
	ds_read2_b32 v[24:25], v47 offset1:1
	ds_read2_b32 v[76:77], v14 offset1:1
	v_pk_mul_f32 v[28:29], v[70:71], v[28:29]
	v_pk_mul_f32 v[14:15], v[70:71], v[42:43]
	v_mov_b32_e32 v69, v11
	v_sub_f32_e32 v11, v83, v28
	v_sub_f32_e32 v14, v86, v14
	;; [unrolled: 1-line block ×3, first 2 shown]
	ds_read2_b32 v[28:29], v84 offset0:163 offset1:182
	v_sub_f32_e32 v83, v14, v15
	v_pk_mul_f32 v[14:15], v[70:71], v[52:53]
	v_fma_f32 v79, -v59, v79, v41
	v_mov_b32_e32 v68, v32
	ds_read_b128 v[30:33], v65 offset:1872
	ds_write2_b32 v64, v59, v71 offset0:80 offset1:108
	v_sub_f32_e32 v14, v60, v14
	ds_read2_b64 v[58:61], v65 offset0:207 offset1:208
	v_mov_b32_e32 v52, v71
	v_mul_f32_e32 v53, v11, v10
	v_sub_f32_e32 v84, v14, v15
	v_pk_mul_f32 v[14:15], v[70:71], v[54:55]
	v_pk_mul_f32 v[10:11], v[52:53], v[68:69]
	v_mov_b32_e32 v47, v13
	s_waitcnt lgkmcnt(3)
	v_mov_b32_e32 v41, v29
	v_sub_f32_e32 v14, v82, v14
	v_mov_b32_e32 v29, 0x684
	v_sub_f32_e32 v10, v81, v10
	v_sub_f32_e32 v15, v14, v15
	v_mov_b32_e32 v14, v38
	s_waitcnt lgkmcnt(2)
	v_mov_b32_e32 v38, v30
	v_mov_b32_e32 v30, v48
	s_waitcnt lgkmcnt(0)
	v_mov_b32_e32 v48, v58
	v_mov_b32_e32 v58, v72
	v_fma_f32 v72, -v71, v76, v87
	ds_read_b32 v76, v65 offset:1788
	ds_read2_b32 v[42:43], v29 offset1:1
	v_sub_f32_e32 v29, v10, v11
	v_pk_mul_f32 v[10:11], v[52:53], v[46:47]
	v_mov_b32_e32 v13, v27
	v_mov_b32_e32 v27, 0x828
	;; [unrolled: 1-line block ×3, first 2 shown]
	v_sub_f32_e32 v10, v37, v10
	v_pk_mul_f32 v[46:47], v[52:53], v[6:7]
	ds_read2_b32 v[68:69], v61 offset1:1
	v_sub_f32_e32 v37, v10, v11
	v_pk_mul_f32 v[10:11], v[52:53], v[8:9]
	ds_read2_b64 v[6:9], v27 offset1:1
	v_sub_f32_e32 v27, v67, v46
	v_sub_f32_e32 v67, v27, v47
	v_mov_b32_e32 v27, 0x7c4
	v_fma_f32 v82, -v71, v73, v85
	v_fma_f32 v73, -v71, v77, v78
	;; [unrolled: 1-line block ×3, first 2 shown]
	ds_read2_b32 v[70:71], v27 offset1:1
	v_sub_f32_e32 v10, v89, v10
	v_sub_f32_e32 v79, v10, v11
	v_pk_mul_f32 v[10:11], v[52:53], v[58:59]
	v_mov_b32_e32 v19, v3
	v_sub_f32_e32 v10, v88, v10
	v_mov_b32_e32 v3, 0x7b4
	v_sub_f32_e32 v81, v10, v11
	v_mov_b32_e32 v10, 0x984
	v_mov_b32_e32 v54, 0x6f4
	s_waitcnt lgkmcnt(1)
	v_mov_b32_e32 v52, v8
	s_waitcnt lgkmcnt(0)
	v_mov_b32_e32 v8, v70
	v_mov_b32_e32 v70, v32
	;; [unrolled: 1-line block ×4, first 2 shown]
	ds_read2_b32 v[56:57], v3 offset1:1
	v_fma_f32 v85, -v53, v42, v72
	v_fma_f32 v77, -v53, v43, v73
	ds_read2_b32 v[72:73], v10 offset1:1
	v_mov_b32_e32 v3, 0x8a4
	ds_read2_b32 v[54:55], v54 offset1:1
	ds_read2_b32 v[58:59], v3 offset1:1
	v_fma_f32 v3, -v53, v28, v74
	v_mul_f32_e32 v75, v29, v26
	v_mov_b32_e32 v74, v53
	v_pk_mul_f32 v[42:43], v[74:75], v[12:13]
	v_pk_mul_f32 v[40:41], v[74:75], v[40:41]
	v_pk_mul_f32 v[46:47], v[74:75], v[48:49]
	v_pk_mul_f32 v[44:45], v[74:75], v[44:45]
	v_mov_b32_e32 v10, 0x838
	v_sub_f32_e32 v42, v80, v42
	v_sub_f32_e32 v40, v83, v40
	;; [unrolled: 1-line block ×4, first 2 shown]
	ds_read2_b64 v[10:13], v10 offset1:1
	ds_write2_b32 v64, v53, v75 offset0:136 offset1:164
	v_sub_f32_e32 v53, v42, v43
	v_sub_f32_e32 v80, v40, v41
	ds_read_b128 v[40:43], v65 offset:2320
	v_sub_f32_e32 v49, v44, v45
	v_sub_f32_e32 v83, v15, v47
	ds_read_b128 v[44:47], v65 offset:1888
	v_mov_b32_e32 v26, 0x9f8
	v_pk_mul_f32 v[60:61], v[74:75], v[60:61]
	ds_read2_b64 v[26:29], v26 offset1:1
	v_sub_f32_e32 v15, v82, v60
	s_waitcnt lgkmcnt(5)
	v_mov_b32_e32 v48, v58
	s_waitcnt lgkmcnt(4)
	v_mov_b32_e32 v58, v10
	v_mov_b32_e32 v10, v50
	s_waitcnt lgkmcnt(1)
	v_mov_b32_e32 v50, v44
	v_mov_b32_e32 v44, v54
	v_fma_f32 v84, -v75, v55, v77
	v_mul_f32_e32 v55, v53, v2
	v_mov_b32_e32 v54, v75
	v_sub_f32_e32 v82, v15, v61
	v_fma_f32 v15, -v75, v76, v3
	v_pk_mul_f32 v[2:3], v[54:55], v[18:19]
	v_pk_mul_f32 v[74:75], v[54:55], v[30:31]
	v_sub_f32_e32 v2, v37, v2
	v_sub_f32_e32 v53, v2, v3
	v_pk_mul_f32 v[60:61], v[54:55], v[32:33]
	v_mov_b32_e32 v78, v42
	v_mov_b32_e32 v42, v34
	;; [unrolled: 1-line block ×5, first 2 shown]
	v_fma_f32 v86, -v55, v47, v15
	v_mov_b32_e32 v37, v57
	v_mov_b32_e32 v15, 0x8b4
	v_sub_f32_e32 v46, v79, v74
	v_mul_f32_e32 v57, v53, v56
	v_mov_b32_e32 v56, v55
	ds_read_b128 v[30:33], v65 offset:2336
	v_pk_mul_f32 v[76:77], v[54:55], v[4:5]
	v_pk_mul_f32 v[18:19], v[54:55], v[44:45]
	ds_read_b128 v[2:5], v65 offset:2784
	v_sub_f32_e32 v87, v46, v75
	ds_read2_b32 v[74:75], v15 offset1:1
	v_sub_f32_e32 v15, v81, v60
	v_pk_mul_f32 v[36:37], v[56:57], v[36:37]
	s_movk_i32 s7, 0x800
	v_sub_f32_e32 v44, v67, v76
	v_sub_f32_e32 v81, v15, v61
	;; [unrolled: 1-line block ×5, first 2 shown]
	v_mov_b32_e32 v44, 0x994
	v_mov_b32_e32 v45, 0xa74
	;; [unrolled: 1-line block ×3, first 2 shown]
	v_sub_f32_e32 v85, v15, v19
	v_add_u32_e64 v15, s7, 0
	v_sub_f32_e32 v53, v36, v37
	v_pk_mul_f32 v[36:37], v[56:57], v[38:39]
	ds_read2_b32 v[60:61], v44 offset1:1
	ds_read2_b32 v[76:77], v45 offset1:1
	;; [unrolled: 1-line block ×3, first 2 shown]
	ds_write2_b32 v64, v55, v57 offset0:192 offset1:220
	ds_read2_b64 v[44:47], v15 offset0:9 offset1:65
	v_mov_b32_e32 v15, 0x7dc
	v_mov_b32_e32 v64, 0x8bc
	;; [unrolled: 1-line block ×3, first 2 shown]
	v_sub_f32_e32 v36, v49, v36
	v_pk_mul_f32 v[38:39], v[56:57], v[68:69]
	v_pk_mul_f32 v[50:51], v[56:57], v[50:51]
	v_pk_mul_f32 v[54:55], v[56:57], v[70:71]
	v_mov_b32_e32 v56, v57
	v_mul_f32_e32 v57, v53, v6
	v_sub_f32_e32 v80, v36, v37
	v_mov_b32_e32 v49, 0xa7c
	ds_read2_b32 v[36:37], v15 offset1:1
	ds_read2_b32 v[64:65], v64 offset1:1
	v_mov_b32_e32 v15, v7
	v_pk_mul_f32 v[6:7], v[56:57], v[8:9]
	ds_read2_b32 v[8:9], v79 offset1:1
	ds_read2_b32 v[68:69], v49 offset1:1
	s_waitcnt lgkmcnt(2)
	v_mov_b32_e32 v65, v33
	s_waitcnt lgkmcnt(0)
	v_mov_b32_e32 v69, v5
	v_sub_f32_e32 v5, v83, v54
	v_mov_b32_e32 v33, 0xb5c
	v_sub_f32_e32 v5, v5, v55
	ds_read2_b32 v[54:55], v33 offset1:1
	v_sub_f32_e32 v33, v82, v50
	v_sub_f32_e32 v33, v33, v51
	v_mov_b32_e32 v51, v25
	v_sub_f32_e32 v25, v84, v38
	v_pk_mul_f32 v[14:15], v[56:57], v[14:15]
	v_sub_f32_e32 v25, v25, v39
	v_mov_b32_e32 v39, v3
	v_sub_f32_e32 v3, v67, v14
	v_sub_f32_e32 v3, v3, v15
	v_pk_mul_f32 v[10:11], v[56:57], v[10:11]
	v_mov_b32_e32 v53, v21
	v_mul_f32_e32 v21, v3, v20
	v_mov_b32_e32 v20, v57
	v_mov_b32_e32 v37, v45
	v_pk_mul_f32 v[12:13], v[56:57], v[12:13]
	v_sub_f32_e32 v6, v87, v6
	v_sub_f32_e32 v10, v81, v10
	v_pk_mul_f32 v[52:53], v[20:21], v[52:53]
	v_mov_b32_e32 v15, v27
	v_mov_b32_e32 v49, v41
	v_sub_f32_e32 v12, v85, v12
	v_sub_f32_e32 v3, v80, v52
	;; [unrolled: 1-line block ×3, first 2 shown]
	v_pk_mul_f32 v[6:7], v[20:21], v[58:59]
	v_sub_f32_e32 v41, v10, v11
	v_pk_mul_f32 v[10:11], v[20:21], v[34:35]
	v_mov_b32_e32 v45, v75
	v_pk_mul_f32 v[34:35], v[56:57], v[36:37]
	v_sub_f32_e32 v5, v5, v6
	v_sub_f32_e32 v10, v33, v10
	;; [unrolled: 1-line block ×3, first 2 shown]
	v_pk_mul_f32 v[12:13], v[20:21], v[44:45]
	v_sub_f32_e32 v6, v86, v34
	v_sub_f32_e32 v3, v3, v53
	;; [unrolled: 1-line block ×4, first 2 shown]
	v_mul_f32_e32 v35, v3, v40
	v_mov_b32_e32 v34, v21
	ds_write2_b32 v63, v57, v21 offset0:120 offset1:148
	v_pk_mul_f32 v[20:21], v[34:35], v[48:49]
	v_mov_b32_e32 v14, v22
	v_sub_f32_e32 v3, v27, v20
	v_mov_b32_e32 v22, v30
	v_mov_b32_e32 v30, v74
	v_sub_f32_e32 v3, v3, v21
	v_mov_b32_e32 v79, v73
	v_sub_f32_e32 v27, v10, v11
	v_pk_mul_f32 v[10:11], v[34:35], v[30:31]
	v_sub_f32_e32 v30, v12, v13
	v_mul_f32_e32 v13, v3, v72
	v_mov_b32_e32 v12, v35
	v_sub_f32_e32 v5, v5, v7
	v_pk_mul_f32 v[6:7], v[34:35], v[42:43]
	v_pk_mul_f32 v[20:21], v[12:13], v[78:79]
	v_sub_f32_e32 v6, v41, v6
	v_sub_f32_e32 v3, v5, v20
	;; [unrolled: 1-line block ×4, first 2 shown]
	v_pk_mul_f32 v[6:7], v[12:13], v[22:23]
	v_mov_b32_e32 v33, v61
	v_pk_mul_f32 v[22:23], v[34:35], v[64:65]
	v_sub_f32_e32 v3, v3, v21
	v_sub_f32_e32 v6, v27, v6
	;; [unrolled: 1-line block ×3, first 2 shown]
	v_pk_mul_f32 v[10:11], v[12:13], v[32:33]
	v_sub_f32_e32 v12, v25, v22
	v_mul_f32_e32 v21, v3, v26
	v_mov_b32_e32 v20, v13
	v_sub_f32_e32 v22, v12, v23
	ds_write2_b32 v62, v35, v13 offset0:48 offset1:76
	v_pk_mul_f32 v[12:13], v[20:21], v[14:15]
	v_sub_f32_e32 v10, v30, v10
	v_sub_f32_e32 v3, v5, v12
	;; [unrolled: 1-line block ×3, first 2 shown]
	v_mov_b32_e32 v50, v28
	v_sub_f32_e32 v14, v10, v11
	v_mul_f32_e32 v11, v3, v24
	v_mov_b32_e32 v10, v21
	v_sub_f32_e32 v5, v6, v7
	v_pk_mul_f32 v[12:13], v[10:11], v[50:51]
	v_mov_b32_e32 v9, v47
	v_mov_b32_e32 v28, v60
	v_sub_f32_e32 v3, v5, v12
	v_pk_mul_f32 v[6:7], v[20:21], v[28:29]
	v_pk_mul_f32 v[8:9], v[20:21], v[8:9]
	v_sub_f32_e32 v3, v3, v13
	v_mov_b32_e32 v38, v76
	v_sub_f32_e32 v6, v27, v6
	v_mov_b32_e32 v47, v77
	v_sub_f32_e32 v8, v22, v8
	v_mul_f32_e32 v3, v3, v2
	v_mov_b32_e32 v2, v11
	v_sub_f32_e32 v5, v6, v7
	v_pk_mul_f32 v[6:7], v[10:11], v[46:47]
	v_sub_f32_e32 v10, v8, v9
	v_pk_mul_f32 v[8:9], v[2:3], v[38:39]
	v_sub_f32_e32 v6, v14, v6
	v_sub_f32_e32 v5, v5, v8
	;; [unrolled: 1-line block ×4, first 2 shown]
	v_mul_f32_e32 v7, v5, v18
	v_mov_b32_e32 v6, v3
	v_mov_b32_e32 v5, v19
	v_pk_mul_f32 v[4:5], v[6:7], v[4:5]
	ds_write2_b32 v62, v3, v7 offset0:160 offset1:188
	v_sub_f32_e32 v4, v8, v4
	v_pk_mul_f32 v[8:9], v[2:3], v[68:69]
	s_waitcnt lgkmcnt(3)
	v_mov_b32_e32 v55, v17
	v_sub_f32_e32 v2, v10, v8
	v_sub_f32_e32 v6, v2, v9
	;; [unrolled: 1-line block ×3, first 2 shown]
	v_mul_f32_e32 v3, v2, v16
	v_mov_b32_e32 v2, v7
	v_pk_mul_f32 v[4:5], v[2:3], v[54:55]
	s_mov_b32 s7, 28
	v_sub_f32_e32 v2, v6, v4
	v_sub_f32_e32 v2, v2, v5
	v_mul_f32_e32 v2, v2, v66
	ds_write2_b32 v62, v21, v11 offset0:104 offset1:132
	ds_write2_b32 v62, v3, v2 offset0:216 offset1:244
.LBB33_99:
	s_cmp_lt_i32 s7, s26
	s_cbranch_scc0 .LBB33_110
; %bb.100:
	s_add_i32 s16, s7, 23
	s_cmp_ge_u32 s16, s26
	s_cbranch_scc1 .LBB33_105
; %bb.101:
	s_mul_i32 s17, s7, 0x70
	v_add_u32_e32 v64, s17, v1
	ds_read2_b32 v[18:19], v64 offset1:28
	ds_read2_b32 v[38:39], v64 offset0:56 offset1:84
	ds_read2_b32 v[28:29], v64 offset0:112 offset1:140
	;; [unrolled: 1-line block ×4, first 2 shown]
	v_add_u32_e32 v2, 0x400, v64
	ds_read2_b32 v[24:25], v2 offset0:24 offset1:52
	ds_read2_b32 v[42:43], v2 offset0:80 offset1:108
	;; [unrolled: 1-line block ×4, first 2 shown]
	v_add_u32_e32 v2, 0x600, v64
	ds_read2_b32 v[34:35], v2 offset0:120 offset1:148
	v_add_u32_e32 v2, 0x800, v64
	ds_read2_b32 v[32:33], v2 offset0:48 offset1:76
	ds_read2_b32 v[30:31], v2 offset0:104 offset1:132
	s_andn2_b64 vcc, exec, s[4:5]
	s_lshl_b32 s4, s7, 2
	s_cbranch_vccnz .LBB33_104
; %bb.102:
	v_mov_b32_e32 v2, 0xc40
	v_lshl_add_u32 v2, v0, 2, v2
	s_mov_b32 s5, s4
	s_mov_b32 s18, s7
.LBB33_103:                             ; =>This Inner Loop Header: Depth=1
	v_mov_b32_e32 v3, s5
	ds_read_b32 v16, v2
	ds_read_b128 v[4:7], v3
	ds_read_b128 v[8:11], v3 offset:16
	ds_read_b128 v[12:15], v3 offset:32
	ds_read_b128 v[44:47], v3 offset:48
	ds_read_b128 v[48:51], v3 offset:64
	ds_read_b128 v[52:55], v3 offset:80
	s_add_i32 s18, s18, -1
	s_addk_i32 s5, 0x70
	v_add_u32_e32 v2, 0x70, v2
	s_cmp_lg_u32 s18, 0
	s_waitcnt lgkmcnt(5)
	v_pk_fma_f32 v[18:19], v[16:17], v[4:5], v[18:19] op_sel_hi:[0,1,1] neg_lo:[1,0,0] neg_hi:[1,0,0]
	v_pk_fma_f32 v[38:39], v[16:17], v[6:7], v[38:39] op_sel_hi:[0,1,1] neg_lo:[1,0,0] neg_hi:[1,0,0]
	s_waitcnt lgkmcnt(4)
	v_pk_fma_f32 v[28:29], v[16:17], v[8:9], v[28:29] op_sel_hi:[0,1,1] neg_lo:[1,0,0] neg_hi:[1,0,0]
	v_pk_fma_f32 v[26:27], v[16:17], v[10:11], v[26:27] op_sel_hi:[0,1,1] neg_lo:[1,0,0] neg_hi:[1,0,0]
	s_waitcnt lgkmcnt(3)
	v_pk_fma_f32 v[22:23], v[16:17], v[12:13], v[22:23] op_sel_hi:[0,1,1] neg_lo:[1,0,0] neg_hi:[1,0,0]
	v_pk_fma_f32 v[24:25], v[16:17], v[14:15], v[24:25] op_sel_hi:[0,1,1] neg_lo:[1,0,0] neg_hi:[1,0,0]
	s_waitcnt lgkmcnt(2)
	v_pk_fma_f32 v[42:43], v[16:17], v[44:45], v[42:43] op_sel_hi:[0,1,1] neg_lo:[1,0,0] neg_hi:[1,0,0]
	v_pk_fma_f32 v[40:41], v[16:17], v[46:47], v[40:41] op_sel_hi:[0,1,1] neg_lo:[1,0,0] neg_hi:[1,0,0]
	s_waitcnt lgkmcnt(1)
	v_pk_fma_f32 v[36:37], v[16:17], v[48:49], v[36:37] op_sel_hi:[0,1,1] neg_lo:[1,0,0] neg_hi:[1,0,0]
	v_pk_fma_f32 v[34:35], v[16:17], v[50:51], v[34:35] op_sel_hi:[0,1,1] neg_lo:[1,0,0] neg_hi:[1,0,0]
	s_waitcnt lgkmcnt(0)
	v_pk_fma_f32 v[32:33], v[16:17], v[52:53], v[32:33] op_sel_hi:[0,1,1] neg_lo:[1,0,0] neg_hi:[1,0,0]
	v_pk_fma_f32 v[30:31], v[16:17], v[54:55], v[30:31] op_sel_hi:[0,1,1] neg_lo:[1,0,0] neg_hi:[1,0,0]
	s_cbranch_scc1 .LBB33_103
.LBB33_104:
	s_add_i32 s5, s4, s17
	v_mov_b32_e32 v65, s5
	s_add_i32 s18, s17, 0x70
	ds_read_b128 v[68:71], v65
	ds_read_b128 v[6:9], v65 offset:16
	ds_read_b128 v[14:17], v65 offset:48
	s_add_i32 s20, s4, s18
	ds_read2_b32 v[52:53], v65 offset0:29 offset1:30
	ds_read2_b64 v[10:13], v65 offset0:29 offset1:30
	v_mov_b32_e32 v66, s20
	ds_read2_b32 v[54:55], v66 offset0:3 offset1:4
	s_waitcnt lgkmcnt(5)
	v_mul_f32_e32 v48, v18, v68
	v_fma_f32 v49, -v48, v69, v19
	v_mov_b32_e32 v56, v70
	s_waitcnt lgkmcnt(2)
	v_mov_b32_e32 v57, v53
	v_mul_f32_e32 v49, v49, v52
	v_fma_f32 v67, -v48, v14, v42
	v_fma_f32 v82, -v48, v15, v43
	v_pk_mul_f32 v[14:15], v[48:49], v[56:57]
	s_waitcnt lgkmcnt(0)
	v_mov_b32_e32 v60, v54
	v_mov_b32_e32 v54, v6
	;; [unrolled: 1-line block ×3, first 2 shown]
	v_sub_f32_e32 v12, v38, v14
	v_sub_f32_e32 v12, v12, v15
	v_pk_mul_f32 v[14:15], v[48:49], v[54:55]
	ds_read2_b32 v[50:51], v66 offset0:5 offset1:6
	ds_read2_b32 v[44:45], v66 offset0:7 offset1:8
	;; [unrolled: 1-line block ×3, first 2 shown]
	v_mov_b32_e32 v61, v11
	ds_read2_b32 v[58:59], v65 offset0:87 offset1:88
	ds_read_b128 v[2:5], v65 offset:464
	v_sub_f32_e32 v14, v28, v14
	v_mul_f32_e32 v43, v12, v10
	v_mov_b32_e32 v42, v49
	v_fma_f32 v11, -v48, v71, v39
	v_sub_f32_e32 v28, v14, v15
	v_pk_mul_f32 v[14:15], v[42:43], v[60:61]
	s_waitcnt lgkmcnt(1)
	v_mov_b32_e32 v63, v59
	v_sub_f32_e32 v10, v11, v14
	v_sub_f32_e32 v10, v10, v15
	v_mul_f32_e32 v39, v10, v58
	v_mov_b32_e32 v38, v43
	s_add_i32 s19, s17, 0xe0
	v_pk_mul_f32 v[10:11], v[38:39], v[62:63]
	s_add_i32 s20, s4, s19
	v_sub_f32_e32 v10, v28, v10
	v_mov_b32_e32 v6, s20
	ds_read_b128 v[18:21], v65 offset:32
	v_sub_f32_e32 v12, v10, v11
	ds_read2_b32 v[10:11], v66 offset0:15 offset1:16
	v_fma_f32 v28, -v48, v16, v40
	v_fma_f32 v52, -v48, v17, v41
	ds_read_b128 v[14:17], v65 offset:64
	ds_read2_b32 v[40:41], v66 offset0:17 offset1:18
	ds_read2_b32 v[72:73], v66 offset0:13 offset1:14
	ds_read2_b64 v[56:59], v6 offset0:7 offset1:8
	ds_read2_b64 v[60:63], v6 offset0:5 offset1:6
	s_waitcnt lgkmcnt(5)
	v_fma_f32 v10, -v49, v10, v52
	s_add_i32 s27, s17, 0x150
	s_waitcnt lgkmcnt(4)
	v_fma_f32 v14, -v48, v14, v36
	s_add_i32 s20, s4, s27
	s_waitcnt lgkmcnt(1)
	v_fma_f32 v89, -v43, v57, v10
	v_fma_f32 v10, -v48, v15, v37
	;; [unrolled: 1-line block ×3, first 2 shown]
	v_mov_b32_e32 v83, s20
	v_fma_f32 v14, -v49, v73, v28
	v_fma_f32 v10, -v49, v40, v10
	s_add_i32 s25, s17, 0x1c0
	ds_read_b128 v[52:55], v65 offset:80
	ds_read2_b32 v[74:75], v66 offset0:11 offset1:12
	v_fma_f32 v88, -v43, v56, v14
	v_fma_f32 v14, -v43, v58, v11
	;; [unrolled: 1-line block ×3, first 2 shown]
	ds_read2_b32 v[10:11], v83 offset0:17 offset1:18
	v_fma_f32 v16, -v48, v16, v34
	ds_read2_b64 v[56:59], v6 offset0:9 offset1:10
	s_add_i32 s20, s4, s25
	v_fma_f32 v16, -v49, v41, v16
	ds_read2_b32 v[36:37], v83 offset0:19 offset1:20
	ds_read2_b32 v[40:41], v83 offset0:21 offset1:22
	;; [unrolled: 1-line block ×3, first 2 shown]
	v_mov_b32_e32 v90, s20
	ds_read_b128 v[68:71], v90 offset:64
	s_waitcnt lgkmcnt(5)
	v_fma_f32 v34, -v39, v10, v15
	s_waitcnt lgkmcnt(4)
	v_fma_f32 v10, -v43, v56, v16
	v_fma_f32 v28, -v48, v17, v35
	v_fma_f32 v56, -v39, v11, v10
	s_waitcnt lgkmcnt(1)
	v_fma_f32 v10, -v39, v77, v14
	v_mul_f32_e32 v35, v12, v2
	ds_read_b64 v[78:79], v6 offset:88
	ds_read_b128 v[14:17], v90 offset:48
	s_waitcnt lgkmcnt(2)
	v_fma_f32 v77, -v35, v68, v10
	ds_read2_b32 v[10:11], v66 offset0:19 offset1:20
	v_mov_b32_e32 v12, v50
	v_mov_b32_e32 v50, v8
	v_fma_f32 v91, -v35, v69, v34
	ds_read2_b32 v[68:69], v83 offset0:5 offset1:6
	ds_read2_b32 v[80:81], v66 offset0:21 offset1:22
	s_waitcnt lgkmcnt(2)
	v_fma_f32 v2, -v49, v10, v28
	v_fma_f32 v2, -v43, v57, v2
	;; [unrolled: 1-line block ×4, first 2 shown]
	v_pk_mul_f32 v[8:9], v[48:49], v[50:51]
	v_fma_f32 v36, -v35, v71, v2
	v_fma_f32 v2, -v48, v7, v29
	v_sub_f32_e32 v7, v26, v8
	v_sub_f32_e32 v26, v7, v9
	v_fma_f32 v7, -v48, v52, v32
	v_fma_f32 v7, -v49, v11, v7
	;; [unrolled: 1-line block ×4, first 2 shown]
	s_waitcnt lgkmcnt(0)
	v_fma_f32 v7, -v49, v80, v7
	v_fma_f32 v56, -v35, v70, v56
	;; [unrolled: 1-line block ×3, first 2 shown]
	ds_read2_b64 v[6:9], v6 offset0:3 offset1:4
	ds_read_b32 v93, v83 offset:92
	v_pk_mul_f32 v[12:13], v[42:43], v[12:13]
	v_fma_f32 v94, -v48, v54, v30
	v_sub_f32_e32 v2, v2, v12
	v_sub_f32_e32 v12, v2, v13
	v_mov_b32_e32 v2, v68
	s_waitcnt lgkmcnt(1)
	v_mov_b32_e32 v68, v6
	v_pk_mul_f32 v[10:11], v[38:39], v[68:69]
	v_fma_f32 v95, -v48, v55, v31
	v_sub_f32_e32 v6, v26, v10
	v_sub_f32_e32 v6, v6, v11
	ds_read2_b32 v[10:11], v65 offset0:145 offset1:146
	ds_read2_b64 v[30:33], v65 offset0:87 offset1:88
	v_mov_b32_e32 v34, v39
	v_pk_mul_f32 v[2:3], v[34:35], v[2:3]
	s_add_i32 s21, s17, 0x230
	v_sub_f32_e32 v2, v12, v2
	v_sub_f32_e32 v2, v2, v3
	s_waitcnt lgkmcnt(1)
	v_mul_f32_e32 v3, v2, v10
	v_mov_b32_e32 v10, v4
	v_mov_b32_e32 v2, v35
	s_add_i32 s20, s4, s21
	v_pk_mul_f32 v[10:11], v[2:3], v[10:11]
	v_mov_b32_e32 v96, s20
	v_sub_f32_e32 v4, v6, v10
	ds_read2_b32 v[26:27], v96 offset0:19 offset1:20
	v_sub_f32_e32 v4, v4, v11
	v_fma_f32 v6, -v39, v37, v28
	ds_read2_b32 v[10:11], v96 offset0:21 offset1:22
	ds_read2_b32 v[28:29], v96 offset0:17 offset1:18
	s_add_i32 s20, s17, 0x310
	ds_read_b128 v[50:53], v90 offset:80
	ds_read2_b32 v[58:59], v96 offset0:15 offset1:16
	s_add_i32 s24, s4, s20
	v_mov_b32_e32 v97, s24
	s_add_i32 s24, s17, 0x2a0
	s_add_i32 s28, s4, s24
	v_mov_b32_e32 v98, s28
	ds_read2_b32 v[12:13], v97 offset0:9 offset1:10
	s_waitcnt lgkmcnt(3)
	v_fma_f32 v29, -v3, v29, v56
	ds_read2_b64 v[54:57], v98 offset0:9 offset1:10
	s_waitcnt lgkmcnt(3)
	v_fma_f32 v6, -v35, v50, v6
	v_fma_f32 v6, -v3, v27, v6
	v_mul_f32_e32 v27, v4, v30
	v_fma_f32 v4, -v39, v40, v70
	v_fma_f32 v4, -v35, v51, v4
	;; [unrolled: 1-line block ×4, first 2 shown]
	s_waitcnt lgkmcnt(0)
	v_fma_f32 v99, -v27, v54, v29
	v_fma_f32 v100, -v27, v55, v26
	;; [unrolled: 1-line block ×4, first 2 shown]
	v_mov_b32_e32 v6, v44
	v_mov_b32_e32 v44, v18
	ds_read2_b32 v[36:37], v83 offset0:7 offset1:8
	ds_read2_b32 v[50:51], v83 offset0:9 offset1:10
	;; [unrolled: 1-line block ×4, first 2 shown]
	v_fma_f32 v10, -v48, v19, v23
	v_fma_f32 v23, -v48, v21, v25
	;; [unrolled: 1-line block ×3, first 2 shown]
	ds_read2_b32 v[72:73], v96 offset0:9 offset1:10
	ds_read2_b32 v[82:83], v96 offset0:11 offset1:12
	ds_read2_b32 v[84:85], v96 offset0:13 offset1:14
	ds_read2_b32 v[86:87], v96 offset0:7 offset1:8
	ds_read_b128 v[54:57], v90 offset:32
	ds_read_b32 v21, v66 offset:92
	s_waitcnt lgkmcnt(9)
	v_mov_b32_e32 v4, v36
	v_mov_b32_e32 v36, v8
	;; [unrolled: 1-line block ×4, first 2 shown]
	v_fma_f32 v20, -v49, v81, v94
	v_pk_mul_f32 v[6:7], v[42:43], v[6:7]
	v_fma_f32 v25, -v43, v78, v20
	v_add_u32_e32 v20, s19, v1
	s_waitcnt lgkmcnt(2)
	v_mov_b32_e32 v80, v86
	s_waitcnt lgkmcnt(1)
	v_mov_b32_e32 v86, v54
	v_mov_b32_e32 v54, v50
	;; [unrolled: 1-line block ×4, first 2 shown]
	v_pk_mul_f32 v[8:9], v[42:43], v[8:9]
	s_waitcnt lgkmcnt(0)
	v_fma_f32 v21, -v49, v21, v95
	ds_write_b32 v20, v43
	v_add_u32_e32 v20, s18, v1
	v_sub_f32_e32 v6, v92, v6
	v_fma_f32 v26, -v43, v63, v18
	v_pk_mul_f32 v[18:19], v[42:43], v[60:61]
	v_fma_f32 v29, -v43, v79, v21
	ds_write_b32 v20, v49
	ds_write_b32 v64, v48
	v_pk_mul_f32 v[20:21], v[48:49], v[46:47]
	v_pk_mul_f32 v[42:43], v[48:49], v[44:45]
	v_sub_f32_e32 v46, v6, v7
	v_sub_f32_e32 v6, v10, v8
	;; [unrolled: 1-line block ×7, first 2 shown]
	v_pk_mul_f32 v[6:7], v[38:39], v[36:37]
	v_sub_f32_e32 v20, v24, v20
	v_sub_f32_e32 v6, v22, v6
	;; [unrolled: 1-line block ×4, first 2 shown]
	v_pk_mul_f32 v[6:7], v[38:39], v[50:51]
	v_mov_b32_e32 v30, v32
	v_sub_f32_e32 v6, v20, v6
	v_mov_b32_e32 v32, v72
	v_mov_b32_e32 v72, v56
	;; [unrolled: 1-line block ×4, first 2 shown]
	v_sub_f32_e32 v37, v6, v7
	v_add_u32_e32 v6, s27, v1
	v_fma_f32 v40, -v49, v75, v67
	ds_write_b32 v6, v39
	v_pk_mul_f32 v[6:7], v[38:39], v[68:69]
	v_fma_f32 v47, -v39, v76, v89
	v_fma_f32 v48, -v39, v41, v25
	;; [unrolled: 1-line block ×4, first 2 shown]
	v_sub_f32_e32 v6, v40, v6
	ds_read2_b64 v[38:41], v98 offset0:5 offset1:6
	ds_read_b128 v[18:21], v65 offset:928
	v_sub_f32_e32 v68, v6, v7
	ds_read2_b64 v[42:45], v98 offset0:7 offset1:8
	ds_read2_b32 v[6:7], v97 offset0:11 offset1:12
	ds_read2_b32 v[50:51], v65 offset0:203 offset1:204
	s_waitcnt lgkmcnt(4)
	v_mov_b32_e32 v9, v41
	s_waitcnt lgkmcnt(3)
	v_mov_b32_e32 v22, v20
	v_pk_mul_f32 v[24:25], v[34:35], v[56:57]
	s_waitcnt lgkmcnt(1)
	v_mov_b32_e32 v20, v6
	v_mov_b32_e32 v41, v7
	v_pk_mul_f32 v[6:7], v[34:35], v[54:55]
	v_mov_b32_e32 v71, v15
	v_sub_f32_e32 v6, v8, v6
	v_sub_f32_e32 v56, v6, v7
	;; [unrolled: 1-line block ×4, first 2 shown]
	v_pk_mul_f32 v[6:7], v[34:35], v[70:71]
	v_mov_b32_e32 v15, v83
	v_sub_f32_e32 v6, v26, v6
	v_sub_f32_e32 v24, v6, v7
	v_pk_mul_f32 v[6:7], v[2:3], v[14:15]
	v_mov_b32_e32 v8, v84
	v_mov_b32_e32 v84, v16
	v_pk_mul_f32 v[14:15], v[2:3], v[86:87]
	v_sub_f32_e32 v6, v68, v6
	v_sub_f32_e32 v14, v23, v14
	;; [unrolled: 1-line block ×3, first 2 shown]
	v_pk_mul_f32 v[6:7], v[2:3], v[84:85]
	ds_read2_b32 v[60:61], v97 offset0:13 offset1:14
	ds_read2_b32 v[62:63], v97 offset0:15 offset1:16
	;; [unrolled: 1-line block ×3, first 2 shown]
	v_sub_f32_e32 v23, v14, v15
	v_pk_mul_f32 v[14:15], v[2:3], v[72:73]
	v_sub_f32_e32 v2, v49, v6
	v_mov_b32_e32 v26, v3
	v_pk_mul_f32 v[4:5], v[34:35], v[4:5]
	v_sub_f32_e32 v2, v2, v7
	v_pk_mul_f32 v[6:7], v[26:27], v[32:33]
	v_mov_b32_e32 v36, v12
	v_mov_b32_e32 v12, v38
	;; [unrolled: 1-line block ×3, first 2 shown]
	v_sub_f32_e32 v4, v46, v4
	v_sub_f32_e32 v14, v37, v14
	v_mov_b32_e32 v81, v31
	v_sub_f32_e32 v6, v56, v6
	v_sub_f32_e32 v46, v4, v5
	v_sub_f32_e32 v37, v14, v15
	s_waitcnt lgkmcnt(2)
	v_mov_b32_e32 v54, v60
	v_mov_b32_e32 v60, v42
	;; [unrolled: 1-line block ×3, first 2 shown]
	v_pk_mul_f32 v[14:15], v[26:27], v[80:81]
	v_sub_f32_e32 v56, v6, v7
	v_pk_mul_f32 v[6:7], v[26:27], v[38:39]
	s_add_i32 s18, s17, 0x3f0
	v_fma_f32 v57, -v35, v17, v47
	v_sub_f32_e32 v14, v46, v14
	v_sub_f32_e32 v6, v10, v6
	s_add_i32 s27, s4, s18
	v_fma_f32 v10, -v3, v28, v91
	v_pk_mul_f32 v[16:17], v[26:27], v[42:43]
	v_fma_f32 v58, -v3, v59, v77
	v_sub_f32_e32 v33, v14, v15
	v_sub_f32_e32 v59, v6, v7
	v_pk_mul_f32 v[6:7], v[26:27], v[8:9]
	v_mov_b32_e32 v70, s27
	v_fma_f32 v72, -v27, v45, v10
	v_sub_f32_e32 v10, v57, v16
	ds_read_b64 v[4:5], v98 offset:88
	ds_read_b32 v55, v96 offset:92
	v_sub_f32_e32 v6, v24, v6
	s_add_i32 s19, s17, 0x380
	ds_read2_b32 v[14:15], v70 offset0:13 offset1:14
	v_sub_f32_e32 v26, v10, v17
	v_mov_b32_e32 v31, v51
	v_mul_f32_e32 v17, v33, v50
	v_mov_b32_e32 v16, v27
	v_sub_f32_e32 v69, v6, v7
	v_add_u32_e32 v6, s25, v1
	s_add_i32 s25, s4, s19
	v_pk_mul_f32 v[30:31], v[16:17], v[30:31]
	ds_write_b32 v6, v35
	v_mov_b32_e32 v71, s25
	v_sub_f32_e32 v10, v23, v30
	v_pk_mul_f32 v[12:13], v[16:17], v[12:13]
	v_fma_f32 v52, -v35, v52, v48
	v_fma_f32 v53, -v35, v53, v29
	ds_read_b128 v[6:9], v71 offset:48
	ds_read2_b32 v[24:25], v70 offset0:15 offset1:16
	ds_read2_b32 v[28:29], v70 offset0:17 offset1:18
	;; [unrolled: 1-line block ×3, first 2 shown]
	v_sub_f32_e32 v23, v10, v31
	v_sub_f32_e32 v10, v37, v12
	;; [unrolled: 1-line block ×3, first 2 shown]
	v_pk_mul_f32 v[12:13], v[16:17], v[60:61]
	s_waitcnt lgkmcnt(5)
	v_mov_b32_e32 v32, v14
	s_waitcnt lgkmcnt(3)
	v_mov_b32_e32 v14, v8
	v_mov_b32_e32 v8, v62
	v_mov_b32_e32 v62, v44
	v_add_u32_e32 v37, s21, v1
	s_add_i32 s25, s17, 0x460
	s_add_i32 s21, s17, 0x4d0
	v_sub_f32_e32 v2, v2, v12
	v_pk_mul_f32 v[38:39], v[16:17], v[40:41]
	s_add_i32 s27, s4, s25
	s_add_i32 s28, s4, s21
	v_sub_f32_e32 v60, v2, v13
	v_pk_mul_f32 v[12:13], v[16:17], v[62:63]
	v_sub_f32_e32 v10, v68, v38
	v_mov_b32_e32 v73, s28
	v_mov_b32_e32 v74, s27
	v_sub_f32_e32 v2, v58, v12
	ds_write_b32 v37, v3
	ds_read_b128 v[46:49], v71 offset:64
	v_sub_f32_e32 v68, v10, v39
	ds_read2_b32 v[30:31], v73 offset0:13 offset1:14
	v_sub_f32_e32 v58, v2, v13
	v_fma_f32 v44, -v3, v11, v52
	ds_read2_b64 v[10:13], v74 offset0:7 offset1:8
	v_fma_f32 v55, -v3, v55, v53
	ds_read_b128 v[38:41], v71 offset:80
	ds_read2_b64 v[50:53], v74 offset0:9 offset1:10
	ds_read2_b32 v[2:3], v97 offset0:19 offset1:20
	ds_read_b32 v57, v97 offset:92
	ds_read2_b32 v[42:43], v97 offset0:21 offset1:22
	v_mov_b32_e32 v37, v19
	v_mul_f32_e32 v45, v23, v18
	s_waitcnt lgkmcnt(2)
	v_fma_f32 v62, -v17, v2, v100
	v_fma_f32 v2, -v27, v4, v44
	v_mov_b32_e32 v44, v17
	v_pk_mul_f32 v[18:19], v[44:45], v[36:37]
	v_fma_f32 v63, -v17, v3, v101
	s_waitcnt lgkmcnt(0)
	v_fma_f32 v43, -v17, v43, v2
	v_pk_mul_f32 v[2:3], v[44:45], v[20:21]
	v_sub_f32_e32 v4, v56, v18
	v_mov_b32_e32 v16, v30
	v_mov_b32_e32 v30, v10
	;; [unrolled: 1-line block ×5, first 2 shown]
	v_sub_f32_e32 v66, v4, v19
	v_sub_f32_e32 v2, v59, v2
	v_fma_f32 v19, -v27, v5, v55
	v_mov_b32_e32 v55, v7
	v_fma_f32 v61, -v17, v67, v99
	v_sub_f32_e32 v67, v2, v3
	v_add_u32_e32 v2, s24, v1
	v_add_u32_e32 v18, s20, v1
	s_add_i32 s20, s5, 0x414
	v_fma_f32 v7, -v17, v57, v19
	v_pk_mul_f32 v[20:21], v[44:45], v[54:55]
	v_fma_f32 v42, -v17, v42, v102
	ds_write_b32 v2, v27
	v_mov_b32_e32 v23, s20
	ds_write_b32 v18, v17
	v_fma_f32 v17, -v45, v41, v7
	v_sub_f32_e32 v7, v69, v20
	ds_read_b128 v[2:5], v65 offset:1392
	v_fma_f32 v27, -v45, v38, v63
	v_fma_f32 v63, -v45, v39, v42
	;; [unrolled: 1-line block ×3, first 2 shown]
	ds_read2_b32 v[40:41], v73 offset0:15 offset1:16
	ds_read2_b32 v[42:43], v73 offset0:17 offset1:18
	;; [unrolled: 1-line block ×4, first 2 shown]
	v_sub_f32_e32 v69, v7, v21
	ds_read2_b32 v[20:21], v23 offset1:1
	v_pk_mul_f32 v[8:9], v[44:45], v[8:9]
	s_add_i32 s24, s17, 0x540
	v_sub_f32_e32 v7, v26, v8
	v_sub_f32_e32 v75, v7, v9
	v_pk_mul_f32 v[8:9], v[44:45], v[46:47]
	s_waitcnt lgkmcnt(0)
	v_mov_b32_e32 v23, v21
	v_sub_f32_e32 v7, v72, v8
	v_add_u32_e32 v8, s19, v1
	v_mul_f32_e32 v21, v66, v20
	v_mov_b32_e32 v20, v45
	v_sub_f32_e32 v72, v7, v9
	ds_write_b32 v8, v45
	v_pk_mul_f32 v[8:9], v[20:21], v[22:23]
	v_mov_b32_e32 v7, v35
	v_sub_f32_e32 v8, v33, v8
	v_pk_mul_f32 v[6:7], v[20:21], v[6:7]
	v_sub_f32_e32 v23, v8, v9
	v_pk_mul_f32 v[8:9], v[20:21], v[14:15]
	v_mov_b32_e32 v26, v4
	v_mov_b32_e32 v4, v40
	v_mov_b32_e32 v40, v12
	v_mov_b32_e32 v12, v28
	v_mov_b32_e32 v28, v48
	s_add_i32 s20, s17, 0x5b0
	v_sub_f32_e32 v6, v68, v6
	v_sub_f32_e32 v8, v60, v8
	s_add_i32 s27, s4, s24
	s_add_i32 s28, s4, s20
	v_sub_f32_e32 v68, v6, v7
	v_pk_mul_f32 v[6:7], v[20:21], v[28:29]
	v_sub_f32_e32 v77, v8, v9
	v_pk_mul_f32 v[8:9], v[20:21], v[24:25]
	s_mul_i32 s19, s7, 0x74
	v_mov_b32_e32 v66, s28
	v_mov_b32_e32 v35, s27
	v_sub_f32_e32 v6, v61, v6
	v_sub_f32_e32 v8, v58, v8
	ds_read2_b64 v[54:57], v65 offset0:145 offset1:146
	v_fma_f32 v65, -v45, v49, v62
	v_mov_b32_e32 v76, s19
	ds_read2_b32 v[38:39], v66 offset0:15 offset1:16
	ds_read_b128 v[44:47], v35 offset:64
	v_sub_f32_e32 v78, v8, v9
	v_sub_f32_e32 v79, v6, v7
	ds_read2_b32 v[24:25], v66 offset0:17 offset1:18
	ds_read2_b32 v[28:29], v66 offset0:19 offset1:20
	ds_read_b64 v[14:15], v76 offset:2552
	ds_read_b128 v[58:61], v35 offset:80
	ds_read2_b32 v[6:7], v70 offset0:19 offset1:20
	ds_read_b32 v20, v70 offset:92
	ds_read2_b32 v[8:9], v70 offset0:21 offset1:22
	v_mov_b32_e32 v62, v21
	s_waitcnt lgkmcnt(8)
	v_mov_b32_e32 v22, v38
	s_waitcnt lgkmcnt(7)
	v_mov_b32_e32 v38, v44
	v_mov_b32_e32 v44, v42
	s_waitcnt lgkmcnt(0)
	v_fma_f32 v33, -v21, v8, v63
	v_mul_f32_e32 v63, v23, v54
	v_pk_mul_f32 v[10:11], v[62:63], v[10:11]
	v_mov_b32_e32 v42, v50
	v_mov_b32_e32 v50, v6
	v_pk_mul_f32 v[12:13], v[62:63], v[12:13]
	v_sub_f32_e32 v10, v75, v10
	v_fma_f32 v70, -v21, v9, v71
	v_pk_mul_f32 v[50:51], v[62:63], v[50:51]
	v_sub_f32_e32 v71, v10, v11
	v_sub_f32_e32 v10, v72, v12
	v_add_u32_e32 v35, s18, v1
	v_sub_f32_e32 v72, v10, v13
	v_sub_f32_e32 v10, v65, v50
	s_add_i32 s18, s5, 0x4fc
	v_sub_f32_e32 v65, v10, v51
	v_mov_b32_e32 v10, s18
	v_fma_f32 v27, -v21, v7, v27
	ds_read_b64 v[48:49], v74 offset:88
	ds_read2_b64 v[6:9], v76 offset0:203 offset1:204
	ds_read2_b32 v[10:11], v10 offset1:1
	ds_write_b32 v35, v21
	v_mov_b32_e32 v35, v55
	v_pk_mul_f32 v[34:35], v[62:63], v[34:35]
	v_fma_f32 v17, -v21, v20, v17
	v_sub_f32_e32 v23, v67, v34
	v_fma_f32 v21, -v63, v53, v33
	v_sub_f32_e32 v23, v23, v35
	v_mov_b32_e32 v33, v57
	v_add_u32_e32 v12, s25, v1
	s_add_i32 s18, s17, 0x620
	v_pk_mul_f32 v[32:33], v[62:63], v[32:33]
	ds_write_b32 v12, v63
	s_waitcnt lgkmcnt(2)
	v_mov_b32_e32 v57, v11
	v_mul_f32_e32 v13, v23, v10
	v_add_u32_e32 v23, s21, v1
	s_add_i32 s21, s4, s18
	v_mov_b32_e32 v12, v63
	v_sub_f32_e32 v32, v69, v32
	v_fma_f32 v48, -v63, v48, v70
	v_mov_b32_e32 v70, s21
	v_pk_mul_f32 v[10:11], v[12:13], v[56:57]
	v_mov_b32_e32 v20, v8
	v_mov_b32_e32 v8, v24
	;; [unrolled: 1-line block ×5, first 2 shown]
	v_sub_f32_e32 v67, v32, v33
	s_add_i32 s25, s17, 0x690
	v_sub_f32_e32 v10, v68, v10
	ds_read2_b64 v[32:35], v70 offset0:9 offset1:10
	ds_read_b32 v51, v73 offset:92
	s_add_i32 s27, s4, s25
	v_sub_f32_e32 v50, v10, v11
	v_pk_mul_f32 v[10:11], v[12:13], v[42:43]
	v_pk_mul_f32 v[40:41], v[12:13], v[40:41]
	;; [unrolled: 1-line block ×4, first 2 shown]
	s_add_i32 s21, s19, 0x7b4
	v_fma_f32 v17, -v63, v49, v17
	v_mov_b32_e32 v49, s27
	v_sub_f32_e32 v10, v79, v10
	v_sub_f32_e32 v40, v78, v40
	ds_write_b32 v23, v13
	v_sub_f32_e32 v23, v77, v30
	v_sub_f32_e32 v12, v27, v36
	v_mov_b32_e32 v27, s21
	v_sub_f32_e32 v23, v23, v31
	v_sub_f32_e32 v57, v40, v41
	;; [unrolled: 1-line block ×3, first 2 shown]
	ds_read2_b32 v[30:31], v49 offset0:17 offset1:18
	ds_read2_b32 v[52:53], v49 offset0:19 offset1:20
	;; [unrolled: 1-line block ×3, first 2 shown]
	ds_read_b32 v10, v49 offset:92
	v_sub_f32_e32 v73, v12, v37
	ds_read2_b32 v[36:37], v27 offset1:1
	ds_read2_b32 v[62:63], v66 offset0:21 offset1:22
	ds_read_b128 v[40:43], v76 offset:1856
	s_add_i32 s21, s19, 0x6cc
	s_waitcnt lgkmcnt(6)
	v_mov_b32_e32 v12, v30
	v_mov_b32_e32 v30, v32
	;; [unrolled: 1-line block ×5, first 2 shown]
	v_fma_f32 v74, -v13, v19, v48
	v_fma_f32 v17, -v13, v51, v17
	v_mul_f32_e32 v19, v50, v2
	v_mov_b32_e32 v18, v13
	v_mov_b32_e32 v2, s21
	ds_read_b128 v[48:51], v76 offset:2320
	ds_read_b32 v66, v66 offset:92
	ds_read2_b32 v[68:69], v2 offset1:1
	v_fma_f32 v13, -v19, v61, v17
	v_mov_b32_e32 v17, v3
	v_pk_mul_f32 v[2:3], v[18:19], v[4:5]
	v_pk_mul_f32 v[44:45], v[18:19], v[44:45]
	v_sub_f32_e32 v2, v71, v2
	s_waitcnt lgkmcnt(3)
	v_mov_b32_e32 v56, v42
	v_mov_b32_e32 v42, v52
	;; [unrolled: 1-line block ×5, first 2 shown]
	v_pk_mul_f32 v[46:47], v[18:19], v[46:47]
	v_sub_f32_e32 v60, v2, v3
	v_sub_f32_e32 v2, v72, v44
	;; [unrolled: 1-line block ×4, first 2 shown]
	s_addk_i32 s5, 0x5e4
	v_sub_f32_e32 v45, v2, v47
	v_mov_b32_e32 v2, s5
	ds_read2_b32 v[2:3], v2 offset1:1
	v_pk_mul_f32 v[4:5], v[18:19], v[16:17]
	v_pk_mul_f32 v[58:59], v[18:19], v[58:59]
	v_sub_f32_e32 v4, v67, v4
	v_sub_f32_e32 v4, v4, v5
	v_add_u32_e32 v5, s24, v1
	s_waitcnt lgkmcnt(0)
	v_mov_b32_e32 v27, v3
	v_mul_f32_e32 v3, v4, v2
	v_mov_b32_e32 v2, v19
	ds_write_b32 v5, v19
	v_pk_mul_f32 v[4:5], v[2:3], v[26:27]
	v_sub_f32_e32 v16, v21, v58
	v_sub_f32_e32 v4, v23, v4
	v_sub_f32_e32 v26, v4, v5
	v_pk_mul_f32 v[4:5], v[2:3], v[38:39]
	v_sub_f32_e32 v21, v16, v59
	v_add_u32_e32 v16, s20, v1
	s_add_i32 s20, s17, 0x770
	v_sub_f32_e32 v4, v57, v4
	s_add_i32 s21, s4, s20
	s_add_i32 s24, s19, 0x828
	v_sub_f32_e32 v57, v4, v5
	v_pk_mul_f32 v[4:5], v[2:3], v[24:25]
	s_add_i32 s5, s17, 0x700
	v_mov_b32_e32 v47, s24
	v_mov_b32_e32 v59, s21
	s_add_i32 s21, s19, 0x89c
	ds_write_b32 v16, v3
	v_pk_mul_f32 v[16:17], v[2:3], v[62:63]
	v_pk_mul_f32 v[18:19], v[2:3], v[28:29]
	v_sub_f32_e32 v2, v11, v4
	v_add_u32_e32 v46, s18, v1
	s_add_i32 s18, s4, s5
	v_mov_b32_e32 v38, s21
	s_add_i32 s21, s17, 0x850
	v_mov_b32_e32 v24, v3
	v_sub_f32_e32 v62, v2, v5
	ds_read2_b64 v[2:5], v47 offset1:1
	ds_read_b64 v[28:29], v70 offset:88
	v_mov_b32_e32 v39, s18
	s_add_i32 s18, s4, s21
	v_mov_b32_e32 v23, v7
	v_mul_f32_e32 v25, v26, v6
	v_sub_f32_e32 v6, v74, v16
	v_sub_f32_e32 v7, v73, v18
	v_mov_b32_e32 v61, s18
	v_pk_mul_f32 v[26:27], v[24:25], v[8:9]
	v_sub_f32_e32 v63, v7, v19
	v_pk_mul_f32 v[18:19], v[24:25], v[32:33]
	v_sub_f32_e32 v65, v6, v17
	ds_read_b128 v[6:9], v39 offset:80
	ds_read2_b32 v[16:17], v61 offset0:21 offset1:22
	v_pk_mul_f32 v[22:23], v[24:25], v[22:23]
	v_sub_f32_e32 v18, v45, v18
	v_sub_f32_e32 v11, v60, v22
	;; [unrolled: 1-line block ×3, first 2 shown]
	v_pk_mul_f32 v[32:33], v[24:25], v[34:35]
	v_sub_f32_e32 v11, v11, v23
	v_sub_f32_e32 v60, v22, v27
	v_sub_f32_e32 v70, v18, v19
	ds_read2_b32 v[18:19], v59 offset0:19 offset1:20
	ds_read2_b32 v[22:23], v38 offset1:1
	ds_read2_b32 v[26:27], v59 offset0:21 offset1:22
	ds_read_b32 v34, v59 offset:92
	s_waitcnt lgkmcnt(6)
	v_mov_b32_e32 v67, v29
	v_sub_f32_e32 v21, v21, v32
	s_waitcnt lgkmcnt(3)
	v_mov_b32_e32 v32, v18
	v_mov_b32_e32 v18, v6
	v_mov_b32_e32 v6, v54
	v_add_u32_e32 v54, s5, v1
	s_add_i32 s5, s17, 0x7e0
	ds_write_b32 v46, v25
	v_mov_b32_e32 v38, v25
	v_pk_mul_f32 v[24:25], v[24:25], v[66:67]
	v_sub_f32_e32 v59, v21, v33
	v_add_u32_e32 v71, s5, v1
	s_add_i32 s5, s4, s5
	v_mov_b32_e32 v21, v69
	v_mul_f32_e32 v39, v11, v68
	v_sub_f32_e32 v11, v13, v24
	s_addk_i32 s17, 0x930
	v_sub_f32_e32 v67, v11, v25
	v_mov_b32_e32 v11, s5
	v_pk_mul_f32 v[20:21], v[38:39], v[20:21]
	s_add_i32 s4, s4, s17
	ds_read_b64 v[24:25], v11 offset:88
	v_mov_b32_e32 v11, v9
	v_sub_f32_e32 v9, v57, v20
	s_add_i32 s18, s19, 0x984
	v_sub_f32_e32 v9, v9, v21
	v_mov_b32_e32 v13, s4
	v_mov_b32_e32 v33, s18
	ds_read_b32 v20, v13 offset:92
	ds_read2_b32 v[44:45], v33 offset1:1
	v_pk_mul_f32 v[46:47], v[38:39], v[52:53]
	v_mul_f32_e32 v53, v9, v40
	v_mov_b32_e32 v52, v39
	v_mov_b32_e32 v13, v41
	v_pk_mul_f32 v[12:13], v[52:53], v[12:13]
	v_mov_b32_e32 v29, v55
	v_sub_f32_e32 v12, v60, v12
	v_pk_mul_f32 v[30:31], v[38:39], v[30:31]
	v_pk_mul_f32 v[28:29], v[38:39], v[28:29]
	v_sub_f32_e32 v12, v12, v13
	v_sub_f32_e32 v9, v62, v30
	v_pk_mul_f32 v[40:41], v[52:53], v[42:43]
	v_mov_b32_e32 v42, v16
	v_mov_b32_e32 v57, v37
	v_sub_f32_e32 v16, v65, v28
	v_mul_f32_e32 v13, v12, v36
	v_mov_b32_e32 v12, v53
	v_sub_f32_e32 v9, v9, v31
	v_pk_mul_f32 v[6:7], v[52:53], v[6:7]
	v_sub_f32_e32 v16, v16, v29
	v_pk_mul_f32 v[28:29], v[12:13], v[56:57]
	s_waitcnt lgkmcnt(6)
	v_mov_b32_e32 v31, v23
	v_mov_b32_e32 v33, v3
	v_sub_f32_e32 v3, v63, v46
	v_sub_f32_e32 v6, v59, v6
	;; [unrolled: 1-line block ×3, first 2 shown]
	s_waitcnt lgkmcnt(5)
	v_mov_b32_e32 v9, v27
	s_waitcnt lgkmcnt(2)
	v_mov_b32_e32 v35, v25
	v_sub_f32_e32 v3, v3, v47
	v_pk_mul_f32 v[18:19], v[12:13], v[18:19]
	v_sub_f32_e32 v25, v6, v7
	v_pk_mul_f32 v[6:7], v[12:13], v[8:9]
	v_pk_mul_f32 v[8:9], v[52:53], v[10:11]
	v_sub_f32_e32 v18, v3, v18
	v_sub_f32_e32 v3, v67, v8
	;; [unrolled: 1-line block ×5, first 2 shown]
	v_mul_f32_e32 v3, v3, v2
	v_mov_b32_e32 v2, v13
	v_sub_f32_e32 v21, v21, v41
	v_pk_mul_f32 v[8:9], v[2:3], v[32:33]
	v_sub_f32_e32 v6, v16, v6
	v_sub_f32_e32 v8, v21, v8
	;; [unrolled: 1-line block ×4, first 2 shown]
	v_mov_b32_e32 v30, v4
	v_mov_b32_e32 v4, v26
	v_mul_f32_e32 v7, v6, v22
	v_mov_b32_e32 v6, v3
	v_sub_f32_e32 v11, v18, v19
	v_pk_mul_f32 v[4:5], v[2:3], v[4:5]
	ds_write_b32 v71, v3
	v_pk_mul_f32 v[8:9], v[6:7], v[30:31]
	v_pk_mul_f32 v[2:3], v[2:3], v[34:35]
	v_sub_f32_e32 v8, v11, v8
	v_sub_f32_e32 v2, v10, v2
	;; [unrolled: 1-line block ×4, first 2 shown]
	v_add_u32_e32 v68, s21, v1
	v_mov_b32_e32 v43, v49
	v_sub_f32_e32 v4, v25, v4
	v_mov_b32_e32 v25, v17
	v_mul_f32_e32 v3, v2, v48
	v_mov_b32_e32 v2, v7
	ds_read_b32 v38, v61 offset:92
	v_sub_f32_e32 v11, v4, v5
	v_pk_mul_f32 v[4:5], v[6:7], v[24:25]
	ds_write_b32 v68, v7
	v_pk_mul_f32 v[6:7], v[2:3], v[42:43]
	v_sub_f32_e32 v4, v12, v4
	v_sub_f32_e32 v6, v11, v6
	v_add_u32_e32 v58, s25, v1
	v_sub_f32_e32 v8, v4, v5
	v_sub_f32_e32 v4, v6, v7
	ds_write_b32 v58, v39
	v_mov_b32_e32 v39, v51
	s_waitcnt lgkmcnt(4)
	v_mul_f32_e32 v5, v4, v44
	v_mov_b32_e32 v4, v3
	v_mov_b32_e32 v51, v45
	v_pk_mul_f32 v[6:7], v[4:5], v[50:51]
	s_mul_i32 s4, s16, 0x74
	v_sub_f32_e32 v4, v8, v6
	s_waitcnt lgkmcnt(2)
	v_pk_mul_f32 v[8:9], v[2:3], v[38:39]
	v_mov_b32_e32 v6, v5
	v_sub_f32_e32 v2, v10, v8
	v_sub_f32_e32 v8, v2, v9
	;; [unrolled: 1-line block ×3, first 2 shown]
	v_mul_f32_e32 v7, v2, v14
	v_add_u32_e32 v2, 0x800, v64
	ds_write2_b32 v2, v3, v7 offset0:48 offset1:104
	v_mov_b32_e32 v2, s4
	ds_read_b32 v4, v2
	v_mov_b32_e32 v21, v15
	v_pk_mul_f32 v[2:3], v[6:7], v[20:21]
	s_mulk_i32 s16, 0x70
	v_sub_f32_e32 v2, v8, v2
	v_sub_f32_e32 v2, v2, v3
	v_add_u32_e32 v55, s20, v1
	v_add_u32_e32 v66, s17, v1
	s_waitcnt lgkmcnt(0)
	v_mul_f32_e32 v2, v2, v4
	v_add_u32_e32 v3, s16, v1
	s_add_i32 s7, s7, 24
	ds_write_b32 v54, v53
	ds_write_b32 v55, v13
	;; [unrolled: 1-line block ×4, first 2 shown]
.LBB33_105:
	s_cmp_ge_i32 s7, s26
	s_cbranch_scc1 .LBB33_110
; %bb.106:
	v_mov_b32_e32 v2, 0xc40
	s_lshl_b32 s4, s7, 2
	v_lshl_add_u32 v2, v0, 2, v2
	s_branch .LBB33_108
.LBB33_107:                             ;   in Loop: Header=BB33_108 Depth=1
	s_lshl_b32 s16, s7, 2
	s_add_i32 s5, s16, s5
	v_mov_b32_e32 v5, s5
	ds_read_b32 v5, v5
	s_add_i32 s7, s7, 1
	s_add_i32 s4, s4, 4
	s_cmp_ge_i32 s7, s26
	s_waitcnt lgkmcnt(0)
	v_mul_f32_e32 v4, v4, v5
	ds_write_b32 v3, v4
	s_cbranch_scc1 .LBB33_110
.LBB33_108:                             ; =>This Loop Header: Depth=1
                                        ;     Child Loop BB33_109 Depth 2
	s_mul_i32 s5, s7, 0x70
	v_add_u32_e32 v3, s5, v1
	ds_read_b32 v4, v3
	s_cmp_eq_u32 s7, 0
	v_mov_b32_e32 v5, v2
	s_mov_b32 s16, s4
	s_mov_b32 s17, s7
	s_cbranch_scc1 .LBB33_107
.LBB33_109:                             ;   Parent Loop BB33_108 Depth=1
                                        ; =>  This Inner Loop Header: Depth=2
	v_mov_b32_e32 v7, s16
	ds_read_b32 v6, v5
	ds_read_b32 v7, v7
	s_add_i32 s17, s17, -1
	s_addk_i32 s16, 0x70
	v_add_u32_e32 v5, 0x70, v5
	s_cmp_lg_u32 s17, 0
	s_waitcnt lgkmcnt(0)
	v_fma_f32 v4, -v6, v7, v4
	s_cbranch_scc1 .LBB33_109
	s_branch .LBB33_107
.LBB33_110:
	s_waitcnt lgkmcnt(0)
	; wave barrier
	s_and_saveexec_b64 s[4:5], s[0:1]
	s_cbranch_execz .LBB33_119
; %bb.111:
	s_andn2_b64 vcc, exec, s[14:15]
	s_cbranch_vccnz .LBB33_119
; %bb.112:
	s_cmp_eq_u32 s6, 1
	s_cbranch_scc1 .LBB33_116
; %bb.113:
	v_mad_i64_i32 v[2:3], s[0:1], s22, v0, 0
	s_and_b32 s4, s26, 30
	v_lshl_add_u64 v[2:3], v[2:3], 2, s[12:13]
	s_mov_b32 s0, 1
	s_mov_b32 s1, 0
	s_mov_b32 s5, s4
.LBB33_114:                             ; =>This Inner Loop Header: Depth=1
	s_mul_i32 s6, s0, 0x70
	s_mul_i32 s7, s1, 0x70
	v_add_u32_e32 v4, s7, v1
	v_add_u32_e32 v5, s6, v1
	ds_read_b32 v4, v4
	ds_read_b32 v5, v5
	s_add_i32 s1, s1, 2
	s_add_i32 s0, s0, 2
	s_add_i32 s5, s5, -2
	s_cmp_lg_u32 s5, 0
	s_waitcnt lgkmcnt(0)
	flat_store_dwordx2 v[2:3], v[4:5]
	v_lshl_add_u64 v[2:3], v[2:3], 0, 8
	s_cbranch_scc1 .LBB33_114
; %bb.115:
	s_cmp_lg_u32 s26, s4
	s_cselect_b64 s[0:1], -1, 0
	s_and_b64 vcc, exec, s[0:1]
	s_cbranch_vccnz .LBB33_117
	s_branch .LBB33_119
.LBB33_116:
	s_mov_b32 s4, 0
	s_cbranch_execz .LBB33_119
.LBB33_117:
	s_sub_i32 s0, s26, s4
	s_lshl_b32 s1, s4, 2
	v_lshlrev_b32_e32 v2, 2, v0
	v_mov_b32_e32 v3, 0
	s_add_u32 s1, s8, s1
	v_lshl_add_u64 v[4:5], s[2:3], 2, v[2:3]
	s_addc_u32 s3, s9, 0
	s_add_u32 s2, s1, s10
	s_addc_u32 s3, s3, s11
	v_mov_b64_e32 v[2:3], s[2:3]
	s_mul_i32 s1, s4, 0x70
	v_mad_u64_u32 v[2:3], s[2:3], v4, s22, v[2:3]
	v_mul_lo_u32 v1, v4, s23
	v_mul_lo_u32 v4, v5, s22
	v_lshl_add_u32 v0, v0, 2, s1
	v_add3_u32 v3, v4, v3, v1
	v_add_u32_e32 v0, 0xc40, v0
.LBB33_118:                             ; =>This Inner Loop Header: Depth=1
	ds_read_b32 v1, v0
	s_add_i32 s0, s0, -1
	v_add_u32_e32 v0, 0x70, v0
	s_cmp_lg_u32 s0, 0
	s_waitcnt lgkmcnt(0)
	flat_store_dword v[2:3], v1
	v_lshl_add_u64 v[2:3], v[2:3], 0, 4
	s_cbranch_scc1 .LBB33_118
.LBB33_119:
	s_endpgm
	.section	.rodata,"a",@progbits
	.p2align	6, 0x0
	.amdhsa_kernel _ZL38rocblas_trsm_small_left_device_sharedBILi28ELi28ELb1EffPKPKfPKPfEv13rocblas_fill_18rocblas_operation_17rocblas_diagonal_iiT3_T4_lilT5_lili
		.amdhsa_group_segment_fixed_size 6272
		.amdhsa_private_segment_fixed_size 0
		.amdhsa_kernarg_size 352
		.amdhsa_user_sgpr_count 2
		.amdhsa_user_sgpr_dispatch_ptr 0
		.amdhsa_user_sgpr_queue_ptr 0
		.amdhsa_user_sgpr_kernarg_segment_ptr 1
		.amdhsa_user_sgpr_dispatch_id 0
		.amdhsa_user_sgpr_kernarg_preload_length 0
		.amdhsa_user_sgpr_kernarg_preload_offset 0
		.amdhsa_user_sgpr_private_segment_size 0
		.amdhsa_uses_dynamic_stack 0
		.amdhsa_enable_private_segment 0
		.amdhsa_system_sgpr_workgroup_id_x 1
		.amdhsa_system_sgpr_workgroup_id_y 0
		.amdhsa_system_sgpr_workgroup_id_z 1
		.amdhsa_system_sgpr_workgroup_info 0
		.amdhsa_system_vgpr_workitem_id 0
		.amdhsa_next_free_vgpr 103
		.amdhsa_next_free_sgpr 75
		.amdhsa_accum_offset 104
		.amdhsa_reserve_vcc 1
		.amdhsa_float_round_mode_32 0
		.amdhsa_float_round_mode_16_64 0
		.amdhsa_float_denorm_mode_32 3
		.amdhsa_float_denorm_mode_16_64 3
		.amdhsa_dx10_clamp 1
		.amdhsa_ieee_mode 1
		.amdhsa_fp16_overflow 0
		.amdhsa_tg_split 0
		.amdhsa_exception_fp_ieee_invalid_op 0
		.amdhsa_exception_fp_denorm_src 0
		.amdhsa_exception_fp_ieee_div_zero 0
		.amdhsa_exception_fp_ieee_overflow 0
		.amdhsa_exception_fp_ieee_underflow 0
		.amdhsa_exception_fp_ieee_inexact 0
		.amdhsa_exception_int_div_zero 0
	.end_amdhsa_kernel
	.section	.text._ZL38rocblas_trsm_small_left_device_sharedBILi28ELi28ELb1EffPKPKfPKPfEv13rocblas_fill_18rocblas_operation_17rocblas_diagonal_iiT3_T4_lilT5_lili,"axG",@progbits,_ZL38rocblas_trsm_small_left_device_sharedBILi28ELi28ELb1EffPKPKfPKPfEv13rocblas_fill_18rocblas_operation_17rocblas_diagonal_iiT3_T4_lilT5_lili,comdat
.Lfunc_end33:
	.size	_ZL38rocblas_trsm_small_left_device_sharedBILi28ELi28ELb1EffPKPKfPKPfEv13rocblas_fill_18rocblas_operation_17rocblas_diagonal_iiT3_T4_lilT5_lili, .Lfunc_end33-_ZL38rocblas_trsm_small_left_device_sharedBILi28ELi28ELb1EffPKPKfPKPfEv13rocblas_fill_18rocblas_operation_17rocblas_diagonal_iiT3_T4_lilT5_lili
                                        ; -- End function
	.set _ZL38rocblas_trsm_small_left_device_sharedBILi28ELi28ELb1EffPKPKfPKPfEv13rocblas_fill_18rocblas_operation_17rocblas_diagonal_iiT3_T4_lilT5_lili.num_vgpr, 103
	.set _ZL38rocblas_trsm_small_left_device_sharedBILi28ELi28ELb1EffPKPKfPKPfEv13rocblas_fill_18rocblas_operation_17rocblas_diagonal_iiT3_T4_lilT5_lili.num_agpr, 0
	.set _ZL38rocblas_trsm_small_left_device_sharedBILi28ELi28ELb1EffPKPKfPKPfEv13rocblas_fill_18rocblas_operation_17rocblas_diagonal_iiT3_T4_lilT5_lili.numbered_sgpr, 56
	.set _ZL38rocblas_trsm_small_left_device_sharedBILi28ELi28ELb1EffPKPKfPKPfEv13rocblas_fill_18rocblas_operation_17rocblas_diagonal_iiT3_T4_lilT5_lili.num_named_barrier, 0
	.set _ZL38rocblas_trsm_small_left_device_sharedBILi28ELi28ELb1EffPKPKfPKPfEv13rocblas_fill_18rocblas_operation_17rocblas_diagonal_iiT3_T4_lilT5_lili.private_seg_size, 0
	.set _ZL38rocblas_trsm_small_left_device_sharedBILi28ELi28ELb1EffPKPKfPKPfEv13rocblas_fill_18rocblas_operation_17rocblas_diagonal_iiT3_T4_lilT5_lili.uses_vcc, 1
	.set _ZL38rocblas_trsm_small_left_device_sharedBILi28ELi28ELb1EffPKPKfPKPfEv13rocblas_fill_18rocblas_operation_17rocblas_diagonal_iiT3_T4_lilT5_lili.uses_flat_scratch, 0
	.set _ZL38rocblas_trsm_small_left_device_sharedBILi28ELi28ELb1EffPKPKfPKPfEv13rocblas_fill_18rocblas_operation_17rocblas_diagonal_iiT3_T4_lilT5_lili.has_dyn_sized_stack, 0
	.set _ZL38rocblas_trsm_small_left_device_sharedBILi28ELi28ELb1EffPKPKfPKPfEv13rocblas_fill_18rocblas_operation_17rocblas_diagonal_iiT3_T4_lilT5_lili.has_recursion, 0
	.set _ZL38rocblas_trsm_small_left_device_sharedBILi28ELi28ELb1EffPKPKfPKPfEv13rocblas_fill_18rocblas_operation_17rocblas_diagonal_iiT3_T4_lilT5_lili.has_indirect_call, 0
	.section	.AMDGPU.csdata,"",@progbits
; Kernel info:
; codeLenInByte = 23136
; TotalNumSgprs: 62
; NumVgprs: 103
; NumAgprs: 0
; TotalNumVgprs: 103
; ScratchSize: 0
; MemoryBound: 0
; FloatMode: 240
; IeeeMode: 1
; LDSByteSize: 6272 bytes/workgroup (compile time only)
; SGPRBlocks: 10
; VGPRBlocks: 12
; NumSGPRsForWavesPerEU: 81
; NumVGPRsForWavesPerEU: 103
; AccumOffset: 104
; Occupancy: 4
; WaveLimiterHint : 0
; COMPUTE_PGM_RSRC2:SCRATCH_EN: 0
; COMPUTE_PGM_RSRC2:USER_SGPR: 2
; COMPUTE_PGM_RSRC2:TRAP_HANDLER: 0
; COMPUTE_PGM_RSRC2:TGID_X_EN: 1
; COMPUTE_PGM_RSRC2:TGID_Y_EN: 0
; COMPUTE_PGM_RSRC2:TGID_Z_EN: 1
; COMPUTE_PGM_RSRC2:TIDIG_COMP_CNT: 0
; COMPUTE_PGM_RSRC3_GFX90A:ACCUM_OFFSET: 25
; COMPUTE_PGM_RSRC3_GFX90A:TG_SPLIT: 0
	.section	.text._ZL30rocblas_trsm_small_left_deviceILi28ELi28ELb1EffPKPKfPKPfEv13rocblas_fill_18rocblas_operation_17rocblas_diagonal_iiT3_T4_lilT5_lili,"axG",@progbits,_ZL30rocblas_trsm_small_left_deviceILi28ELi28ELb1EffPKPKfPKPfEv13rocblas_fill_18rocblas_operation_17rocblas_diagonal_iiT3_T4_lilT5_lili,comdat
	.globl	_ZL30rocblas_trsm_small_left_deviceILi28ELi28ELb1EffPKPKfPKPfEv13rocblas_fill_18rocblas_operation_17rocblas_diagonal_iiT3_T4_lilT5_lili ; -- Begin function _ZL30rocblas_trsm_small_left_deviceILi28ELi28ELb1EffPKPKfPKPfEv13rocblas_fill_18rocblas_operation_17rocblas_diagonal_iiT3_T4_lilT5_lili
	.p2align	8
	.type	_ZL30rocblas_trsm_small_left_deviceILi28ELi28ELb1EffPKPKfPKPfEv13rocblas_fill_18rocblas_operation_17rocblas_diagonal_iiT3_T4_lilT5_lili,@function
_ZL30rocblas_trsm_small_left_deviceILi28ELi28ELb1EffPKPKfPKPfEv13rocblas_fill_18rocblas_operation_17rocblas_diagonal_iiT3_T4_lilT5_lili: ; @_ZL30rocblas_trsm_small_left_deviceILi28ELi28ELb1EffPKPKfPKPfEv13rocblas_fill_18rocblas_operation_17rocblas_diagonal_iiT3_T4_lilT5_lili
; %bb.0:
	s_load_dwordx4 s[8:11], s[0:1], 0x38
	s_load_dwordx4 s[4:7], s[0:1], 0x4
	s_load_dword s16, s[0:1], 0x14
	s_mov_b32 s20, s3
	s_mov_b32 s21, 0
	s_lshl_b64 s[24:25], s[20:21], 3
	s_waitcnt lgkmcnt(0)
	s_add_u32 s8, s8, s24
	s_addc_u32 s9, s9, s25
	s_load_dwordx2 s[8:9], s[8:9], 0x0
	s_min_i32 s17, s6, 28
	v_cmp_gt_i32_e32 vcc, s17, v0
	s_and_saveexec_b64 s[18:19], vcc
	s_cbranch_execz .LBB34_11
; %bb.1:
	s_load_dwordx4 s[12:15], s[0:1], 0x18
	s_load_dword s22, s[0:1], 0x28
	v_lshlrev_b32_e32 v2, 2, v0
	v_mov_b32_e32 v3, 0
	s_mov_b32 s3, 1
	s_waitcnt lgkmcnt(0)
	s_add_u32 s12, s12, s24
	s_addc_u32 s13, s13, s25
	s_load_dwordx2 s[12:13], s[12:13], 0x0
	s_cmp_lt_u32 s17, 2
	s_cselect_b64 s[26:27], -1, 0
	s_cmp_lg_u32 s22, 1
	s_cselect_b64 s[28:29], -1, 0
	s_or_b64 s[26:27], s[26:27], s[28:29]
	s_mov_b64 s[24:25], -1
	s_and_b64 vcc, exec, s[26:27]
	s_cbranch_vccnz .LBB34_5
; %bb.2:
	s_lshl_b64 s[20:21], s[14:15], 2
	s_waitcnt lgkmcnt(0)
	s_add_u32 s20, s12, s20
	s_addc_u32 s21, s13, s21
	v_lshl_add_u64 v[4:5], s[20:21], 0, v[2:3]
	s_and_b32 s21, s17, -2
	s_mov_b32 s20, 0
	s_mov_b32 s23, s21
.LBB34_3:                               ; =>This Inner Loop Header: Depth=1
	flat_load_dwordx2 v[6:7], v[4:5]
	s_mul_i32 s24, s3, 0x70
	s_mul_i32 s25, s20, 0x70
	s_add_i32 s20, s20, 2
	s_add_i32 s3, s3, 2
	s_add_i32 s23, s23, -2
	v_lshl_add_u64 v[4:5], v[4:5], 0, 8
	v_add_u32_e32 v1, s25, v2
	s_cmp_lg_u32 s23, 0
	v_add_u32_e32 v3, s24, v2
	s_waitcnt vmcnt(0) lgkmcnt(0)
	ds_write_b32 v1, v6
	ds_write_b32 v3, v7
	s_cbranch_scc1 .LBB34_3
; %bb.4:
	s_cmp_lg_u32 s17, s21
	s_cselect_b64 s[24:25], -1, 0
.LBB34_5:
	s_and_b64 vcc, exec, s[24:25]
	s_cbranch_vccz .LBB34_8
; %bb.6:
	s_ashr_i32 s23, s22, 31
	s_mul_hi_u32 s3, s22, s21
	s_mul_i32 s20, s23, s21
	s_add_i32 s25, s3, s20
	s_mul_i32 s24, s22, s21
	s_lshl_b64 s[24:25], s[24:25], 2
	s_lshl_b64 s[14:15], s[14:15], 2
	s_add_u32 s3, s24, s14
	s_addc_u32 s14, s25, s15
	s_waitcnt lgkmcnt(0)
	s_add_u32 s12, s12, s3
	v_mov_b32_e32 v3, 0
	s_addc_u32 s13, s13, s14
	s_mul_i32 s14, s21, 0x70
	v_lshl_add_u64 v[4:5], s[12:13], 0, v[2:3]
	s_lshl_b64 s[12:13], s[22:23], 2
	s_sub_i32 s3, s17, s21
	v_lshl_add_u32 v1, v0, 2, s14
.LBB34_7:                               ; =>This Inner Loop Header: Depth=1
	flat_load_dword v3, v[4:5]
	s_add_i32 s3, s3, -1
	v_lshl_add_u64 v[4:5], v[4:5], 0, s[12:13]
	s_cmp_eq_u32 s3, 0
	s_waitcnt vmcnt(0) lgkmcnt(0)
	ds_write_b32 v1, v3
	v_add_u32_e32 v1, 0x70, v1
	s_cbranch_scc0 .LBB34_7
.LBB34_8:
	v_mul_u32_u24_e32 v1, 0x70, v0
	s_cmpk_lg_i32 s5, 0x84
	v_mov_b32_e32 v3, 1.0
	v_add_u32_e32 v1, v2, v1
	s_cbranch_scc0 .LBB34_10
; %bb.9:
	ds_read_b32 v2, v1
	s_waitcnt lgkmcnt(0)
	v_div_scale_f32 v3, s[12:13], v2, v2, 1.0
	v_rcp_f32_e32 v4, v3
	v_div_scale_f32 v5, vcc, 1.0, v2, 1.0
	v_fma_f32 v6, -v3, v4, 1.0
	v_fmac_f32_e32 v4, v6, v4
	v_mul_f32_e32 v6, v5, v4
	v_fma_f32 v7, -v3, v6, v5
	v_fmac_f32_e32 v6, v7, v4
	v_fma_f32 v3, -v3, v6, v5
	v_div_fmas_f32 v3, v3, v4, v6
	v_div_fixup_f32 v3, v3, v2, 1.0
.LBB34_10:
	ds_write_b32 v1, v3
.LBB34_11:
	s_or_b64 exec, exec, s[18:19]
	s_load_dword s3, s[0:1], 0x60
	s_mul_i32 s5, s2, 0xffffffe4
	s_add_i32 s5, s7, s5
	s_waitcnt lgkmcnt(0)
	; wave barrier
	s_add_i32 s3, s3, -1
	s_cmp_ge_u32 s2, s3
	s_cselect_b32 s3, s5, 28
	v_cmp_gt_i32_e32 vcc, s3, v0
	s_and_saveexec_b64 s[12:13], vcc
	s_cbranch_execz .LBB34_61
; %bb.12:
	s_load_dword s5, s[0:1], 0x48
	s_lshl_b64 s[0:1], s[10:11], 2
	s_add_u32 s0, s8, s0
	v_mad_u64_u32 v[0:1], s[2:3], s2, 28, v[0:1]
	s_addc_u32 s1, s9, s1
	s_waitcnt lgkmcnt(0)
	v_mad_i64_i32 v[0:1], s[2:3], s5, v0, 0
	v_lshl_add_u64 v[64:65], v[0:1], 2, s[0:1]
	s_cmpk_eq_i32 s4, 0x6f
	s_mov_b64 s[0:1], -1
	s_cbranch_scc1 .LBB34_47
; %bb.13:
	s_add_i32 s7, s17, -1
	s_cmp_gt_i32 s6, 27
	s_mov_b32 s1, 0
	s_cbranch_scc0 .LBB34_23
; %bb.14:
	flat_load_dwordx4 v[0:3], v[64:65] offset:96
	flat_load_dwordx4 v[4:7], v[64:65] offset:80
	;; [unrolled: 1-line block ×6, first 2 shown]
	flat_load_dwordx4 v[24:27], v[64:65]
	s_movk_i32 s10, 0xc3c
	s_mov_b64 s[2:3], 0
	s_movk_i32 s11, 0xbcc
	s_waitcnt vmcnt(0) lgkmcnt(0)
	v_pk_mul_f32 v[2:3], s[16:17], v[2:3] op_sel_hi:[0,1]
	v_pk_mul_f32 v[28:29], s[16:17], v[0:1] op_sel_hi:[0,1]
	;; [unrolled: 1-line block ×14, first 2 shown]
	v_mov_b32_e32 v0, v3
	v_mov_b32_e32 v1, v2
	;; [unrolled: 1-line block ×28, first 2 shown]
.LBB34_15:                              ; =>This Loop Header: Depth=1
                                        ;     Child Loop BB34_17 Depth 2
                                        ;     Child Loop BB34_20 Depth 2
	s_cmp_eq_u32 s2, 0
	s_cbranch_scc1 .LBB34_18
; %bb.16:                               ;   in Loop: Header=BB34_15 Depth=1
	s_mov_b64 s[4:5], s[2:3]
	s_sub_i32 s0, 27, s2
	s_mov_b64 s[8:9], 0
	s_mov_b32 s5, s10
.LBB34_17:                              ;   Parent Loop BB34_15 Depth=1
                                        ; =>  This Inner Loop Header: Depth=2
	v_mov_b32_e32 v33, s5
	s_set_gpr_idx_on s8, gpr_idx(SRC0)
	v_mov_b32_e32 v32, v0
	s_set_gpr_idx_off
	ds_read_b32 v33, v33
	s_add_i32 s5, s5, -4
	s_add_u32 s8, s8, 1
	s_addc_u32 s9, s9, 0
	s_set_gpr_idx_on s2, gpr_idx(SRC0)
	v_mov_b32_e32 v34, v0
	s_set_gpr_idx_off
	s_cmp_eq_u32 s2, s8
	s_waitcnt lgkmcnt(0)
	v_fma_f32 v32, -v32, v33, v34
	s_set_gpr_idx_on s2, gpr_idx(DST)
	v_mov_b32_e32 v0, v32
	s_set_gpr_idx_off
	s_cbranch_scc0 .LBB34_17
	s_branch .LBB34_19
.LBB34_18:                              ;   in Loop: Header=BB34_15 Depth=1
	s_mov_b32 s0, 27
	s_mov_b64 s[4:5], 0
.LBB34_19:                              ;   in Loop: Header=BB34_15 Depth=1
	s_mul_i32 s5, s0, 0x74
	v_mov_b32_e32 v32, s5
	ds_read_b32 v34, v32
	s_lshl_b32 s0, s0, 2
	s_set_gpr_idx_on s4, gpr_idx(SRC0)
	v_mov_b32_e32 v35, v0
	s_set_gpr_idx_off
	v_lshl_add_u64 v[32:33], v[64:65], 0, s[0:1]
	s_or_b32 s0, s2, 1
	s_waitcnt lgkmcnt(0)
	v_mul_f32_e32 v34, v35, v34
	flat_store_dword v[32:33], v34
	s_set_gpr_idx_on s4, gpr_idx(DST)
	v_mov_b32_e32 v0, v34
	s_set_gpr_idx_off
	s_add_u32 s8, s2, 1
	s_mov_b64 s[4:5], 0
	s_mov_b32 s9, s11
.LBB34_20:                              ;   Parent Loop BB34_15 Depth=1
                                        ; =>  This Inner Loop Header: Depth=2
	v_mov_b32_e32 v33, s9
	s_set_gpr_idx_on s4, gpr_idx(SRC0)
	v_mov_b32_e32 v32, v0
	s_set_gpr_idx_off
	ds_read_b32 v33, v33
	s_add_i32 s9, s9, -4
	s_add_u32 s4, s4, 1
	s_set_gpr_idx_on s0, gpr_idx(SRC0)
	v_mov_b32_e32 v34, v0
	s_set_gpr_idx_off
	s_addc_u32 s5, s5, 0
	s_waitcnt lgkmcnt(0)
	v_fma_f32 v32, -v32, v33, v34
	s_cmp_lg_u32 s8, s4
	s_set_gpr_idx_on s0, gpr_idx(DST)
	v_mov_b32_e32 v0, v32
	s_set_gpr_idx_off
	s_cbranch_scc1 .LBB34_20
; %bb.21:                               ;   in Loop: Header=BB34_15 Depth=1
	s_sub_i32 s4, 27, s0
	s_mul_i32 s5, s4, 0x70
	s_lshl_b32 s4, s4, 2
	s_add_i32 s4, s5, s4
	v_mov_b32_e32 v33, s4
	ds_read_b32 v33, v33
	s_bfe_i64 s[4:5], s[0:1], 0x200000
	s_lshl_b64 s[4:5], s[4:5], 2
	s_add_u32 s2, s2, 2
	v_mov_b32_e32 v34, s5
	s_waitcnt lgkmcnt(0)
	v_mul_f32_e32 v35, v32, v33
	v_subrev_co_u32_e32 v32, vcc, s4, v64
	s_addc_u32 s3, s3, 0
	s_addk_i32 s10, 0xff20
	s_addk_i32 s11, 0xff20
	v_subb_co_u32_e32 v33, vcc, v65, v34, vcc
	s_cmp_eq_u32 s2, 28
	s_set_gpr_idx_on s0, gpr_idx(DST)
	v_mov_b32_e32 v0, v35
	s_set_gpr_idx_off
	flat_store_dword v[32:33], v35 offset:108
	s_cbranch_scc0 .LBB34_15
; %bb.22:
	s_mov_b32 s0, -1
	s_cmp_gt_i32 s0, -1
	s_cbranch_scc1 .LBB34_24
	s_branch .LBB34_46
.LBB34_23:
	s_mov_b32 s0, s7
	s_cmp_gt_i32 s0, -1
	s_cbranch_scc0 .LBB34_46
.LBB34_24:
	s_cmp_lt_u32 s0, 23
	s_cbranch_scc1 .LBB34_29
; %bb.25:
	s_mov_b32 s3, 0
	s_mov_b32 s1, s3
	v_lshl_add_u64 v[34:35], s[0:1], 2, v[64:65]
	v_add_co_u32_e32 v0, vcc, -12, v34
	s_cmp_le_i32 s7, s0
	s_nop 0
	v_addc_co_u32_e32 v1, vcc, -1, v35, vcc
	v_add_co_u32_e32 v4, vcc, 0xffffffe4, v34
	flat_load_dwordx4 v[0:3], v[0:1]
	s_nop 0
	v_addc_co_u32_e32 v5, vcc, -1, v35, vcc
	v_add_co_u32_e32 v8, vcc, 0xffffffd4, v34
	flat_load_dwordx4 v[4:7], v[4:5]
	;; [unrolled: 4-line block ×5, first 2 shown]
	s_nop 0
	v_addc_co_u32_e32 v21, vcc, -1, v35, vcc
	flat_load_dwordx4 v[20:23], v[20:21]
	s_waitcnt vmcnt(0) lgkmcnt(0)
	v_pk_mul_f32 v[2:3], s[16:17], v[2:3] op_sel_hi:[0,1]
	v_pk_mul_f32 v[0:1], s[16:17], v[0:1] op_sel_hi:[0,1]
	v_mov_b32_e32 v46, v3
	v_mov_b32_e32 v47, v2
	v_mov_b32_e32 v38, v1
	v_pk_mul_f32 v[6:7], s[16:17], v[6:7] op_sel_hi:[0,1]
	v_pk_mul_f32 v[4:5], s[16:17], v[4:5] op_sel_hi:[0,1]
	v_mov_b32_e32 v39, v0
	v_mov_b32_e32 v36, v7
	v_mov_b32_e32 v37, v6
	;; [unrolled: 5-line block ×4, first 2 shown]
	v_pk_mul_f32 v[0:1], s[16:17], v[18:19] op_sel_hi:[0,1]
	v_pk_mul_f32 v[2:3], s[16:17], v[16:17] op_sel_hi:[0,1]
	v_mov_b32_e32 v50, v5
	v_pk_mul_f32 v[8:9], s[16:17], v[22:23] op_sel_hi:[0,1]
	v_pk_mul_f32 v[10:11], s[16:17], v[20:21] op_sel_hi:[0,1]
	v_mov_b32_e32 v51, v4
	v_mov_b32_e32 v24, v7
	;; [unrolled: 1-line block ×11, first 2 shown]
	s_cbranch_scc1 .LBB34_28
; %bb.26:
	s_mul_i32 s1, s0, 0x70
	s_lshl_b32 s2, s17, 2
	s_add_i32 s1, s1, s2
	s_addk_i32 s1, 0xf5ec
	s_mov_b32 s2, s7
.LBB34_27:                              ; =>This Inner Loop Header: Depth=1
	v_lshl_add_u64 v[8:9], s[2:3], 2, v[64:65]
	flat_load_dword v8, v[8:9]
	v_mov_b32_e32 v9, s1
	v_add_u32_e32 v10, 0x800, v9
	v_add_u32_e32 v11, 0x600, v9
	;; [unrolled: 1-line block ×3, first 2 shown]
	ds_read2_b32 v[14:15], v9 offset0:224 offset1:252
	ds_read2_b32 v[16:17], v9 offset0:168 offset1:196
	;; [unrolled: 1-line block ×4, first 2 shown]
	ds_read2_b32 v[22:23], v9 offset1:28
	ds_read2_b32 v[26:27], v10 offset0:104 offset1:132
	ds_read2_b32 v[28:29], v10 offset0:48 offset1:76
	;; [unrolled: 1-line block ×7, first 2 shown]
	s_add_i32 s2, s2, -1
	s_add_i32 s1, s1, -4
	s_waitcnt lgkmcnt(0)
	v_mov_b32_e32 v10, v15
	v_mov_b32_e32 v11, v14
	;; [unrolled: 1-line block ×24, first 2 shown]
	s_cmp_gt_i32 s2, s0
	s_waitcnt vmcnt(0)
	v_pk_fma_f32 v[46:47], v[8:9], v[20:21], v[46:47] op_sel_hi:[0,1,1] neg_lo:[1,0,0] neg_hi:[1,0,0]
	v_pk_fma_f32 v[38:39], v[8:9], v[22:23], v[38:39] op_sel_hi:[0,1,1] neg_lo:[1,0,0] neg_hi:[1,0,0]
	;; [unrolled: 1-line block ×12, first 2 shown]
	s_cbranch_scc1 .LBB34_27
.LBB34_28:
	s_mul_i32 s1, s0, 0x74
	s_add_i32 s2, s0, -1
	v_mov_b32_e32 v8, s1
	s_mul_i32 s1, s2, 0x70
	s_lshl_b32 s9, s2, 2
	s_add_i32 s3, s1, s9
	v_mov_b32_e32 v9, s3
	s_mov_b32 s3, 0
	v_lshl_add_u64 v[74:75], s[2:3], 2, v[64:65]
	s_add_i32 s2, s0, -2
	s_add_i32 s4, s1, 0xffffff90
	s_lshl_b32 s5, s2, 2
	s_add_i32 s10, s4, s9
	s_add_i32 s4, s4, s5
	v_lshl_add_u64 v[70:71], s[2:3], 2, v[64:65]
	s_add_i32 s2, s0, -3
	v_mov_b32_e32 v10, s4
	s_add_i32 s5, s1, 0xffffff20
	s_lshl_b32 s4, s0, 2
	s_lshl_b32 s12, s2, 2
	s_add_i32 s8, s5, s4
	s_add_i32 s5, s5, s12
	v_mov_b32_e32 v12, s5
	s_add_i32 s5, s1, 0xfffffeb0
	v_mov_b32_e32 v11, s8
	s_add_i32 s11, s8, -8
	v_lshl_add_u64 v[58:59], s[2:3], 2, v[64:65]
	s_add_i32 s2, s0, -4
	s_add_i32 s8, s5, s9
	ds_read_b32 v56, v8
	ds_read2_b32 v[82:83], v9 offset1:1
	ds_read_b32 v142, v10
	ds_read_b32 v143, v11
	;; [unrolled: 1-line block ×3, first 2 shown]
	v_mov_b32_e32 v8, s8
	s_lshl_b32 s8, s2, 2
	v_lshl_add_u64 v[62:63], s[2:3], 2, v[64:65]
	s_add_i32 s2, s0, -5
	s_add_i32 s13, s5, s12
	s_add_i32 s5, s5, s8
	;; [unrolled: 1-line block ×3, first 2 shown]
	s_lshl_b32 s15, s2, 2
	v_lshl_add_u64 v[68:69], s[2:3], 2, v[64:65]
	s_add_i32 s2, s0, -6
	v_mov_b32_e32 v9, s5
	s_add_i32 s5, s8, s4
	s_add_i32 s8, s8, s15
	s_add_i32 s18, s1, 0xfffffdd0
	s_lshl_b32 s21, s2, 2
	v_mov_b32_e32 v11, s8
	s_add_i32 s19, s18, s9
	s_add_i32 s8, s18, s12
	;; [unrolled: 1-line block ×4, first 2 shown]
	v_lshl_add_u64 v[66:67], s[2:3], 2, v[64:65]
	s_add_i32 s2, s0, -7
	v_mov_b32_e32 v12, s18
	s_add_i32 s18, s1, 0xfffffd60
	s_lshl_b32 s24, s2, 2
	s_add_i32 s21, s18, s4
	s_add_i32 s18, s18, s24
	v_lshl_add_u64 v[60:61], s[2:3], 2, v[64:65]
	s_add_i32 s2, s0, -8
	v_mov_b32_e32 v14, s18
	s_add_i32 s18, s1, 0xfffffcf0
	s_lshl_b32 s29, s2, 2
	s_add_i32 s25, s18, s9
	s_add_i32 s26, s18, s12
	;; [unrolled: 1-line block ×5, first 2 shown]
	v_lshl_add_u64 v[28:29], s[2:3], 2, v[64:65]
	s_add_i32 s2, s0, -9
	v_mov_b32_e32 v15, s18
	s_add_i32 s18, s1, 0xfffffc80
	s_lshl_b32 s34, s2, 2
	v_mov_b32_e32 v10, s5
	v_mov_b32_e32 v13, s21
	ds_read2_b32 v[96:97], v8 offset1:1
	ds_read_b32 v145, v9
	ds_read_b32 v146, v10
	;; [unrolled: 1-line block ×7, first 2 shown]
	s_add_i32 s29, s18, s4
	s_add_i32 s18, s18, s34
	v_lshl_add_u64 v[14:15], s[2:3], 2, v[64:65]
	s_add_i32 s2, s0, -10
	v_mov_b32_e32 v9, s18
	s_add_i32 s18, s1, 0xfffffc10
	s_lshl_b32 s35, s2, 2
	v_mov_b32_e32 v8, s29
	s_add_i32 s9, s18, s9
	s_add_i32 s12, s18, s12
	;; [unrolled: 1-line block ×6, first 2 shown]
	v_lshl_add_u64 v[12:13], s[2:3], 2, v[64:65]
	s_add_i32 s2, s0, -11
	ds_read_b32 v151, v8
	ds_read_b32 v93, v9
	v_mov_b32_e32 v8, s18
	s_add_i32 s18, s1, 0xfffffba0
	s_lshl_b32 s40, s2, 2
	s_add_i32 s35, s18, s4
	s_add_i32 s18, s18, s40
	v_mov_b32_e32 v9, s18
	s_add_i32 s18, s1, 0xfffffb30
	v_lshl_add_u64 v[10:11], s[2:3], 2, v[64:65]
	s_add_i32 s2, s0, -12
	s_add_i32 s40, s18, s4
	ds_read_b32 v92, v8
	v_mov_b32_e32 v8, s35
	s_add_i32 s41, s40, -4
	s_lshl_b32 s45, s2, 2
	ds_read_b32 v152, v8
	ds_read_b32 v91, v9
	v_mov_b32_e32 v8, s41
	s_add_i32 s18, s18, s45
	ds_read2_b32 v[98:99], v8 offset1:1
	v_mov_b32_e32 v8, s18
	s_add_i32 s18, s1, 0xfffffac0
	s_add_i32 s45, s18, s4
	v_mov_b32_e32 v16, s45
	s_add_i32 s46, s45, -8
	ds_read_b32 v153, v16
	v_mov_b32_e32 v16, s46
	s_add_i32 s14, s5, -8
	ds_read2_b32 v[100:101], v16 offset1:1
	v_mov_b32_e32 v16, s11
	v_mov_b32_e32 v17, s10
	s_sub_i32 s10, s45, 24
	ds_read_b32 v90, v8
	s_add_i32 s46, s45, -16
	v_mov_b32_e32 v18, s13
	v_mov_b32_e32 v19, s14
	ds_read2_b32 v[102:103], v16 offset1:1
	ds_read2_b32 v[104:105], v17 offset1:1
	;; [unrolled: 1-line block ×4, first 2 shown]
	v_mov_b32_e32 v16, s19
	v_mov_b32_e32 v17, s10
	s_sub_i32 s10, s45, 32
	s_add_i32 s41, s40, -12
	s_sub_i32 s42, s40, 20
	s_sub_i32 s43, s40, 28
	;; [unrolled: 1-line block ×4, first 2 shown]
	ds_read2_b32 v[110:111], v16 offset1:1
	v_mov_b32_e32 v16, s46
	v_mov_b32_e32 v18, s10
	s_sub_i32 s10, s45, 40
	s_add_i32 s36, s35, -8
	s_add_i32 s37, s35, -16
	s_sub_i32 s38, s35, 24
	s_sub_i32 s39, s35, 32
	;; [unrolled: 1-line block ×3, first 2 shown]
	v_mov_b32_e32 v19, s10
	ds_read2_b32 v[112:113], v16 offset1:1
	ds_read2_b32 v[80:81], v17 offset1:1
	ds_read2_b32 v[48:49], v18 offset1:1
	ds_read2_b32 v[22:23], v19 offset1:1
	v_mov_b32_e32 v16, s40
	ds_read2_b32 v[18:19], v16 offset1:1
	v_mov_b32_e32 v16, s35
	ds_read2_b32 v[26:27], v16 offset1:1
	v_mov_b32_e32 v16, s34
	s_add_i32 s30, s29, -8
	s_add_i32 s31, s29, -16
	s_sub_i32 s33, s29, 24
	s_sub_i32 s29, s29, 32
	ds_read2_b32 v[30:31], v16 offset1:1
	v_mov_b32_e32 v16, s44
	ds_read2_b32 v[32:33], v16 offset1:1
	v_mov_b32_e32 v16, s29
	;; [unrolled: 2-line block ×5, first 2 shown]
	s_add_i32 s22, s21, -8
	s_add_i32 s23, s21, -16
	s_sub_i32 s21, s21, 24
	ds_read2_b32 v[76:77], v16 offset1:1
	v_mov_b32_e32 v16, s43
	ds_read2_b32 v[78:79], v16 offset1:1
	v_mov_b32_e32 v16, s21
	;; [unrolled: 2-line block ×5, first 2 shown]
	v_mov_b32_e32 v17, s27
	ds_read2_b32 v[114:115], v16 offset1:1
	ds_read2_b32 v[116:117], v17 offset1:1
	v_mov_b32_e32 v16, s15
	v_lshl_add_u64 v[8:9], s[2:3], 2, v[64:65]
	s_add_i32 s2, s0, -13
	s_sub_i32 s10, s45, 48
	ds_read2_b32 v[118:119], v16 offset1:1
	v_mov_b32_e32 v16, s42
	ds_read2_b32 v[120:121], v16 offset1:1
	v_mov_b32_e32 v16, s10
	s_lshl_b32 s10, s2, 2
	s_add_i32 s10, s18, s10
	ds_read2_b32 v[20:21], v16 offset1:1
	v_mov_b32_e32 v16, s10
	s_add_i32 s10, s1, 0xfffffa50
	s_add_i32 s11, s10, s4
	s_add_i32 s13, s11, -4
	v_mov_b32_e32 v57, s13
	s_add_i32 s13, s11, -12
	s_add_i32 s5, s5, -16
	v_mov_b32_e32 v124, s13
	ds_read_b32 v94, v16
	ds_read2_b32 v[122:123], v57 offset1:1
	ds_read2_b32 v[124:125], v124 offset1:1
	v_mov_b32_e32 v57, s5
	v_mov_b32_e32 v128, s8
	v_mov_b32_e32 v130, s22
	v_mov_b32_e32 v132, s25
	ds_read2_b32 v[126:127], v57 offset1:1
	ds_read2_b32 v[128:129], v128 offset1:1
	;; [unrolled: 1-line block ×4, first 2 shown]
	v_mov_b32_e32 v57, s23
	v_mov_b32_e32 v136, s26
	ds_read2_b32 v[134:135], v57 offset1:1
	ds_read2_b32 v[136:137], v136 offset1:1
	v_mov_b32_e32 v57, s30
	v_mov_b32_e32 v140, s9
	ds_read2_b32 v[138:139], v57 offset1:1
	ds_read2_b32 v[140:141], v140 offset1:1
	s_waitcnt lgkmcnt(14)
	v_mul_f32_e32 v57, v46, v56
	v_fma_f32 v56, -v57, v83, v47
	v_mul_f32_e32 v56, v56, v82
	v_fma_f32 v152, -v57, v152, v45
	s_waitcnt lgkmcnt(0)
	v_pk_mul_f32 v[82:83], v[56:57], v[140:141]
	flat_store_dword v[34:35], v57
	v_sub_f32_e32 v83, v44, v83
	v_pk_mul_f32 v[44:45], v[56:57], v[132:133]
	v_fma_f32 v143, -v57, v143, v39
	v_fma_f32 v151, -v57, v151, v43
	v_mov_b32_e32 v34, s31
	v_mov_b32_e32 v39, s12
	v_sub_f32_e32 v45, v42, v45
	v_pk_mul_f32 v[42:43], v[56:57], v[110:111]
	v_fma_f32 v149, -v57, v149, v41
	ds_read2_b32 v[34:35], v34 offset1:1
	ds_read2_b32 v[46:47], v39 offset1:1
	v_mov_b32_e32 v39, s36
	v_sub_f32_e32 v43, v40, v43
	v_pk_mul_f32 v[40:41], v[56:57], v[104:105]
	v_fma_f32 v146, -v57, v146, v37
	v_fma_f32 v37, -v57, v99, v50
	;; [unrolled: 1-line block ×3, first 2 shown]
	ds_read2_b32 v[50:51], v39 offset1:1
	v_sub_f32_e32 v38, v38, v41
	v_sub_f32_e32 v40, v38, v40
	v_pk_mul_f32 v[38:39], v[56:57], v[96:97]
	flat_store_dword v[74:75], v56
	v_sub_f32_e32 v36, v36, v39
	v_sub_f32_e32 v96, v36, v38
	;; [unrolled: 1-line block ×3, first 2 shown]
	v_mov_b32_e32 v38, s41
	v_mul_f32_e32 v44, v40, v142
	v_mov_b32_e32 v45, v56
	ds_read2_b32 v[38:39], v38 offset1:1
	v_pk_mul_f32 v[74:75], v[44:45], v[102:103]
	v_mov_b32_e32 v36, s37
	s_waitcnt lgkmcnt(0)
	v_pk_mul_f32 v[40:41], v[44:45], v[50:51]
	v_pk_mul_f32 v[50:51], v[44:45], v[130:131]
	v_sub_f32_e32 v75, v143, v75
	v_fma_f32 v98, -v56, v98, v37
	ds_read2_b32 v[36:37], v36 offset1:1
	v_sub_f32_e32 v51, v149, v51
	flat_store_dword v[70:71], v44
	v_sub_f32_e32 v70, v75, v74
	v_sub_f32_e32 v97, v43, v42
	;; [unrolled: 1-line block ×3, first 2 shown]
	v_pk_mul_f32 v[42:43], v[44:45], v[138:139]
	v_pk_mul_f32 v[82:83], v[44:45], v[108:109]
	v_sub_f32_e32 v74, v51, v50
	v_mul_f32_e32 v50, v70, v144
	v_mov_b32_e32 v51, v44
	v_sub_f32_e32 v41, v152, v41
	v_sub_f32_e32 v43, v151, v43
	;; [unrolled: 1-line block ×3, first 2 shown]
	v_pk_mul_f32 v[70:71], v[50:51], v[106:107]
	v_sub_f32_e32 v45, v45, v82
	v_sub_f32_e32 v75, v43, v42
	;; [unrolled: 1-line block ×3, first 2 shown]
	v_pk_mul_f32 v[38:39], v[50:51], v[38:39]
	v_pk_mul_f32 v[40:41], v[50:51], v[46:47]
	;; [unrolled: 1-line block ×4, first 2 shown]
	v_sub_f32_e32 v51, v96, v71
	v_sub_f32_e32 v51, v51, v70
	flat_store_dword v[58:59], v50
	v_mul_f32_e32 v58, v51, v145
	v_mov_b32_e32 v59, v50
	v_pk_mul_f32 v[34:35], v[58:59], v[34:35]
	v_fma_f32 v99, -v56, v101, v99
	v_sub_f32_e32 v35, v75, v35
	v_sub_f32_e32 v39, v98, v39
	v_fma_f32 v83, -v44, v100, v99
	v_sub_f32_e32 v98, v35, v34
	v_pk_mul_f32 v[34:35], v[58:59], v[112:113]
	v_sub_f32_e32 v47, v97, v47
	s_waitcnt lgkmcnt(0)
	v_pk_mul_f32 v[36:37], v[58:59], v[36:37]
	v_sub_f32_e32 v35, v83, v35
	s_sub_i32 s5, s11, 28
	v_pk_mul_f32 v[70:71], v[58:59], v[126:127]
	v_sub_f32_e32 v51, v47, v46
	v_pk_mul_f32 v[46:47], v[58:59], v[134:135]
	v_sub_f32_e32 v37, v82, v37
	v_sub_f32_e32 v59, v35, v34
	v_mov_b32_e32 v35, s5
	s_sub_i32 s5, s11, 36
	v_lshl_add_u64 v[16:17], s[2:3], 2, v[64:65]
	s_add_i32 s2, s0, -14
	v_sub_f32_e32 v99, v37, v36
	v_mov_b32_e32 v36, s5
	s_sub_i32 s5, s11, 44
	s_sub_i32 s13, s11, 20
	v_fma_f32 v24, -v57, v123, v24
	v_mov_b32_e32 v37, s5
	s_lshl_b32 s5, s2, 2
	v_fma_f32 v24, -v56, v122, v24
	v_sub_f32_e32 v41, v105, v41
	v_sub_f32_e32 v47, v74, v47
	flat_store_dword v[62:63], v58
	v_mov_b32_e32 v34, s13
	s_add_i32 s5, s10, s5
	s_add_i32 s9, s1, 0xfffff9e0
	v_fma_f32 v24, -v44, v125, v24
	v_sub_f32_e32 v43, v104, v43
	v_sub_f32_e32 v45, v45, v71
	;; [unrolled: 1-line block ×5, first 2 shown]
	ds_read2_b32 v[38:39], v34 offset1:1
	ds_read2_b32 v[46:47], v35 offset1:1
	;; [unrolled: 1-line block ×4, first 2 shown]
	v_mov_b32_e32 v34, s5
	s_add_i32 s5, s9, s4
	v_sub_f32_e32 v71, v43, v42
	v_fma_f32 v96, -v50, v124, v24
	v_sub_f32_e32 v24, v45, v70
	ds_read_b32 v45, v34
	v_lshl_add_u64 v[34:35], s[2:3], 2, v[64:65]
	v_mov_b32_e32 v42, s5
	s_add_i32 s2, s5, -8
	ds_read_b32 v70, v42
	v_mov_b32_e32 v42, s2
	ds_read2_b32 v[42:43], v42 offset1:1
	s_add_i32 s2, s5, -16
	v_mov_b32_e32 v62, s2
	ds_read2_b32 v[62:63], v62 offset1:1
	s_waitcnt lgkmcnt(0)
	v_fma_f32 v25, -v57, v70, v25
	v_fma_f32 v25, -v56, v43, v25
	;; [unrolled: 1-line block ×3, first 2 shown]
	s_sub_i32 s10, s5, 24
	v_fma_f32 v25, -v50, v63, v25
	v_fma_f32 v100, -v58, v62, v25
	v_mul_f32_e32 v62, v24, v147
	v_mov_b32_e32 v63, v58
	v_pk_mul_f32 v[24:25], v[62:63], v[114:115]
	v_pk_mul_f32 v[42:43], v[62:63], v[116:117]
	v_sub_f32_e32 v25, v51, v25
	v_sub_f32_e32 v101, v25, v24
	v_pk_mul_f32 v[24:25], v[62:63], v[38:39]
	v_sub_f32_e32 v43, v71, v43
	v_pk_mul_f32 v[70:71], v[62:63], v[118:119]
	v_sub_f32_e32 v25, v96, v25
	v_sub_f32_e32 v51, v74, v71
	v_pk_mul_f32 v[74:75], v[62:63], v[120:121]
	v_sub_f32_e32 v63, v25, v24
	v_mov_b32_e32 v24, s10
	s_sub_i32 s10, s5, 32
	s_add_i32 s2, s0, -15
	v_mov_b32_e32 v25, s10
	s_sub_i32 s10, s5, 40
	s_sub_i32 s8, s11, 52
	v_sub_f32_e32 v102, v43, v42
	v_mov_b32_e32 v42, s10
	s_lshl_b32 s10, s2, 2
	s_add_i32 s11, s1, 0xfffff970
	flat_store_dword v[68:69], v62
	s_add_i32 s9, s9, s10
	s_add_i32 s10, s11, s4
	ds_read2_b32 v[38:39], v24 offset1:1
	ds_read2_b32 v[68:69], v25 offset1:1
	;; [unrolled: 1-line block ×3, first 2 shown]
	v_mov_b32_e32 v24, s9
	s_add_i32 s9, s10, -4
	v_sub_f32_e32 v71, v82, v75
	v_sub_f32_e32 v103, v51, v70
	v_mov_b32_e32 v70, s9
	s_add_i32 s9, s10, -12
	v_sub_f32_e32 v104, v71, v74
	v_mov_b32_e32 v74, s9
	ds_read_b32 v51, v24
	ds_read2_b32 v[70:71], v70 offset1:1
	ds_read2_b32 v[74:75], v74 offset1:1
	s_sub_i32 s9, s10, 20
	v_mov_b32_e32 v82, s9
	ds_read2_b32 v[82:83], v82 offset1:1
	s_waitcnt lgkmcnt(0)
	v_fma_f32 v6, -v57, v71, v6
	v_fma_f32 v6, -v56, v70, v6
	;; [unrolled: 1-line block ×4, first 2 shown]
	v_mul_f32_e32 v70, v101, v148
	v_mov_b32_e32 v71, v62
	v_fma_f32 v6, -v58, v83, v6
	v_pk_mul_f32 v[74:75], v[70:71], v[84:85]
	v_fma_f32 v96, -v62, v82, v6
	v_sub_f32_e32 v6, v97, v75
	v_pk_mul_f32 v[82:83], v[70:71], v[86:87]
	v_pk_mul_f32 v[84:85], v[70:71], v[88:89]
	flat_store_dword v[66:67], v70
	v_pk_mul_f32 v[66:67], v[70:71], v[80:81]
	v_sub_f32_e32 v75, v98, v83
	v_sub_f32_e32 v83, v99, v85
	v_sub_f32_e32 v85, v6, v74
	v_sub_f32_e32 v6, v59, v67
	v_pk_mul_f32 v[38:39], v[70:71], v[38:39]
	s_sub_i32 s9, s10, 28
	v_sub_f32_e32 v107, v6, v66
	v_sub_f32_e32 v6, v100, v39
	s_add_i32 s14, s1, 0xfffff900
	v_sub_f32_e32 v71, v6, v38
	v_mov_b32_e32 v6, s9
	s_sub_i32 s9, s10, 36
	s_add_i32 s15, s14, s4
	v_mov_b32_e32 v38, s9
	ds_read2_b32 v[80:81], v6 offset1:1
	ds_read2_b32 v[66:67], v38 offset1:1
	v_mov_b32_e32 v6, s15
	ds_read_b32 v6, v6
	v_lshl_add_u64 v[24:25], s[2:3], 2, v[64:65]
	s_add_i32 s2, s0, -16
	s_lshl_b32 s13, s2, 2
	s_add_i32 s11, s11, s13
	v_mov_b32_e32 v38, s11
	s_add_i32 s11, s15, -8
	v_sub_f32_e32 v106, v83, v84
	s_waitcnt lgkmcnt(0)
	v_fma_f32 v84, -v57, v6, v7
	v_mov_b32_e32 v6, s11
	s_add_i32 s11, s15, -16
	v_mov_b32_e32 v74, s11
	v_sub_f32_e32 v105, v75, v82
	ds_read_b32 v59, v38
	ds_read2_b32 v[6:7], v6 offset1:1
	ds_read2_b32 v[74:75], v74 offset1:1
	s_sub_i32 s11, s15, 24
	v_mov_b32_e32 v82, s11
	ds_read2_b32 v[82:83], v82 offset1:1
	s_waitcnt lgkmcnt(0)
	v_fma_f32 v7, -v56, v7, v84
	v_fma_f32 v6, -v44, v6, v7
	;; [unrolled: 1-line block ×5, first 2 shown]
	v_mul_f32_e32 v74, v85, v150
	v_mov_b32_e32 v75, v70
	v_fma_f32 v108, -v70, v82, v6
	v_pk_mul_f32 v[6:7], v[74:75], v[72:73]
	v_lshl_add_u64 v[38:39], s[2:3], 2, v[64:65]
	v_sub_f32_e32 v7, v102, v7
	v_sub_f32_e32 v102, v7, v6
	v_pk_mul_f32 v[6:7], v[74:75], v[46:47]
	s_sub_i32 s2, s0, 17
	v_sub_f32_e32 v7, v63, v7
	v_sub_f32_e32 v142, v7, v6
	v_pk_mul_f32 v[6:7], v[74:75], v[80:81]
	s_lshl_b32 s18, s2, 2
	s_sub_i32 s11, s15, 32
	v_pk_mul_f32 v[72:73], v[74:75], v[76:77]
	v_pk_mul_f32 v[76:77], v[74:75], v[78:79]
	v_sub_f32_e32 v7, v96, v7
	s_add_i32 s14, s14, s18
	s_add_i32 s18, s1, 0xfffff890
	v_sub_f32_e32 v77, v104, v77
	flat_store_dword v[60:61], v74
	v_sub_f32_e32 v143, v7, v6
	v_mov_b32_e32 v6, s11
	s_add_i32 s23, s18, s4
	v_sub_f32_e32 v141, v77, v76
	ds_read2_b32 v[76:77], v6 offset1:1
	v_mov_b32_e32 v6, s14
	s_add_i32 s14, s23, -4
	v_mov_b32_e32 v46, s14
	ds_read2_b32 v[46:47], v46 offset1:1
	s_add_i32 s14, s23, -12
	v_sub_f32_e32 v73, v103, v73
	v_mov_b32_e32 v60, s14
	s_sub_i32 s14, s23, 20
	v_sub_f32_e32 v140, v73, v72
	v_mov_b32_e32 v72, s14
	s_sub_i32 s14, s23, 28
	ds_read_b32 v63, v6
	v_mov_b32_e32 v75, s14
	ds_read2_b32 v[60:61], v60 offset1:1
	ds_read2_b32 v[72:73], v72 offset1:1
	;; [unrolled: 1-line block ×3, first 2 shown]
	s_waitcnt lgkmcnt(0)
	v_fma_f32 v4, -v57, v47, v4
	v_fma_f32 v4, -v56, v46, v4
	;; [unrolled: 1-line block ×6, first 2 shown]
	s_add_i32 s24, s1, 0xfffff820
	v_fma_f32 v4, -v70, v79, v4
	s_add_i32 s27, s24, s4
	v_fma_f32 v144, -v74, v78, v4
	v_mov_b32_e32 v4, s27
	ds_read_b32 v4, v4
	v_lshl_add_u64 v[6:7], s[2:3], 2, v[64:65]
	s_sub_i32 s2, s0, 18
	s_lshl_b32 s22, s2, 2
	s_add_i32 s18, s18, s22
	v_mov_b32_e32 v46, s18
	s_add_i32 s18, s27, -8
	s_waitcnt lgkmcnt(0)
	v_fma_f32 v75, -v57, v4, v5
	v_mov_b32_e32 v4, s18
	ds_read2_b32 v[4:5], v4 offset1:1
	s_add_i32 s18, s27, -16
	v_mov_b32_e32 v60, s18
	s_sub_i32 s18, s27, 24
	v_mov_b32_e32 v72, s18
	s_sub_i32 s18, s27, 32
	ds_read_b32 v145, v46
	v_mov_b32_e32 v78, s18
	ds_read2_b32 v[60:61], v60 offset1:1
	ds_read2_b32 v[72:73], v72 offset1:1
	;; [unrolled: 1-line block ×3, first 2 shown]
	s_waitcnt lgkmcnt(0)
	v_fma_f32 v5, -v56, v5, v75
	v_fma_f32 v4, -v44, v4, v5
	;; [unrolled: 1-line block ×3, first 2 shown]
	v_lshl_add_u64 v[46:47], s[2:3], 2, v[64:65]
	s_sub_i32 s2, s0, 19
	v_fma_f32 v4, -v58, v60, v4
	v_fma_f32 v4, -v62, v73, v4
	s_sub_i32 s25, s27, 40
	s_sub_i32 s22, s27, 48
	;; [unrolled: 1-line block ×4, first 2 shown]
	s_add_i32 s31, s27, 0xffffffb8
	s_lshl_b32 s27, s2, 2
	s_add_i32 s28, s1, 0xfffff7b0
	v_fma_f32 v4, -v70, v72, v4
	s_add_i32 s24, s24, s27
	s_add_i32 s37, s28, s4
	v_fma_f32 v75, -v74, v81, v4
	v_mov_b32_e32 v4, s24
	s_add_i32 s24, s37, -4
	v_mov_b32_e32 v60, s24
	ds_read2_b32 v[60:61], v60 offset1:1
	s_add_i32 s24, s37, -12
	v_mov_b32_e32 v72, s24
	s_sub_i32 s24, s37, 20
	v_mov_b32_e32 v78, s24
	s_sub_i32 s24, s37, 28
	ds_read_b32 v146, v4
	v_mov_b32_e32 v81, s24
	ds_read2_b32 v[72:73], v72 offset1:1
	ds_read2_b32 v[78:79], v78 offset1:1
	;; [unrolled: 1-line block ×3, first 2 shown]
	s_waitcnt lgkmcnt(0)
	v_fma_f32 v2, -v57, v61, v2
	v_fma_f32 v2, -v56, v60, v2
	;; [unrolled: 1-line block ×7, first 2 shown]
	s_sub_i32 s24, s37, 36
	s_add_i32 s35, s1, 0xfffff740
	v_fma_f32 v81, -v74, v82, v2
	v_mov_b32_e32 v2, s24
	s_add_i32 s38, s35, s4
	ds_read2_b32 v[78:79], v2 offset1:1
	v_mov_b32_e32 v2, s38
	ds_read_b32 v2, v2
	v_lshl_add_u64 v[4:5], s[2:3], 2, v[64:65]
	s_sub_i32 s2, s0, 20
	s_lshl_b32 s33, s2, 2
	s_add_i32 s28, s28, s33
	v_mov_b32_e32 v60, s28
	s_add_i32 s28, s38, -8
	s_waitcnt lgkmcnt(0)
	v_fma_f32 v86, -v57, v2, v3
	v_mov_b32_e32 v2, s28
	ds_read2_b32 v[2:3], v2 offset1:1
	s_add_i32 s28, s38, -16
	v_mov_b32_e32 v72, s28
	s_sub_i32 s28, s38, 24
	v_mov_b32_e32 v82, s28
	s_sub_i32 s28, s38, 32
	v_mov_b32_e32 v84, s28
	ds_read_b32 v147, v60
	ds_read2_b32 v[72:73], v72 offset1:1
	ds_read2_b32 v[82:83], v82 offset1:1
	;; [unrolled: 1-line block ×3, first 2 shown]
	s_waitcnt lgkmcnt(0)
	v_fma_f32 v3, -v56, v3, v86
	v_fma_f32 v2, -v44, v2, v3
	;; [unrolled: 1-line block ×3, first 2 shown]
	v_lshl_add_u64 v[60:61], s[2:3], 2, v[64:65]
	s_sub_i32 s2, s0, 21
	v_fma_f32 v2, -v58, v72, v2
	v_fma_f32 v2, -v62, v83, v2
	s_lshl_b32 s41, s2, 2
	v_fma_f32 v2, -v70, v82, v2
	s_sub_i32 s28, s38, 40
	s_add_i32 s35, s35, s41
	s_add_i32 s41, s1, 0xfffff6d0
	v_fma_f32 v85, -v74, v85, v2
	v_mov_b32_e32 v2, s28
	s_add_i32 s42, s41, s4
	ds_read2_b32 v[82:83], v2 offset1:1
	v_mov_b32_e32 v2, s35
	s_add_i32 s35, s42, -4
	v_mov_b32_e32 v72, s35
	ds_read2_b32 v[72:73], v72 offset1:1
	s_add_i32 s35, s42, -12
	v_mov_b32_e32 v86, s35
	s_sub_i32 s35, s42, 20
	v_mov_b32_e32 v88, s35
	s_sub_i32 s35, s42, 28
	v_mov_b32_e32 v96, s35
	ds_read_b32 v148, v2
	ds_read2_b32 v[86:87], v86 offset1:1
	ds_read2_b32 v[88:89], v88 offset1:1
	;; [unrolled: 1-line block ×3, first 2 shown]
	s_waitcnt lgkmcnt(0)
	v_fma_f32 v0, -v57, v73, v0
	v_fma_f32 v0, -v56, v72, v0
	;; [unrolled: 1-line block ×5, first 2 shown]
	v_lshl_add_u64 v[2:3], s[2:3], 2, v[64:65]
	s_sub_i32 s2, s0, 22
	v_fma_f32 v0, -v62, v88, v0
	v_fma_f32 v0, -v70, v97, v0
	s_sub_i32 s35, s42, 36
	s_lshl_b32 s46, s2, 2
	v_fma_f32 v104, -v74, v96, v0
	v_mov_b32_e32 v0, s35
	s_sub_i32 s35, s42, 44
	s_add_i32 s41, s41, s46
	s_addk_i32 s1, 0xf660
	v_mov_b32_e32 v72, s35
	ds_read2_b32 v[86:87], v0 offset1:1
	ds_read2_b32 v[88:89], v72 offset1:1
	v_mov_b32_e32 v0, s41
	s_add_i32 s4, s1, s4
	ds_read_b32 v149, v0
	v_lshl_add_u64 v[72:73], s[2:3], 2, v[64:65]
	v_mov_b32_e32 v0, s4
	s_add_i32 s2, s4, -8
	ds_read_b32 v0, v0
	v_mov_b32_e32 v96, s2
	ds_read2_b32 v[96:97], v96 offset1:1
	s_add_i32 s2, s4, -16
	v_mov_b32_e32 v98, s2
	ds_read2_b32 v[98:99], v98 offset1:1
	s_waitcnt lgkmcnt(0)
	v_fma_f32 v0, -v57, v0, v1
	v_fma_f32 v0, -v56, v97, v0
	;; [unrolled: 1-line block ×3, first 2 shown]
	s_sub_i32 s12, s5, 48
	v_fma_f32 v0, -v50, v99, v0
	v_fma_f32 v44, -v58, v98, v0
	v_mov_b32_e32 v0, s8
	s_sub_i32 s19, s10, 44
	ds_read2_b32 v[56:57], v0 offset1:1
	v_mov_b32_e32 v0, s12
	s_sub_i32 s26, s15, 40
	ds_read2_b32 v[96:97], v0 offset1:1
	v_mov_b32_e32 v0, s19
	ds_read2_b32 v[98:99], v0 offset1:1
	v_mov_b32_e32 v0, s26
	v_mul_f32_e32 v102, v102, v95
	v_mov_b32_e32 v103, v74
	ds_read2_b32 v[100:101], v0 offset1:1
	v_pk_mul_f32 v[0:1], v[102:103], v[52:53]
	s_sub_i32 s30, s23, 36
	v_sub_f32_e32 v1, v105, v1
	v_sub_f32_e32 v58, v1, v0
	v_pk_mul_f32 v[0:1], v[102:103], v[48:49]
	s_sub_i32 s41, s4, 24
	v_sub_f32_e32 v1, v107, v1
	v_sub_f32_e32 v95, v1, v0
	v_pk_mul_f32 v[0:1], v[102:103], v[68:69]
	v_pk_mul_f32 v[52:53], v[102:103], v[54:55]
	v_sub_f32_e32 v1, v71, v1
	v_sub_f32_e32 v150, v1, v0
	v_pk_mul_f32 v[0:1], v[102:103], v[76:77]
	flat_store_dword v[28:29], v102
	v_sub_f32_e32 v1, v108, v1
	v_sub_f32_e32 v103, v1, v0
	v_mov_b32_e32 v0, s30
	ds_read2_b32 v[48:49], v0 offset1:1
	v_mov_b32_e32 v0, s41
	ds_read2_b32 v[0:1], v0 offset1:1
	s_sub_i32 s46, s4, 32
	s_sub_i32 s47, s4, 40
	s_sub_i32 s48, s4, 48
	v_sub_f32_e32 v50, v106, v53
	v_sub_f32_e32 v50, v50, v52
	v_mov_b32_e32 v28, s46
	v_mov_b32_e32 v52, s47
	;; [unrolled: 1-line block ×3, first 2 shown]
	ds_read2_b32 v[28:29], v28 offset1:1
	ds_read2_b32 v[52:53], v52 offset1:1
	;; [unrolled: 1-line block ×3, first 2 shown]
	s_waitcnt lgkmcnt(0)
	v_fma_f32 v1, -v62, v1, v44
	v_fma_f32 v0, -v70, v0, v1
	s_sub_i32 s8, s4, 64
	s_sub_i32 s33, s38, 48
	;; [unrolled: 1-line block ×4, first 2 shown]
	s_add_i32 s40, s38, 0xffffffb8
	s_addk_i32 s38, 0xffb0
	s_sub_i32 s49, s4, 56
	v_fma_f32 v0, -v74, v29, v0
	v_mov_b32_e32 v1, s8
	s_add_i32 s8, s4, 0xffffffb8
	s_sub_i32 s27, s37, 44
	s_sub_i32 s24, s37, 52
	;; [unrolled: 1-line block ×3, first 2 shown]
	s_add_i32 s36, s37, 0xffffffbc
	s_addk_i32 s37, 0xffb4
	v_fma_f32 v44, -v102, v28, v0
	v_mov_b32_e32 v0, s49
	v_mov_b32_e32 v28, s8
	s_add_i32 s8, s4, 0xffffffb0
	v_mov_b32_e32 v62, s38
	s_add_i32 s45, s42, 0xffffffb4
	v_fma_f32 v151, -v102, v80, v75
	v_mov_b32_e32 v29, s8
	ds_read2_b32 v[68:69], v0 offset1:1
	ds_read2_b32 v[70:71], v1 offset1:1
	;; [unrolled: 1-line block ×5, first 2 shown]
	v_mov_b32_e32 v62, s37
	v_fma_f32 v79, -v102, v79, v81
	ds_read2_b32 v[80:81], v62 offset1:1
	v_mov_b32_e32 v62, s45
	v_fma_f32 v152, -v102, v84, v85
	ds_read2_b32 v[84:85], v62 offset1:1
	v_mov_b32_e32 v62, s31
	s_sub_i32 s20, s23, 44
	s_sub_i32 s14, s23, 52
	;; [unrolled: 1-line block ×3, first 2 shown]
	s_addk_i32 s23, 0xffbc
	v_fma_f32 v87, -v102, v87, v104
	ds_read2_b32 v[104:105], v62 offset1:1
	v_mov_b32_e32 v62, s40
	ds_read2_b32 v[106:107], v62 offset1:1
	v_mov_b32_e32 v62, s23
	s_add_i32 s44, s42, 0xffffffbc
	ds_read2_b32 v[108:109], v62 offset1:1
	v_mov_b32_e32 v62, s36
	s_sub_i32 s13, s15, 48
	s_sub_i32 s11, s15, 56
	;; [unrolled: 1-line block ×3, first 2 shown]
	ds_read2_b32 v[110:111], v62 offset1:1
	v_mov_b32_e32 v62, s44
	ds_read2_b32 v[112:113], v62 offset1:1
	v_mov_b32_e32 v62, s15
	;; [unrolled: 2-line block ×3, first 2 shown]
	s_sub_i32 s9, s10, 52
	s_sub_i32 s10, s10, 60
	ds_read2_b32 v[116:117], v62 offset1:1
	v_mov_b32_e32 v62, s39
	ds_read2_b32 v[118:119], v62 offset1:1
	v_mov_b32_e32 v62, s10
	;; [unrolled: 2-line block ×3, first 2 shown]
	s_sub_i32 s43, s42, 60
	ds_read2_b32 v[122:123], v62 offset1:1
	v_mov_b32_e32 v62, s34
	s_sub_i32 s5, s5, 56
	ds_read2_b32 v[124:125], v62 offset1:1
	v_mov_b32_e32 v62, s43
	ds_read2_b32 v[126:127], v62 offset1:1
	v_mov_b32_e32 v62, s5
	;; [unrolled: 2-line block ×4, first 2 shown]
	s_sub_i32 s35, s42, 52
	s_addk_i32 s42, 0xffac
	ds_read2_b32 v[132:133], v62 offset1:1
	v_mov_b32_e32 v62, s20
	v_mov_b32_e32 v28, s42
	ds_read2_b32 v[134:135], v62 offset1:1
	v_mov_b32_e32 v62, s25
	v_mul_f32_e32 v138, v58, v93
	v_mov_b32_e32 v139, v102
	ds_read2_b32 v[28:29], v28 offset1:1
	ds_read2_b32 v[136:137], v62 offset1:1
	flat_store_dword v[14:15], v138
	v_pk_mul_f32 v[14:15], v[138:139], v[40:41]
	v_pk_mul_f32 v[30:31], v[138:139], v[30:31]
	v_sub_f32_e32 v15, v142, v15
	v_pk_mul_f32 v[48:49], v[138:139], v[48:49]
	v_sub_f32_e32 v31, v140, v31
	;; [unrolled: 2-line block ×4, first 2 shown]
	v_sub_f32_e32 v33, v141, v33
	v_sub_f32_e32 v58, v31, v30
	;; [unrolled: 1-line block ×6, first 2 shown]
	v_mov_b32_e32 v14, s11
	v_mov_b32_e32 v30, s14
	;; [unrolled: 1-line block ×4, first 2 shown]
	v_mul_f32_e32 v48, v58, v92
	v_mov_b32_e32 v49, v138
	ds_read2_b32 v[14:15], v14 offset1:1
	ds_read2_b32 v[30:31], v30 offset1:1
	;; [unrolled: 1-line block ×4, first 2 shown]
	v_pk_mul_f32 v[26:27], v[48:49], v[26:27]
	flat_store_dword v[12:13], v48
	v_pk_mul_f32 v[12:13], v[48:49], v[22:23]
	s_waitcnt lgkmcnt(0)
	v_pk_mul_f32 v[66:67], v[48:49], v[136:137]
	v_sub_f32_e32 v27, v50, v27
	v_sub_f32_e32 v13, v95, v13
	v_fma_f32 v44, -v138, v53, v44
	v_sub_f32_e32 v53, v151, v67
	v_sub_f32_e32 v50, v27, v26
	;; [unrolled: 1-line block ×3, first 2 shown]
	v_pk_mul_f32 v[12:13], v[48:49], v[42:43]
	v_fma_f32 v140, -v138, v78, v79
	v_pk_mul_f32 v[78:79], v[48:49], v[100:101]
	v_sub_f32_e32 v13, v150, v13
	v_mul_f32_e32 v42, v50, v91
	v_mov_b32_e32 v43, v48
	v_sub_f32_e32 v58, v103, v79
	v_sub_f32_e32 v79, v13, v12
	v_mov_b32_e32 v12, s18
	v_mov_b32_e32 v22, s24
	;; [unrolled: 1-line block ×3, first 2 shown]
	v_pk_mul_f32 v[18:19], v[42:43], v[18:19]
	v_sub_f32_e32 v66, v53, v66
	v_fma_f32 v44, -v48, v52, v44
	ds_read2_b32 v[12:13], v12 offset1:1
	ds_read2_b32 v[22:23], v22 offset1:1
	;; [unrolled: 1-line block ×3, first 2 shown]
	v_pk_mul_f32 v[52:53], v[42:43], v[98:99]
	v_sub_f32_e32 v19, v62, v19
	flat_store_dword v[10:11], v42
	v_pk_mul_f32 v[10:11], v[42:43], v[36:37]
	v_sub_f32_e32 v50, v102, v53
	v_sub_f32_e32 v53, v19, v18
	;; [unrolled: 1-line block ×4, first 2 shown]
	v_mov_b32_e32 v10, s28
	v_mov_b32_e32 v18, s35
	v_mul_f32_e32 v36, v53, v90
	v_mov_b32_e32 v37, v42
	ds_read2_b32 v[10:11], v10 offset1:1
	ds_read2_b32 v[18:19], v18 offset1:1
	flat_store_dword v[8:9], v36
	v_pk_mul_f32 v[8:9], v[36:37], v[20:21]
	v_fma_f32 v83, -v138, v83, v152
	v_sub_f32_e32 v9, v67, v9
	v_sub_f32_e32 v8, v9, v8
	;; [unrolled: 1-line block ×3, first 2 shown]
	v_fma_f32 v78, -v48, v82, v83
	s_waitcnt lgkmcnt(0)
	v_pk_mul_f32 v[26:27], v[36:37], v[26:27]
	v_pk_mul_f32 v[32:33], v[36:37], v[32:33]
	v_mul_f32_e32 v8, v8, v94
	v_mov_b32_e32 v9, v36
	v_fma_f32 v86, -v138, v86, v87
	v_sub_f32_e32 v27, v78, v27
	v_sub_f32_e32 v33, v66, v33
	v_pk_mul_f32 v[20:21], v[8:9], v[22:23]
	v_pk_mul_f32 v[22:23], v[8:9], v[30:31]
	;; [unrolled: 1-line block ×3, first 2 shown]
	v_fma_f32 v82, -v48, v89, v86
	v_sub_f32_e32 v32, v33, v32
	v_sub_f32_e32 v33, v27, v26
	v_pk_mul_f32 v[18:19], v[8:9], v[18:19]
	v_pk_mul_f32 v[26:27], v[8:9], v[130:131]
	v_sub_f32_e32 v9, v62, v31
	v_pk_mul_f32 v[40:41], v[42:43], v[40:41]
	v_pk_mul_f32 v[48:49], v[42:43], v[134:135]
	v_sub_f32_e32 v50, v50, v52
	v_fma_f32 v52, -v42, v88, v82
	v_fma_f32 v44, -v42, v55, v44
	v_pk_mul_f32 v[42:43], v[36:37], v[96:97]
	v_sub_f32_e32 v9, v9, v30
	v_sub_f32_e32 v41, v140, v41
	;; [unrolled: 1-line block ×4, first 2 shown]
	flat_store_dword v[16:17], v8
	v_mul_f32_e32 v16, v9, v45
	v_mov_b32_e32 v17, v8
	v_sub_f32_e32 v48, v49, v48
	v_sub_f32_e32 v49, v41, v40
	v_pk_mul_f32 v[40:41], v[36:37], v[132:133]
	v_sub_f32_e32 v37, v43, v42
	v_pk_mul_f32 v[8:9], v[16:17], v[128:129]
	v_sub_f32_e32 v41, v58, v41
	v_sub_f32_e32 v9, v37, v9
	;; [unrolled: 1-line block ×3, first 2 shown]
	v_pk_mul_f32 v[14:15], v[16:17], v[14:15]
	v_sub_f32_e32 v8, v9, v8
	v_sub_f32_e32 v23, v48, v23
	v_sub_f32_e32 v15, v40, v15
	v_pk_mul_f32 v[12:13], v[16:17], v[12:13]
	v_mul_f32_e32 v8, v8, v51
	v_mov_b32_e32 v9, v16
	v_sub_f32_e32 v19, v52, v19
	v_sub_f32_e32 v21, v49, v21
	;; [unrolled: 1-line block ×5, first 2 shown]
	v_pk_mul_f32 v[10:11], v[16:17], v[10:11]
	v_sub_f32_e32 v23, v15, v14
	v_pk_mul_f32 v[14:15], v[8:9], v[122:123]
	v_fma_f32 v36, -v36, v54, v44
	v_sub_f32_e32 v26, v27, v26
	v_sub_f32_e32 v20, v21, v20
	;; [unrolled: 1-line block ×4, first 2 shown]
	flat_store_dword v[34:35], v16
	v_pk_mul_f32 v[18:19], v[8:9], v[120:121]
	v_sub_f32_e32 v15, v22, v15
	v_sub_f32_e32 v22, v13, v12
	v_pk_mul_f32 v[12:13], v[8:9], v[124:125]
	v_pk_mul_f32 v[16:17], v[16:17], v[68:69]
	v_sub_f32_e32 v19, v26, v19
	v_sub_f32_e32 v13, v20, v13
	;; [unrolled: 1-line block ×3, first 2 shown]
	v_pk_mul_f32 v[10:11], v[8:9], v[126:127]
	v_sub_f32_e32 v9, v36, v17
	v_sub_f32_e32 v11, v21, v11
	;; [unrolled: 1-line block ×4, first 2 shown]
	v_mul_f32_e32 v16, v9, v59
	v_mov_b32_e32 v17, v8
	flat_store_dword v[24:25], v8
	v_pk_mul_f32 v[8:9], v[16:17], v[114:115]
	v_sub_f32_e32 v19, v13, v12
	v_sub_f32_e32 v9, v23, v9
	;; [unrolled: 1-line block ×3, first 2 shown]
	v_pk_mul_f32 v[12:13], v[16:17], v[118:119]
	v_mul_f32_e32 v8, v8, v63
	v_mov_b32_e32 v9, v16
	v_sub_f32_e32 v18, v15, v14
	v_pk_mul_f32 v[14:15], v[16:17], v[116:117]
	v_sub_f32_e32 v13, v20, v13
	v_sub_f32_e32 v20, v11, v10
	v_pk_mul_f32 v[10:11], v[8:9], v[108:109]
	v_sub_f32_e32 v15, v22, v15
	v_sub_f32_e32 v11, v18, v11
	flat_store_dword v[38:39], v16
	v_sub_f32_e32 v18, v15, v14
	v_pk_mul_f32 v[14:15], v[8:9], v[110:111]
	v_pk_mul_f32 v[16:17], v[16:17], v[70:71]
	flat_store_dword v[6:7], v8
	v_sub_f32_e32 v6, v11, v10
	v_sub_f32_e32 v15, v19, v15
	;; [unrolled: 1-line block ×3, first 2 shown]
	v_pk_mul_f32 v[12:13], v[8:9], v[112:113]
	v_sub_f32_e32 v9, v21, v17
	v_mul_f32_e32 v6, v6, v145
	v_mov_b32_e32 v7, v8
	v_sub_f32_e32 v16, v9, v16
	v_pk_mul_f32 v[8:9], v[6:7], v[104:105]
	v_sub_f32_e32 v13, v20, v13
	v_sub_f32_e32 v9, v18, v9
	;; [unrolled: 1-line block ×3, first 2 shown]
	v_mul_f32_e32 v8, v8, v146
	v_mov_b32_e32 v9, v6
	v_sub_f32_e32 v14, v15, v14
	v_sub_f32_e32 v15, v13, v12
	v_pk_mul_f32 v[12:13], v[8:9], v[80:81]
	v_pk_mul_f32 v[10:11], v[6:7], v[106:107]
	v_sub_f32_e32 v13, v14, v13
	v_sub_f32_e32 v11, v19, v11
	flat_store_dword v[46:47], v6
	v_pk_mul_f32 v[6:7], v[6:7], v[74:75]
	flat_store_dword v[4:5], v8
	v_sub_f32_e32 v4, v13, v12
	v_sub_f32_e32 v14, v11, v10
	v_pk_mul_f32 v[10:11], v[8:9], v[84:85]
	v_sub_f32_e32 v7, v16, v7
	v_mul_f32_e32 v4, v4, v147
	v_mov_b32_e32 v5, v8
	v_sub_f32_e32 v9, v15, v11
	v_sub_f32_e32 v11, v7, v6
	v_pk_mul_f32 v[6:7], v[4:5], v[76:77]
	v_sub_f32_e32 v10, v9, v10
	v_sub_f32_e32 v7, v14, v7
	;; [unrolled: 1-line block ×3, first 2 shown]
	v_mul_f32_e32 v6, v6, v148
	v_mov_b32_e32 v7, v4
	v_pk_mul_f32 v[8:9], v[6:7], v[28:29]
	v_pk_mul_f32 v[0:1], v[4:5], v[0:1]
	v_sub_f32_e32 v7, v10, v9
	v_sub_f32_e32 v1, v11, v1
	flat_store_dword v[60:61], v4
	v_sub_f32_e32 v4, v1, v0
	v_sub_f32_e32 v0, v7, v8
	s_addk_i32 s4, 0xffa8
	v_mul_f32_e32 v0, v0, v149
	s_sub_i32 s2, s0, 23
	flat_store_dword v[2:3], v6
	flat_store_dword v[72:73], v0
	v_mov_b32_e32 v1, s4
	ds_read2_b32 v[2:3], v1 offset1:1
	s_lshl_b32 s4, s2, 2
	s_add_i32 s1, s1, s4
	v_mov_b32_e32 v1, s1
	ds_read_b32 v5, v1
	v_mov_b32_e32 v1, v6
	s_waitcnt lgkmcnt(0)
	v_pk_mul_f32 v[0:1], v[0:1], v[2:3]
	s_sub_i32 s0, s0, 24
	v_sub_f32_e32 v1, v4, v1
	v_sub_f32_e32 v0, v1, v0
	v_mul_f32_e32 v2, v0, v5
	v_lshl_add_u64 v[0:1], s[2:3], 2, v[64:65]
	flat_store_dword v[0:1], v2
.LBB34_29:
	s_cmp_lt_i32 s0, 0
	s_cbranch_scc1 .LBB34_46
; %bb.30:
	s_and_b32 s1, s0, 3
	s_cmp_eq_u32 s1, 3
	s_mov_b32 s2, s0
	s_cbranch_scc1 .LBB34_35
; %bb.31:
	s_mul_i32 s2, s0, 0x70
	s_lshl_b32 s3, s17, 2
	s_add_i32 s1, s0, 1
	s_add_i32 s2, s2, s3
	s_and_b32 s1, s1, 3
	s_add_i32 s8, s2, -4
	s_mov_b32 s5, 0
	s_mov_b32 s2, s0
	;; [unrolled: 1-line block ×3, first 2 shown]
	s_branch .LBB34_33
.LBB34_32:                              ;   in Loop: Header=BB34_33 Depth=1
	s_mul_i32 s3, s2, 0x74
	v_mov_b32_e32 v1, s3
	ds_read_b32 v1, v1
	s_add_i32 s2, s2, -1
	s_add_i32 s9, s9, 1
	s_addk_i32 s8, 0xff90
	s_cmp_lg_u32 s9, s1
	s_waitcnt lgkmcnt(0)
	v_mul_f32_e32 v0, v0, v1
	flat_store_dword v[2:3], v0
	s_cbranch_scc0 .LBB34_35
.LBB34_33:                              ; =>This Loop Header: Depth=1
                                        ;     Child Loop BB34_34 Depth 2
	s_mov_b32 s3, s5
	v_lshl_add_u64 v[2:3], s[2:3], 2, v[64:65]
	flat_load_dword v0, v[2:3]
	s_cmp_le_i32 s7, s2
	s_mov_b32 s3, s8
	s_mov_b32 s4, s7
	s_waitcnt vmcnt(0) lgkmcnt(0)
	v_mul_f32_e32 v0, s16, v0
	s_cbranch_scc1 .LBB34_32
.LBB34_34:                              ;   Parent Loop BB34_33 Depth=1
                                        ; =>  This Inner Loop Header: Depth=2
	v_lshl_add_u64 v[4:5], s[4:5], 2, v[64:65]
	flat_load_dword v1, v[4:5]
	v_mov_b32_e32 v4, s3
	ds_read_b32 v4, v4
	s_add_i32 s4, s4, -1
	s_add_i32 s3, s3, -4
	s_cmp_gt_i32 s4, s2
	s_waitcnt vmcnt(0) lgkmcnt(0)
	v_fma_f32 v0, -v1, v4, v0
	s_cbranch_scc1 .LBB34_34
	s_branch .LBB34_32
.LBB34_35:
	s_cmp_lt_u32 s0, 3
	s_cbranch_scc1 .LBB34_46
; %bb.36:
	s_mul_i32 s0, s2, 0x70
	s_lshl_b32 s1, s17, 2
	s_add_i32 s0, s0, s1
	s_add_i32 s8, s0, -4
	s_add_i32 s9, s0, 0xffffff8c
	s_add_i32 s10, s0, 0xffffff1c
	;; [unrolled: 1-line block ×3, first 2 shown]
	s_mov_b32 s1, 0
	s_branch .LBB34_38
.LBB34_37:                              ;   in Loop: Header=BB34_38 Depth=1
	s_add_i32 s0, s3, 0xffffff8c
	v_mov_b32_e32 v1, s0
	ds_read_b32 v1, v1
	s_add_i32 s0, s2, -4
	s_addk_i32 s8, 0xfe40
	s_addk_i32 s9, 0xfe40
	;; [unrolled: 1-line block ×4, first 2 shown]
	s_waitcnt lgkmcnt(0)
	v_mul_f32_e32 v0, v0, v1
	s_cmp_lt_i32 s2, 4
	s_mov_b32 s2, s0
	flat_store_dword v[2:3], v0
	s_cbranch_scc1 .LBB34_46
.LBB34_38:                              ; =>This Loop Header: Depth=1
                                        ;     Child Loop BB34_39 Depth 2
                                        ;     Child Loop BB34_41 Depth 2
	;; [unrolled: 1-line block ×4, first 2 shown]
	s_mov_b32 s3, s1
	v_lshl_add_u64 v[4:5], s[2:3], 2, v[64:65]
	flat_load_dword v0, v[4:5]
	s_cmp_le_i32 s7, s2
	s_mov_b32 s3, s8
	s_mov_b32 s0, s7
	s_waitcnt vmcnt(0) lgkmcnt(0)
	v_mul_f32_e32 v0, s16, v0
	s_cbranch_scc1 .LBB34_40
.LBB34_39:                              ;   Parent Loop BB34_38 Depth=1
                                        ; =>  This Inner Loop Header: Depth=2
	v_lshl_add_u64 v[2:3], s[0:1], 2, v[64:65]
	flat_load_dword v1, v[2:3]
	v_mov_b32_e32 v2, s3
	ds_read_b32 v2, v2
	s_add_i32 s0, s0, -1
	s_add_i32 s3, s3, -4
	s_cmp_gt_i32 s0, s2
	s_waitcnt vmcnt(0) lgkmcnt(0)
	v_fma_f32 v0, -v1, v2, v0
	s_cbranch_scc1 .LBB34_39
.LBB34_40:                              ;   in Loop: Header=BB34_38 Depth=1
	s_add_i32 s0, s2, -1
	v_lshl_add_u64 v[2:3], s[0:1], 2, v[64:65]
	flat_load_dword v1, v[2:3]
	s_mul_i32 s3, s2, 0x74
	v_mov_b32_e32 v6, s3
	ds_read_b32 v6, v6
	s_mov_b32 s4, s9
	s_cmp_le_i32 s17, s2
	s_mov_b32 s0, s17
	s_waitcnt lgkmcnt(0)
	v_mul_f32_e32 v0, v0, v6
	flat_store_dword v[4:5], v0
	s_waitcnt vmcnt(0)
	v_mul_f32_e32 v0, s16, v1
	s_cbranch_scc1 .LBB34_42
.LBB34_41:                              ;   Parent Loop BB34_38 Depth=1
                                        ; =>  This Inner Loop Header: Depth=2
	s_add_i32 s0, s0, -1
	v_lshl_add_u64 v[4:5], s[0:1], 2, v[64:65]
	flat_load_dword v1, v[4:5]
	v_mov_b32_e32 v4, s4
	ds_read_b32 v4, v4
	s_add_i32 s4, s4, -4
	s_cmp_gt_i32 s0, s2
	s_waitcnt vmcnt(0) lgkmcnt(0)
	v_fma_f32 v0, -v1, v4, v0
	s_cbranch_scc1 .LBB34_41
.LBB34_42:                              ;   in Loop: Header=BB34_38 Depth=1
	s_add_i32 s4, s2, -2
	s_mov_b32 s5, s1
	v_lshl_add_u64 v[4:5], s[4:5], 2, v[64:65]
	flat_load_dword v1, v[4:5]
	s_addk_i32 s3, 0xff8c
	v_mov_b32_e32 v6, s3
	ds_read_b32 v6, v6
	s_mov_b32 s5, s10
	s_cmp_le_i32 s7, s4
	s_mov_b32 s0, s7
	s_waitcnt lgkmcnt(0)
	v_mul_f32_e32 v0, v0, v6
	flat_store_dword v[2:3], v0
	s_waitcnt vmcnt(0)
	v_mul_f32_e32 v0, s16, v1
	s_cbranch_scc1 .LBB34_44
.LBB34_43:                              ;   Parent Loop BB34_38 Depth=1
                                        ; =>  This Inner Loop Header: Depth=2
	v_lshl_add_u64 v[2:3], s[0:1], 2, v[64:65]
	flat_load_dword v1, v[2:3]
	v_mov_b32_e32 v2, s5
	ds_read_b32 v2, v2
	s_add_i32 s0, s0, -1
	s_add_i32 s5, s5, -4
	s_cmp_gt_i32 s0, s4
	s_waitcnt vmcnt(0) lgkmcnt(0)
	v_fma_f32 v0, -v1, v2, v0
	s_cbranch_scc1 .LBB34_43
.LBB34_44:                              ;   in Loop: Header=BB34_38 Depth=1
	s_add_i32 s4, s2, -3
	s_mov_b32 s5, s1
	v_lshl_add_u64 v[2:3], s[4:5], 2, v[64:65]
	flat_load_dword v1, v[2:3]
	s_addk_i32 s3, 0xff8c
	v_mov_b32_e32 v6, s3
	ds_read_b32 v6, v6
	s_mov_b32 s5, s11
	s_cmp_le_i32 s7, s4
	s_mov_b32 s0, s7
	s_waitcnt lgkmcnt(0)
	v_mul_f32_e32 v0, v0, v6
	flat_store_dword v[4:5], v0
	s_waitcnt vmcnt(0)
	v_mul_f32_e32 v0, s16, v1
	s_cbranch_scc1 .LBB34_37
.LBB34_45:                              ;   Parent Loop BB34_38 Depth=1
                                        ; =>  This Inner Loop Header: Depth=2
	v_lshl_add_u64 v[4:5], s[0:1], 2, v[64:65]
	flat_load_dword v1, v[4:5]
	v_mov_b32_e32 v4, s5
	ds_read_b32 v4, v4
	s_add_i32 s0, s0, -1
	s_add_i32 s5, s5, -4
	s_cmp_gt_i32 s0, s4
	s_waitcnt vmcnt(0) lgkmcnt(0)
	v_fma_f32 v0, -v1, v4, v0
	s_cbranch_scc1 .LBB34_45
	s_branch .LBB34_37
.LBB34_46:
	s_mov_b64 s[0:1], 0
.LBB34_47:
	s_and_b64 vcc, exec, s[0:1]
	s_cbranch_vccz .LBB34_61
; %bb.48:
	s_cmp_gt_i32 s6, 27
	s_cselect_b64 s[2:3], -1, 0
	s_mov_b32 s0, 0
	s_and_b64 vcc, exec, s[2:3]
	s_cbranch_vccz .LBB34_50
; %bb.49:
	flat_load_dwordx4 v[38:41], v[64:65]
	flat_load_dwordx4 v[42:45], v[64:65] offset:16
	flat_load_dwordx4 v[50:53], v[64:65] offset:32
	;; [unrolled: 1-line block ×6, first 2 shown]
	v_mov_b32_e32 v136, 0
	v_mov_b32_e32 v4, 0x414
	ds_read_b128 v[54:57], v136
	ds_read_b128 v[58:61], v136 offset:16
	ds_read_b128 v[70:73], v136 offset:32
	ds_read2_b32 v[34:35], v136 offset0:29 offset1:30
	ds_read_b128 v[24:27], v136 offset:464
	ds_read_b128 v[28:31], v136 offset:480
	ds_read2_b32 v[46:47], v136 offset0:31 offset1:32
	ds_read2_b32 v[62:63], v136 offset0:33 offset1:34
	;; [unrolled: 1-line block ×13, first 2 shown]
	ds_read2_b32 v[32:33], v4 offset1:1
	ds_read2_b64 v[90:93], v136 offset0:31 offset1:32
	ds_read_b64 v[98:99], v136 offset:264
	ds_read2_b64 v[20:23], v136 offset0:87 offset1:88
	ds_read_b64 v[100:101], v136 offset:712
	ds_read_b128 v[4:7], v136 offset:928
	ds_read_b32 v128, v136 offset:1160
	ds_read2_b64 v[94:97], v136 offset0:29 offset1:30
	ds_read2_b32 v[102:103], v136 offset0:39 offset1:40
	s_waitcnt lgkmcnt(0)
	v_mov_b32_e32 v117, v61
	v_mov_b32_e32 v61, v63
	;; [unrolled: 1-line block ×40, first 2 shown]
	s_movk_i32 s0, 0x800
	s_waitcnt vmcnt(0)
	v_mul_f32_e32 v5, s16, v38
	v_mov_b32_e32 v106, v39
	v_mul_f32_e32 v37, v5, v54
	v_pk_mul_f32 v[38:39], v[36:37], v[106:107]
	v_mul_f32_e32 v7, v37, v73
	v_sub_f32_e32 v5, v38, v39
	v_mul_f32_e32 v39, v5, v34
	v_mov_b32_e32 v38, v37
	v_pk_mul_f32 v[34:35], v[38:39], v[74:75]
	v_fma_f32 v21, s16, v53, -v7
	v_fma_f32 v5, s16, v52, -v34
	v_pk_mul_f32 v[52:53], v[38:39], v[70:71]
	v_mov_b32_e32 v122, v51
	v_fma_f32 v7, s16, v50, -v52
	v_pk_mul_f32 v[50:51], v[38:39], v[60:61]
	v_mov_b32_e32 v116, v45
	;; [unrolled: 3-line block ×3, first 2 shown]
	v_fma_f32 v31, s16, v42, -v44
	v_pk_mul_f32 v[42:43], v[38:39], v[56:57]
	flat_store_dwordx2 v[64:65], v[38:39]
	v_fma_f32 v34, s16, v40, -v42
	v_mov_b32_e32 v108, v41
	v_sub_f32_e32 v38, v34, v43
	v_sub_f32_e32 v49, v31, v45
	;; [unrolled: 1-line block ×4, first 2 shown]
	ds_read2_b32 v[44:45], v136 offset0:95 offset1:96
	ds_read2_b32 v[50:51], v136 offset0:151 offset1:152
	ds_read_b64 v[40:41], v136 offset:48
	ds_read_b64 v[42:43], v136 offset:160
	;; [unrolled: 1-line block ×3, first 2 shown]
	v_mov_b32_e32 v7, 0x41c
	v_pk_mul_f32 v[106:107], v[36:37], v[114:115]
	v_pk_mul_f32 v[114:115], v[36:37], v[116:117]
	ds_read_b64 v[60:61], v136 offset:496
	ds_read2_b32 v[56:57], v136 offset0:207 offset1:208
	ds_read2_b32 v[74:75], v7 offset1:1
	ds_read_b32 v125, v136 offset:716
	ds_read_b32 v85, v136 offset:940
	ds_read_b64 v[116:117], v136 offset:720
	v_mov_b32_e32 v7, 0x4fc
	ds_read2_b32 v[70:71], v7 offset1:1
	v_mov_b32_e32 v7, v33
	s_waitcnt lgkmcnt(0)
	v_mul_f32_e32 v33, v37, v40
	v_fma_f32 v16, s16, v16, -v33
	v_fma_f32 v33, -v39, v42, v16
	v_mul_f32_e32 v16, v37, v41
	v_pk_mul_f32 v[54:55], v[36:37], v[108:109]
	v_pk_mul_f32 v[78:79], v[36:37], v[122:123]
	v_sub_f32_e32 v5, v5, v35
	ds_read_b32 v73, v136 offset:1164
	ds_read_b64 v[34:35], v136 offset:1168
	ds_read_b32 v36, v136 offset:1392
	ds_read_b64 v[80:81], v136 offset:944
	v_fma_f32 v16, s16, v17, -v16
	s_waitcnt lgkmcnt(0)
	v_fma_f32 v35, -v39, v43, v16
	ds_read_b32 v59, v136 offset:492
	ds_read2_b32 v[16:17], v136 offset0:97 offset1:98
	v_mul_f32_e32 v41, v38, v94
	v_mov_b32_e32 v40, v39
	v_pk_mul_f32 v[42:43], v[40:41], v[112:113]
	s_waitcnt lgkmcnt(0)
	v_sub_f32_e32 v17, v54, v55
	v_sub_f32_e32 v17, v17, v42
	;; [unrolled: 1-line block ×3, first 2 shown]
	v_pk_mul_f32 v[42:43], v[40:41], v[102:103]
	v_mov_b32_e32 v58, v44
	v_sub_f32_e32 v21, v21, v42
	v_sub_f32_e32 v21, v21, v43
	v_mul_f32_e32 v43, v17, v82
	v_mov_b32_e32 v42, v41
	v_mov_b32_e32 v44, v52
	v_pk_mul_f32 v[44:45], v[42:43], v[44:45]
	v_pk_mul_f32 v[122:123], v[40:41], v[62:63]
	v_sub_f32_e32 v17, v33, v44
	v_fma_f32 v33, -v41, v53, v35
	v_pk_mul_f32 v[52:53], v[42:43], v[92:93]
	v_pk_mul_f32 v[88:89], v[40:41], v[66:67]
	v_sub_f32_e32 v35, v69, v52
	v_pk_mul_f32 v[62:63], v[42:43], v[90:91]
	v_pk_mul_f32 v[66:67], v[42:43], v[96:97]
	v_sub_f32_e32 v25, v25, v62
	v_sub_f32_e32 v38, v49, v66
	flat_store_dwordx2 v[64:65], v[42:43] offset:8
	v_sub_f32_e32 v49, v35, v53
	v_mov_b32_e32 v35, 0x424
	v_mov_b32_e32 v124, v50
	v_pk_mul_f32 v[54:55], v[40:41], v[46:47]
	v_pk_mul_f32 v[46:47], v[42:43], v[98:99]
	v_sub_f32_e32 v38, v38, v67
	v_sub_f32_e32 v42, v25, v63
	;; [unrolled: 1-line block ×3, first 2 shown]
	v_mov_b32_e32 v17, v61
	ds_read2_b32 v[52:53], v136 offset0:153 offset1:154
	v_mov_b32_e32 v61, v51
	ds_read_b32 v127, v136 offset:724
	ds_read2_b32 v[134:135], v136 offset0:155 offset1:156
	ds_read_b64 v[50:51], v136 offset:504
	ds_read2_b32 v[62:63], v136 offset0:209 offset1:210
	ds_read_b32 v99, v136 offset:948
	ds_read_b64 v[90:91], v136 offset:952
	ds_read_b64 v[154:155], v136 offset:728
	ds_read2_b32 v[66:67], v35 offset1:1
	v_mov_b32_e32 v35, 0x504
	v_mov_b32_e32 v40, 0x5e4
	;; [unrolled: 1-line block ×4, first 2 shown]
	ds_read2_b32 v[92:93], v35 offset1:1
	ds_read2_b32 v[44:45], v40 offset1:1
	ds_read_b32 v40, v136 offset:1624
	ds_read_b64 v[56:57], v136 offset:56
	ds_read_b64 v[94:95], v136 offset:168
	;; [unrolled: 1-line block ×4, first 2 shown]
	v_sub_f32_e32 v5, v5, v46
	s_waitcnt lgkmcnt(0)
	v_mov_b32_e32 v98, v62
	v_mov_b32_e32 v31, v87
	v_mul_f32_e32 v46, v37, v56
	v_fma_f32 v18, s16, v18, -v46
	v_fma_f32 v18, -v39, v94, v18
	v_fma_f32 v18, -v41, v96, v18
	;; [unrolled: 1-line block ×3, first 2 shown]
	v_mul_f32_e32 v18, v37, v57
	v_fma_f32 v18, s16, v19, -v18
	v_fma_f32 v18, -v39, v95, v18
	v_mul_f32_e32 v57, v38, v24
	v_sub_f32_e32 v24, v106, v107
	v_sub_f32_e32 v5, v5, v47
	v_mov_b32_e32 v81, v75
	ds_read_b32 v87, v136 offset:1172
	ds_read_b32 v75, v136 offset:1396
	ds_read_b64 v[46:47], v136 offset:1400
	ds_read_b64 v[82:83], v136 offset:1176
	v_fma_f32 v18, -v41, v97, v18
	v_mov_b32_e32 v56, v43
	v_sub_f32_e32 v24, v24, v54
	s_waitcnt lgkmcnt(0)
	v_fma_f32 v47, -v43, v103, v18
	v_pk_mul_f32 v[18:19], v[56:57], v[118:119]
	v_sub_f32_e32 v24, v24, v55
	v_sub_f32_e32 v18, v24, v18
	;; [unrolled: 1-line block ×3, first 2 shown]
	v_pk_mul_f32 v[18:19], v[56:57], v[58:59]
	v_pk_mul_f32 v[16:17], v[56:57], v[16:17]
	v_mov_b32_e32 v126, v52
	v_sub_f32_e32 v18, v21, v18
	v_sub_f32_e32 v16, v33, v16
	v_mul_f32_e32 v59, v24, v48
	v_mov_b32_e32 v58, v57
	v_mov_b32_e32 v52, v50
	v_sub_f32_e32 v38, v18, v19
	v_sub_f32_e32 v33, v16, v17
	v_pk_mul_f32 v[16:17], v[58:59], v[52:53]
	v_pk_mul_f32 v[18:19], v[58:59], v[60:61]
	flat_store_dwordx2 v[64:65], v[58:59] offset:16
	v_sub_f32_e32 v16, v62, v16
	v_sub_f32_e32 v18, v25, v18
	v_pk_mul_f32 v[24:25], v[58:59], v[30:31]
	v_pk_mul_f32 v[28:29], v[58:59], v[28:29]
	;; [unrolled: 1-line block ×3, first 2 shown]
	ds_read2_b32 v[132:133], v136 offset0:211 offset1:212
	v_sub_f32_e32 v5, v5, v24
	v_sub_f32_e32 v21, v49, v28
	;; [unrolled: 1-line block ×4, first 2 shown]
	v_mov_b32_e32 v16, 0x42c
	v_mov_b32_e32 v35, v71
	v_sub_f32_e32 v27, v24, v27
	v_sub_f32_e32 v71, v21, v29
	;; [unrolled: 1-line block ×3, first 2 shown]
	ds_read_b96 v[24:26], v136 offset:736
	ds_read2_b32 v[28:29], v16 offset1:1
	v_mov_b32_e32 v16, 0x50c
	v_pk_mul_f32 v[156:157], v[56:57], v[120:121]
	ds_read_b64 v[94:95], v136 offset:1632
	ds_read_b64 v[48:49], v136 offset:1856
	ds_read_b32 v42, v136 offset:1972
	ds_read2_b32 v[96:97], v16 offset1:1
	ds_read_b96 v[118:120], v136 offset:64
	v_mov_b32_e32 v16, 0x5ec
	v_pk_mul_f32 v[112:113], v[56:57], v[130:131]
	v_fma_f32 v69, -v57, v51, v47
	v_sub_f32_e32 v129, v18, v19
	s_waitcnt lgkmcnt(0)
	v_mov_b32_e32 v30, v132
	v_mov_b32_e32 v17, 0x6cc
	;; [unrolled: 1-line block ×3, first 2 shown]
	ds_read2_b32 v[60:61], v16 offset1:1
	ds_read2_b32 v[50:51], v17 offset1:1
	;; [unrolled: 1-line block ×3, first 2 shown]
	ds_read_b96 v[130:132], v136 offset:176
	v_mul_f32_e32 v16, v37, v118
	v_fma_f32 v12, s16, v12, -v16
	ds_read_b96 v[138:140], v136 offset:288
	ds_read_b96 v[142:144], v136 offset:400
	ds_read_b96 v[146:148], v136 offset:512
	ds_read_b96 v[150:152], v136 offset:624
	v_mov_b32_e32 v106, v28
	s_waitcnt lgkmcnt(0)
	v_fma_f32 v12, -v39, v130, v12
	v_fma_f32 v12, -v41, v138, v12
	;; [unrolled: 1-line block ×5, first 2 shown]
	v_mul_f32_e32 v12, v37, v119
	v_fma_f32 v12, s16, v13, -v12
	v_mov_b32_e32 v91, v67
	v_fma_f32 v12, -v39, v131, v12
	v_mul_f32_e32 v67, v27, v20
	v_sub_f32_e32 v27, v114, v115
	ds_read_b32 v107, v136 offset:1180
	ds_read_b128 v[16:19], v136 offset:960
	v_fma_f32 v12, -v41, v139, v12
	v_sub_f32_e32 v27, v27, v122
	s_waitcnt lgkmcnt(0)
	v_mul_f32_e32 v19, v37, v120
	v_fma_f32 v12, -v43, v143, v12
	v_sub_f32_e32 v27, v27, v123
	v_mov_b32_e32 v86, v66
	v_fma_f32 v13, s16, v14, -v19
	v_fma_f32 v12, -v57, v147, v12
	v_mov_b32_e32 v21, 0x514
	v_mov_b32_e32 v52, 0x6d4
	;; [unrolled: 1-line block ×3, first 2 shown]
	v_sub_f32_e32 v27, v27, v156
	v_mov_b32_e32 v135, v155
	v_mov_b32_e32 v155, v63
	;; [unrolled: 1-line block ×4, first 2 shown]
	v_fma_f32 v14, -v39, v132, v13
	ds_read_b32 v93, v136 offset:1404
	ds_read_b32 v55, v136 offset:1628
	ds_read_b64 v[118:119], v136 offset:1408
	ds_read_b64 v[120:121], v136 offset:1184
	v_fma_f32 v19, -v59, v151, v12
	ds_read_b32 v31, v136 offset:956
	ds_read2_b32 v[12:13], v136 offset0:213 offset1:214
	v_mov_b32_e32 v45, 0x5f4
	ds_read2_b32 v[102:103], v21 offset1:1
	ds_read2_b32 v[62:63], v45 offset1:1
	;; [unrolled: 1-line block ×3, first 2 shown]
	v_pk_mul_f32 v[20:21], v[66:67], v[104:105]
	v_sub_f32_e32 v27, v27, v157
	v_sub_f32_e32 v20, v27, v20
	;; [unrolled: 1-line block ×3, first 2 shown]
	v_pk_mul_f32 v[20:21], v[66:67], v[124:125]
	v_mov_b32_e32 v54, v60
	v_sub_f32_e32 v20, v38, v20
	v_fma_f32 v14, -v41, v140, v14
	v_sub_f32_e32 v60, v20, v21
	v_pk_mul_f32 v[20:21], v[66:67], v[126:127]
	v_fma_f32 v14, -v43, v144, v14
	v_sub_f32_e32 v20, v33, v20
	v_fma_f32 v14, -v57, v148, v14
	v_sub_f32_e32 v56, v20, v21
	v_pk_mul_f32 v[20:21], v[66:67], v[134:135]
	v_fma_f32 v14, -v59, v152, v14
	v_sub_f32_e32 v20, v69, v20
	v_mul_f32_e32 v69, v27, v68
	v_mov_b32_e32 v68, v67
	v_mov_b32_e32 v132, v24
	v_sub_f32_e32 v33, v20, v21
	v_pk_mul_f32 v[20:21], v[68:69], v[132:133]
	v_fma_f32 v58, -v67, v25, v19
	v_fma_f32 v14, -v67, v26, v14
	v_pk_mul_f32 v[24:25], v[68:69], v[154:155]
	v_pk_mul_f32 v[26:27], v[68:69], v[116:117]
	;; [unrolled: 1-line block ×4, first 2 shown]
	v_sub_f32_e32 v20, v28, v20
	v_sub_f32_e32 v19, v137, v24
	;; [unrolled: 1-line block ×5, first 2 shown]
	flat_store_dwordx2 v[64:65], v[68:69] offset:24
	v_pk_mul_f32 v[122:123], v[66:67], v[110:111]
	s_waitcnt lgkmcnt(0)
	v_sub_f32_e32 v63, v22, v23
	v_sub_f32_e32 v28, v5, v101
	;; [unrolled: 1-line block ×5, first 2 shown]
	v_mov_b32_e32 v124, v12
	v_fma_f32 v38, -v69, v13, v14
	ds_read2_b64 v[20:23], v136 offset0:149 offset1:150
	ds_read2_b32 v[12:13], v136 offset0:19 offset1:20
	ds_read2_b64 v[24:27], v136 offset0:177 offset1:178
	ds_read2_b32 v[100:101], v136 offset0:47 offset1:48
	ds_read2_b32 v[110:111], v136 offset0:21 offset1:22
	;; [unrolled: 1-line block ×4, first 2 shown]
	s_waitcnt lgkmcnt(0)
	v_mul_f32_e32 v12, v37, v12
	v_fma_f32 v12, s16, v15, -v12
	v_fma_f32 v12, -v39, v100, v12
	v_mov_b32_e32 v125, v17
	v_fma_f32 v14, -v41, v114, v12
	v_mul_f32_e32 v12, v37, v13
	v_fma_f32 v12, s16, v8, -v12
	v_mul_f32_e32 v8, v37, v110
	v_fma_f32 v17, s16, v9, -v8
	;; [unrolled: 2-line block ×3, first 2 shown]
	v_mul_f32_e32 v8, v37, v104
	ds_read2_b32 v[116:117], v136 offset0:49 offset1:50
	ds_read2_b32 v[126:127], v136 offset0:77 offset1:78
	;; [unrolled: 1-line block ×3, first 2 shown]
	v_fma_f32 v68, s16, v11, -v8
	ds_read2_b32 v[8:9], v136 offset0:103 offset1:104
	v_fma_f32 v15, -v39, v101, v12
	ds_read2_b32 v[10:11], v136 offset0:131 offset1:132
	ds_read2_b32 v[12:13], v136 offset0:159 offset1:160
	v_fma_f32 v15, -v41, v115, v15
	ds_read2_b32 v[110:111], v136 offset0:105 offset1:106
	ds_read2_b32 v[114:115], v136 offset0:107 offset1:108
	;; [unrolled: 1-line block ×3, first 2 shown]
	s_waitcnt lgkmcnt(0)
	v_fma_f32 v8, -v43, v8, v14
	v_fma_f32 v8, -v57, v10, v8
	ds_read2_b32 v[142:143], v136 offset0:133 offset1:134
	ds_read2_b32 v[144:145], v136 offset0:135 offset1:136
	v_fma_f32 v12, -v59, v12, v8
	v_fma_f32 v10, -v43, v9, v15
	ds_read2_b32 v[8:9], v136 offset0:187 offset1:188
	v_fma_f32 v14, -v57, v11, v10
	ds_read2_b32 v[10:11], v136 offset0:215 offset1:216
	v_fma_f32 v13, -v59, v13, v14
	v_mov_b32_e32 v72, v74
	s_waitcnt lgkmcnt(0)
	v_fma_f32 v13, -v67, v9, v13
	v_mov_b32_e32 v74, v92
	v_mov_b32_e32 v92, v96
	v_fma_f32 v12, -v67, v8, v12
	v_fma_f32 v96, -v69, v11, v13
	;; [unrolled: 1-line block ×3, first 2 shown]
	ds_read2_b32 v[146:147], v136 offset0:161 offset1:162
	ds_read2_b32 v[148:149], v136 offset0:189 offset1:190
	;; [unrolled: 1-line block ×3, first 2 shown]
	v_fma_f32 v71, -v69, v10, v12
	v_fma_f32 v10, -v39, v116, v17
	;; [unrolled: 1-line block ×5, first 2 shown]
	ds_read2_b32 v[8:9], v136 offset0:217 offset1:218
	ds_read2_b32 v[152:153], v136 offset0:219 offset1:220
	;; [unrolled: 1-line block ×3, first 2 shown]
	ds_read_b32 v101, v136 offset:1528
	ds_read2_b64 v[12:15], v136 offset0:205 offset1:206
	v_fma_f32 v10, -v43, v110, v10
	v_fma_f32 v11, -v57, v143, v11
	;; [unrolled: 1-line block ×3, first 2 shown]
	s_waitcnt lgkmcnt(0)
	v_fma_f32 v11, -v59, v147, v11
	v_fma_f32 v10, -v59, v146, v10
	;; [unrolled: 1-line block ×3, first 2 shown]
	v_mov_b32_e32 v100, v24
	v_fma_f32 v10, -v67, v148, v10
	v_fma_f32 v24, -v69, v9, v11
	v_mul_f32_e32 v9, v37, v105
	v_mov_b32_e32 v132, v20
	v_fma_f32 v20, -v69, v8, v10
	v_fma_f32 v8, -v39, v138, v68
	v_fma_f32 v0, s16, v0, -v9
	v_mov_b32_e32 v110, v12
	v_mov_b32_e32 v12, 0x828
	v_fma_f32 v0, -v39, v139, v0
	v_mov_b32_e32 v17, 0x43c
	v_fma_f32 v8, -v41, v140, v8
	ds_read_b64 v[134:135], v136 offset:1208
	ds_read_b64 v[130:131], v136 offset:1432
	ds_read_b32 v133, v136 offset:1304
	v_fma_f32 v66, -v43, v114, v8
	v_fma_f32 v0, -v41, v141, v0
	ds_read2_b64 v[8:11], v12 offset1:1
	ds_read2_b32 v[138:139], v17 offset1:1
	v_mov_b32_e32 v17, 0x51c
	v_fma_f32 v0, -v43, v115, v0
	v_fma_f32 v12, -v57, v144, v66
	v_mov_b32_e32 v66, 0x5fc
	v_mov_b32_e32 v68, 0x6dc
	;; [unrolled: 1-line block ×3, first 2 shown]
	ds_read2_b32 v[140:141], v17 offset1:1
	ds_read2_b32 v[116:117], v66 offset1:1
	;; [unrolled: 1-line block ×4, first 2 shown]
	v_sub_f32_e32 v17, v78, v79
	v_sub_f32_e32 v17, v17, v88
	;; [unrolled: 1-line block ×6, first 2 shown]
	v_mul_f32_e32 v127, v63, v4
	v_mov_b32_e32 v126, v69
	v_sub_f32_e32 v17, v17, v123
	v_pk_mul_f32 v[76:77], v[126:127], v[76:77]
	v_pk_mul_f32 v[30:31], v[126:127], v[30:31]
	v_sub_f32_e32 v4, v17, v76
	v_sub_f32_e32 v4, v4, v77
	v_pk_mul_f32 v[76:77], v[126:127], v[84:85]
	v_mov_b32_e32 v66, 0x89c
	v_sub_f32_e32 v17, v60, v76
	v_sub_f32_e32 v63, v17, v77
	v_pk_mul_f32 v[76:77], v[126:127], v[98:99]
	v_fma_f32 v0, -v57, v145, v0
	v_sub_f32_e32 v17, v56, v76
	v_sub_f32_e32 v56, v17, v77
	;; [unrolled: 1-line block ×3, first 2 shown]
	v_mov_b32_e32 v68, 0x444
	v_mov_b32_e32 v88, 0x524
	v_mov_b32_e32 v89, 0x604
	ds_read2_b32 v[78:79], v66 offset1:1
	ds_read2_b32 v[142:143], v68 offset1:1
	;; [unrolled: 1-line block ×4, first 2 shown]
	v_sub_f32_e32 v137, v17, v31
	ds_read2_b32 v[30:31], v136 offset0:243 offset1:244
	ds_read2_b32 v[84:85], v136 offset0:245 offset1:246
	;; [unrolled: 1-line block ×3, first 2 shown]
	v_mul_f32_e32 v33, v4, v32
	v_mov_b32_e32 v32, v127
	v_pk_mul_f32 v[76:77], v[126:127], v[124:125]
	v_pk_mul_f32 v[6:7], v[32:33], v[6:7]
	v_mov_b32_e32 v60, 0x6e4
	v_mov_b32_e32 v68, 0x8a4
	;; [unrolled: 1-line block ×3, first 2 shown]
	v_sub_f32_e32 v29, v58, v76
	v_sub_f32_e32 v4, v28, v6
	v_mov_b32_e32 v66, 0x7c4
	v_mov_b32_e32 v103, 0x984
	v_sub_f32_e32 v58, v29, v77
	s_waitcnt lgkmcnt(0)
	v_fma_f32 v125, -v127, v84, v20
	v_fma_f32 v24, -v127, v85, v24
	ds_read2_b32 v[98:99], v60 offset1:1
	ds_read2_b32 v[88:89], v66 offset1:1
	;; [unrolled: 1-line block ×4, first 2 shown]
	v_sub_f32_e32 v68, v4, v7
	v_pk_mul_f32 v[6:7], v[32:33], v[80:81]
	v_mov_b32_e32 v19, v109
	v_sub_f32_e32 v4, v53, v6
	v_sub_f32_e32 v53, v4, v7
	v_pk_mul_f32 v[6:7], v[32:33], v[90:91]
	v_fma_f32 v12, -v59, v150, v12
	v_fma_f32 v0, -v59, v151, v0
	v_sub_f32_e32 v6, v45, v6
	v_fma_f32 v12, -v67, v154, v12
	v_fma_f32 v0, -v67, v155, v0
	v_sub_f32_e32 v126, v6, v7
	v_pk_mul_f32 v[6:7], v[32:33], v[16:17]
	v_pk_mul_f32 v[16:17], v[32:33], v[18:19]
	v_fma_f32 v12, -v69, v152, v12
	v_fma_f32 v0, -v69, v153, v0
	v_mov_b32_e32 v18, 0x44c
	v_sub_f32_e32 v16, v38, v16
	v_fma_f32 v71, -v127, v30, v71
	v_fma_f32 v124, -v127, v31, v96
	;; [unrolled: 1-line block ×4, first 2 shown]
	ds_read_b32 v66, v136 offset:1216
	v_mov_b32_e32 v96, v120
	v_mov_b32_e32 v109, v121
	ds_read_b32 v111, v136 offset:1752
	ds_read_b64 v[122:123], v136 offset:1656
	ds_read2_b64 v[28:31], v136 offset0:233 offset1:234
	ds_read_b64 v[120:121], v136 offset:1880
	v_sub_f32_e32 v38, v16, v17
	ds_read2_b32 v[16:17], v18 offset1:1
	v_mul_f32_e32 v129, v68, v128
	v_mov_b32_e32 v128, v33
	v_add_u32_e64 v4, s0, 0
	v_sub_f32_e32 v5, v5, v6
	s_waitcnt lgkmcnt(0)
	v_fma_f32 v12, -v33, v16, v12
	v_fma_f32 v0, -v33, v17, v0
	v_pk_mul_f32 v[16:17], v[128:129], v[72:73]
	v_mov_b32_e32 v19, 0x52c
	v_sub_f32_e32 v16, v63, v16
	v_sub_f32_e32 v63, v16, v17
	v_pk_mul_f32 v[16:17], v[128:129], v[86:87]
	v_mov_b32_e32 v20, v138
	v_sub_f32_e32 v16, v56, v16
	v_sub_f32_e32 v56, v16, v17
	;; [unrolled: 4-line block ×4, first 2 shown]
	ds_read2_b64 v[4:7], v4 offset0:7 offset1:63
	v_mov_b32_e32 v32, 0x60c
	v_mov_b32_e32 v45, 0x6ec
	v_fma_f32 v147, -v33, v139, v124
	v_fma_f32 v18, -v33, v142, v125
	ds_read2_b32 v[138:139], v19 offset1:1
	ds_read2_b32 v[124:125], v32 offset1:1
	;; [unrolled: 1-line block ×3, first 2 shown]
	v_mov_b32_e32 v19, 0x7cc
	v_sub_f32_e32 v58, v16, v17
	v_pk_mul_f32 v[16:17], v[128:129], v[20:21]
	v_mov_b32_e32 v32, 0x8ac
	v_mov_b32_e32 v45, 0x98c
	ds_read2_b32 v[86:87], v19 offset1:1
	ds_read2_b32 v[80:81], v32 offset1:1
	;; [unrolled: 1-line block ×3, first 2 shown]
	v_sub_f32_e32 v16, v71, v16
	s_waitcnt lgkmcnt(0)
	v_sub_f32_e32 v87, v16, v17
	v_fma_f32 v106, -v129, v23, v18
	ds_read_b128 v[16:19], v136 offset:2320
	ds_read_b32 v107, v136 offset:1976
	ds_read_b32 v45, v136 offset:2668
	v_mul_f32_e32 v109, v63, v70
	v_mov_b32_e32 v108, v129
	s_waitcnt lgkmcnt(0)
	v_mov_b32_e32 v70, v18
	v_mov_b32_e32 v81, v19
	v_pk_mul_f32 v[18:19], v[108:109], v[82:83]
	v_fma_f32 v119, -v129, v135, v12
	v_sub_f32_e32 v12, v126, v18
	v_mov_b32_e32 v91, v17
	v_sub_f32_e32 v17, v12, v19
	v_pk_mul_f32 v[18:19], v[108:109], v[96:97]
	v_mov_b32_e32 v20, v22
	v_pk_mul_f32 v[22:23], v[108:109], v[34:35]
	v_mov_b32_e32 v90, v84
	v_mov_b32_e32 v84, v4
	;; [unrolled: 1-line block ×3, first 2 shown]
	v_sub_f32_e32 v4, v146, v18
	v_mov_b32_e32 v73, v7
	v_sub_f32_e32 v7, v53, v22
	v_sub_f32_e32 v4, v4, v19
	v_mov_b32_e32 v97, v117
	v_mov_b32_e32 v117, v13
	v_pk_mul_f32 v[12:13], v[108:109], v[20:21]
	v_pk_mul_f32 v[18:19], v[108:109], v[132:133]
	v_fma_f32 v24, -v33, v143, v24
	v_sub_f32_e32 v7, v7, v23
	v_mov_b32_e32 v82, v10
	v_sub_f32_e32 v10, v147, v12
	v_sub_f32_e32 v12, v38, v18
	v_fma_f32 v24, -v129, v134, v24
	v_mov_b32_e32 v53, v49
	v_sub_f32_e32 v49, v12, v19
	v_sub_f32_e32 v10, v10, v13
	v_mul_f32_e32 v13, v7, v36
	v_mov_b32_e32 v12, v109
	v_mov_b32_e32 v63, v95
	;; [unrolled: 1-line block ×4, first 2 shown]
	v_fma_f32 v51, -v109, v145, v24
	v_pk_mul_f32 v[24:25], v[12:13], v[74:75]
	v_fma_f32 v0, -v129, v66, v0
	v_sub_f32_e32 v24, v56, v24
	v_mov_b32_e32 v96, v26
	v_mov_b32_e32 v32, v127
	;; [unrolled: 1-line block ×5, first 2 shown]
	v_pk_mul_f32 v[22:23], v[12:13], v[102:103]
	v_sub_f32_e32 v66, v24, v25
	v_pk_mul_f32 v[24:25], v[12:13], v[92:93]
	flat_store_dwordx4 v[64:65], v[32:35] offset:32
	v_pk_mul_f32 v[18:19], v[12:13], v[26:27]
	v_pk_mul_f32 v[20:21], v[12:13], v[140:141]
	v_sub_f32_e32 v22, v58, v22
	v_sub_f32_e32 v12, v68, v24
	v_mov_b32_e32 v71, v77
	v_sub_f32_e32 v12, v12, v25
	v_sub_f32_e32 v77, v22, v23
	ds_read_b128 v[22:25], v136 offset:1440
	v_sub_f32_e32 v7, v106, v18
	v_fma_f32 v18, -v109, v138, v119
	v_sub_f32_e32 v20, v87, v20
	v_mov_b32_e32 v83, v79
	v_fma_f32 v0, -v109, v139, v0
	v_sub_f32_e32 v79, v20, v21
	v_sub_f32_e32 v7, v7, v19
	v_fma_f32 v87, -v13, v131, v18
	v_mov_b32_e32 v26, v14
	v_mov_b32_e32 v106, v28
	ds_read2_b32 v[18:19], v136 offset0:25 offset1:26
	ds_read2_b32 v[20:21], v136 offset0:249 offset1:250
	ds_read_b32 v14, v136 offset:1228
	ds_read_b32 v28, v136 offset:1340
	s_waitcnt lgkmcnt(0)
	v_fma_f32 v108, -v13, v22, v0
	ds_read2_b32 v[34:35], v136 offset0:81 offset1:82
	ds_read2_b32 v[92:93], v136 offset0:53 offset1:54
	ds_read_b32 v22, v136 offset:220
	ds_read_b32 v32, v136 offset:108
	v_mul_f32_e32 v0, v37, v18
	v_fma_f32 v0, s16, v1, -v0
	v_mul_f32_e32 v19, v37, v19
	s_waitcnt lgkmcnt(0)
	v_fma_f32 v18, -v39, v92, v0
	ds_read2_b32 v[0:1], v136 offset0:109 offset1:110
	ds_read_b32 v36, v136 offset:444
	ds_read_b32 v38, v136 offset:332
	ds_read2_b32 v[102:103], v136 offset0:137 offset1:138
	v_fma_f32 v2, s16, v2, -v19
	v_fma_f32 v2, -v39, v93, v2
	v_fma_f32 v18, -v41, v34, v18
	;; [unrolled: 1-line block ×3, first 2 shown]
	s_waitcnt lgkmcnt(0)
	v_fma_f32 v56, -v43, v0, v18
	v_fma_f32 v2, -v43, v1, v2
	ds_read2_b32 v[0:1], v136 offset0:165 offset1:166
	ds_read2_b32 v[18:19], v136 offset0:193 offset1:194
	ds_read2_b32 v[34:35], v136 offset0:221 offset1:222
	v_fma_f32 v56, -v57, v102, v56
	v_fma_f32 v2, -v57, v103, v2
	s_waitcnt lgkmcnt(0)
	v_fma_f32 v0, -v59, v0, v56
	v_fma_f32 v1, -v59, v1, v2
	;; [unrolled: 1-line block ×3, first 2 shown]
	v_mul_f32_e32 v2, v37, v32
	v_fma_f32 v1, -v67, v19, v1
	v_fma_f32 v2, s16, v3, -v2
	v_fma_f32 v3, -v69, v34, v0
	v_mov_b32_e32 v0, 0x454
	v_mov_b32_e32 v74, v130
	ds_read_b128 v[130:133], v136 offset:1552
	ds_read_b128 v[138:141], v136 offset:1664
	v_fma_f32 v18, -v69, v35, v1
	ds_read2_b32 v[0:1], v0 offset1:1
	v_fma_f32 v3, -v127, v20, v3
	v_fma_f32 v18, -v127, v21, v18
	v_mov_b32_e32 v19, 0x4c4
	v_mov_b32_e32 v20, 0x534
	ds_read2_b32 v[102:103], v19 offset1:1
	ds_read2_b32 v[134:135], v20 offset1:1
	ds_read_b64 v[92:93], v136 offset:3016
	s_waitcnt lgkmcnt(0)
	v_fma_f32 v32, -v33, v0, v3
	v_fma_f32 v56, -v33, v1, v18
	ds_read2_b32 v[0:1], v136 offset0:139 offset1:167
	v_fma_f32 v2, -v39, v22, v2
	v_fma_f32 v2, -v41, v38, v2
	;; [unrolled: 1-line block ×3, first 2 shown]
	ds_read_b128 v[142:145], v136 offset:1776
	ds_read_b128 v[146:149], v136 offset:1888
	s_waitcnt lgkmcnt(0)
	v_fma_f32 v0, -v57, v0, v2
	ds_read2_b32 v[2:3], v136 offset0:195 offset1:223
	ds_read_b96 v[154:156], v136 offset:2000
	ds_read_b128 v[150:153], v136 offset:2112
	v_fma_f32 v0, -v59, v1, v0
	s_movk_i32 s0, 0x200
	s_waitcnt lgkmcnt(0)
	v_fma_f32 v2, -v67, v2, v0
	v_add_u32_e64 v0, s0, 0
	ds_read2_b32 v[0:1], v0 offset0:123 offset1:151
	ds_read_b96 v[158:160], v136 offset:2224
	ds_read_b128 v[34:37], v136 offset:2336
	v_fma_f32 v2, -v69, v3, v2
	ds_read_b96 v[162:164], v136 offset:2448
	ds_read_b128 v[18:21], v136 offset:2560
	s_waitcnt lgkmcnt(0)
	v_fma_f32 v0, -v127, v0, v2
	v_fma_f32 v22, -v33, v1, v0
	ds_read_b96 v[126:128], v136 offset:2672
	ds_read_b128 v[0:3], v136 offset:2784
	v_fma_f32 v32, -v129, v102, v32
	v_fma_f32 v14, -v129, v14, v22
	;; [unrolled: 1-line block ×7, first 2 shown]
	v_mov_b32_e32 v32, 0xb54
	v_fma_f32 v103, -v13, v25, v14
	v_mov_b32_e32 v14, 0x7dc
	v_mov_b32_e32 v27, v115
	v_fma_f32 v102, -v13, v24, v23
	v_mov_b32_e32 v22, 0x8bc
	v_mov_b32_e32 v23, 0x99c
	ds_read2_b32 v[24:25], v32 offset1:1
	ds_read2_b32 v[56:57], v14 offset1:1
	ds_read2_b32 v[58:59], v22 offset1:1
	ds_read2_b32 v[38:39], v23 offset1:1
	v_mov_b32_e32 v14, 0xa7c
	v_mov_b32_e32 v115, v29
	v_mul_f32_e32 v29, v66, v44
	v_mov_b32_e32 v28, v13
	s_waitcnt lgkmcnt(0)
	v_mov_b32_e32 v39, v21
	v_mov_b32_e32 v21, 0xb5c
	ds_read2_b32 v[32:33], v14 offset1:1
	ds_read2_b32 v[22:23], v21 offset1:1
	v_mov_b32_e32 v67, v99
	v_mov_b32_e32 v99, v31
	;; [unrolled: 1-line block ×3, first 2 shown]
	v_pk_mul_f32 v[30:31], v[28:29], v[46:47]
	s_waitcnt lgkmcnt(0)
	v_mov_b32_e32 v33, v3
	v_sub_f32_e32 v3, v17, v30
	v_sub_f32_e32 v3, v3, v31
	v_pk_mul_f32 v[30:31], v[28:29], v[60:61]
	v_mov_b32_e32 v47, v1
	v_sub_f32_e32 v1, v4, v30
	v_sub_f32_e32 v1, v1, v31
	v_pk_mul_f32 v[30:31], v[28:29], v[100:101]
	;; [unrolled: 4-line block ×3, first 2 shown]
	v_mov_b32_e32 v125, v123
	v_sub_f32_e32 v4, v51, v30
	v_sub_f32_e32 v21, v4, v31
	v_mul_f32_e32 v31, v3, v40
	v_mov_b32_e32 v30, v29
	v_pk_mul_f32 v[54:55], v[30:31], v[54:55]
	v_pk_mul_f32 v[74:75], v[28:29], v[96:97]
	v_sub_f32_e32 v12, v12, v54
	v_pk_mul_f32 v[40:41], v[30:31], v[124:125]
	v_fma_f32 v4, -v29, v131, v43
	v_sub_f32_e32 v12, v12, v55
	v_mov_b32_e32 v113, v15
	v_mov_b32_e32 v69, v105
	;; [unrolled: 1-line block ×3, first 2 shown]
	v_sub_f32_e32 v9, v10, v74
	v_sub_f32_e32 v3, v87, v40
	v_pk_mul_f32 v[62:63], v[30:31], v[62:63]
	v_fma_f32 v44, -v31, v139, v4
	v_mov_b32_e32 v87, v5
	v_mul_f32_e32 v5, v12, v50
	v_mov_b32_e32 v4, v31
	v_sub_f32_e32 v9, v9, v75
	v_fma_f32 v28, -v29, v133, v103
	v_pk_mul_f32 v[74:75], v[30:31], v[112:113]
	v_sub_f32_e32 v40, v77, v62
	v_pk_mul_f32 v[50:51], v[4:5], v[94:95]
	v_mov_b32_e32 v66, v122
	v_fma_f32 v10, -v29, v132, v102
	v_sub_f32_e32 v7, v7, v74
	v_sub_f32_e32 v43, v40, v63
	;; [unrolled: 1-line block ×3, first 2 shown]
	v_mov_b32_e32 v40, v138
	v_mov_b32_e32 v41, v142
	v_fma_f32 v74, -v31, v141, v28
	v_sub_f32_e32 v1, v1, v50
	v_mov_b32_e32 v28, v13
	v_pk_mul_f32 v[12:13], v[4:5], v[110:111]
	v_fma_f32 v23, -v29, v130, v108
	v_fma_f32 v49, -v31, v140, v10
	v_mov_b32_e32 v55, v89
	v_mov_b32_e32 v89, v11
	v_pk_mul_f32 v[10:11], v[4:5], v[40:41]
	v_pk_mul_f32 v[40:41], v[4:5], v[66:67]
	;; [unrolled: 1-line block ×3, first 2 shown]
	v_sub_f32_e32 v1, v1, v51
	v_sub_f32_e32 v4, v17, v12
	v_pk_mul_f32 v[96:97], v[30:31], v[116:117]
	v_mov_b32_e32 v62, v146
	v_sub_f32_e32 v10, v23, v10
	v_mov_b32_e32 v30, v31
	v_mov_b32_e32 v31, v5
	v_sub_f32_e32 v17, v4, v13
	v_mul_f32_e32 v13, v1, v48
	v_mov_b32_e32 v12, v5
	v_mov_b32_e32 v146, v143
	;; [unrolled: 1-line block ×3, first 2 shown]
	v_sub_f32_e32 v9, v9, v26
	flat_store_dwordx4 v[64:65], v[28:31] offset:48
	v_sub_f32_e32 v23, v10, v11
	v_pk_mul_f32 v[10:11], v[12:13], v[146:147]
	v_pk_mul_f32 v[30:31], v[12:13], v[52:53]
	v_mov_b32_e32 v59, v37
	v_sub_f32_e32 v37, v79, v96
	v_sub_f32_e32 v7, v7, v75
	;; [unrolled: 1-line block ×5, first 2 shown]
	v_fma_f32 v40, -v5, v144, v49
	v_fma_f32 v10, -v5, v145, v74
	v_pk_mul_f32 v[4:5], v[12:13], v[118:119]
	v_pk_mul_f32 v[26:27], v[12:13], v[98:99]
	;; [unrolled: 1-line block ×3, first 2 shown]
	v_sub_f32_e32 v12, v43, v30
	v_sub_f32_e32 v37, v37, v97
	;; [unrolled: 1-line block ×9, first 2 shown]
	v_mov_b32_e32 v4, v148
	v_mov_b32_e32 v5, v156
	v_fma_f32 v43, -v13, v149, v10
	v_mul_f32_e32 v11, v12, v42
	v_mov_b32_e32 v10, v13
	v_pk_mul_f32 v[4:5], v[10:11], v[4:5]
	v_pk_mul_f32 v[30:31], v[10:11], v[106:107]
	v_mov_b32_e32 v54, v120
	v_mov_b32_e32 v63, v154
	v_sub_f32_e32 v21, v21, v41
	v_sub_f32_e32 v4, v40, v4
	;; [unrolled: 1-line block ×3, first 2 shown]
	v_pk_mul_f32 v[40:41], v[10:11], v[68:69]
	v_sub_f32_e32 v7, v7, v29
	v_pk_mul_f32 v[26:27], v[10:11], v[62:63]
	v_pk_mul_f32 v[28:29], v[10:11], v[54:55]
	v_sub_f32_e32 v10, v9, v40
	v_sub_f32_e32 v9, v17, v31
	v_mul_f32_e32 v9, v9, v8
	v_mov_b32_e32 v8, v11
	v_sub_f32_e32 v21, v21, v28
	v_pk_mul_f32 v[30:31], v[8:9], v[104:105]
	v_mov_b32_e32 v57, v153
	v_sub_f32_e32 v12, v23, v26
	v_sub_f32_e32 v7, v7, v30
	;; [unrolled: 1-line block ×3, first 2 shown]
	v_pk_mul_f32 v[28:29], v[8:9], v[86:87]
	v_sub_f32_e32 v17, v10, v41
	v_sub_f32_e32 v3, v3, v28
	;; [unrolled: 1-line block ×4, first 2 shown]
	v_mov_b32_e32 v10, v13
	v_mov_b32_e32 v12, v9
	v_sub_f32_e32 v7, v7, v31
	v_pk_mul_f32 v[4:5], v[8:9], v[56:57]
	flat_store_dwordx3 v[64:65], v[10:12] offset:64
	v_sub_f32_e32 v4, v43, v4
	v_sub_f32_e32 v3, v3, v29
	v_mul_f32_e32 v11, v7, v78
	v_mov_b32_e32 v10, v9
	v_sub_f32_e32 v29, v4, v5
	v_pk_mul_f32 v[4:5], v[10:11], v[82:83]
	v_mov_b32_e32 v100, v150
	v_mov_b32_e32 v150, v155
	v_sub_f32_e32 v4, v17, v4
	v_pk_mul_f32 v[40:41], v[8:9], v[88:89]
	v_pk_mul_f32 v[26:27], v[8:9], v[150:151]
	;; [unrolled: 1-line block ×3, first 2 shown]
	v_sub_f32_e32 v4, v4, v5
	v_mov_b32_e32 v101, v158
	v_sub_f32_e32 v7, v21, v8
	v_mul_f32_e32 v5, v4, v16
	v_mov_b32_e32 v4, v11
	v_sub_f32_e32 v23, v37, v40
	v_pk_mul_f32 v[12:13], v[10:11], v[100:101]
	v_sub_f32_e32 v7, v7, v9
	v_pk_mul_f32 v[8:9], v[4:5], v[80:81]
	v_mov_b32_e32 v60, v34
	v_mov_b32_e32 v34, v159
	v_sub_f32_e32 v1, v1, v26
	v_sub_f32_e32 v23, v23, v41
	;; [unrolled: 1-line block ×3, first 2 shown]
	v_pk_mul_f32 v[16:17], v[4:5], v[90:91]
	v_sub_f32_e32 v3, v3, v8
	v_sub_f32_e32 v1, v1, v27
	;; [unrolled: 1-line block ×4, first 2 shown]
	v_pk_mul_f32 v[12:13], v[4:5], v[34:35]
	v_sub_f32_e32 v3, v3, v9
	v_pk_mul_f32 v[8:9], v[4:5], v[58:59]
	v_sub_f32_e32 v1, v1, v12
	v_sub_f32_e32 v12, v16, v17
	;; [unrolled: 1-line block ×4, first 2 shown]
	v_mul_f32_e32 v9, v12, v76
	v_mov_b32_e32 v8, v5
	v_mov_b32_e32 v153, v160
	v_sub_f32_e32 v1, v1, v13
	v_pk_mul_f32 v[12:13], v[8:9], v[70:71]
	v_mov_b32_e32 v61, v162
	v_pk_mul_f32 v[26:27], v[10:11], v[152:153]
	v_sub_f32_e32 v4, v7, v12
	v_sub_f32_e32 v10, v30, v26
	v_mov_b32_e32 v37, v164
	v_pk_mul_f32 v[16:17], v[8:9], v[60:61]
	v_sub_f32_e32 v4, v4, v13
	v_mov_b32_e32 v14, v18
	v_mov_b32_e32 v18, v163
	v_sub_f32_e32 v10, v10, v27
	v_sub_f32_e32 v7, v21, v16
	v_pk_mul_f32 v[26:27], v[8:9], v[36:37]
	v_mul_f32_e32 v13, v4, v6
	v_mov_b32_e32 v12, v9
	v_sub_f32_e32 v8, v10, v26
	v_pk_mul_f32 v[28:29], v[12:13], v[72:73]
	v_sub_f32_e32 v10, v7, v17
	v_pk_mul_f32 v[16:17], v[12:13], v[18:19]
	v_mov_b32_e32 v4, v11
	v_mov_b32_e32 v6, v9
	v_mov_b32_e32 v7, v13
	v_sub_f32_e32 v3, v3, v28
	v_sub_f32_e32 v1, v1, v16
	flat_store_dwordx4 v[64:65], v[4:7] offset:76
	v_sub_f32_e32 v3, v3, v29
	v_sub_f32_e32 v11, v1, v17
	v_pk_mul_f32 v[4:5], v[12:13], v[38:39]
	v_mov_b32_e32 v15, v126
	v_sub_f32_e32 v1, v23, v4
	v_sub_f32_e32 v12, v1, v5
	v_mul_f32_e32 v5, v3, v45
	v_mov_b32_e32 v4, v13
	v_pk_mul_f32 v[6:7], v[4:5], v[14:15]
	v_mov_b32_e32 v46, v127
	v_sub_f32_e32 v1, v10, v6
	v_sub_f32_e32 v1, v1, v7
	v_mul_f32_e32 v1, v1, v0
	v_mov_b32_e32 v0, v5
	v_mov_b32_e32 v21, v128
	v_pk_mul_f32 v[6:7], v[0:1], v[46:47]
	v_sub_f32_e32 v16, v8, v27
	v_pk_mul_f32 v[8:9], v[4:5], v[20:21]
	v_sub_f32_e32 v4, v11, v6
	v_sub_f32_e32 v4, v4, v7
	v_pk_mul_f32 v[6:7], v[0:1], v[32:33]
	v_sub_f32_e32 v3, v16, v8
	v_sub_f32_e32 v0, v12, v6
	;; [unrolled: 1-line block ×3, first 2 shown]
	v_mov_b32_e32 v3, v25
	v_sub_f32_e32 v10, v0, v7
	v_mul_f32_e32 v7, v4, v24
	v_mov_b32_e32 v6, v1
	v_pk_mul_f32 v[2:3], v[6:7], v[2:3]
	v_mov_b32_e32 v23, v93
	v_sub_f32_e32 v0, v8, v2
	v_sub_f32_e32 v0, v0, v3
	v_mul_f32_e32 v9, v0, v92
	v_mov_b32_e32 v0, v5
	v_mov_b32_e32 v2, v7
	;; [unrolled: 1-line block ×3, first 2 shown]
	flat_store_dwordx4 v[64:65], v[0:3] offset:92
	ds_read_b32 v2, v136 offset:3132
	v_mov_b32_e32 v8, v7
	v_pk_mul_f32 v[0:1], v[8:9], v[22:23]
	s_mov_b32 s0, 28
	v_sub_f32_e32 v0, v10, v0
	v_sub_f32_e32 v0, v0, v1
	s_waitcnt lgkmcnt(0)
	v_mul_f32_e32 v0, v0, v2
	flat_store_dword v[64:65], v0 offset:108
.LBB34_50:
	s_cmp_lt_i32 s0, s17
	s_cbranch_scc0 .LBB34_61
; %bb.51:
	s_add_i32 s1, s0, 23
	s_cmp_ge_u32 s1, s17
	s_cbranch_scc1 .LBB34_56
; %bb.52:
	s_lshl_b32 s4, s0, 2
	s_mov_b32 s5, 0
	v_lshl_add_u64 v[66:67], v[64:65], 0, s[4:5]
	flat_load_dwordx4 v[0:3], v[66:67]
	flat_load_dwordx4 v[4:7], v[66:67] offset:16
	flat_load_dwordx4 v[8:11], v[66:67] offset:32
	;; [unrolled: 1-line block ×5, first 2 shown]
	s_andn2_b64 vcc, exec, s[2:3]
	s_waitcnt vmcnt(0) lgkmcnt(0)
	v_pk_mul_f32 v[48:49], s[16:17], v[0:1] op_sel_hi:[0,1]
	v_pk_mul_f32 v[14:15], s[16:17], v[2:3] op_sel_hi:[0,1]
	;; [unrolled: 1-line block ×12, first 2 shown]
	s_cbranch_vccnz .LBB34_55
; %bb.53:
	v_mov_b64_e32 v[0:1], v[64:65]
	s_mov_b32 s2, s0
.LBB34_54:                              ; =>This Inner Loop Header: Depth=1
	flat_load_dword v10, v[0:1]
	v_mov_b32_e32 v11, s4
	ds_read_b128 v[2:5], v11
	ds_read_b128 v[6:9], v11 offset:16
	ds_read_b128 v[16:19], v11 offset:32
	;; [unrolled: 1-line block ×5, first 2 shown]
	s_add_i32 s2, s2, -1
	s_addk_i32 s4, 0x70
	v_lshl_add_u64 v[0:1], v[0:1], 0, 4
	s_cmp_lg_u32 s2, 0
	s_waitcnt vmcnt(0) lgkmcnt(0)
	v_pk_fma_f32 v[48:49], v[10:11], v[2:3], v[48:49] op_sel_hi:[0,1,1] neg_lo:[1,0,0] neg_hi:[1,0,0]
	v_pk_fma_f32 v[14:15], v[10:11], v[4:5], v[14:15] op_sel_hi:[0,1,1] neg_lo:[1,0,0] neg_hi:[1,0,0]
	;; [unrolled: 1-line block ×12, first 2 shown]
	s_cbranch_scc1 .LBB34_54
.LBB34_55:
	s_lshl_b32 s2, s0, 2
	s_mul_i32 s3, s0, 0x70
	s_add_i32 s2, s2, s3
	v_mov_b32_e32 v140, s2
	ds_read_b128 v[80:83], v140
	ds_read_b128 v[88:91], v140 offset:16
	ds_read_b128 v[8:11], v140 offset:32
	ds_read2_b32 v[72:73], v140 offset0:29 offset1:30
	ds_read2_b32 v[52:53], v140 offset0:31 offset1:32
	ds_read2_b64 v[0:3], v140 offset0:29 offset1:30
	ds_read2_b32 v[50:51], v140 offset0:87 offset1:88
	ds_read2_b32 v[84:85], v140 offset0:33 offset1:34
	;; [unrolled: 1-line block ×3, first 2 shown]
	ds_read_b128 v[20:23], v140 offset:464
	ds_read2_b32 v[26:27], v140 offset0:145 offset1:146
	ds_read2_b32 v[102:103], v140 offset0:35 offset1:36
	ds_read2_b64 v[4:7], v140 offset0:31 offset1:32
	ds_read2_b64 v[16:19], v140 offset0:87 offset1:88
	ds_read2_b32 v[40:41], v140 offset0:91 offset1:92
	ds_read2_b32 v[56:57], v140 offset0:147 offset1:148
	;; [unrolled: 1-line block ×3, first 2 shown]
	s_mul_i32 s3, s0, 0x74
	s_add_i32 s4, s3, 0x414
	s_waitcnt lgkmcnt(11)
	v_mov_b32_e32 v59, v1
	s_waitcnt lgkmcnt(1)
	v_mov_b32_e32 v104, v56
	ds_read2_b32 v[106:107], v140 offset0:37 offset1:38
	ds_read_b96 v[54:56], v140 offset:480
	ds_read_b96 v[60:62], v140 offset:928
	v_mov_b32_e32 v1, s4
	v_mul_f32_e32 v92, v48, v80
	ds_read2_b32 v[110:111], v140 offset0:93 offset1:94
	ds_read2_b32 v[108:109], v140 offset0:149 offset1:150
	;; [unrolled: 1-line block ×3, first 2 shown]
	ds_read2_b32 v[78:79], v1 offset1:1
	v_fma_f32 v1, -v92, v81, v49
	v_mov_b32_e32 v76, v102
	v_mov_b32_e32 v102, v8
	v_mul_f32_e32 v93, v1, v72
	v_mov_b32_e32 v74, v84
	v_mov_b32_e32 v84, v90
	s_waitcnt lgkmcnt(6)
	v_mov_b32_e32 v96, v106
	v_mov_b32_e32 v106, v10
	v_fma_f32 v47, -v92, v11, v47
	v_pk_mul_f32 v[10:11], v[92:93], v[102:103]
	v_mov_b32_e32 v58, v52
	v_mov_b32_e32 v52, v88
	;; [unrolled: 1-line block ×4, first 2 shown]
	s_waitcnt lgkmcnt(5)
	v_mov_b32_e32 v41, v55
	v_mov_b32_e32 v55, v57
	v_fma_f32 v57, -v92, v9, v45
	v_sub_f32_e32 v9, v44, v10
	v_pk_mul_f32 v[44:45], v[92:93], v[84:85]
	v_mov_b32_e32 v70, v82
	v_mov_b32_e32 v71, v73
	;; [unrolled: 1-line block ×4, first 2 shown]
	v_fma_f32 v51, -v92, v91, v39
	v_pk_mul_f32 v[48:49], v[92:93], v[106:107]
	v_sub_f32_e32 v10, v38, v44
	v_pk_mul_f32 v[38:39], v[92:93], v[52:53]
	v_mov_b32_e32 v43, v21
	v_mov_b32_e32 v77, v5
	;; [unrolled: 1-line block ×6, first 2 shown]
	v_fma_f32 v21, -v92, v83, v15
	v_fma_f32 v27, -v92, v89, v37
	v_sub_f32_e32 v1, v46, v48
	v_sub_f32_e32 v15, v36, v38
	v_pk_mul_f32 v[36:37], v[92:93], v[70:71]
	s_add_i32 s4, s2, 0x41c
	s_waitcnt lgkmcnt(1)
	v_mov_b32_e32 v94, v100
	ds_read_b64 v[86:87], v140 offset:264
	ds_read_b32 v100, v140 offset:712
	ds_read_b32 v141, v142 offset:1160
	;; [unrolled: 1-line block ×3, first 2 shown]
	v_sub_f32_e32 v14, v14, v36
	flat_store_dwordx2 v[66:67], v[92:93]
	v_sub_f32_e32 v49, v1, v49
	v_mov_b32_e32 v1, s4
	s_add_i32 s4, s2, 0x48c
	v_sub_f32_e32 v48, v14, v37
	v_sub_f32_e32 v39, v15, v39
	ds_read2_b32 v[14:15], v140 offset0:95 offset1:96
	ds_read2_b32 v[174:175], v140 offset0:123 offset1:124
	;; [unrolled: 1-line block ×6, first 2 shown]
	ds_read2_b32 v[88:89], v1 offset1:1
	v_mov_b32_e32 v1, s4
	s_add_i32 s4, s3, 0x4fc
	ds_read2_b32 v[172:173], v1 offset1:1
	v_mov_b32_e32 v1, s4
	v_mov_b32_e32 v95, v61
	v_sub_f32_e32 v61, v10, v45
	ds_read2_b32 v[80:81], v1 offset1:1
	ds_read_b96 v[36:38], v140 offset:48
	ds_read_b96 v[44:46], v140 offset:160
	v_mov_b32_e32 v42, v30
	v_mov_b32_e32 v30, v40
	;; [unrolled: 1-line block ×3, first 2 shown]
	s_waitcnt lgkmcnt(0)
	v_fma_f32 v1, -v92, v36, v12
	v_fma_f32 v44, -v93, v44, v1
	;; [unrolled: 1-line block ×3, first 2 shown]
	v_sub_f32_e32 v63, v9, v11
	v_mov_b32_e32 v9, v87
	v_mov_b32_e32 v87, v111
	v_fma_f32 v13, -v93, v45, v1
	v_fma_f32 v1, -v92, v38, v34
	v_mul_f32_e32 v111, v48, v0
	v_mov_b32_e32 v110, v93
	v_fma_f32 v34, -v93, v46, v1
	v_pk_mul_f32 v[0:1], v[110:111], v[58:59]
	v_mov_b32_e32 v52, v14
	v_sub_f32_e32 v0, v21, v0
	v_sub_f32_e32 v14, v0, v1
	v_pk_mul_f32 v[0:1], v[110:111], v[74:75]
	v_mov_b32_e32 v128, v116
	v_sub_f32_e32 v0, v27, v0
	v_sub_f32_e32 v116, v0, v1
	v_pk_mul_f32 v[0:1], v[110:111], v[76:77]
	ds_read_b96 v[10:12], v140 offset:272
	ds_read_b64 v[70:71], v142 offset:1392
	v_sub_f32_e32 v0, v51, v0
	v_mov_b32_e32 v102, v126
	v_sub_f32_e32 v126, v0, v1
	v_pk_mul_f32 v[0:1], v[110:111], v[96:97]
	v_mul_f32_e32 v107, v14, v50
	v_sub_f32_e32 v0, v57, v0
	v_sub_f32_e32 v143, v0, v1
	v_pk_mul_f32 v[0:1], v[110:111], v[8:9]
	v_mov_b32_e32 v106, v111
	v_sub_f32_e32 v0, v47, v0
	s_waitcnt lgkmcnt(0)
	v_mov_b32_e32 v14, v10
	v_sub_f32_e32 v110, v0, v1
	v_pk_mul_f32 v[0:1], v[106:107], v[14:15]
	v_pk_mul_f32 v[8:9], v[106:107], v[86:87]
	;; [unrolled: 1-line block ×5, first 2 shown]
	v_mov_b32_e32 v105, v17
	v_mov_b32_e32 v91, v79
	ds_read2_b32 v[36:37], v140 offset0:97 offset1:98
	ds_read2_b32 v[112:113], v140 offset0:125 offset1:126
	;; [unrolled: 1-line block ×3, first 2 shown]
	ds_read_b32 v17, v140 offset:724
	ds_read_b32 v120, v140 offset:836
	;; [unrolled: 1-line block ×7, first 2 shown]
	v_sub_f32_e32 v0, v44, v0
	v_fma_f32 v10, -v111, v12, v34
	v_sub_f32_e32 v8, v49, v8
	v_sub_f32_e32 v6, v63, v6
	;; [unrolled: 1-line block ×4, first 2 shown]
	flat_store_dwordx2 v[66:67], v[106:107] offset:8
	v_mov_b32_e32 v115, v19
	v_mov_b32_e32 v19, v99
	;; [unrolled: 1-line block ×3, first 2 shown]
	v_fma_f32 v156, -v111, v11, v13
	v_sub_f32_e32 v106, v2, v3
	v_sub_f32_e32 v27, v4, v5
	;; [unrolled: 1-line block ×5, first 2 shown]
	s_waitcnt lgkmcnt(0)
	v_mov_b32_e32 v124, v36
	ds_read2_b64 v[48:51], v140 offset0:91 offset1:92
	ds_read2_b64 v[164:167], v140 offset0:105 offset1:106
	v_fma_f32 v73, -v107, v37, v10
	ds_read2_b64 v[36:39], v140 offset0:119 offset1:120
	ds_read2_b64 v[152:155], v140 offset0:133 offset1:134
	;; [unrolled: 1-line block ×6, first 2 shown]
	ds_read2_b32 v[0:1], v140 offset0:15 offset1:16
	ds_read2_b32 v[2:3], v140 offset0:43 offset1:44
	;; [unrolled: 1-line block ×4, first 2 shown]
	ds_read2_b64 v[4:7], v142 offset0:203 offset1:204
	s_waitcnt lgkmcnt(0)
	v_fma_f32 v0, -v92, v0, v35
	v_fma_f32 v0, -v93, v2, v0
	;; [unrolled: 1-line block ×3, first 2 shown]
	s_add_i32 s4, s3, 0x6cc
	v_mov_b32_e32 v96, v36
	v_fma_f32 v36, -v107, v46, v0
	v_mov_b32_e32 v0, s4
	ds_read2_b32 v[138:139], v140 offset0:127 offset1:128
	ds_read2_b32 v[122:123], v140 offset0:155 offset1:156
	ds_read2_b32 v[74:75], v0 offset1:1
	v_fma_f32 v0, -v92, v1, v32
	v_fma_f32 v0, -v93, v3, v0
	s_add_i32 s4, s2, 0x6d4
	v_fma_f32 v0, -v111, v45, v0
	v_mov_b32_e32 v21, s4
	s_add_i32 s4, s3, 0x7b4
	v_mov_b32_e32 v114, v108
	v_mov_b32_e32 v108, v56
	v_mov_b32_e32 v125, v112
	v_mov_b32_e32 v118, v113
	v_mov_b32_e32 v132, v48
	v_fma_f32 v48, -v107, v47, v0
	ds_read2_b32 v[34:35], v140 offset0:17 offset1:18
	ds_read2_b32 v[44:45], v140 offset0:45 offset1:46
	;; [unrolled: 1-line block ×4, first 2 shown]
	ds_read_b128 v[0:3], v142 offset:1856
	ds_read2_b32 v[112:113], v140 offset0:129 offset1:130
	ds_read2_b32 v[136:137], v140 offset0:157 offset1:158
	ds_read2_b32 v[76:77], v21 offset1:1
	v_mov_b32_e32 v21, s4
	v_mov_b32_e32 v90, v62
	;; [unrolled: 1-line block ×3, first 2 shown]
	s_waitcnt lgkmcnt(0)
	v_fma_f32 v12, -v92, v34, v33
	ds_read2_b32 v[62:63], v21 offset1:1
	v_fma_f32 v21, -v92, v35, v28
	v_fma_f32 v12, -v93, v44, v12
	;; [unrolled: 1-line block ×5, first 2 shown]
	ds_read2_b32 v[44:45], v140 offset0:19 offset1:20
	ds_read2_b32 v[46:47], v140 offset0:47 offset1:48
	;; [unrolled: 1-line block ×3, first 2 shown]
	v_fma_f32 v12, -v107, v56, v12
	v_fma_f32 v21, -v107, v57, v21
	s_waitcnt lgkmcnt(0)
	v_fma_f32 v28, -v92, v44, v29
	v_fma_f32 v28, -v93, v46, v28
	;; [unrolled: 1-line block ×3, first 2 shown]
	ds_read2_b32 v[28:29], v140 offset0:103 offset1:104
	ds_read_b32 v57, v140 offset:84
	v_fma_f32 v24, -v92, v45, v24
	v_fma_f32 v24, -v93, v47, v24
	;; [unrolled: 1-line block ×3, first 2 shown]
	v_mul_f32_e32 v131, v106, v20
	v_mov_b32_e32 v130, v107
	v_mov_b32_e32 v97, v152
	;; [unrolled: 1-line block ×3, first 2 shown]
	s_waitcnt lgkmcnt(0)
	v_fma_f32 v148, -v107, v29, v24
	v_fma_f32 v152, -v92, v57, v25
	v_pk_mul_f32 v[24:25], v[130:131], v[42:43]
	v_mov_b32_e32 v53, v174
	v_sub_f32_e32 v20, v116, v24
	v_sub_f32_e32 v20, v20, v25
	v_pk_mul_f32 v[24:25], v[130:131], v[30:31]
	ds_read2_b64 v[32:35], v140 offset0:93 offset1:94
	v_sub_f32_e32 v24, v126, v24
	v_sub_f32_e32 v106, v24, v25
	v_pk_mul_f32 v[24:25], v[130:131], v[40:41]
	v_mov_b32_e32 v119, v135
	v_sub_f32_e32 v24, v143, v24
	v_sub_f32_e32 v126, v24, v25
	v_pk_mul_f32 v[24:25], v[130:131], v[52:53]
	v_fma_f32 v135, -v107, v28, v56
	v_sub_f32_e32 v24, v110, v24
	v_sub_f32_e32 v110, v24, v25
	ds_read2_b32 v[24:25], v140 offset0:131 offset1:132
	v_pk_mul_f32 v[28:29], v[130:131], v[124:125]
	ds_read2_b64 v[44:47], v140 offset0:107 offset1:108
	ds_read2_b64 v[56:59], v140 offset0:121 offset1:122
	v_sub_f32_e32 v28, v156, v28
	ds_read2_b64 v[40:43], v140 offset0:135 offset1:136
	v_sub_f32_e32 v143, v28, v29
	v_fma_f32 v36, -v131, v138, v36
	v_fma_f32 v138, -v131, v139, v48
	ds_read2_b64 v[28:31], v140 offset0:149 offset1:150
	ds_read_b32 v48, v140 offset:196
	ds_read2_b64 v[156:159], v140 offset0:163 offset1:164
	s_waitcnt lgkmcnt(0)
	v_fma_f32 v116, -v131, v24, v135
	v_fma_f32 v124, -v131, v25, v148
	ds_read2_b32 v[24:25], v140 offset0:159 offset1:160
	v_mul_f32_e32 v53, v20, v26
	ds_read_b32 v20, v140 offset:308
	ds_read_b32 v125, v140 offset:420
	v_mov_b32_e32 v52, v131
	v_pk_mul_f32 v[22:23], v[52:53], v[22:23]
	v_fma_f32 v48, -v93, v48, v152
	v_sub_f32_e32 v22, v27, v22
	v_sub_f32_e32 v22, v22, v23
	s_waitcnt lgkmcnt(0)
	v_fma_f32 v23, -v53, v24, v116
	v_fma_f32 v116, -v53, v25, v124
	ds_read2_b64 v[24:27], v140 offset0:177 offset1:178
	v_fma_f32 v20, -v111, v20, v48
	ds_read_b32 v48, v140 offset:532
	ds_read2_b64 v[160:163], v140 offset0:191 offset1:192
	ds_read_b32 v124, v140 offset:644
	v_fma_f32 v20, -v107, v125, v20
	v_fma_f32 v21, -v131, v113, v21
	s_waitcnt lgkmcnt(0)
	v_fma_f32 v20, -v131, v48, v20
	v_mul_f32_e32 v139, v22, v16
	v_fma_f32 v16, -v53, v137, v21
	s_add_i32 s4, s3, 0x828
	v_fma_f32 v20, -v53, v124, v20
	v_fma_f32 v137, -v139, v32, v16
	v_mov_b32_e32 v16, s4
	v_pk_mul_f32 v[54:55], v[52:53], v[54:55]
	v_mov_b32_e32 v133, v164
	v_fma_f32 v148, -v139, v33, v23
	v_fma_f32 v152, -v139, v34, v116
	;; [unrolled: 1-line block ×3, first 2 shown]
	ds_read2_b64 v[32:35], v140 offset0:205 offset1:206
	ds_read2_b64 v[20:23], v16 offset1:1
	s_add_i32 s4, s2, 0x6dc
	v_sub_f32_e32 v16, v99, v54
	v_mov_b32_e32 v129, v168
	v_sub_f32_e32 v168, v16, v55
	v_mov_b32_e32 v16, s4
	v_pk_mul_f32 v[54:55], v[52:53], v[108:109]
	ds_read2_b32 v[124:125], v16 offset1:1
	s_add_i32 s4, s2, 0x7bc
	v_mov_b32_e32 v116, v175
	v_mov_b32_e32 v48, v122
	ds_read_b32 v122, v140 offset:1764
	v_sub_f32_e32 v16, v88, v54
	v_mov_b32_e32 v103, v170
	v_sub_f32_e32 v170, v16, v55
	v_mov_b32_e32 v16, s4
	v_pk_mul_f32 v[54:55], v[52:53], v[116:117]
	v_fma_f32 v12, -v131, v112, v12
	ds_read2_b32 v[112:113], v16 offset1:1
	ds_read_b32 v130, v142 offset:2320
	s_add_i32 s4, s3, 0x89c
	v_sub_f32_e32 v16, v61, v54
	v_sub_f32_e32 v61, v16, v55
	v_mov_b32_e32 v16, s4
	v_pk_mul_f32 v[54:55], v[52:53], v[118:119]
	ds_read2_b32 v[108:109], v16 offset1:1
	ds_read_b32 v118, v140 offset:1988
	v_sub_f32_e32 v16, v73, v54
	v_mov_b32_e32 v83, v172
	v_sub_f32_e32 v172, v16, v55
	ds_read_b64 v[54:55], v140 offset:1872
	v_fma_f32 v52, -v53, v123, v138
	v_mov_b32_e32 v138, v53
	v_mov_b32_e32 v135, v17
	v_pk_mul_f32 v[16:17], v[138:139], v[104:105]
	s_waitcnt lgkmcnt(0)
	v_mov_b32_e32 v116, v112
	v_sub_f32_e32 v16, v106, v16
	v_mov_b32_e32 v112, v54
	v_sub_f32_e32 v54, v16, v17
	v_pk_mul_f32 v[16:17], v[138:139], v[114:115]
	v_mov_b32_e32 v117, v21
	v_sub_f32_e32 v16, v126, v16
	v_sub_f32_e32 v21, v16, v17
	v_pk_mul_f32 v[16:17], v[138:139], v[128:129]
	v_mov_b32_e32 v114, v2
	v_sub_f32_e32 v2, v110, v16
	v_mov_b32_e32 v115, v63
	v_sub_f32_e32 v63, v2, v17
	v_pk_mul_f32 v[16:17], v[138:139], v[134:135]
	v_mov_b32_e32 v119, v23
	v_mov_b32_e32 v23, v1
	v_sub_f32_e32 v1, v143, v16
	v_sub_f32_e32 v1, v1, v17
	v_pk_mul_f32 v[16:17], v[138:139], v[48:49]
	v_mul_f32_e32 v99, v54, v98
	v_mov_b32_e32 v98, v139
	v_sub_f32_e32 v16, v36, v16
	v_pk_mul_f32 v[18:19], v[98:99], v[18:19]
	v_sub_f32_e32 v106, v16, v17
	v_mov_b32_e32 v16, v50
	v_mov_b32_e32 v17, v166
	v_pk_mul_f32 v[100:101], v[98:99], v[100:101]
	v_sub_f32_e32 v18, v168, v18
	v_mov_b32_e32 v2, v124
	v_mov_b32_e32 v124, v34
	;; [unrolled: 1-line block ×3, first 2 shown]
	v_pk_mul_f32 v[16:17], v[98:99], v[16:17]
	v_sub_f32_e32 v34, v170, v100
	v_sub_f32_e32 v38, v18, v19
	;; [unrolled: 1-line block ×4, first 2 shown]
	v_mul_f32_e32 v101, v38, v60
	v_mov_b32_e32 v100, v99
	v_mov_b32_e32 v38, v167
	v_fma_f32 v12, -v53, v136, v12
	v_mov_b32_e32 v49, v75
	v_mov_b32_e32 v126, v169
	v_pk_mul_f32 v[18:19], v[98:99], v[132:133]
	v_sub_f32_e32 v75, v16, v17
	v_pk_mul_f32 v[16:17], v[100:101], v[38:39]
	v_pk_mul_f32 v[38:39], v[100:101], v[94:95]
	v_mov_b32_e32 v123, v55
	s_add_i32 s5, s2, 0x8a4
	v_mov_b32_e32 v48, v6
	v_fma_f32 v6, -v139, v51, v12
	v_mov_b32_e32 v36, v165
	v_pk_mul_f32 v[50:51], v[98:99], v[126:127]
	v_mov_b32_e32 v52, v131
	v_mov_b32_e32 v54, v139
	;; [unrolled: 1-line block ×3, first 2 shown]
	v_sub_f32_e32 v18, v172, v18
	v_sub_f32_e32 v21, v21, v38
	s_add_i32 s4, s2, 0x914
	v_mov_b32_e32 v104, v22
	v_mov_b32_e32 v22, v76
	;; [unrolled: 1-line block ×4, first 2 shown]
	v_sub_f32_e32 v32, v61, v50
	flat_store_dwordx4 v[66:67], v[52:55] offset:16
	v_sub_f32_e32 v71, v18, v19
	v_pk_mul_f32 v[18:19], v[100:101], v[36:37]
	v_pk_mul_f32 v[36:37], v[100:101], v[120:121]
	v_sub_f32_e32 v21, v21, v39
	v_pk_mul_f32 v[38:39], v[100:101], v[102:103]
	v_mov_b32_e32 v94, v8
	v_mov_b32_e32 v8, s5
	s_add_i32 s2, s3, 0x984
	v_sub_f32_e32 v32, v32, v51
	v_sub_f32_e32 v6, v6, v16
	v_fma_f32 v16, -v99, v45, v148
	v_sub_f32_e32 v18, v106, v18
	v_sub_f32_e32 v1, v1, v36
	;; [unrolled: 1-line block ×3, first 2 shown]
	ds_read2_b32 v[50:51], v8 offset1:1
	v_mov_b32_e32 v8, s4
	v_mov_b32_e32 v105, v109
	v_mov_b32_e32 v129, v81
	v_fma_f32 v81, -v99, v44, v137
	v_sub_f32_e32 v63, v36, v39
	v_sub_f32_e32 v1, v1, v37
	;; [unrolled: 1-line block ×4, first 2 shown]
	v_mov_b32_e32 v132, v56
	v_fma_f32 v109, -v101, v57, v16
	ds_read2_b32 v[136:137], v8 offset1:1
	v_mov_b32_e32 v8, s2
	ds_read_b64 v[16:17], v140 offset:88
	ds_read_b64 v[18:19], v140 offset:200
	;; [unrolled: 1-line block ×4, first 2 shown]
	ds_read2_b32 v[54:55], v8 offset1:1
	s_waitcnt lgkmcnt(0)
	v_fma_f32 v8, -v92, v16, v68
	v_fma_f32 v8, -v93, v18, v8
	;; [unrolled: 1-line block ×5, first 2 shown]
	v_mov_b32_e32 v88, v171
	v_mov_b32_e32 v135, v154
	v_fma_f32 v148, -v101, v58, v44
	v_fma_f32 v154, -v101, v59, v45
	;; [unrolled: 1-line block ×3, first 2 shown]
	ds_read_b64 v[58:59], v140 offset:536
	ds_read_b64 v[164:165], v140 offset:648
	;; [unrolled: 1-line block ×5, first 2 shown]
	s_waitcnt lgkmcnt(0)
	v_fma_f32 v8, -v131, v58, v8
	v_fma_f32 v8, -v53, v164, v8
	;; [unrolled: 1-line block ×4, first 2 shown]
	v_mov_b32_e32 v95, v144
	v_fma_f32 v144, -v101, v170, v8
	v_fma_f32 v8, -v92, v17, v69
	;; [unrolled: 1-line block ×4, first 2 shown]
	v_mov_b32_e32 v102, v14
	v_fma_f32 v8, -v107, v57, v8
	v_add_u32_e32 v14, 0x400, v140
	v_mov_b32_e32 v12, v153
	ds_read_b64 v[120:121], v140 offset:1096
	ds_read_b64 v[126:127], v140 offset:1208
	ds_read2_b64 v[44:47], v140 offset0:165 offset1:179
	ds_read2_b64 v[36:39], v140 offset0:193 offset1:207
	ds_read_b64 v[152:153], v140 offset:1768
	ds_read_b64 v[60:61], v140 offset:1880
	v_fma_f32 v8, -v131, v59, v8
	ds_read2_b64 v[16:19], v14 offset0:121 offset1:135
	ds_read_b64 v[56:57], v142 offset:2552
	v_fma_f32 v8, -v53, v165, v8
	v_fma_f32 v8, -v139, v167, v8
	v_mul_f32_e32 v139, v21, v78
	v_mov_b32_e32 v138, v101
	v_pk_mul_f32 v[88:89], v[138:139], v[88:89]
	s_waitcnt lgkmcnt(0)
	v_mov_b32_e32 v58, v17
	v_sub_f32_e32 v17, v32, v88
	v_pk_mul_f32 v[90:91], v[138:139], v[90:91]
	v_sub_f32_e32 v17, v17, v89
	v_sub_f32_e32 v21, v34, v90
	v_pk_mul_f32 v[88:89], v[138:139], v[96:97]
	v_mov_b32_e32 v142, v28
	v_sub_f32_e32 v21, v21, v91
	v_sub_f32_e32 v28, v71, v88
	v_mov_b32_e32 v14, v155
	v_sub_f32_e32 v34, v28, v89
	v_mul_f32_e32 v89, v21, v141
	v_mov_b32_e32 v88, v139
	v_mov_b32_e32 v28, v41
	v_pk_mul_f32 v[14:15], v[88:89], v[14:15]
	v_pk_mul_f32 v[82:83], v[88:89], v[82:83]
	;; [unrolled: 1-line block ×3, first 2 shown]
	v_sub_f32_e32 v6, v6, v14
	v_pk_mul_f32 v[12:13], v[88:89], v[12:13]
	v_sub_f32_e32 v14, v63, v82
	v_mov_b32_e32 v133, v40
	v_sub_f32_e32 v21, v109, v28
	v_fma_f32 v28, -v139, v43, v154
	v_sub_f32_e32 v12, v100, v12
	v_sub_f32_e32 v41, v14, v83
	v_mov_b32_e32 v128, v173
	v_mov_b32_e32 v68, v50
	v_pk_mul_f32 v[132:133], v[138:139], v[132:133]
	v_sub_f32_e32 v50, v12, v13
	v_mov_b32_e32 v12, v30
	v_fma_f32 v63, -v89, v31, v28
	v_mul_f32_e32 v31, v41, v80
	v_mov_b32_e32 v30, v89
	v_mov_b32_e32 v107, v5
	v_sub_f32_e32 v5, v81, v132
	v_pk_mul_f32 v[80:81], v[30:31], v[128:129]
	v_mov_b32_e32 v13, v158
	v_sub_f32_e32 v17, v17, v80
	v_fma_f32 v8, -v99, v169, v8
	v_mov_b32_e32 v98, v37
	v_fma_f32 v37, -v139, v42, v148
	v_pk_mul_f32 v[12:13], v[30:31], v[12:13]
	v_sub_f32_e32 v17, v17, v81
	v_pk_mul_f32 v[80:81], v[30:31], v[86:87]
	v_fma_f32 v131, -v101, v171, v8
	v_mov_b32_e32 v28, v26
	v_sub_f32_e32 v12, v37, v12
	v_sub_f32_e32 v26, v34, v80
	v_mov_b32_e32 v99, v39
	v_fma_f32 v32, -v139, v120, v144
	v_fma_f32 v39, -v139, v121, v131
	v_pk_mul_f32 v[42:43], v[88:89], v[84:85]
	v_sub_f32_e32 v34, v26, v81
	v_sub_f32_e32 v37, v12, v13
	v_mul_f32_e32 v13, v17, v70
	v_mov_b32_e32 v12, v31
	v_mov_b32_e32 v26, v159
	v_mov_b32_e32 v103, v150
	v_add_u32_e32 v8, 0x800, v140
	v_mov_b32_e32 v143, v156
	v_sub_f32_e32 v1, v1, v42
	v_fma_f32 v71, -v89, v126, v32
	v_fma_f32 v39, -v89, v127, v39
	v_pk_mul_f32 v[26:27], v[12:13], v[26:27]
	ds_read2_b32 v[52:53], v8 offset0:43 offset1:71
	ds_read_b32 v40, v140 offset:2444
	v_mov_b32_e32 v8, v149
	v_mov_b32_e32 v110, v10
	;; [unrolled: 1-line block ×3, first 2 shown]
	v_sub_f32_e32 v1, v1, v43
	v_pk_mul_f32 v[42:43], v[30:31], v[142:143]
	v_pk_mul_f32 v[82:83], v[30:31], v[102:103]
	v_mov_b32_e32 v141, v31
	v_sub_f32_e32 v17, v63, v26
	v_fma_f32 v26, -v31, v44, v71
	v_fma_f32 v39, -v31, v45, v39
	v_pk_mul_f32 v[30:31], v[12:13], v[72:73]
	v_mov_b32_e32 v93, v61
	v_sub_f32_e32 v61, v6, v15
	v_pk_mul_f32 v[10:11], v[12:13], v[10:11]
	v_pk_mul_f32 v[8:9], v[12:13], v[8:9]
	v_sub_f32_e32 v1, v1, v30
	v_mov_b32_e32 v14, v24
	v_mov_b32_e32 v24, v157
	v_sub_f32_e32 v10, v61, v10
	v_sub_f32_e32 v8, v50, v8
	v_sub_f32_e32 v1, v1, v31
	v_sub_f32_e32 v5, v5, v133
	v_pk_mul_f32 v[24:25], v[12:13], v[24:25]
	v_sub_f32_e32 v12, v8, v9
	v_sub_f32_e32 v30, v10, v11
	v_mov_b32_e32 v10, v46
	v_mov_b32_e32 v11, v36
	v_mul_f32_e32 v9, v1, v79
	v_mov_b32_e32 v8, v13
	v_mov_b32_e32 v15, v160
	v_sub_f32_e32 v5, v5, v42
	v_pk_mul_f32 v[10:11], v[8:9], v[10:11]
	v_sub_f32_e32 v5, v5, v43
	v_sub_f32_e32 v17, v17, v27
	;; [unrolled: 1-line block ×3, first 2 shown]
	v_pk_mul_f32 v[14:15], v[8:9], v[14:15]
	v_pk_mul_f32 v[26:27], v[8:9], v[94:95]
	;; [unrolled: 1-line block ×3, first 2 shown]
	v_sub_f32_e32 v14, v5, v14
	v_sub_f32_e32 v5, v34, v26
	v_mov_b32_e32 v59, v19
	v_sub_f32_e32 v19, v75, v134
	v_sub_f32_e32 v21, v21, v29
	;; [unrolled: 1-line block ×3, first 2 shown]
	v_mov_b32_e32 v106, v145
	v_sub_f32_e32 v19, v19, v135
	v_mov_b32_e32 v29, v162
	v_sub_f32_e32 v21, v21, v24
	v_mul_f32_e32 v5, v5, v4
	v_mov_b32_e32 v4, v9
	v_mov_b32_e32 v111, v146
	;; [unrolled: 1-line block ×4, first 2 shown]
	v_sub_f32_e32 v19, v19, v82
	v_sub_f32_e32 v21, v21, v25
	v_pk_mul_f32 v[24:25], v[8:9], v[28:29]
	v_pk_mul_f32 v[26:27], v[4:5], v[106:107]
	v_sub_f32_e32 v19, v19, v83
	v_sub_f32_e32 v10, v37, v24
	v_pk_mul_f32 v[28:29], v[8:9], v[110:111]
	v_sub_f32_e32 v12, v12, v26
	v_pk_mul_f32 v[6:7], v[4:5], v[6:7]
	;; [unrolled: 2-line block ×3, first 2 shown]
	v_mov_b32_e32 v34, v163
	v_sub_f32_e32 v8, v19, v28
	v_sub_f32_e32 v6, v30, v6
	;; [unrolled: 1-line block ×4, first 2 shown]
	v_pk_mul_f32 v[24:25], v[4:5], v[34:35]
	v_fma_f32 v31, -v13, v47, v39
	v_sub_f32_e32 v19, v8, v29
	v_sub_f32_e32 v17, v17, v24
	v_mov_b32_e32 v8, v13
	v_mov_b32_e32 v10, v5
	v_sub_f32_e32 v24, v6, v7
	v_pk_mul_f32 v[6:7], v[4:5], v[98:99]
	flat_store_dwordx3 v[66:67], v[8:10] offset:48
	v_sub_f32_e32 v4, v31, v6
	v_sub_f32_e32 v14, v14, v15
	;; [unrolled: 1-line block ×5, first 2 shown]
	v_mul_f32_e32 v7, v8, v74
	v_mov_b32_e32 v6, v5
	v_mov_b32_e32 v39, v152
	v_pk_mul_f32 v[4:5], v[6:7], v[48:49]
	v_sub_f32_e32 v1, v1, v11
	v_sub_f32_e32 v4, v19, v4
	v_pk_mul_f32 v[12:13], v[6:7], v[38:39]
	v_pk_mul_f32 v[8:9], v[6:7], v[76:77]
	;; [unrolled: 1-line block ×3, first 2 shown]
	v_sub_f32_e32 v6, v1, v12
	v_sub_f32_e32 v1, v4, v5
	v_mul_f32_e32 v1, v1, v0
	v_mov_b32_e32 v0, v7
	v_pk_mul_f32 v[2:3], v[0:1], v[2:3]
	v_mov_b32_e32 v92, v153
	v_pk_mul_f32 v[4:5], v[0:1], v[22:23]
	v_sub_f32_e32 v2, v14, v2
	v_sub_f32_e32 v8, v26, v8
	;; [unrolled: 1-line block ×4, first 2 shown]
	v_pk_mul_f32 v[2:3], v[0:1], v[92:93]
	v_sub_f32_e32 v12, v8, v9
	v_pk_mul_f32 v[8:9], v[0:1], v[122:123]
	v_sub_f32_e32 v4, v4, v5
	v_sub_f32_e32 v0, v17, v2
	v_mov_b32_e32 v61, v16
	v_sub_f32_e32 v16, v0, v3
	v_mul_f32_e32 v3, v4, v62
	v_mov_b32_e32 v2, v1
	v_pk_mul_f32 v[4:5], v[2:3], v[114:115]
	v_sub_f32_e32 v10, v21, v10
	v_sub_f32_e32 v8, v15, v8
	;; [unrolled: 1-line block ×5, first 2 shown]
	v_pk_mul_f32 v[8:9], v[2:3], v[112:113]
	v_sub_f32_e32 v0, v0, v5
	v_sub_f32_e32 v6, v6, v13
	;; [unrolled: 1-line block ×3, first 2 shown]
	v_pk_mul_f32 v[10:11], v[2:3], v[60:61]
	v_mul_f32_e32 v5, v0, v20
	v_mov_b32_e32 v4, v3
	v_sub_f32_e32 v2, v6, v10
	v_pk_mul_f32 v[12:13], v[4:5], v[116:117]
	v_sub_f32_e32 v11, v2, v11
	v_sub_f32_e32 v6, v14, v12
	v_mov_b32_e32 v0, v7
	v_mov_b32_e32 v2, v3
	;; [unrolled: 1-line block ×3, first 2 shown]
	v_sub_f32_e32 v10, v8, v9
	v_pk_mul_f32 v[8:9], v[4:5], v[118:119]
	flat_store_dwordx4 v[66:67], v[0:3] offset:60
	v_sub_f32_e32 v8, v15, v8
	v_sub_f32_e32 v8, v8, v9
	;; [unrolled: 1-line block ×3, first 2 shown]
	v_pk_mul_f32 v[0:1], v[4:5], v[58:59]
	v_mul_f32_e32 v3, v2, v108
	v_sub_f32_e32 v0, v16, v0
	v_mov_b32_e32 v2, v5
	v_sub_f32_e32 v9, v0, v1
	v_pk_mul_f32 v[0:1], v[2:3], v[104:105]
	v_mov_b32_e32 v69, v136
	v_sub_f32_e32 v0, v10, v0
	v_sub_f32_e32 v0, v0, v1
	v_mov_b32_e32 v19, v51
	v_mul_f32_e32 v1, v0, v130
	v_mov_b32_e32 v0, v3
	v_pk_mul_f32 v[4:5], v[2:3], v[18:19]
	v_pk_mul_f32 v[6:7], v[0:1], v[68:69]
	v_sub_f32_e32 v2, v11, v4
	v_sub_f32_e32 v4, v8, v6
	;; [unrolled: 1-line block ×3, first 2 shown]
	s_waitcnt lgkmcnt(0)
	v_pk_mul_f32 v[6:7], v[0:1], v[52:53]
	v_sub_f32_e32 v2, v2, v5
	v_sub_f32_e32 v0, v9, v6
	v_mov_b32_e32 v4, v137
	v_mov_b32_e32 v5, v55
	v_sub_f32_e32 v9, v0, v7
	v_mul_f32_e32 v7, v8, v54
	v_mov_b32_e32 v6, v1
	v_pk_mul_f32 v[4:5], v[6:7], v[4:5]
	v_mov_b32_e32 v140, v89
	v_sub_f32_e32 v0, v2, v4
	v_sub_f32_e32 v0, v0, v5
	v_mul_f32_e32 v5, v0, v56
	v_mov_b32_e32 v0, v3
	v_mov_b32_e32 v2, v7
	;; [unrolled: 1-line block ×3, first 2 shown]
	s_mulk_i32 s1, 0x74
	flat_store_dwordx4 v[66:67], v[138:141] offset:32
	flat_store_dwordx4 v[66:67], v[0:3] offset:76
	v_mov_b32_e32 v4, v7
	v_mov_b32_e32 v41, v57
	;; [unrolled: 1-line block ×3, first 2 shown]
	ds_read_b32 v2, v0
	v_pk_mul_f32 v[0:1], v[4:5], v[40:41]
	s_add_i32 s0, s0, 24
	v_sub_f32_e32 v0, v9, v0
	v_sub_f32_e32 v0, v0, v1
	s_waitcnt lgkmcnt(0)
	v_mul_f32_e32 v0, v0, v2
	flat_store_dword v[66:67], v0 offset:92
.LBB34_56:
	s_cmp_ge_i32 s0, s17
	s_cbranch_scc1 .LBB34_61
; %bb.57:
	s_lshl_b32 s2, s0, 2
	s_mov_b32 s1, 0
	s_branch .LBB34_59
.LBB34_58:                              ;   in Loop: Header=BB34_59 Depth=1
	s_mul_i32 s3, s0, 0x74
	v_mov_b32_e32 v2, s3
	ds_read_b32 v2, v2
	s_add_i32 s0, s0, 1
	s_add_i32 s2, s2, 4
	s_cmp_ge_i32 s0, s17
	s_waitcnt lgkmcnt(0)
	v_mul_f32_e32 v2, v4, v2
	flat_store_dword v[0:1], v2
	s_cbranch_scc1 .LBB34_61
.LBB34_59:                              ; =>This Loop Header: Depth=1
                                        ;     Child Loop BB34_60 Depth 2
	v_lshl_add_u64 v[0:1], s[0:1], 2, v[64:65]
	flat_load_dword v4, v[0:1]
	s_cmp_eq_u32 s0, 0
	v_mov_b64_e32 v[2:3], v[64:65]
	s_mov_b32 s3, s2
	s_mov_b32 s4, s0
	s_waitcnt vmcnt(0) lgkmcnt(0)
	v_mul_f32_e32 v4, s16, v4
	s_cbranch_scc1 .LBB34_58
.LBB34_60:                              ;   Parent Loop BB34_59 Depth=1
                                        ; =>  This Inner Loop Header: Depth=2
	flat_load_dword v5, v[2:3]
	v_mov_b32_e32 v6, s3
	ds_read_b32 v6, v6
	s_add_i32 s4, s4, -1
	s_addk_i32 s3, 0x70
	v_lshl_add_u64 v[2:3], v[2:3], 0, 4
	s_cmp_lg_u32 s4, 0
	s_waitcnt vmcnt(0) lgkmcnt(0)
	v_fma_f32 v4, -v5, v6, v4
	s_cbranch_scc1 .LBB34_60
	s_branch .LBB34_58
.LBB34_61:
	s_endpgm
	.section	.rodata,"a",@progbits
	.p2align	6, 0x0
	.amdhsa_kernel _ZL30rocblas_trsm_small_left_deviceILi28ELi28ELb1EffPKPKfPKPfEv13rocblas_fill_18rocblas_operation_17rocblas_diagonal_iiT3_T4_lilT5_lili
		.amdhsa_group_segment_fixed_size 3136
		.amdhsa_private_segment_fixed_size 0
		.amdhsa_kernarg_size 352
		.amdhsa_user_sgpr_count 2
		.amdhsa_user_sgpr_dispatch_ptr 0
		.amdhsa_user_sgpr_queue_ptr 0
		.amdhsa_user_sgpr_kernarg_segment_ptr 1
		.amdhsa_user_sgpr_dispatch_id 0
		.amdhsa_user_sgpr_kernarg_preload_length 0
		.amdhsa_user_sgpr_kernarg_preload_offset 0
		.amdhsa_user_sgpr_private_segment_size 0
		.amdhsa_uses_dynamic_stack 0
		.amdhsa_enable_private_segment 0
		.amdhsa_system_sgpr_workgroup_id_x 1
		.amdhsa_system_sgpr_workgroup_id_y 0
		.amdhsa_system_sgpr_workgroup_id_z 1
		.amdhsa_system_sgpr_workgroup_info 0
		.amdhsa_system_vgpr_workitem_id 0
		.amdhsa_next_free_vgpr 176
		.amdhsa_next_free_sgpr 50
		.amdhsa_accum_offset 176
		.amdhsa_reserve_vcc 1
		.amdhsa_float_round_mode_32 0
		.amdhsa_float_round_mode_16_64 0
		.amdhsa_float_denorm_mode_32 3
		.amdhsa_float_denorm_mode_16_64 3
		.amdhsa_dx10_clamp 1
		.amdhsa_ieee_mode 1
		.amdhsa_fp16_overflow 0
		.amdhsa_tg_split 0
		.amdhsa_exception_fp_ieee_invalid_op 0
		.amdhsa_exception_fp_denorm_src 0
		.amdhsa_exception_fp_ieee_div_zero 0
		.amdhsa_exception_fp_ieee_overflow 0
		.amdhsa_exception_fp_ieee_underflow 0
		.amdhsa_exception_fp_ieee_inexact 0
		.amdhsa_exception_int_div_zero 0
	.end_amdhsa_kernel
	.section	.text._ZL30rocblas_trsm_small_left_deviceILi28ELi28ELb1EffPKPKfPKPfEv13rocblas_fill_18rocblas_operation_17rocblas_diagonal_iiT3_T4_lilT5_lili,"axG",@progbits,_ZL30rocblas_trsm_small_left_deviceILi28ELi28ELb1EffPKPKfPKPfEv13rocblas_fill_18rocblas_operation_17rocblas_diagonal_iiT3_T4_lilT5_lili,comdat
.Lfunc_end34:
	.size	_ZL30rocblas_trsm_small_left_deviceILi28ELi28ELb1EffPKPKfPKPfEv13rocblas_fill_18rocblas_operation_17rocblas_diagonal_iiT3_T4_lilT5_lili, .Lfunc_end34-_ZL30rocblas_trsm_small_left_deviceILi28ELi28ELb1EffPKPKfPKPfEv13rocblas_fill_18rocblas_operation_17rocblas_diagonal_iiT3_T4_lilT5_lili
                                        ; -- End function
	.set _ZL30rocblas_trsm_small_left_deviceILi28ELi28ELb1EffPKPKfPKPfEv13rocblas_fill_18rocblas_operation_17rocblas_diagonal_iiT3_T4_lilT5_lili.num_vgpr, 176
	.set _ZL30rocblas_trsm_small_left_deviceILi28ELi28ELb1EffPKPKfPKPfEv13rocblas_fill_18rocblas_operation_17rocblas_diagonal_iiT3_T4_lilT5_lili.num_agpr, 0
	.set _ZL30rocblas_trsm_small_left_deviceILi28ELi28ELb1EffPKPKfPKPfEv13rocblas_fill_18rocblas_operation_17rocblas_diagonal_iiT3_T4_lilT5_lili.numbered_sgpr, 50
	.set _ZL30rocblas_trsm_small_left_deviceILi28ELi28ELb1EffPKPKfPKPfEv13rocblas_fill_18rocblas_operation_17rocblas_diagonal_iiT3_T4_lilT5_lili.num_named_barrier, 0
	.set _ZL30rocblas_trsm_small_left_deviceILi28ELi28ELb1EffPKPKfPKPfEv13rocblas_fill_18rocblas_operation_17rocblas_diagonal_iiT3_T4_lilT5_lili.private_seg_size, 0
	.set _ZL30rocblas_trsm_small_left_deviceILi28ELi28ELb1EffPKPKfPKPfEv13rocblas_fill_18rocblas_operation_17rocblas_diagonal_iiT3_T4_lilT5_lili.uses_vcc, 1
	.set _ZL30rocblas_trsm_small_left_deviceILi28ELi28ELb1EffPKPKfPKPfEv13rocblas_fill_18rocblas_operation_17rocblas_diagonal_iiT3_T4_lilT5_lili.uses_flat_scratch, 0
	.set _ZL30rocblas_trsm_small_left_deviceILi28ELi28ELb1EffPKPKfPKPfEv13rocblas_fill_18rocblas_operation_17rocblas_diagonal_iiT3_T4_lilT5_lili.has_dyn_sized_stack, 0
	.set _ZL30rocblas_trsm_small_left_deviceILi28ELi28ELb1EffPKPKfPKPfEv13rocblas_fill_18rocblas_operation_17rocblas_diagonal_iiT3_T4_lilT5_lili.has_recursion, 0
	.set _ZL30rocblas_trsm_small_left_deviceILi28ELi28ELb1EffPKPKfPKPfEv13rocblas_fill_18rocblas_operation_17rocblas_diagonal_iiT3_T4_lilT5_lili.has_indirect_call, 0
	.section	.AMDGPU.csdata,"",@progbits
; Kernel info:
; codeLenInByte = 20132
; TotalNumSgprs: 56
; NumVgprs: 176
; NumAgprs: 0
; TotalNumVgprs: 176
; ScratchSize: 0
; MemoryBound: 0
; FloatMode: 240
; IeeeMode: 1
; LDSByteSize: 3136 bytes/workgroup (compile time only)
; SGPRBlocks: 6
; VGPRBlocks: 21
; NumSGPRsForWavesPerEU: 56
; NumVGPRsForWavesPerEU: 176
; AccumOffset: 176
; Occupancy: 2
; WaveLimiterHint : 1
; COMPUTE_PGM_RSRC2:SCRATCH_EN: 0
; COMPUTE_PGM_RSRC2:USER_SGPR: 2
; COMPUTE_PGM_RSRC2:TRAP_HANDLER: 0
; COMPUTE_PGM_RSRC2:TGID_X_EN: 1
; COMPUTE_PGM_RSRC2:TGID_Y_EN: 0
; COMPUTE_PGM_RSRC2:TGID_Z_EN: 1
; COMPUTE_PGM_RSRC2:TIDIG_COMP_CNT: 0
; COMPUTE_PGM_RSRC3_GFX90A:ACCUM_OFFSET: 43
; COMPUTE_PGM_RSRC3_GFX90A:TG_SPLIT: 0
	.section	.text._ZL31rocblas_trsm_small_right_deviceIffPKPKfPKPfLi28EEv13rocblas_fill_18rocblas_operation_17rocblas_diagonal_iiT0_T1_lilT2_lili,"axG",@progbits,_ZL31rocblas_trsm_small_right_deviceIffPKPKfPKPfLi28EEv13rocblas_fill_18rocblas_operation_17rocblas_diagonal_iiT0_T1_lilT2_lili,comdat
	.globl	_ZL31rocblas_trsm_small_right_deviceIffPKPKfPKPfLi28EEv13rocblas_fill_18rocblas_operation_17rocblas_diagonal_iiT0_T1_lilT2_lili ; -- Begin function _ZL31rocblas_trsm_small_right_deviceIffPKPKfPKPfLi28EEv13rocblas_fill_18rocblas_operation_17rocblas_diagonal_iiT0_T1_lilT2_lili
	.p2align	8
	.type	_ZL31rocblas_trsm_small_right_deviceIffPKPKfPKPfLi28EEv13rocblas_fill_18rocblas_operation_17rocblas_diagonal_iiT0_T1_lilT2_lili,@function
_ZL31rocblas_trsm_small_right_deviceIffPKPKfPKPfLi28EEv13rocblas_fill_18rocblas_operation_17rocblas_diagonal_iiT0_T1_lilT2_lili: ; @_ZL31rocblas_trsm_small_right_deviceIffPKPKfPKPfLi28EEv13rocblas_fill_18rocblas_operation_17rocblas_diagonal_iiT0_T1_lilT2_lili
; %bb.0:
	s_load_dwordx4 s[8:11], s[0:1], 0x38
	s_load_dwordx4 s[4:7], s[0:1], 0x0
	s_load_dwordx2 s[16:17], s[0:1], 0x10
	s_mov_b32 s20, s3
	s_mov_b32 s21, 0
	s_lshl_b64 s[24:25], s[20:21], 3
	s_waitcnt lgkmcnt(0)
	s_add_u32 s8, s8, s24
	s_addc_u32 s9, s9, s25
	s_load_dwordx2 s[8:9], s[8:9], 0x0
	s_min_i32 s20, s16, 28
	v_cmp_gt_i32_e32 vcc, s20, v0
	s_and_saveexec_b64 s[18:19], vcc
	s_cbranch_execz .LBB35_10
; %bb.1:
	s_load_dwordx4 s[12:15], s[0:1], 0x18
	s_load_dword s22, s[0:1], 0x28
	v_lshlrev_b32_e32 v2, 2, v0
	v_mov_b32_e32 v3, 0
	s_mov_b32 s3, 1
	s_waitcnt lgkmcnt(0)
	s_add_u32 s12, s12, s24
	s_addc_u32 s13, s13, s25
	s_load_dwordx2 s[12:13], s[12:13], 0x0
	s_cmp_lt_u32 s20, 2
	s_cselect_b64 s[26:27], -1, 0
	s_cmp_lg_u32 s22, 1
	s_cselect_b64 s[28:29], -1, 0
	s_or_b64 s[26:27], s[26:27], s[28:29]
	s_mov_b64 s[24:25], -1
	s_and_b64 vcc, exec, s[26:27]
	s_cbranch_vccnz .LBB35_5
; %bb.2:
	s_lshl_b64 s[24:25], s[14:15], 2
	s_waitcnt lgkmcnt(0)
	s_add_u32 s24, s12, s24
	s_addc_u32 s25, s13, s25
	s_and_b32 s21, s20, -2
	v_lshl_add_u64 v[4:5], s[24:25], 0, v[2:3]
	s_mov_b32 s23, 0
	s_mov_b32 s24, s21
.LBB35_3:                               ; =>This Inner Loop Header: Depth=1
	flat_load_dwordx2 v[6:7], v[4:5]
	s_mul_i32 s25, s3, 0x70
	s_mul_i32 s26, s23, 0x70
	s_add_i32 s23, s23, 2
	s_add_i32 s3, s3, 2
	s_add_i32 s24, s24, -2
	v_lshl_add_u64 v[4:5], v[4:5], 0, 8
	v_add_u32_e32 v1, s26, v2
	s_cmp_lg_u32 s24, 0
	v_add_u32_e32 v3, s25, v2
	s_waitcnt vmcnt(0) lgkmcnt(0)
	ds_write_b32 v1, v6
	ds_write_b32 v3, v7
	s_cbranch_scc1 .LBB35_3
; %bb.4:
	s_cmp_lg_u32 s20, s21
	s_cselect_b64 s[24:25], -1, 0
.LBB35_5:
	s_and_b64 vcc, exec, s[24:25]
	s_cbranch_vccz .LBB35_8
; %bb.6:
	s_ashr_i32 s23, s22, 31
	s_mul_hi_u32 s3, s22, s21
	s_mul_i32 s24, s23, s21
	s_add_i32 s25, s3, s24
	s_mul_i32 s24, s22, s21
	s_lshl_b64 s[24:25], s[24:25], 2
	s_lshl_b64 s[14:15], s[14:15], 2
	s_add_u32 s3, s24, s14
	s_addc_u32 s14, s25, s15
	s_waitcnt lgkmcnt(0)
	s_add_u32 s12, s12, s3
	v_mov_b32_e32 v3, 0
	s_addc_u32 s13, s13, s14
	s_mul_i32 s14, s21, 0x70
	v_lshl_add_u64 v[4:5], s[12:13], 0, v[2:3]
	s_lshl_b64 s[12:13], s[22:23], 2
	s_sub_i32 s3, s20, s21
	v_lshl_add_u32 v1, v0, 2, s14
.LBB35_7:                               ; =>This Inner Loop Header: Depth=1
	flat_load_dword v3, v[4:5]
	s_add_i32 s3, s3, -1
	v_lshl_add_u64 v[4:5], v[4:5], 0, s[12:13]
	s_cmp_eq_u32 s3, 0
	s_waitcnt vmcnt(0) lgkmcnt(0)
	ds_write_b32 v1, v3
	v_add_u32_e32 v1, 0x70, v1
	s_cbranch_scc0 .LBB35_7
.LBB35_8:
	s_cmpk_eq_i32 s6, 0x84
	s_cbranch_scc0 .LBB35_10
; %bb.9:
	s_movk_i32 s3, 0x70
	v_mad_u32_u24 v1, v0, s3, v2
	v_mov_b32_e32 v2, 1.0
	ds_write_b32 v1, v2
.LBB35_10:
	s_or_b64 exec, exec, s[18:19]
	s_load_dword s3, s[0:1], 0x60
	s_load_dword s6, s[0:1], 0x48
	s_lshl_b64 s[10:11], s[10:11], 2
	s_waitcnt lgkmcnt(0)
	s_add_u32 s0, s8, s10
	s_mul_i32 s12, s2, 0xffffffe4
	s_addc_u32 s1, s9, s11
	s_add_i32 s3, s3, -1
	s_add_i32 s7, s7, s12
	s_cmp_ge_u32 s2, s3
	s_mul_i32 s22, s2, 0x70
	s_cselect_b32 s7, s7, 28
	s_mul_hi_i32 s21, s2, 0x70
	s_add_u32 s2, s0, s22
	s_addc_u32 s3, s1, s21
	v_cmp_gt_i32_e64 s[0:1], s7, v0
	s_and_saveexec_b64 s[12:13], s[0:1]
	s_cbranch_execz .LBB35_19
; %bb.11:
	s_cmp_lt_i32 s16, 1
	s_cbranch_scc1 .LBB35_19
; %bb.12:
	s_cmp_eq_u32 s16, 1
	s_cselect_b64 s[14:15], -1, 0
	s_cmp_lg_u32 s6, 1
	s_cselect_b64 s[18:19], -1, 0
	s_or_b64 s[14:15], s[14:15], s[18:19]
	v_mov_b32_e32 v3, 0
	s_and_b64 vcc, exec, s[14:15]
	s_cbranch_vccnz .LBB35_16
; %bb.13:
	v_lshlrev_b32_e32 v2, 2, v0
	v_mov_b32_e32 v1, 0xc40
	s_and_b32 s18, s16, 0x7ffffffe
	v_lshl_add_u64 v[2:3], s[2:3], 0, v[2:3]
	v_lshl_add_u32 v1, v0, 2, v1
	s_mov_b32 s14, s17
	s_mov_b32 s15, s17
	;; [unrolled: 1-line block ×5, first 2 shown]
.LBB35_14:                              ; =>This Inner Loop Header: Depth=1
	flat_load_dwordx2 v[4:5], v[2:3]
	s_mul_i32 s24, s7, 0x70
	s_mul_i32 s25, s19, 0x70
	s_add_i32 s19, s19, 2
	s_add_i32 s7, s7, 2
	s_add_i32 s23, s23, -2
	v_lshl_add_u64 v[2:3], v[2:3], 0, 8
	v_add_u32_e32 v6, s25, v1
	s_cmp_lg_u32 s23, 0
	v_add_u32_e32 v7, s24, v1
	s_waitcnt vmcnt(0) lgkmcnt(0)
	v_pk_mul_f32 v[4:5], s[14:15], v[4:5]
	ds_write_b32 v6, v4
	ds_write_b32 v7, v5
	s_cbranch_scc1 .LBB35_14
; %bb.15:
	s_cmp_lg_u32 s16, s18
	s_cselect_b64 s[14:15], -1, 0
	s_and_b64 vcc, exec, s[14:15]
	s_cbranch_vccnz .LBB35_17
	s_branch .LBB35_19
.LBB35_16:
	s_mov_b32 s18, 0
	s_cbranch_execz .LBB35_19
.LBB35_17:
	s_mul_hi_i32 s15, s6, s18
	s_mul_i32 s14, s6, s18
	s_ashr_i32 s7, s6, 31
	s_sub_i32 s19, s16, s18
	s_lshl_b64 s[14:15], s[14:15], 2
	s_add_u32 s14, s14, s22
	s_addc_u32 s15, s15, s21
	s_add_u32 s14, s14, s10
	s_addc_u32 s15, s15, s11
	s_add_u32 s14, s8, s14
	v_lshlrev_b32_e32 v2, 2, v0
	v_mov_b32_e32 v3, 0
	s_addc_u32 s15, s9, s15
	v_lshl_add_u64 v[2:3], s[14:15], 0, v[2:3]
	s_lshl_b64 s[14:15], s[6:7], 2
	s_mul_i32 s7, s18, 0x70
	v_lshl_add_u32 v1, v0, 2, s7
	v_add_u32_e32 v1, 0xc40, v1
.LBB35_18:                              ; =>This Inner Loop Header: Depth=1
	flat_load_dword v4, v[2:3]
	s_add_i32 s19, s19, -1
	v_lshl_add_u64 v[2:3], v[2:3], 0, s[14:15]
	s_cmp_lg_u32 s19, 0
	s_waitcnt vmcnt(0) lgkmcnt(0)
	v_mul_f32_e32 v4, s17, v4
	ds_write_b32 v1, v4
	v_add_u32_e32 v1, 0x70, v1
	s_cbranch_scc1 .LBB35_18
.LBB35_19:
	s_or_b64 exec, exec, s[12:13]
	s_cmpk_eq_i32 s5, 0x6f
	s_cselect_b64 s[14:15], -1, 0
	s_cmpk_lg_i32 s4, 0x79
	s_cselect_b64 s[12:13], -1, 0
	s_cmpk_eq_i32 s4, 0x79
	s_cselect_b64 s[18:19], -1, 0
	s_and_b64 s[18:19], s[18:19], s[14:15]
	s_andn2_b64 vcc, exec, s[18:19]
	s_mov_b64 s[18:19], -1
	s_waitcnt lgkmcnt(0)
	; wave barrier
	s_cbranch_vccz .LBB35_76
; %bb.20:
	s_cmpk_lg_i32 s4, 0x7a
	s_cselect_b64 s[4:5], -1, 0
	s_xor_b64 s[14:15], s[14:15], -1
	s_add_i32 s7, s20, -1
	s_or_b64 s[14:15], s[4:5], s[14:15]
	v_mov_b32_e32 v1, 0xc40
	s_cmp_gt_i32 s16, 3
	v_lshl_add_u32 v1, v0, 2, v1
	s_cselect_b64 s[4:5], -1, 0
	s_and_b64 vcc, exec, s[14:15]
	s_cbranch_vccz .LBB35_55
; %bb.21:
	s_andn2_b64 vcc, exec, s[12:13]
	s_mov_b64 s[12:13], -1
	s_cbranch_vccnz .LBB35_34
; %bb.22:
	s_andn2_b64 vcc, exec, s[4:5]
	s_mov_b32 s14, 0
	s_cbranch_vccnz .LBB35_28
; %bb.23:
	v_mov_b32_e32 v2, 0xc40
	v_lshl_add_u32 v6, v0, 2, v2
	s_mov_b32 s12, 0
	s_mov_b32 s13, 0
.LBB35_24:                              ; =>This Loop Header: Depth=1
                                        ;     Child Loop BB35_25 Depth 2
	s_or_b32 s15, s13, 3
	s_mul_i32 s14, s13, 0x70
	v_add_u32_e32 v8, s14, v1
	s_mulk_i32 s15, 0x70
	ds_read2_b32 v[4:5], v8 offset1:28
	v_add_u32_e32 v7, s15, v1
	ds_read_b32 v2, v8 offset:224
	ds_read_b32 v3, v7
	s_cmp_eq_u32 s13, 0
	v_mov_b32_e32 v9, v6
	s_mov_b32 s15, s12
	s_mov_b32 s17, s13
	s_cbranch_scc1 .LBB35_26
.LBB35_25:                              ;   Parent Loop BB35_24 Depth=1
                                        ; =>  This Inner Loop Header: Depth=2
	v_mov_b32_e32 v10, s15
	ds_read_b32 v14, v9
	ds_read_b128 v[10:13], v10
	s_add_i32 s17, s17, -1
	s_addk_i32 s15, 0x70
	v_add_u32_e32 v9, 0x70, v9
	s_cmp_eq_u32 s17, 0
	s_waitcnt lgkmcnt(0)
	v_pk_fma_f32 v[4:5], v[14:15], v[10:11], v[4:5] op_sel_hi:[0,1,1] neg_lo:[1,0,0] neg_hi:[1,0,0]
	v_pk_fma_f32 v[2:3], v[14:15], v[12:13], v[2:3] op_sel_hi:[0,1,1] neg_lo:[1,0,0] neg_hi:[1,0,0]
	s_cbranch_scc0 .LBB35_25
.LBB35_26:                              ;   in Loop: Header=BB35_24 Depth=1
	s_lshl_b32 s17, s13, 2
	s_add_i32 s18, s17, s14
	v_mov_b32_e32 v9, s18
	ds_read_b128 v[10:13], v9
	ds_read2_b32 v[14:15], v9 offset0:29 offset1:30
	s_addk_i32 s18, 0x74
	s_add_i32 s12, s12, 16
	s_waitcnt lgkmcnt(1)
	v_div_scale_f32 v16, s[14:15], v10, v10, v4
	v_rcp_f32_e32 v17, v16
	v_div_scale_f32 v18, vcc, v4, v10, v4
	v_fma_f32 v19, -v16, v17, 1.0
	v_fmac_f32_e32 v17, v19, v17
	v_mul_f32_e32 v19, v18, v17
	v_fma_f32 v20, -v16, v19, v18
	v_fmac_f32_e32 v19, v20, v17
	v_fma_f32 v16, -v16, v19, v18
	v_div_fmas_f32 v16, v16, v17, v19
	v_div_fixup_f32 v10, v16, v10, v4
	v_fma_f32 v4, -v10, v11, v5
	s_waitcnt lgkmcnt(0)
	v_div_scale_f32 v5, s[14:15], v14, v14, v4
	v_rcp_f32_e32 v11, v5
	v_div_scale_f32 v16, vcc, v4, v14, v4
	v_fma_f32 v2, -v10, v12, v2
	v_fma_f32 v17, -v5, v11, 1.0
	v_fmac_f32_e32 v11, v17, v11
	v_mul_f32_e32 v17, v16, v11
	v_fma_f32 v18, -v5, v17, v16
	v_fmac_f32_e32 v17, v18, v11
	v_fma_f32 v5, -v5, v17, v16
	v_div_fmas_f32 v5, v5, v11, v17
	v_div_fixup_f32 v11, v5, v14, v4
	ds_read_b64 v[4:5], v9 offset:232
	s_or_b32 s14, s17, 4
	v_fma_f32 v2, -v11, v15, v2
	s_sub_i32 s18, s18, s14
	ds_read_b32 v9, v9 offset:348
	s_waitcnt lgkmcnt(1)
	v_div_scale_f32 v12, s[14:15], v4, v4, v2
	v_rcp_f32_e32 v14, v12
	s_add_i32 s14, s18, s17
	v_mov_b32_e32 v15, s14
	ds_read_b32 v15, v15 offset:12
	v_fma_f32 v16, -v12, v14, 1.0
	v_fmac_f32_e32 v14, v16, v14
	v_div_scale_f32 v16, vcc, v2, v4, v2
	v_mul_f32_e32 v17, v16, v14
	v_fma_f32 v18, -v12, v17, v16
	v_fmac_f32_e32 v17, v18, v14
	v_fma_f32 v12, -v12, v17, v16
	v_div_fmas_f32 v12, v12, v14, v17
	v_fma_f32 v3, -v10, v13, v3
	v_div_fixup_f32 v2, v12, v4, v2
	s_waitcnt lgkmcnt(0)
	v_fma_f32 v3, -v11, v15, v3
	v_fma_f32 v3, -v2, v5, v3
	v_div_scale_f32 v4, s[14:15], v9, v9, v3
	v_rcp_f32_e32 v5, v4
	ds_write2_b32 v8, v10, v11 offset1:28
	ds_write_b32 v8, v2 offset:224
	s_add_i32 s14, s13, 4
	s_add_i32 s13, s13, 7
	v_fma_f32 v2, -v4, v5, 1.0
	v_fmac_f32_e32 v5, v2, v5
	v_div_scale_f32 v2, vcc, v3, v9, v3
	v_mul_f32_e32 v8, v2, v5
	v_fma_f32 v10, -v4, v8, v2
	v_fmac_f32_e32 v8, v10, v5
	v_fma_f32 v2, -v4, v8, v2
	v_div_fmas_f32 v2, v2, v5, v8
	v_div_fixup_f32 v2, v2, v9, v3
	s_cmp_ge_i32 s13, s20
	ds_write_b32 v7, v2
	s_cbranch_scc1 .LBB35_28
; %bb.27:                               ;   in Loop: Header=BB35_24 Depth=1
	s_mov_b32 s13, s14
	s_branch .LBB35_24
.LBB35_28:
	s_cmp_ge_i32 s14, s20
	s_cbranch_scc1 .LBB35_33
; %bb.29:
	v_mov_b32_e32 v2, 0xc40
	s_lshl_b32 s12, s14, 2
	v_lshl_add_u32 v2, v0, 2, v2
	s_branch .LBB35_31
.LBB35_30:                              ;   in Loop: Header=BB35_31 Depth=1
	s_lshl_b32 s15, s14, 2
	s_add_i32 s13, s15, s13
	v_mov_b32_e32 v5, s13
	ds_read_b32 v5, v5
	s_add_i32 s14, s14, 1
	s_add_i32 s12, s12, 4
	s_cmp_ge_i32 s14, s20
	s_waitcnt lgkmcnt(0)
	v_div_scale_f32 v6, s[18:19], v5, v5, v4
	v_rcp_f32_e32 v7, v6
	v_div_scale_f32 v8, vcc, v4, v5, v4
	v_fma_f32 v9, -v6, v7, 1.0
	v_fmac_f32_e32 v7, v9, v7
	v_mul_f32_e32 v9, v8, v7
	v_fma_f32 v10, -v6, v9, v8
	v_fmac_f32_e32 v9, v10, v7
	v_fma_f32 v6, -v6, v9, v8
	v_div_fmas_f32 v6, v6, v7, v9
	v_div_fixup_f32 v4, v6, v5, v4
	ds_write_b32 v3, v4
	s_cbranch_scc1 .LBB35_33
.LBB35_31:                              ; =>This Loop Header: Depth=1
                                        ;     Child Loop BB35_32 Depth 2
	s_mul_i32 s13, s14, 0x70
	v_add_u32_e32 v3, s13, v1
	ds_read_b32 v4, v3
	s_cmp_eq_u32 s14, 0
	v_mov_b32_e32 v5, v2
	s_mov_b32 s15, s12
	s_mov_b32 s17, s14
	s_cbranch_scc1 .LBB35_30
.LBB35_32:                              ;   Parent Loop BB35_31 Depth=1
                                        ; =>  This Inner Loop Header: Depth=2
	v_mov_b32_e32 v7, s15
	ds_read_b32 v6, v5
	ds_read_b32 v7, v7
	s_add_i32 s17, s17, -1
	s_addk_i32 s15, 0x70
	v_add_u32_e32 v5, 0x70, v5
	s_cmp_eq_u32 s17, 0
	s_waitcnt lgkmcnt(0)
	v_fma_f32 v4, -v6, v7, v4
	s_cbranch_scc0 .LBB35_32
	s_branch .LBB35_30
.LBB35_33:
	s_mov_b64 s[12:13], 0
.LBB35_34:
	s_and_b64 vcc, exec, s[12:13]
	s_cbranch_vccz .LBB35_54
; %bb.35:
	s_andn2_b64 vcc, exec, s[4:5]
	s_mov_b32 s14, s7
	s_cbranch_vccnz .LBB35_41
; %bb.36:
	s_mul_i32 s13, s20, 0x70
	s_mul_i32 s12, s20, 0x74
	v_lshl_add_u32 v2, v0, 2, s13
	s_addk_i32 s12, 0xff80
	v_add_u32_e32 v6, 0xbd0, v2
	s_mov_b32 s13, s7
.LBB35_37:                              ; =>This Loop Header: Depth=1
                                        ;     Child Loop BB35_38 Depth 2
	s_mul_i32 s14, s13, 0x70
	v_add_u32_e32 v8, s14, v1
	s_addk_i32 s14, 0xfeb0
	v_add_u32_e32 v9, 0xffffff90, v8
	v_add_u32_e32 v10, 0xffffff20, v8
	;; [unrolled: 1-line block ×3, first 2 shown]
	ds_read_b32 v5, v8
	ds_read_b32 v4, v9
	;; [unrolled: 1-line block ×4, first 2 shown]
	s_cmp_le_i32 s7, s13
	v_mov_b32_e32 v11, v6
	s_mov_b32 s15, s12
	s_mov_b32 s17, s7
	s_cbranch_scc1 .LBB35_39
.LBB35_38:                              ;   Parent Loop BB35_37 Depth=1
                                        ; =>  This Inner Loop Header: Depth=2
	v_mov_b32_e32 v13, s15
	ds_read_b32 v12, v11
	ds_read2_b32 v[14:15], v13 offset0:2 offset1:3
	ds_read2_b32 v[16:17], v13 offset1:1
	s_add_i32 s17, s17, -1
	s_addk_i32 s15, 0xff90
	v_add_u32_e32 v11, 0xffffff90, v11
	s_cmp_le_i32 s17, s13
	s_waitcnt lgkmcnt(1)
	v_pk_fma_f32 v[4:5], v[12:13], v[14:15], v[4:5] op_sel_hi:[0,1,1] neg_lo:[1,0,0] neg_hi:[1,0,0]
	s_waitcnt lgkmcnt(0)
	v_pk_fma_f32 v[2:3], v[12:13], v[16:17], v[2:3] op_sel_hi:[0,1,1] neg_lo:[1,0,0] neg_hi:[1,0,0]
	s_cbranch_scc0 .LBB35_38
.LBB35_39:                              ;   in Loop: Header=BB35_37 Depth=1
	s_add_i32 s15, s13, -3
	s_add_i32 s17, s13, -1
	s_mul_i32 s19, s13, 0x74
	s_lshl_b32 s18, s17, 2
	s_lshl_b32 s15, s15, 2
	s_add_i32 s23, s19, -4
	s_mulk_i32 s17, 0x70
	v_mov_b32_e32 v11, s23
	s_add_i32 s23, s18, s17
	s_add_i32 s18, s19, -12
	s_add_i32 s17, s15, s17
	v_mov_b32_e32 v14, s23
	v_mov_b32_e32 v15, s18
	;; [unrolled: 1-line block ×3, first 2 shown]
	ds_read2_b32 v[12:13], v11 offset1:1
	ds_read_b32 v11, v14
	ds_read2_b32 v[14:15], v15 offset1:1
	ds_read2_b32 v[16:17], v16 offset1:1
	s_lshl_b32 s17, s13, 2
	s_waitcnt lgkmcnt(3)
	v_div_scale_f32 v18, s[18:19], v13, v13, v5
	v_rcp_f32_e32 v19, v18
	s_sub_i32 s17, s23, s17
	s_add_i32 s17, s17, s15
	s_addk_i32 s17, 0xff94
	v_fma_f32 v20, -v18, v19, 1.0
	v_fmac_f32_e32 v19, v20, v19
	v_div_scale_f32 v20, vcc, v5, v13, v5
	v_mul_f32_e32 v21, v20, v19
	v_fma_f32 v22, -v18, v21, v20
	v_fmac_f32_e32 v21, v22, v19
	v_fma_f32 v18, -v18, v21, v20
	v_div_fmas_f32 v18, v18, v19, v21
	v_div_fixup_f32 v13, v18, v13, v5
	v_fma_f32 v4, -v13, v12, v4
	s_waitcnt lgkmcnt(2)
	v_div_scale_f32 v5, s[18:19], v11, v11, v4
	v_rcp_f32_e32 v12, v5
	s_waitcnt lgkmcnt(1)
	v_fma_f32 v3, -v13, v15, v3
	s_add_i32 s14, s15, s14
	v_fma_f32 v2, -v13, v14, v2
	v_fma_f32 v18, -v5, v12, 1.0
	v_fmac_f32_e32 v12, v18, v12
	v_div_scale_f32 v18, vcc, v4, v11, v4
	v_mul_f32_e32 v19, v18, v12
	v_fma_f32 v20, -v5, v19, v18
	v_fmac_f32_e32 v19, v20, v12
	v_fma_f32 v5, -v5, v19, v18
	v_div_fmas_f32 v5, v5, v12, v19
	v_div_fixup_f32 v11, v5, v11, v4
	v_mov_b32_e32 v4, s17
	ds_read2_b32 v[4:5], v4 offset1:1
	s_waitcnt lgkmcnt(1)
	v_fma_f32 v3, -v11, v17, v3
	v_mov_b32_e32 v12, s14
	ds_read_b32 v12, v12
	v_fma_f32 v2, -v11, v16, v2
	s_waitcnt lgkmcnt(1)
	v_div_scale_f32 v15, s[14:15], v5, v5, v3
	v_rcp_f32_e32 v17, v15
	s_add_i32 s12, s12, -16
	v_fma_f32 v18, -v15, v17, 1.0
	v_fmac_f32_e32 v17, v18, v17
	v_div_scale_f32 v18, vcc, v3, v5, v3
	v_mul_f32_e32 v19, v18, v17
	v_fma_f32 v20, -v15, v19, v18
	v_fmac_f32_e32 v19, v20, v17
	v_fma_f32 v15, -v15, v19, v18
	v_div_fmas_f32 v15, v15, v17, v19
	v_div_fixup_f32 v3, v15, v5, v3
	v_fma_f32 v2, -v3, v4, v2
	s_waitcnt lgkmcnt(0)
	v_div_scale_f32 v4, s[14:15], v12, v12, v2
	v_rcp_f32_e32 v5, v4
	ds_write_b32 v8, v13
	ds_write_b32 v9, v11
	;; [unrolled: 1-line block ×3, first 2 shown]
	s_add_i32 s14, s13, -4
	s_cmp_lt_i32 s13, 7
	v_fma_f32 v3, -v4, v5, 1.0
	v_fmac_f32_e32 v5, v3, v5
	v_div_scale_f32 v3, vcc, v2, v12, v2
	v_mul_f32_e32 v8, v3, v5
	v_fma_f32 v9, -v4, v8, v3
	v_fmac_f32_e32 v8, v9, v5
	v_fma_f32 v3, -v4, v8, v3
	v_div_fmas_f32 v3, v3, v5, v8
	v_div_fixup_f32 v2, v3, v12, v2
	ds_write_b32 v7, v2
	s_cbranch_scc1 .LBB35_41
; %bb.40:                               ;   in Loop: Header=BB35_37 Depth=1
	s_mov_b32 s13, s14
	s_branch .LBB35_37
.LBB35_41:
	s_cmp_lt_i32 s14, 0
	s_cbranch_scc1 .LBB35_54
; %bb.42:
	s_bitcmp1_b32 s14, 0
	s_cselect_b64 s[12:13], -1, 0
	s_and_b64 vcc, exec, s[12:13]
	s_mov_b32 s12, s14
	s_cbranch_vccnz .LBB35_47
; %bb.43:
	s_mul_i32 s12, s14, 0x70
	v_add_u32_e32 v2, s12, v1
	ds_read_b32 v3, v2
	s_cmp_le_i32 s7, s14
	s_cbranch_scc1 .LBB35_46
; %bb.44:
	s_mul_i32 s15, s20, 0x70
	s_lshl_b32 s13, s14, 2
	s_add_i32 s13, s15, s13
	v_lshl_add_u32 v4, v0, 2, s15
	s_addk_i32 s13, 0xff90
	v_add_u32_e32 v4, 0xbd0, v4
	s_mov_b32 s15, s7
.LBB35_45:                              ; =>This Inner Loop Header: Depth=1
	v_mov_b32_e32 v6, s13
	ds_read_b32 v5, v4
	ds_read_b32 v6, v6
	s_add_i32 s15, s15, -1
	s_addk_i32 s13, 0xff90
	v_add_u32_e32 v4, 0xffffff90, v4
	s_cmp_gt_u32 s15, s14
	s_waitcnt lgkmcnt(0)
	v_fma_f32 v3, -v5, v6, v3
	s_cbranch_scc1 .LBB35_45
.LBB35_46:
	s_lshl_b32 s13, s14, 2
	s_add_i32 s12, s13, s12
	v_mov_b32_e32 v4, s12
	ds_read_b32 v4, v4
	s_waitcnt lgkmcnt(0)
	v_div_scale_f32 v5, s[12:13], v4, v4, v3
	v_rcp_f32_e32 v6, v5
	v_div_scale_f32 v7, vcc, v3, v4, v3
	s_add_i32 s12, s14, -1
	v_fma_f32 v8, -v5, v6, 1.0
	v_fmac_f32_e32 v6, v8, v6
	v_mul_f32_e32 v8, v7, v6
	v_fma_f32 v9, -v5, v8, v7
	v_fmac_f32_e32 v8, v9, v6
	v_fma_f32 v5, -v5, v8, v7
	v_div_fmas_f32 v5, v5, v6, v8
	v_div_fixup_f32 v3, v5, v4, v3
	ds_write_b32 v2, v3
.LBB35_47:
	s_cmp_eq_u32 s14, 0
	s_cbranch_scc1 .LBB35_54
; %bb.48:
	s_mul_i32 s14, s20, 0x70
	s_lshl_b32 s13, s12, 2
	s_add_i32 s15, s14, s13
	v_lshl_add_u32 v2, v0, 2, s14
	s_add_i32 s13, s15, 0xffffff90
	v_add_u32_e32 v2, 0xbd0, v2
	s_add_i32 s14, s15, 0xffffff8c
	s_branch .LBB35_50
.LBB35_49:                              ;   in Loop: Header=BB35_50 Depth=1
	s_mul_i32 s18, s17, 0x70
	s_add_i32 s15, s15, s18
	s_add_i32 s15, s15, -4
	v_mov_b32_e32 v5, s15
	ds_read_b32 v5, v5
	s_add_i32 s12, s12, -2
	s_add_i32 s13, s13, -8
	;; [unrolled: 1-line block ×3, first 2 shown]
	s_cmp_eq_u32 s17, 0
	s_waitcnt lgkmcnt(0)
	v_div_scale_f32 v6, s[18:19], v5, v5, v4
	v_rcp_f32_e32 v7, v6
	v_div_scale_f32 v8, vcc, v4, v5, v4
	v_fma_f32 v9, -v6, v7, 1.0
	v_fmac_f32_e32 v7, v9, v7
	v_mul_f32_e32 v9, v8, v7
	v_fma_f32 v10, -v6, v9, v8
	v_fmac_f32_e32 v9, v10, v7
	v_fma_f32 v6, -v6, v9, v8
	v_div_fmas_f32 v6, v6, v7, v9
	v_div_fixup_f32 v4, v6, v5, v4
	ds_write_b32 v3, v4
	s_cbranch_scc1 .LBB35_54
.LBB35_50:                              ; =>This Loop Header: Depth=1
                                        ;     Child Loop BB35_51 Depth 2
                                        ;     Child Loop BB35_53 Depth 2
	s_mul_i32 s17, s12, 0x70
	v_add_u32_e32 v5, s17, v1
	ds_read_b32 v6, v5
	s_cmp_le_i32 s7, s12
	v_mov_b32_e32 v3, v2
	s_mov_b32 s15, s13
	s_mov_b32 s18, s7
	s_cbranch_scc1 .LBB35_52
.LBB35_51:                              ;   Parent Loop BB35_50 Depth=1
                                        ; =>  This Inner Loop Header: Depth=2
	v_mov_b32_e32 v7, s15
	ds_read_b32 v4, v3
	ds_read_b32 v7, v7
	s_add_i32 s18, s18, -1
	s_addk_i32 s15, 0xff90
	v_add_u32_e32 v3, 0xffffff90, v3
	s_cmp_le_u32 s18, s12
	s_waitcnt lgkmcnt(0)
	v_fma_f32 v6, -v4, v7, v6
	s_cbranch_scc0 .LBB35_51
.LBB35_52:                              ;   in Loop: Header=BB35_50 Depth=1
	s_lshl_b32 s15, s12, 2
	s_add_i32 s18, s15, s17
	v_mov_b32_e32 v3, s18
	ds_read_b32 v7, v3
	s_addk_i32 s17, 0xff90
	v_add_u32_e32 v3, s17, v1
	ds_read_b32 v4, v3
	s_add_i32 s17, s12, -1
	s_waitcnt lgkmcnt(1)
	v_div_scale_f32 v8, s[18:19], v7, v7, v6
	v_rcp_f32_e32 v9, v8
	v_div_scale_f32 v10, vcc, v6, v7, v6
	s_cmp_le_i32 s20, s12
	v_fma_f32 v11, -v8, v9, 1.0
	v_fmac_f32_e32 v9, v11, v9
	v_mul_f32_e32 v11, v10, v9
	v_fma_f32 v12, -v8, v11, v10
	v_fmac_f32_e32 v11, v12, v9
	v_fma_f32 v8, -v8, v11, v10
	v_div_fmas_f32 v8, v8, v9, v11
	v_div_fixup_f32 v6, v8, v7, v6
	ds_write_b32 v5, v6
	v_mov_b32_e32 v5, v2
	s_mov_b32 s18, s14
	s_mov_b32 s19, s7
	s_cbranch_scc1 .LBB35_49
.LBB35_53:                              ;   Parent Loop BB35_50 Depth=1
                                        ; =>  This Inner Loop Header: Depth=2
	v_mov_b32_e32 v7, s18
	ds_read_b32 v6, v5
	ds_read_b32 v7, v7
	s_add_i32 s19, s19, -1
	s_addk_i32 s18, 0xff90
	v_add_u32_e32 v5, 0xffffff90, v5
	s_cmp_gt_u32 s19, s17
	s_waitcnt lgkmcnt(0)
	v_fma_f32 v4, -v6, v7, v4
	s_cbranch_scc1 .LBB35_53
	s_branch .LBB35_49
.LBB35_54:
	s_mov_b64 s[18:19], 0
.LBB35_55:
	s_andn2_b64 vcc, exec, s[18:19]
	s_cbranch_vccnz .LBB35_75
; %bb.56:
	s_andn2_b64 vcc, exec, s[4:5]
	s_mov_b32 s12, s7
	s_cbranch_vccnz .LBB35_62
; %bb.57:
	s_mul_i32 s4, s20, 0x70
	v_lshl_add_u32 v2, v0, 2, s4
	s_mul_i32 s4, s20, 0x74
	v_add_u32_e32 v6, 0xbd0, v2
	s_addk_i32 s4, 0xfe3c
	s_mov_b32 s5, s7
.LBB35_58:                              ; =>This Loop Header: Depth=1
                                        ;     Child Loop BB35_59 Depth 2
	s_mul_i32 s12, s5, 28
	v_lshl_add_u32 v8, s12, 2, v1
	v_add_u32_e32 v9, 0xffffff90, v8
	v_add_u32_e32 v10, 0xffffff20, v8
	;; [unrolled: 1-line block ×3, first 2 shown]
	ds_read_b32 v4, v8
	ds_read_b32 v5, v9
	;; [unrolled: 1-line block ×4, first 2 shown]
	s_cmp_le_i32 s7, s5
	s_mov_b32 s13, s4
	v_mov_b32_e32 v11, v6
	s_mov_b32 s14, s7
	s_cbranch_scc1 .LBB35_60
.LBB35_59:                              ;   Parent Loop BB35_58 Depth=1
                                        ; =>  This Inner Loop Header: Depth=2
	v_mov_b32_e32 v13, s13
	ds_read_b32 v12, v11
	ds_read2_b32 v[16:17], v13 offset0:56 offset1:84
	ds_read2_b32 v[18:19], v13 offset1:28
	s_add_i32 s14, s14, -1
	s_add_i32 s13, s13, -4
	v_add_u32_e32 v11, 0xffffff90, v11
	s_waitcnt lgkmcnt(1)
	v_mov_b32_e32 v14, v17
	v_mov_b32_e32 v15, v16
	s_waitcnt lgkmcnt(0)
	v_mov_b32_e32 v16, v19
	v_mov_b32_e32 v17, v18
	s_cmp_le_i32 s14, s5
	v_pk_fma_f32 v[4:5], v[12:13], v[14:15], v[4:5] op_sel_hi:[0,1,1] neg_lo:[1,0,0] neg_hi:[1,0,0]
	v_pk_fma_f32 v[2:3], v[12:13], v[16:17], v[2:3] op_sel_hi:[0,1,1] neg_lo:[1,0,0] neg_hi:[1,0,0]
	s_cbranch_scc0 .LBB35_59
.LBB35_60:                              ;   in Loop: Header=BB35_58 Depth=1
	s_mul_i32 s13, s5, 0x74
	s_lshl_b32 s12, s12, 2
	v_mov_b32_e32 v11, s13
	s_lshl_b32 s13, s5, 2
	s_add_i32 s14, s12, s13
	s_add_i32 s12, s14, 0xffffff8c
	v_mov_b32_e32 v12, s12
	s_add_i32 s12, s14, 0xffffff20
	v_mov_b32_e32 v14, s12
	s_add_i32 s12, s14, 0xffffff18
	v_mov_b32_e32 v15, s12
	ds_read_b32 v11, v11
	ds_read2_b32 v[12:13], v12 offset1:1
	ds_read_b32 v16, v14
	ds_read2_b32 v[14:15], v15 offset1:1
	s_addk_i32 s4, 0xfe40
	s_waitcnt lgkmcnt(3)
	v_div_scale_f32 v17, s[12:13], v11, v11, v4
	v_rcp_f32_e32 v18, v17
	s_nop 0
	v_fma_f32 v19, -v17, v18, 1.0
	v_fmac_f32_e32 v18, v19, v18
	v_div_scale_f32 v19, vcc, v4, v11, v4
	v_mul_f32_e32 v20, v19, v18
	v_fma_f32 v21, -v17, v20, v19
	v_fmac_f32_e32 v20, v21, v18
	v_fma_f32 v17, -v17, v20, v19
	v_div_fmas_f32 v17, v17, v18, v20
	v_div_fixup_f32 v11, v17, v11, v4
	s_waitcnt lgkmcnt(2)
	v_fma_f32 v4, -v11, v13, v5
	v_div_scale_f32 v5, s[12:13], v12, v12, v4
	v_rcp_f32_e32 v13, v5
	s_waitcnt lgkmcnt(1)
	v_fma_f32 v2, -v11, v16, v2
	v_fma_f32 v17, -v5, v13, 1.0
	v_fmac_f32_e32 v13, v17, v13
	v_div_scale_f32 v17, vcc, v4, v12, v4
	v_mul_f32_e32 v18, v17, v13
	v_fma_f32 v19, -v5, v18, v17
	v_fmac_f32_e32 v18, v19, v13
	v_fma_f32 v5, -v5, v18, v17
	v_div_fmas_f32 v5, v5, v13, v18
	v_div_fixup_f32 v17, v5, v12, v4
	s_waitcnt lgkmcnt(0)
	v_fma_f32 v2, -v17, v15, v2
	v_div_scale_f32 v4, s[12:13], v14, v14, v2
	v_rcp_f32_e32 v15, v4
	s_add_i32 s12, s14, 0xfffffeac
	v_fma_f32 v5, -v4, v15, 1.0
	v_fmac_f32_e32 v15, v5, v15
	v_div_scale_f32 v5, vcc, v2, v14, v2
	v_mul_f32_e32 v16, v5, v15
	v_fma_f32 v12, -v4, v16, v5
	v_fmac_f32_e32 v16, v12, v15
	v_fma_f32 v18, -v4, v16, v5
	v_mov_b32_e32 v4, s12
	s_add_i32 s12, s14, 0xfffffea4
	v_mov_b32_e32 v12, s12
	ds_read2_b32 v[4:5], v4 offset1:1
	ds_read2_b32 v[12:13], v12 offset1:1
	v_div_fmas_f32 v15, v18, v15, v16
	v_div_fixup_f32 v2, v15, v14, v2
	ds_write_b32 v8, v11
	ds_write_b32 v9, v17
	;; [unrolled: 1-line block ×3, first 2 shown]
	s_waitcnt lgkmcnt(4)
	v_fma_f32 v3, -v11, v5, v3
	v_fma_f32 v3, -v17, v4, v3
	s_waitcnt lgkmcnt(3)
	v_fma_f32 v3, -v2, v13, v3
	v_div_scale_f32 v4, s[12:13], v12, v12, v3
	v_rcp_f32_e32 v5, v4
	s_add_i32 s12, s5, -4
	s_cmp_lt_i32 s5, 7
	v_fma_f32 v2, -v4, v5, 1.0
	v_fmac_f32_e32 v5, v2, v5
	v_div_scale_f32 v2, vcc, v3, v12, v3
	v_mul_f32_e32 v8, v2, v5
	v_fma_f32 v9, -v4, v8, v2
	v_fmac_f32_e32 v8, v9, v5
	v_fma_f32 v2, -v4, v8, v2
	v_div_fmas_f32 v2, v2, v5, v8
	v_div_fixup_f32 v2, v2, v12, v3
	ds_write_b32 v7, v2
	s_cbranch_scc1 .LBB35_62
; %bb.61:                               ;   in Loop: Header=BB35_58 Depth=1
	s_mov_b32 s5, s12
	s_branch .LBB35_58
.LBB35_62:
	s_cmp_lt_i32 s12, 0
	s_cbranch_scc1 .LBB35_75
; %bb.63:
	s_bitcmp1_b32 s12, 0
	s_cselect_b64 s[4:5], -1, 0
	s_and_b64 vcc, exec, s[4:5]
	s_mov_b32 s4, s12
	s_cbranch_vccnz .LBB35_68
; %bb.64:
	s_mul_i32 s4, s12, 0x70
	v_add_u32_e32 v2, s4, v1
	ds_read_b32 v3, v2
	s_cmp_le_i32 s7, s12
	s_cbranch_scc1 .LBB35_67
; %bb.65:
	s_lshl_b32 s5, s20, 2
	s_add_i32 s4, s4, s5
	s_mul_i32 s5, s20, 0x70
	v_lshl_add_u32 v4, v0, 2, s5
	s_add_i32 s4, s4, -4
	v_add_u32_e32 v4, 0xbd0, v4
	s_mov_b32 s5, s7
.LBB35_66:                              ; =>This Inner Loop Header: Depth=1
	v_mov_b32_e32 v6, s4
	ds_read_b32 v5, v4
	ds_read_b32 v6, v6
	s_add_i32 s5, s5, -1
	s_add_i32 s4, s4, -4
	v_add_u32_e32 v4, 0xffffff90, v4
	s_cmp_gt_u32 s5, s12
	s_waitcnt lgkmcnt(0)
	v_fma_f32 v3, -v5, v6, v3
	s_cbranch_scc1 .LBB35_66
.LBB35_67:
	s_mul_i32 s4, s12, 0x74
	v_mov_b32_e32 v4, s4
	ds_read_b32 v4, v4
	s_waitcnt lgkmcnt(0)
	v_div_scale_f32 v5, s[4:5], v4, v4, v3
	v_rcp_f32_e32 v6, v5
	v_div_scale_f32 v7, vcc, v3, v4, v3
	s_add_i32 s4, s12, -1
	v_fma_f32 v8, -v5, v6, 1.0
	v_fmac_f32_e32 v6, v8, v6
	v_mul_f32_e32 v8, v7, v6
	v_fma_f32 v9, -v5, v8, v7
	v_fmac_f32_e32 v8, v9, v6
	v_fma_f32 v5, -v5, v8, v7
	v_div_fmas_f32 v5, v5, v6, v8
	v_div_fixup_f32 v3, v5, v4, v3
	ds_write_b32 v2, v3
.LBB35_68:
	s_cmp_eq_u32 s12, 0
	s_cbranch_scc1 .LBB35_75
; %bb.69:
	s_mul_i32 s5, s20, 0x70
	v_lshl_add_u32 v2, v0, 2, s5
	s_mul_i32 s5, s4, 0x70
	s_lshl_b32 s12, s20, 2
	s_add_i32 s12, s5, s12
	v_add_u32_e32 v2, 0xbd0, v2
	s_add_i32 s5, s12, -4
	s_addk_i32 s12, 0xff8c
	s_branch .LBB35_71
.LBB35_70:                              ;   in Loop: Header=BB35_71 Depth=1
	s_addk_i32 s14, 0xff8c
	v_mov_b32_e32 v5, s14
	ds_read_b32 v5, v5
	s_add_i32 s4, s4, -2
	s_addk_i32 s5, 0xff20
	s_addk_i32 s12, 0xff20
	s_cmp_eq_u32 s13, 0
	s_waitcnt lgkmcnt(0)
	v_div_scale_f32 v6, s[14:15], v5, v5, v4
	v_rcp_f32_e32 v7, v6
	v_div_scale_f32 v8, vcc, v4, v5, v4
	v_fma_f32 v9, -v6, v7, 1.0
	v_fmac_f32_e32 v7, v9, v7
	v_mul_f32_e32 v9, v8, v7
	v_fma_f32 v10, -v6, v9, v8
	v_fmac_f32_e32 v9, v10, v7
	v_fma_f32 v6, -v6, v9, v8
	v_div_fmas_f32 v6, v6, v7, v9
	v_div_fixup_f32 v4, v6, v5, v4
	ds_write_b32 v3, v4
	s_cbranch_scc1 .LBB35_75
.LBB35_71:                              ; =>This Loop Header: Depth=1
                                        ;     Child Loop BB35_72 Depth 2
                                        ;     Child Loop BB35_74 Depth 2
	s_mul_i32 s13, s4, 0x70
	v_add_u32_e32 v5, s13, v1
	ds_read_b32 v6, v5
	s_cmp_le_i32 s7, s4
	s_mov_b32 s13, s5
	v_mov_b32_e32 v3, v2
	s_mov_b32 s14, s7
	s_cbranch_scc1 .LBB35_73
.LBB35_72:                              ;   Parent Loop BB35_71 Depth=1
                                        ; =>  This Inner Loop Header: Depth=2
	v_mov_b32_e32 v7, s13
	ds_read_b32 v4, v3
	ds_read_b32 v7, v7
	s_add_i32 s14, s14, -1
	s_add_i32 s13, s13, -4
	v_add_u32_e32 v3, 0xffffff90, v3
	s_cmp_le_u32 s14, s4
	s_waitcnt lgkmcnt(0)
	v_fma_f32 v6, -v4, v7, v6
	s_cbranch_scc0 .LBB35_72
.LBB35_73:                              ;   in Loop: Header=BB35_71 Depth=1
	s_mul_i32 s14, s4, 0x74
	v_mov_b32_e32 v3, s14
	ds_read_b32 v7, v3
	v_add_u32_e32 v3, 0xffffff90, v5
	ds_read_b32 v4, v3
	s_add_i32 s13, s4, -1
	s_cmp_le_i32 s20, s4
	s_waitcnt lgkmcnt(1)
	v_div_scale_f32 v8, s[18:19], v7, v7, v6
	v_rcp_f32_e32 v9, v8
	v_div_scale_f32 v10, vcc, v6, v7, v6
	s_mov_b32 s15, s12
	v_fma_f32 v11, -v8, v9, 1.0
	v_fmac_f32_e32 v9, v11, v9
	v_mul_f32_e32 v11, v10, v9
	v_fma_f32 v12, -v8, v11, v10
	v_fmac_f32_e32 v11, v12, v9
	v_fma_f32 v8, -v8, v11, v10
	v_div_fmas_f32 v8, v8, v9, v11
	v_div_fixup_f32 v6, v8, v7, v6
	ds_write_b32 v5, v6
	v_mov_b32_e32 v5, v2
	s_mov_b32 s17, s7
	s_cbranch_scc1 .LBB35_70
.LBB35_74:                              ;   Parent Loop BB35_71 Depth=1
                                        ; =>  This Inner Loop Header: Depth=2
	v_mov_b32_e32 v7, s15
	ds_read_b32 v6, v5
	ds_read_b32 v7, v7
	s_add_i32 s17, s17, -1
	s_add_i32 s15, s15, -4
	v_add_u32_e32 v5, 0xffffff90, v5
	s_cmp_gt_u32 s17, s13
	s_waitcnt lgkmcnt(0)
	v_fma_f32 v4, -v6, v7, v4
	s_cbranch_scc1 .LBB35_74
	s_branch .LBB35_70
.LBB35_75:
	s_mov_b64 s[18:19], 0
.LBB35_76:
	s_andn2_b64 vcc, exec, s[18:19]
	s_cbranch_vccnz .LBB35_88
; %bb.77:
	v_mov_b32_e32 v1, 0xc40
	v_lshl_add_u32 v1, v0, 2, v1
	s_cmp_lt_i32 s16, 4
	s_mov_b32 s7, 0
	s_cbranch_scc1 .LBB35_83
; %bb.78:
	s_mov_b32 s4, 0
	s_mov_b32 s5, 0
.LBB35_79:                              ; =>This Loop Header: Depth=1
                                        ;     Child Loop BB35_80 Depth 2
	s_mul_i32 s7, s5, 28
	v_lshl_add_u32 v6, s7, 2, v1
	ds_read2_b32 v[4:5], v6 offset1:28
	ds_read2_b32 v[2:3], v6 offset0:56 offset1:84
	s_cmp_eq_u32 s5, 0
	s_mov_b32 s12, s4
	v_mov_b32_e32 v7, v1
	s_mov_b32 s13, s5
	s_cbranch_scc1 .LBB35_81
.LBB35_80:                              ;   Parent Loop BB35_79 Depth=1
                                        ; =>  This Inner Loop Header: Depth=2
	v_mov_b32_e32 v9, s12
	ds_read_b32 v8, v7
	ds_read2_b32 v[10:11], v9 offset1:28
	ds_read2_b32 v[12:13], v9 offset0:56 offset1:84
	s_add_i32 s13, s13, -1
	s_add_i32 s12, s12, 4
	v_add_u32_e32 v7, 0x70, v7
	s_cmp_eq_u32 s13, 0
	s_waitcnt lgkmcnt(1)
	v_pk_fma_f32 v[4:5], v[8:9], v[10:11], v[4:5] op_sel_hi:[0,1,1] neg_lo:[1,0,0] neg_hi:[1,0,0]
	s_waitcnt lgkmcnt(0)
	v_pk_fma_f32 v[2:3], v[8:9], v[12:13], v[2:3] op_sel_hi:[0,1,1] neg_lo:[1,0,0] neg_hi:[1,0,0]
	s_cbranch_scc0 .LBB35_80
.LBB35_81:                              ;   in Loop: Header=BB35_79 Depth=1
	s_mul_i32 s12, s5, 0x74
	v_mov_b32_e32 v7, s12
	ds_read_b32 v7, v7
	s_lshl_b32 s7, s7, 2
	s_lshl_b32 s12, s5, 2
	s_add_i32 s7, s7, s12
	v_mov_b32_e32 v13, s7
	s_waitcnt lgkmcnt(0)
	v_div_scale_f32 v14, s[12:13], v7, v7, v4
	v_rcp_f32_e32 v15, v14
	ds_read_b64 v[8:9], v13 offset:112
	ds_read_b96 v[10:12], v13 offset:224
	s_add_i32 s7, s5, 4
	s_add_i32 s5, s5, 7
	v_fma_f32 v16, -v14, v15, 1.0
	v_fmac_f32_e32 v15, v16, v15
	v_div_scale_f32 v16, vcc, v4, v7, v4
	v_mul_f32_e32 v17, v16, v15
	v_fma_f32 v18, -v14, v17, v16
	v_fmac_f32_e32 v17, v18, v15
	v_fma_f32 v14, -v14, v17, v16
	v_div_fmas_f32 v14, v14, v15, v17
	v_div_fixup_f32 v4, v14, v7, v4
	s_waitcnt lgkmcnt(1)
	v_fma_f32 v5, -v4, v8, v5
	v_div_scale_f32 v7, s[12:13], v9, v9, v5
	v_rcp_f32_e32 v8, v7
	s_waitcnt lgkmcnt(0)
	v_fma_f32 v2, -v4, v10, v2
	s_addk_i32 s4, 0x1c0
	s_cmp_ge_i32 s5, s20
	v_fma_f32 v14, -v7, v8, 1.0
	v_fmac_f32_e32 v8, v14, v8
	v_div_scale_f32 v14, vcc, v5, v9, v5
	v_mul_f32_e32 v15, v14, v8
	v_fma_f32 v16, -v7, v15, v14
	v_fmac_f32_e32 v15, v16, v8
	v_fma_f32 v7, -v7, v15, v14
	v_div_fmas_f32 v7, v7, v8, v15
	v_div_fixup_f32 v5, v7, v9, v5
	v_fma_f32 v2, -v5, v11, v2
	v_div_scale_f32 v7, s[12:13], v12, v12, v2
	v_rcp_f32_e32 v14, v7
	v_div_scale_f32 v15, vcc, v2, v12, v2
	ds_write2_b32 v6, v4, v5 offset1:28
	v_fma_f32 v8, -v7, v14, 1.0
	v_fmac_f32_e32 v14, v8, v14
	v_mul_f32_e32 v16, v15, v14
	v_fma_f32 v8, -v7, v16, v15
	v_fmac_f32_e32 v16, v8, v14
	ds_read_b128 v[8:11], v13 offset:336
	v_fma_f32 v7, -v7, v16, v15
	v_div_fmas_f32 v7, v7, v14, v16
	v_div_fixup_f32 v2, v7, v12, v2
	s_waitcnt lgkmcnt(0)
	v_fma_f32 v3, -v4, v8, v3
	v_fma_f32 v3, -v5, v9, v3
	v_fma_f32 v3, -v2, v10, v3
	v_div_scale_f32 v7, s[12:13], v11, v11, v3
	v_rcp_f32_e32 v8, v7
	s_nop 0
	v_fma_f32 v4, -v7, v8, 1.0
	v_fmac_f32_e32 v8, v4, v8
	v_div_scale_f32 v4, vcc, v3, v11, v3
	v_mul_f32_e32 v5, v4, v8
	v_fma_f32 v9, -v7, v5, v4
	v_fmac_f32_e32 v5, v9, v8
	v_fma_f32 v4, -v7, v5, v4
	v_div_fmas_f32 v4, v4, v8, v5
	v_div_fixup_f32 v3, v4, v11, v3
	ds_write2_b32 v6, v2, v3 offset0:56 offset1:84
	s_cbranch_scc1 .LBB35_83
; %bb.82:                               ;   in Loop: Header=BB35_79 Depth=1
	s_mov_b32 s5, s7
	s_branch .LBB35_79
.LBB35_83:
	s_cmp_ge_i32 s7, s20
	s_cbranch_scc1 .LBB35_88
; %bb.84:
	v_mov_b32_e32 v2, 0xc40
	v_lshl_add_u32 v2, v0, 2, v2
	s_mul_i32 s4, s7, 0x70
	s_branch .LBB35_86
.LBB35_85:                              ;   in Loop: Header=BB35_86 Depth=1
	s_mul_i32 s5, s7, 0x74
	v_mov_b32_e32 v5, s5
	ds_read_b32 v5, v5
	s_add_i32 s7, s7, 1
	s_addk_i32 s4, 0x70
	s_cmp_ge_i32 s7, s20
	s_waitcnt lgkmcnt(0)
	v_div_scale_f32 v6, s[12:13], v5, v5, v4
	v_rcp_f32_e32 v7, v6
	v_div_scale_f32 v8, vcc, v4, v5, v4
	v_fma_f32 v9, -v6, v7, 1.0
	v_fmac_f32_e32 v7, v9, v7
	v_mul_f32_e32 v9, v8, v7
	v_fma_f32 v10, -v6, v9, v8
	v_fmac_f32_e32 v9, v10, v7
	v_fma_f32 v6, -v6, v9, v8
	v_div_fmas_f32 v6, v6, v7, v9
	v_div_fixup_f32 v4, v6, v5, v4
	ds_write_b32 v3, v4
	s_cbranch_scc1 .LBB35_88
.LBB35_86:                              ; =>This Loop Header: Depth=1
                                        ;     Child Loop BB35_87 Depth 2
	s_mul_i32 s5, s7, 0x70
	v_add_u32_e32 v3, s5, v1
	ds_read_b32 v4, v3
	s_cmp_eq_u32 s7, 0
	s_mov_b32 s5, s4
	v_mov_b32_e32 v5, v2
	s_mov_b32 s12, s7
	s_cbranch_scc1 .LBB35_85
.LBB35_87:                              ;   Parent Loop BB35_86 Depth=1
                                        ; =>  This Inner Loop Header: Depth=2
	v_mov_b32_e32 v7, s5
	ds_read_b32 v6, v5
	ds_read_b32 v7, v7
	s_add_i32 s12, s12, -1
	s_add_i32 s5, s5, 4
	v_add_u32_e32 v5, 0x70, v5
	s_cmp_eq_u32 s12, 0
	s_waitcnt lgkmcnt(0)
	v_fma_f32 v4, -v6, v7, v4
	s_cbranch_scc0 .LBB35_87
	s_branch .LBB35_85
.LBB35_88:
	s_and_saveexec_b64 s[4:5], s[0:1]
	s_cbranch_execz .LBB35_97
; %bb.89:
	s_cmp_lt_i32 s16, 1
	s_cbranch_scc1 .LBB35_97
; %bb.90:
	s_cmp_eq_u32 s16, 1
	s_cselect_b64 s[0:1], -1, 0
	s_cmp_lg_u32 s6, 1
	s_cselect_b64 s[4:5], -1, 0
	s_or_b64 s[0:1], s[0:1], s[4:5]
	v_mov_b32_e32 v3, 0
	s_and_b64 vcc, exec, s[0:1]
	v_lshlrev_b32_e32 v2, 2, v0
	s_cbranch_vccnz .LBB35_94
; %bb.91:
	v_lshl_add_u64 v[4:5], s[2:3], 0, v[2:3]
	v_mov_b32_e32 v1, 0xc40
	s_and_b32 s2, s16, 0x7ffffffe
	v_lshl_add_u32 v1, v0, 2, v1
	s_mov_b32 s0, 1
	s_mov_b32 s1, 0
	;; [unrolled: 1-line block ×3, first 2 shown]
.LBB35_92:                              ; =>This Inner Loop Header: Depth=1
	s_mul_i32 s5, s1, 0x70
	s_mul_i32 s4, s0, 0x70
	v_add_u32_e32 v3, s5, v1
	v_add_u32_e32 v6, s4, v1
	ds_read_b32 v8, v3
	ds_read_b32 v9, v6
	s_add_i32 s1, s1, 2
	s_add_i32 s0, s0, 2
	s_add_i32 s3, s3, -2
	s_cmp_lg_u32 s3, 0
	s_waitcnt lgkmcnt(0)
	flat_store_dwordx2 v[4:5], v[8:9]
	v_lshl_add_u64 v[4:5], v[4:5], 0, 8
	s_cbranch_scc1 .LBB35_92
; %bb.93:
	s_cmp_lg_u32 s16, s2
	s_cselect_b64 s[0:1], -1, 0
	s_and_b64 vcc, exec, s[0:1]
	s_cbranch_vccnz .LBB35_95
	s_branch .LBB35_97
.LBB35_94:
	s_mov_b32 s2, 0
	s_cbranch_execz .LBB35_97
.LBB35_95:
	s_mul_hi_i32 s1, s6, s2
	s_mul_i32 s0, s6, s2
	s_ashr_i32 s7, s6, 31
	s_sub_i32 s3, s16, s2
	s_lshl_b64 s[0:1], s[0:1], 2
	s_add_u32 s0, s0, s22
	s_addc_u32 s1, s1, s21
	s_add_u32 s0, s0, s10
	s_addc_u32 s1, s1, s11
	s_add_u32 s0, s8, s0
	s_mulk_i32 s2, 0x70
	v_mov_b32_e32 v3, 0
	s_addc_u32 s1, s9, s1
	v_lshl_add_u32 v0, v0, 2, s2
	v_lshl_add_u64 v[2:3], s[0:1], 0, v[2:3]
	s_lshl_b64 s[0:1], s[6:7], 2
	v_add_u32_e32 v0, 0xc40, v0
.LBB35_96:                              ; =>This Inner Loop Header: Depth=1
	ds_read_b32 v1, v0
	s_add_i32 s3, s3, -1
	v_add_u32_e32 v0, 0x70, v0
	s_cmp_lg_u32 s3, 0
	s_waitcnt lgkmcnt(0)
	flat_store_dword v[2:3], v1
	v_lshl_add_u64 v[2:3], v[2:3], 0, s[0:1]
	s_cbranch_scc1 .LBB35_96
.LBB35_97:
	s_endpgm
	.section	.rodata,"a",@progbits
	.p2align	6, 0x0
	.amdhsa_kernel _ZL31rocblas_trsm_small_right_deviceIffPKPKfPKPfLi28EEv13rocblas_fill_18rocblas_operation_17rocblas_diagonal_iiT0_T1_lilT2_lili
		.amdhsa_group_segment_fixed_size 6272
		.amdhsa_private_segment_fixed_size 0
		.amdhsa_kernarg_size 352
		.amdhsa_user_sgpr_count 2
		.amdhsa_user_sgpr_dispatch_ptr 0
		.amdhsa_user_sgpr_queue_ptr 0
		.amdhsa_user_sgpr_kernarg_segment_ptr 1
		.amdhsa_user_sgpr_dispatch_id 0
		.amdhsa_user_sgpr_kernarg_preload_length 0
		.amdhsa_user_sgpr_kernarg_preload_offset 0
		.amdhsa_user_sgpr_private_segment_size 0
		.amdhsa_uses_dynamic_stack 0
		.amdhsa_enable_private_segment 0
		.amdhsa_system_sgpr_workgroup_id_x 1
		.amdhsa_system_sgpr_workgroup_id_y 0
		.amdhsa_system_sgpr_workgroup_id_z 1
		.amdhsa_system_sgpr_workgroup_info 0
		.amdhsa_system_vgpr_workitem_id 0
		.amdhsa_next_free_vgpr 65
		.amdhsa_next_free_sgpr 75
		.amdhsa_accum_offset 24
		.amdhsa_reserve_vcc 1
		.amdhsa_float_round_mode_32 0
		.amdhsa_float_round_mode_16_64 0
		.amdhsa_float_denorm_mode_32 3
		.amdhsa_float_denorm_mode_16_64 3
		.amdhsa_dx10_clamp 1
		.amdhsa_ieee_mode 1
		.amdhsa_fp16_overflow 0
		.amdhsa_tg_split 0
		.amdhsa_exception_fp_ieee_invalid_op 0
		.amdhsa_exception_fp_denorm_src 0
		.amdhsa_exception_fp_ieee_div_zero 0
		.amdhsa_exception_fp_ieee_overflow 0
		.amdhsa_exception_fp_ieee_underflow 0
		.amdhsa_exception_fp_ieee_inexact 0
		.amdhsa_exception_int_div_zero 0
	.end_amdhsa_kernel
	.section	.text._ZL31rocblas_trsm_small_right_deviceIffPKPKfPKPfLi28EEv13rocblas_fill_18rocblas_operation_17rocblas_diagonal_iiT0_T1_lilT2_lili,"axG",@progbits,_ZL31rocblas_trsm_small_right_deviceIffPKPKfPKPfLi28EEv13rocblas_fill_18rocblas_operation_17rocblas_diagonal_iiT0_T1_lilT2_lili,comdat
.Lfunc_end35:
	.size	_ZL31rocblas_trsm_small_right_deviceIffPKPKfPKPfLi28EEv13rocblas_fill_18rocblas_operation_17rocblas_diagonal_iiT0_T1_lilT2_lili, .Lfunc_end35-_ZL31rocblas_trsm_small_right_deviceIffPKPKfPKPfLi28EEv13rocblas_fill_18rocblas_operation_17rocblas_diagonal_iiT0_T1_lilT2_lili
                                        ; -- End function
	.set _ZL31rocblas_trsm_small_right_deviceIffPKPKfPKPfLi28EEv13rocblas_fill_18rocblas_operation_17rocblas_diagonal_iiT0_T1_lilT2_lili.num_vgpr, 23
	.set _ZL31rocblas_trsm_small_right_deviceIffPKPKfPKPfLi28EEv13rocblas_fill_18rocblas_operation_17rocblas_diagonal_iiT0_T1_lilT2_lili.num_agpr, 0
	.set _ZL31rocblas_trsm_small_right_deviceIffPKPKfPKPfLi28EEv13rocblas_fill_18rocblas_operation_17rocblas_diagonal_iiT0_T1_lilT2_lili.numbered_sgpr, 30
	.set _ZL31rocblas_trsm_small_right_deviceIffPKPKfPKPfLi28EEv13rocblas_fill_18rocblas_operation_17rocblas_diagonal_iiT0_T1_lilT2_lili.num_named_barrier, 0
	.set _ZL31rocblas_trsm_small_right_deviceIffPKPKfPKPfLi28EEv13rocblas_fill_18rocblas_operation_17rocblas_diagonal_iiT0_T1_lilT2_lili.private_seg_size, 0
	.set _ZL31rocblas_trsm_small_right_deviceIffPKPKfPKPfLi28EEv13rocblas_fill_18rocblas_operation_17rocblas_diagonal_iiT0_T1_lilT2_lili.uses_vcc, 1
	.set _ZL31rocblas_trsm_small_right_deviceIffPKPKfPKPfLi28EEv13rocblas_fill_18rocblas_operation_17rocblas_diagonal_iiT0_T1_lilT2_lili.uses_flat_scratch, 0
	.set _ZL31rocblas_trsm_small_right_deviceIffPKPKfPKPfLi28EEv13rocblas_fill_18rocblas_operation_17rocblas_diagonal_iiT0_T1_lilT2_lili.has_dyn_sized_stack, 0
	.set _ZL31rocblas_trsm_small_right_deviceIffPKPKfPKPfLi28EEv13rocblas_fill_18rocblas_operation_17rocblas_diagonal_iiT0_T1_lilT2_lili.has_recursion, 0
	.set _ZL31rocblas_trsm_small_right_deviceIffPKPKfPKPfLi28EEv13rocblas_fill_18rocblas_operation_17rocblas_diagonal_iiT0_T1_lilT2_lili.has_indirect_call, 0
	.section	.AMDGPU.csdata,"",@progbits
; Kernel info:
; codeLenInByte = 6200
; TotalNumSgprs: 36
; NumVgprs: 23
; NumAgprs: 0
; TotalNumVgprs: 23
; ScratchSize: 0
; MemoryBound: 0
; FloatMode: 240
; IeeeMode: 1
; LDSByteSize: 6272 bytes/workgroup (compile time only)
; SGPRBlocks: 10
; VGPRBlocks: 8
; NumSGPRsForWavesPerEU: 81
; NumVGPRsForWavesPerEU: 65
; AccumOffset: 24
; Occupancy: 7
; WaveLimiterHint : 0
; COMPUTE_PGM_RSRC2:SCRATCH_EN: 0
; COMPUTE_PGM_RSRC2:USER_SGPR: 2
; COMPUTE_PGM_RSRC2:TRAP_HANDLER: 0
; COMPUTE_PGM_RSRC2:TGID_X_EN: 1
; COMPUTE_PGM_RSRC2:TGID_Y_EN: 0
; COMPUTE_PGM_RSRC2:TGID_Z_EN: 1
; COMPUTE_PGM_RSRC2:TIDIG_COMP_CNT: 0
; COMPUTE_PGM_RSRC3_GFX90A:ACCUM_OFFSET: 5
; COMPUTE_PGM_RSRC3_GFX90A:TG_SPLIT: 0
	.section	.text._ZL38rocblas_trsm_small_left_device_sharedBILi32ELi32ELb0EffPKPKfPKPfEv13rocblas_fill_18rocblas_operation_17rocblas_diagonal_iiT3_T4_lilT5_lili,"axG",@progbits,_ZL38rocblas_trsm_small_left_device_sharedBILi32ELi32ELb0EffPKPKfPKPfEv13rocblas_fill_18rocblas_operation_17rocblas_diagonal_iiT3_T4_lilT5_lili,comdat
	.globl	_ZL38rocblas_trsm_small_left_device_sharedBILi32ELi32ELb0EffPKPKfPKPfEv13rocblas_fill_18rocblas_operation_17rocblas_diagonal_iiT3_T4_lilT5_lili ; -- Begin function _ZL38rocblas_trsm_small_left_device_sharedBILi32ELi32ELb0EffPKPKfPKPfEv13rocblas_fill_18rocblas_operation_17rocblas_diagonal_iiT3_T4_lilT5_lili
	.p2align	8
	.type	_ZL38rocblas_trsm_small_left_device_sharedBILi32ELi32ELb0EffPKPKfPKPfEv13rocblas_fill_18rocblas_operation_17rocblas_diagonal_iiT3_T4_lilT5_lili,@function
_ZL38rocblas_trsm_small_left_device_sharedBILi32ELi32ELb0EffPKPKfPKPfEv13rocblas_fill_18rocblas_operation_17rocblas_diagonal_iiT3_T4_lilT5_lili: ; @_ZL38rocblas_trsm_small_left_device_sharedBILi32ELi32ELb0EffPKPKfPKPfEv13rocblas_fill_18rocblas_operation_17rocblas_diagonal_iiT3_T4_lilT5_lili
; %bb.0:
	s_load_dwordx4 s[8:11], s[0:1], 0x38
	s_load_dwordx4 s[4:7], s[0:1], 0x4
	s_load_dword s16, s[0:1], 0x14
	s_mov_b32 s20, s3
	s_mov_b32 s21, 0
	s_lshl_b64 s[24:25], s[20:21], 3
	s_waitcnt lgkmcnt(0)
	s_add_u32 s8, s8, s24
	s_addc_u32 s9, s9, s25
	s_load_dwordx2 s[8:9], s[8:9], 0x0
	s_min_i32 s26, s6, 32
	v_cmp_gt_i32_e32 vcc, s26, v0
	s_and_saveexec_b64 s[18:19], vcc
	s_cbranch_execz .LBB36_11
; %bb.1:
	s_load_dwordx4 s[12:15], s[0:1], 0x18
	s_load_dword s22, s[0:1], 0x28
	v_lshlrev_b32_e32 v2, 2, v0
	v_mov_b32_e32 v3, 0
	s_mov_b32 s3, 1
	s_waitcnt lgkmcnt(0)
	s_add_u32 s12, s12, s24
	s_addc_u32 s13, s13, s25
	s_load_dwordx2 s[12:13], s[12:13], 0x0
	s_cmp_lt_u32 s26, 2
	s_cselect_b64 s[28:29], -1, 0
	s_cmp_lg_u32 s22, 1
	s_cselect_b64 s[30:31], -1, 0
	s_or_b64 s[28:29], s[28:29], s[30:31]
	s_mov_b64 s[24:25], -1
	s_and_b64 vcc, exec, s[28:29]
	s_cbranch_vccnz .LBB36_5
; %bb.2:
	s_lshl_b64 s[20:21], s[14:15], 2
	s_waitcnt lgkmcnt(0)
	s_add_u32 s20, s12, s20
	s_addc_u32 s21, s13, s21
	v_lshl_add_u64 v[4:5], s[20:21], 0, v[2:3]
	s_and_b32 s21, s26, -2
	s_mov_b32 s17, 0
	s_mov_b32 s20, s21
.LBB36_3:                               ; =>This Inner Loop Header: Depth=1
	flat_load_dwordx2 v[6:7], v[4:5]
	v_lshl_or_b32 v1, s17, 7, v2
	v_lshl_or_b32 v3, s3, 7, v2
	s_add_i32 s17, s17, 2
	s_add_i32 s3, s3, 2
	s_add_i32 s20, s20, -2
	v_lshl_add_u64 v[4:5], v[4:5], 0, 8
	s_cmp_lg_u32 s20, 0
	s_waitcnt vmcnt(0) lgkmcnt(0)
	ds_write_b32 v1, v6
	ds_write_b32 v3, v7
	s_cbranch_scc1 .LBB36_3
; %bb.4:
	s_cmp_lg_u32 s26, s21
	s_cselect_b64 s[24:25], -1, 0
.LBB36_5:
	s_and_b64 vcc, exec, s[24:25]
	s_cbranch_vccz .LBB36_8
; %bb.6:
	s_ashr_i32 s23, s22, 31
	s_mul_hi_u32 s3, s22, s21
	s_mul_i32 s17, s23, s21
	s_add_i32 s25, s3, s17
	s_mul_i32 s24, s22, s21
	s_lshl_b64 s[24:25], s[24:25], 2
	s_lshl_b64 s[14:15], s[14:15], 2
	s_add_u32 s3, s24, s14
	s_addc_u32 s14, s25, s15
	s_waitcnt lgkmcnt(0)
	s_add_u32 s12, s12, s3
	v_mov_b32_e32 v3, 0
	s_addc_u32 s13, s13, s14
	v_lshl_add_u64 v[4:5], s[12:13], 0, v[2:3]
	s_lshl_b64 s[12:13], s[22:23], 2
	s_sub_i32 s3, s26, s21
	v_lshl_or_b32 v1, s21, 7, v2
.LBB36_7:                               ; =>This Inner Loop Header: Depth=1
	flat_load_dword v3, v[4:5]
	s_add_i32 s3, s3, -1
	v_lshl_add_u64 v[4:5], v[4:5], 0, s[12:13]
	s_cmp_eq_u32 s3, 0
	s_waitcnt vmcnt(0) lgkmcnt(0)
	ds_write_b32 v1, v3
	v_add_u32_e32 v1, 0x80, v1
	s_cbranch_scc0 .LBB36_7
.LBB36_8:
	v_lshlrev_b32_e32 v1, 7, v0
	s_cmpk_lg_i32 s5, 0x84
	v_mov_b32_e32 v3, 1.0
	v_add_u32_e32 v1, v2, v1
	s_cbranch_scc0 .LBB36_10
; %bb.9:
	ds_read_b32 v2, v1
	s_waitcnt lgkmcnt(0)
	v_div_scale_f32 v3, s[12:13], v2, v2, 1.0
	v_rcp_f32_e32 v4, v3
	v_div_scale_f32 v5, vcc, 1.0, v2, 1.0
	v_fma_f32 v6, -v3, v4, 1.0
	v_fmac_f32_e32 v4, v6, v4
	v_mul_f32_e32 v6, v5, v4
	v_fma_f32 v7, -v3, v6, v5
	v_fmac_f32_e32 v6, v7, v4
	v_fma_f32 v3, -v3, v6, v5
	v_div_fmas_f32 v3, v3, v4, v6
	v_div_fixup_f32 v3, v3, v2, 1.0
.LBB36_10:
	ds_write_b32 v1, v3
.LBB36_11:
	s_or_b64 exec, exec, s[18:19]
	s_load_dword s3, s[0:1], 0x60
	s_load_dword s22, s[0:1], 0x48
	s_lshl_b64 s[10:11], s[10:11], 2
	s_waitcnt lgkmcnt(0)
	s_ashr_i32 s23, s22, 31
	s_add_u32 s5, s8, s10
	s_addc_u32 s14, s9, s11
	s_lshl_b32 s12, s2, 5
	s_add_i32 s3, s3, -1
	s_sub_i32 s0, s7, s12
	s_cmp_ge_u32 s2, s3
	s_cselect_b32 s7, s0, 32
	s_mul_hi_i32 s1, s22, s12
	s_mul_i32 s0, s22, s12
	s_ashr_i32 s13, s12, 31
	s_lshl_b64 s[0:1], s[0:1], 2
	s_add_u32 s2, s5, s0
	s_addc_u32 s3, s14, s1
	s_cmp_gt_i32 s6, 0
	v_cmp_gt_i32_e64 s[0:1], s7, v0
	s_cselect_b64 s[14:15], -1, 0
	s_mov_b32 s5, 0
	s_and_b64 s[20:21], s[0:1], s[14:15]
	s_and_saveexec_b64 s[18:19], s[20:21]
	s_cbranch_execz .LBB36_19
; %bb.12:
	s_cmp_lt_i32 s6, 2
	s_mov_b64 s[20:21], -1
	s_cbranch_scc1 .LBB36_16
; %bb.13:
	v_mad_i64_i32 v[2:3], s[20:21], s22, v0, 0
	v_mov_b32_e32 v1, 0x1000
	s_and_b32 s5, s26, 62
	v_lshl_add_u64 v[2:3], v[2:3], 2, s[2:3]
	v_lshl_or_b32 v1, v0, 2, v1
	s_mov_b32 s17, s16
	s_mov_b32 s7, 1
	;; [unrolled: 1-line block ×4, first 2 shown]
.LBB36_14:                              ; =>This Inner Loop Header: Depth=1
	flat_load_dwordx2 v[4:5], v[2:3]
	v_lshl_add_u32 v6, s20, 7, v1
	v_lshl_add_u32 v7, s7, 7, v1
	s_add_i32 s20, s20, 2
	s_add_i32 s7, s7, 2
	s_add_i32 s21, s21, -2
	v_lshl_add_u64 v[2:3], v[2:3], 0, 8
	s_cmp_lg_u32 s21, 0
	s_waitcnt vmcnt(0) lgkmcnt(0)
	v_pk_mul_f32 v[4:5], s[16:17], v[4:5]
	ds_write_b32 v6, v4
	ds_write_b32 v7, v5
	s_cbranch_scc1 .LBB36_14
; %bb.15:
	s_cmp_lg_u32 s26, s5
	s_cselect_b64 s[20:21], -1, 0
.LBB36_16:
	s_and_b64 vcc, exec, s[20:21]
	s_cbranch_vccz .LBB36_19
; %bb.17:
	s_sub_i32 s7, s26, s5
	s_lshl_b32 s17, s5, 2
	s_add_u32 s17, s8, s17
	s_addc_u32 s21, s9, 0
	s_add_u32 s20, s17, s10
	v_lshlrev_b32_e32 v4, 2, v0
	v_mov_b32_e32 v5, 0
	s_addc_u32 s21, s21, s11
	v_lshl_add_u64 v[6:7], s[12:13], 2, v[4:5]
	v_mov_b64_e32 v[2:3], s[20:21]
	v_mad_u64_u32 v[2:3], s[20:21], v6, s22, v[2:3]
	v_mul_lo_u32 v1, v6, s23
	v_mul_lo_u32 v5, v7, s22
	v_add3_u32 v3, v5, v3, v1
	v_lshl_or_b32 v1, s5, 7, v4
	v_add_u32_e32 v1, 0x1000, v1
.LBB36_18:                              ; =>This Inner Loop Header: Depth=1
	flat_load_dword v4, v[2:3]
	s_add_i32 s7, s7, -1
	v_lshl_add_u64 v[2:3], v[2:3], 0, 4
	s_cmp_lg_u32 s7, 0
	s_waitcnt vmcnt(0) lgkmcnt(0)
	v_mul_f32_e32 v4, s16, v4
	ds_write_b32 v1, v4
	v_add_u32_e32 v1, 0x80, v1
	s_cbranch_scc1 .LBB36_18
.LBB36_19:
	s_or_b64 exec, exec, s[18:19]
	v_mov_b32_e32 v1, 0x1000
	s_cmpk_eq_i32 s4, 0x6f
	v_lshl_or_b32 v1, v0, 2, v1
	s_mov_b64 s[4:5], -1
	s_waitcnt lgkmcnt(0)
	; wave barrier
	s_cbranch_scc1 .LBB36_42
; %bb.20:
	s_cmp_gt_i32 s6, 31
	s_cselect_b64 s[4:5], -1, 0
	s_mov_b32 s7, 0
	s_and_b64 vcc, exec, s[4:5]
	s_cbranch_vccz .LBB36_30
; %bb.21:
	v_add_u32_e32 v16, 0x400, v1
	v_add_u32_e32 v24, 0x800, v1
	;; [unrolled: 1-line block ×3, first 2 shown]
	ds_read2_b32 v[2:3], v1 offset1:32
	ds_read2_b32 v[4:5], v1 offset0:64 offset1:96
	ds_read2_b32 v[6:7], v1 offset0:128 offset1:160
	ds_read2_b32 v[8:9], v1 offset0:192 offset1:224
	ds_read2_b32 v[10:11], v16 offset1:32
	ds_read2_b32 v[12:13], v16 offset0:64 offset1:96
	ds_read2_b32 v[14:15], v16 offset0:128 offset1:160
	ds_read2_b32 v[16:17], v16 offset0:192 offset1:224
	;; [unrolled: 4-line block ×4, first 2 shown]
	s_mov_b64 s[16:17], 0
.LBB36_22:                              ; =>This Loop Header: Depth=1
                                        ;     Child Loop BB36_24 Depth 2
                                        ;     Child Loop BB36_27 Depth 2
	s_cmp_eq_u32 s16, 0
	s_cbranch_scc1 .LBB36_25
; %bb.23:                               ;   in Loop: Header=BB36_22 Depth=1
	s_mov_b64 s[18:19], s[16:17]
	s_lshl_b32 s24, s16, 7
	s_mov_b64 s[20:21], 0
	s_mov_b32 s19, s7
.LBB36_24:                              ;   Parent Loop BB36_22 Depth=1
                                        ; =>  This Inner Loop Header: Depth=2
	v_mov_b32_e32 v35, s19
	s_waitcnt lgkmcnt(0)
	s_set_gpr_idx_on s20, gpr_idx(SRC0)
	v_mov_b32_e32 v34, v2
	s_set_gpr_idx_off
	ds_read_b32 v35, v35
	s_add_u32 s20, s20, 1
	s_addc_u32 s21, s21, 0
	s_add_i32 s19, s19, 4
	s_set_gpr_idx_on s16, gpr_idx(SRC0)
	v_mov_b32_e32 v36, v2
	s_set_gpr_idx_off
	s_cmp_eq_u32 s16, s20
	s_waitcnt lgkmcnt(0)
	v_fma_f32 v34, -v34, v35, v36
	s_set_gpr_idx_on s16, gpr_idx(DST)
	v_mov_b32_e32 v2, v34
	s_set_gpr_idx_off
	s_cbranch_scc0 .LBB36_24
	s_branch .LBB36_26
.LBB36_25:                              ;   in Loop: Header=BB36_22 Depth=1
	s_mov_b64 s[18:19], 0
	s_mov_b32 s24, 0
.LBB36_26:                              ;   in Loop: Header=BB36_22 Depth=1
	s_mul_i32 s21, s16, 0x84
	v_mov_b32_e32 v34, s21
	ds_read_b32 v34, v34
	s_waitcnt lgkmcnt(1)
	s_set_gpr_idx_on s18, gpr_idx(SRC0)
	v_mov_b32_e32 v36, v2
	s_set_gpr_idx_off
	v_add_u32_e32 v35, s24, v1
	s_or_b32 s20, s16, 1
	s_add_u32 s24, s16, 1
	s_waitcnt lgkmcnt(0)
	v_mul_f32_e32 v34, v36, v34
	ds_write_b32 v35, v34
	s_set_gpr_idx_on s18, gpr_idx(DST)
	v_mov_b32_e32 v2, v34
	s_set_gpr_idx_off
	s_mov_b64 s[18:19], 0
	s_movk_i32 s25, 0x80
.LBB36_27:                              ;   Parent Loop BB36_22 Depth=1
                                        ; =>  This Inner Loop Header: Depth=2
	s_add_i32 s27, s7, s25
	v_mov_b32_e32 v35, s27
	s_set_gpr_idx_on s18, gpr_idx(SRC0)
	v_mov_b32_e32 v34, v2
	s_set_gpr_idx_off
	ds_read_b32 v35, v35
	s_add_u32 s18, s18, 1
	s_set_gpr_idx_on s20, gpr_idx(SRC0)
	v_mov_b32_e32 v36, v2
	s_set_gpr_idx_off
	s_addc_u32 s19, s19, 0
	s_add_i32 s25, s25, 4
	s_cmp_lg_u32 s24, s18
	s_waitcnt lgkmcnt(0)
	v_fma_f32 v34, -v34, v35, v36
	s_set_gpr_idx_on s20, gpr_idx(DST)
	v_mov_b32_e32 v2, v34
	s_set_gpr_idx_off
	s_cbranch_scc1 .LBB36_27
; %bb.28:                               ;   in Loop: Header=BB36_22 Depth=1
	v_mov_b32_e32 v35, s21
	ds_read_b32 v35, v35 offset:132
	s_add_u32 s16, s16, 2
	s_addc_u32 s17, s17, 0
	s_addk_i32 s7, 0x100
	v_lshl_add_u32 v36, s20, 7, v1
	s_waitcnt lgkmcnt(0)
	v_mul_f32_e32 v34, v34, v35
	s_cmp_eq_u32 s16, 32
	s_set_gpr_idx_on s20, gpr_idx(DST)
	v_mov_b32_e32 v2, v34
	s_set_gpr_idx_off
	ds_write_b32 v36, v34
	s_cbranch_scc0 .LBB36_22
; %bb.29:
	s_mov_b32 s7, 32
.LBB36_30:
	s_cmp_lt_i32 s7, s26
	s_cbranch_scc0 .LBB36_41
; %bb.31:
	s_or_b32 s17, s7, 27
	s_cmp_ge_u32 s17, s26
	s_cbranch_scc1 .LBB36_36
; %bb.32:
	s_lshl_b32 s16, s7, 7
	v_add_u32_e32 v20, s16, v1
	v_add_u32_e32 v2, 0x400, v20
	ds_read2_b32 v[14:15], v20 offset1:32
	ds_read2_b32 v[24:25], v20 offset0:64 offset1:96
	ds_read2_b32 v[26:27], v20 offset0:128 offset1:160
	ds_read2_b32 v[52:53], v20 offset0:192 offset1:224
	ds_read2_b32 v[8:9], v2 offset1:32
	ds_read2_b32 v[6:7], v2 offset0:64 offset1:96
	ds_read2_b32 v[28:29], v2 offset0:128 offset1:160
	;; [unrolled: 1-line block ×3, first 2 shown]
	v_add_u32_e32 v2, 0x800, v20
	ds_read2_b32 v[54:55], v2 offset1:32
	ds_read2_b32 v[48:49], v2 offset0:64 offset1:96
	ds_read2_b32 v[46:47], v2 offset0:128 offset1:160
	;; [unrolled: 1-line block ×3, first 2 shown]
	v_add_u32_e32 v2, 0xc00, v20
	s_lshl_b32 s17, s17, 7
	ds_read2_b32 v[42:43], v2 offset1:32
	v_add_u32_e32 v86, s17, v1
	ds_read_b32 v40, v20 offset:3328
	ds_read_b32 v41, v86
	s_andn2_b64 vcc, exec, s[4:5]
	s_cbranch_vccnz .LBB36_35
; %bb.33:
	v_mov_b32_e32 v2, 0x1000
	v_lshl_or_b32 v4, v0, 2, v2
	s_mov_b32 s4, s7
	s_mov_b32 s5, s16
.LBB36_34:                              ; =>This Inner Loop Header: Depth=1
	v_mov_b32_e32 v5, s5
	ds_read2_b32 v[2:3], v4 offset1:32
	ds_read2_b64 v[10:13], v5 offset1:16
	ds_read2_b64 v[16:19], v5 offset0:32 offset1:48
	ds_read2_b64 v[32:35], v5 offset0:64 offset1:80
	;; [unrolled: 1-line block ×7, first 2 shown]
	v_add_u32_e32 v5, 0x800, v5
	ds_read2_b64 v[72:75], v5 offset1:16
	ds_read2_b64 v[76:79], v5 offset0:32 offset1:48
	ds_read2_b64 v[80:83], v5 offset0:64 offset1:80
	;; [unrolled: 1-line block ×5, first 2 shown]
	s_waitcnt lgkmcnt(13)
	v_mov_b32_e32 v50, v10
	v_mov_b32_e32 v51, v12
	s_waitcnt lgkmcnt(12)
	v_mov_b32_e32 v84, v16
	v_mov_b32_e32 v85, v18
	;; [unrolled: 3-line block ×3, first 2 shown]
	v_mov_b32_e32 v100, v32
	v_mov_b32_e32 v101, v34
	s_waitcnt lgkmcnt(9)
	v_mov_b32_e32 v104, v56
	v_mov_b32_e32 v105, v58
	s_waitcnt lgkmcnt(8)
	;; [unrolled: 3-line block ×4, first 2 shown]
	v_mov_b32_e32 v110, v68
	v_mov_b32_e32 v111, v70
	;; [unrolled: 1-line block ×7, first 2 shown]
	v_pk_fma_f32 v[10:11], v[2:3], v[50:51], v[14:15] op_sel_hi:[0,1,1] neg_lo:[1,0,0] neg_hi:[1,0,0]
	v_pk_fma_f32 v[16:17], v[2:3], v[84:85], v[24:25] op_sel_hi:[0,1,1] neg_lo:[1,0,0] neg_hi:[1,0,0]
	;; [unrolled: 1-line block ×3, first 2 shown]
	s_waitcnt lgkmcnt(5)
	v_mov_b32_e32 v14, v72
	v_mov_b32_e32 v15, v74
	s_waitcnt lgkmcnt(4)
	v_mov_b32_e32 v24, v76
	v_mov_b32_e32 v25, v78
	;; [unrolled: 3-line block ×6, first 2 shown]
	s_add_i32 s5, s5, 8
	s_add_i32 s4, s4, -2
	v_mov_b32_e32 v22, v3
	v_mov_b32_e32 v62, v61
	;; [unrolled: 1-line block ×4, first 2 shown]
	v_pk_fma_f32 v[26:27], v[2:3], v[100:101], v[26:27] op_sel_hi:[0,1,1] neg_lo:[1,0,0] neg_hi:[1,0,0]
	v_pk_fma_f32 v[8:9], v[2:3], v[104:105], v[8:9] op_sel_hi:[0,1,1] neg_lo:[1,0,0] neg_hi:[1,0,0]
	;; [unrolled: 1-line block ×5, first 2 shown]
	v_mov_b32_e32 v74, v73
	v_mov_b32_e32 v78, v77
	;; [unrolled: 1-line block ×6, first 2 shown]
	v_pk_fma_f32 v[54:55], v[2:3], v[14:15], v[54:55] op_sel_hi:[0,1,1] neg_lo:[1,0,0] neg_hi:[1,0,0]
	v_pk_fma_f32 v[48:49], v[2:3], v[24:25], v[48:49] op_sel_hi:[0,1,1] neg_lo:[1,0,0] neg_hi:[1,0,0]
	;; [unrolled: 1-line block ×6, first 2 shown]
	v_add_u32_e32 v4, 0x100, v4
	s_cmp_lg_u32 s4, 0
	v_pk_fma_f32 v[14:15], v[22:23], v[12:13], v[10:11] op_sel_hi:[0,1,1] neg_lo:[1,0,0] neg_hi:[1,0,0]
	v_pk_fma_f32 v[24:25], v[22:23], v[18:19], v[16:17] op_sel_hi:[0,1,1] neg_lo:[1,0,0] neg_hi:[1,0,0]
	;; [unrolled: 1-line block ×14, first 2 shown]
	s_cbranch_scc1 .LBB36_34
.LBB36_35:
	s_lshl_b32 s4, s7, 2
	s_add_i32 s5, s4, s16
	v_mov_b32_e32 v87, s5
	s_or_b32 s5, s16, 0x80
	s_add_i32 s18, s4, s5
	v_add_u32_e32 v35, s5, v1
	s_or_b32 s5, s16, 0x100
	v_mov_b32_e32 v2, s18
	s_add_i32 s18, s4, s5
	v_add_u32_e32 v109, s5, v1
	s_or_b32 s5, s16, 0x180
	v_mov_b32_e32 v3, s18
	s_add_i32 s18, s4, s5
	ds_read2_b32 v[38:39], v87 offset1:132
	ds_read_b64 v[84:85], v2
	ds_read_b96 v[56:58], v3
	v_mov_b32_e32 v2, s18
	s_or_b32 s18, s16, 0x280
	s_add_i32 s19, s4, s18
	v_add_u32_e32 v110, s5, v1
	s_or_b32 s5, s16, 0x200
	ds_read_b128 v[16:19], v2
	v_mov_b32_e32 v2, s19
	s_add_i32 s19, s4, s5
	v_add_u32_e32 v116, s5, v1
	s_or_b32 s5, s16, 0x300
	s_add_i32 s20, s4, s5
	v_mov_b32_e32 v3, s20
	s_or_b32 s20, s16, 0x380
	s_add_i32 s21, s4, s20
	ds_read_b96 v[60:62], v2
	v_mov_b32_e32 v4, s21
	ds_read_b96 v[32:34], v3 offset:16
	ds_read_b96 v[66:68], v4
	v_add_u32_e32 v118, s5, v1
	s_or_b32 s5, s16, 0x400
	v_add_u32_e32 v117, s18, v1
	s_add_i32 s18, s4, s5
	ds_read2_b32 v[64:65], v87 offset0:165 offset1:231
	ds_read_b128 v[74:77], v3
	ds_read2_b32 v[72:73], v2 offset0:3 offset1:4
	v_mov_b32_e32 v3, s18
	s_or_b32 s18, s16, 0x480
	v_mov_b32_e32 v2, s19
	s_add_i32 s19, s4, s18
	v_add_u32_e32 v120, s5, v1
	s_or_b32 s5, s16, 0x500
	s_waitcnt lgkmcnt(3)
	v_mov_b32_e32 v103, v68
	ds_read2_b32 v[70:71], v4 offset0:3 offset1:4
	ds_read2_b32 v[68:69], v4 offset0:5 offset1:6
	v_mov_b32_e32 v111, s19
	ds_read_b128 v[10:13], v3 offset:16
	ds_read_b96 v[88:90], v111
	ds_read_b128 v[78:81], v2
	ds_read_b128 v[2:5], v3
	v_add_u32_e32 v93, s18, v1
	s_add_i32 s18, s4, s5
	v_mul_f32_e32 v50, v14, v38
	ds_write_b32 v20, v50
	v_mov_b32_e32 v20, s18
	s_or_b32 s18, s16, 0x580
	v_mov_b32_e32 v99, v18
	v_add_u32_e32 v18, 0x400, v87
	s_add_i32 s19, s4, s18
	v_mov_b32_e32 v98, v17
	v_mov_b32_e32 v100, v61
	;; [unrolled: 1-line block ×3, first 2 shown]
	ds_read2_b32 v[82:83], v18 offset0:8 offset1:41
	v_fma_f32 v51, -v50, v84, v15
	v_fma_f32 v59, -v50, v16, v25
	;; [unrolled: 1-line block ×3, first 2 shown]
	v_mov_b32_e32 v112, s19
	ds_read_b96 v[36:38], v20 offset:32
	ds_read_b96 v[60:62], v112
	ds_read_b128 v[14:17], v20
	ds_read_b128 v[20:23], v20 offset:16
	v_mul_f32_e32 v51, v51, v85
	s_waitcnt lgkmcnt(6)
	v_pk_mul_f32 v[2:3], v[50:51], v[2:3]
	v_fma_f32 v92, -v50, v88, v9
	v_sub_f32_e32 v2, v8, v2
	v_add_u32_e32 v88, s5, v1
	v_sub_f32_e32 v113, v2, v3
	s_waitcnt lgkmcnt(1)
	v_pk_mul_f32 v[2:3], v[50:51], v[14:15]
	s_or_b32 s5, s16, 0x600
	v_mov_b32_e32 v104, v89
	v_pk_mul_f32 v[56:57], v[50:51], v[56:57]
	v_sub_f32_e32 v2, v6, v2
	v_add_u32_e32 v89, s18, v1
	s_add_i32 s18, s4, s5
	v_fma_f32 v106, -v50, v60, v7
	v_sub_f32_e32 v7, v24, v56
	v_pk_mul_f32 v[24:25], v[50:51], v[78:79]
	v_sub_f32_e32 v114, v2, v3
	v_mov_b32_e32 v2, s18
	s_or_b32 s18, s16, 0x680
	v_sub_f32_e32 v9, v26, v24
	v_pk_mul_f32 v[26:27], v[50:51], v[74:75]
	s_add_i32 s19, s4, s18
	v_sub_f32_e32 v24, v52, v26
	ds_write_b32 v35, v51
	v_mov_b32_e32 v115, s19
	v_mov_b32_e32 v102, v67
	v_fma_f32 v84, -v50, v66, v53
	v_mov_b32_e32 v66, v61
	v_mov_b32_e32 v67, v62
	v_sub_f32_e32 v35, v7, v57
	v_sub_f32_e32 v74, v9, v25
	;; [unrolled: 1-line block ×3, first 2 shown]
	ds_read2_b32 v[56:57], v18 offset0:107 offset1:140
	ds_read_b128 v[94:97], v2
	ds_read_b96 v[60:62], v115
	ds_read_b128 v[24:27], v2 offset:16
	v_add_u32_e32 v91, s5, v1
	s_or_b32 s5, s16, 0x700
	v_mov_b32_e32 v105, v90
	ds_read_b128 v[6:9], v2 offset:32
	s_waitcnt lgkmcnt(2)
	v_fma_f32 v2, -v50, v60, v29
	v_add_u32_e32 v90, s18, v1
	s_add_i32 s18, s4, s5
	v_fma_f32 v3, -v50, v94, v28
	v_fma_f32 v28, -v51, v61, v2
	v_mul_f32_e32 v61, v35, v58
	v_mov_b32_e32 v35, s18
	v_mov_b32_e32 v60, v51
	v_fma_f32 v94, -v51, v95, v3
	v_pk_mul_f32 v[2:3], v[60:61], v[98:99]
	v_pk_mul_f32 v[14:15], v[60:61], v[100:101]
	ds_read_b128 v[98:101], v35
	v_sub_f32_e32 v2, v59, v2
	ds_read2_b32 v[52:53], v18 offset0:173 offset1:239
	v_sub_f32_e32 v18, v2, v3
	v_pk_mul_f32 v[2:3], v[60:61], v[102:103]
	s_or_b32 s18, s16, 0x780
	v_sub_f32_e32 v2, v84, v2
	v_sub_f32_e32 v121, v2, v3
	ds_read2_b32 v[58:59], v115 offset0:11 offset1:12
	s_waitcnt lgkmcnt(2)
	v_fma_f32 v2, -v50, v98, v30
	s_add_i32 s19, s4, s18
	v_fma_f32 v78, -v51, v99, v2
	v_pk_mul_f32 v[2:3], v[60:61], v[104:105]
	v_mov_b32_e32 v123, s19
	v_fma_f32 v124, -v61, v62, v28
	ds_read_b96 v[28:30], v35 offset:48
	ds_read_b128 v[102:105], v123
	v_sub_f32_e32 v2, v92, v2
	v_sub_f32_e32 v122, v2, v3
	v_pk_mul_f32 v[2:3], v[60:61], v[66:67]
	v_sub_f32_e32 v14, v63, v14
	v_sub_f32_e32 v2, v106, v2
	ds_read_b96 v[106:108], v123 offset:16
	ds_read2_b32 v[84:85], v123 offset0:7 offset1:8
	v_mul_f32_e32 v63, v18, v19
	v_sub_f32_e32 v125, v2, v3
	v_mov_b32_e32 v62, v61
	s_waitcnt lgkmcnt(2)
	v_fma_f32 v2, -v50, v102, v31
	v_add_u32_e32 v60, s5, v1
	v_fma_f32 v66, -v51, v103, v2
	v_pk_mul_f32 v[2:3], v[62:63], v[80:81]
	s_or_b32 s5, s16, 0x800
	v_pk_mul_f32 v[18:19], v[62:63], v[76:77]
	v_add_u32_e32 v31, s18, v1
	s_add_i32 s18, s4, s5
	v_sub_f32_e32 v2, v74, v2
	v_sub_f32_e32 v67, v2, v3
	v_mov_b32_e32 v126, s18
	v_fma_f32 v2, -v61, v100, v78
	v_sub_f32_e32 v3, v75, v18
	s_or_b32 s18, s16, 0x880
	s_waitcnt lgkmcnt(1)
	v_mov_b32_e32 v102, v107
	v_sub_f32_e32 v107, v3, v19
	v_pk_mul_f32 v[18:19], v[62:63], v[4:5]
	v_fma_f32 v101, -v63, v101, v2
	ds_read_b128 v[2:5], v126
	ds_read_b128 v[78:81], v126 offset:16
	s_add_i32 s19, s4, s18
	v_mov_b32_e32 v127, s19
	ds_read_b128 v[74:77], v127
	ds_read_b96 v[98:100], v127 offset:16
	v_sub_f32_e32 v18, v113, v18
	s_waitcnt lgkmcnt(3)
	v_fma_f32 v2, -v50, v2, v54
	v_sub_f32_e32 v129, v18, v19
	v_fma_f32 v18, -v51, v3, v2
	v_pk_mul_f32 v[2:3], v[62:63], v[16:17]
	v_fma_f32 v66, -v61, v104, v66
	ds_write_b32 v109, v61
	v_fma_f32 v4, -v61, v4, v18
	v_sub_f32_e32 v2, v114, v2
	v_sub_f32_e32 v95, v14, v15
	v_pk_mul_f32 v[14:15], v[62:63], v[96:97]
	v_fma_f32 v128, -v63, v105, v66
	s_waitcnt lgkmcnt(2)
	v_fma_f32 v16, -v50, v74, v55
	v_fma_f32 v62, -v63, v5, v4
	ds_read2_b32 v[4:5], v111 offset0:3 offset1:4
	ds_read2_b32 v[18:19], v111 offset0:5 offset1:6
	;; [unrolled: 1-line block ×3, first 2 shown]
	v_sub_f32_e32 v54, v2, v3
	ds_read2_b32 v[2:3], v115 offset0:3 offset1:4
	v_fma_f32 v16, -v51, v75, v16
	v_fma_f32 v16, -v61, v76, v16
	v_mul_f32_e32 v67, v67, v39
	v_mov_b32_e32 v66, v63
	v_fma_f32 v130, -v63, v77, v16
	v_pk_mul_f32 v[16:17], v[66:67], v[72:73]
	v_sub_f32_e32 v14, v94, v14
	v_sub_f32_e32 v16, v95, v16
	ds_write_b32 v110, v63
	v_sub_f32_e32 v39, v16, v17
	s_waitcnt lgkmcnt(1)
	v_pk_mul_f32 v[2:3], v[66:67], v[2:3]
	v_mov_b32_e32 v103, v108
	v_sub_f32_e32 v55, v14, v15
	ds_read2_b32 v[14:15], v112 offset0:3 offset1:4
	ds_read2_b32 v[108:109], v112 offset0:9 offset1:10
	;; [unrolled: 1-line block ×4, first 2 shown]
	v_pk_mul_f32 v[16:17], v[66:67], v[70:71]
	v_sub_f32_e32 v2, v124, v2
	v_mul_f32_e32 v71, v39, v64
	v_mov_b32_e32 v70, v67
	ds_read2_b32 v[112:113], v115 offset0:9 offset1:10
	ds_read2_b32 v[72:73], v115 offset0:5 offset1:6
	ds_read2_b32 v[114:115], v115 offset0:7 offset1:8
	ds_write_b32 v116, v67
	v_pk_mul_f32 v[4:5], v[66:67], v[4:5]
	v_sub_f32_e32 v116, v2, v3
	v_pk_mul_f32 v[2:3], v[70:71], v[32:33]
	s_waitcnt lgkmcnt(7)
	v_pk_mul_f32 v[14:15], v[66:67], v[14:15]
	v_sub_f32_e32 v4, v122, v4
	v_sub_f32_e32 v2, v107, v2
	v_sub_f32_e32 v16, v121, v16
	v_sub_f32_e32 v14, v125, v14
	v_sub_f32_e32 v66, v4, v5
	v_sub_f32_e32 v5, v2, v3
	v_pk_mul_f32 v[2:3], v[70:71], v[10:11]
	v_sub_f32_e32 v76, v16, v17
	v_sub_f32_e32 v4, v14, v15
	ds_read_b128 v[14:17], v35 offset:32
	ds_read_b128 v[94:97], v35 offset:16
	v_sub_f32_e32 v2, v129, v2
	v_sub_f32_e32 v64, v2, v3
	v_pk_mul_f32 v[2:3], v[70:71], v[20:21]
	v_mul_f32_e32 v35, v5, v34
	v_sub_f32_e32 v2, v54, v2
	v_sub_f32_e32 v122, v2, v3
	v_pk_mul_f32 v[2:3], v[70:71], v[24:25]
	v_mov_b32_e32 v34, v71
	v_sub_f32_e32 v2, v55, v2
	v_sub_f32_e32 v124, v2, v3
	s_waitcnt lgkmcnt(0)
	v_pk_mul_f32 v[2:3], v[70:71], v[94:95]
	v_pk_mul_f32 v[10:11], v[34:35], v[68:69]
	v_sub_f32_e32 v2, v101, v2
	v_sub_f32_e32 v70, v2, v3
	v_pk_mul_f32 v[2:3], v[34:35], v[74:75]
	v_sub_f32_e32 v10, v76, v10
	v_sub_f32_e32 v2, v4, v2
	;; [unrolled: 3-line block ×3, first 2 shown]
	v_sub_f32_e32 v101, v2, v3
	v_fma_f32 v2, -v67, v78, v62
	v_mul_f32_e32 v75, v10, v65
	v_fma_f32 v10, -v67, v98, v130
	v_fma_f32 v121, -v67, v106, v128
	v_sub_f32_e32 v66, v4, v5
	v_fma_f32 v62, -v71, v79, v2
	v_pk_mul_f32 v[2:3], v[34:35], v[102:103]
	v_pk_mul_f32 v[4:5], v[34:35], v[72:73]
	v_mov_b32_e32 v74, v35
	v_fma_f32 v10, -v71, v99, v10
	v_add_u32_e32 v119, s20, v1
	v_add_u32_e32 v92, 0x800, v87
	ds_write_b32 v117, v71
	v_sub_f32_e32 v2, v121, v2
	v_sub_f32_e32 v4, v116, v4
	v_fma_f32 v98, -v35, v100, v10
	v_pk_mul_f32 v[10:11], v[74:75], v[96:97]
	v_pk_mul_f32 v[12:13], v[74:75], v[12:13]
	s_or_b32 s19, s16, 0x900
	ds_read2_b32 v[54:55], v92 offset0:16 offset1:49
	v_add_u32_e32 v39, s5, v1
	ds_read2_b32 v[32:33], v127 offset0:7 offset1:8
	ds_read2_b32 v[106:107], v127 offset0:9 offset1:10
	;; [unrolled: 1-line block ×4, first 2 shown]
	v_sub_f32_e32 v34, v4, v5
	v_sub_f32_e32 v102, v2, v3
	ds_read_b128 v[18:21], v126 offset:32
	ds_read_b128 v[2:5], v126 offset:48
	ds_read2_b32 v[72:73], v123 offset0:13 offset1:14
	ds_read2_b32 v[78:79], v123 offset0:11 offset1:12
	;; [unrolled: 1-line block ×3, first 2 shown]
	ds_write_b32 v118, v35
	v_sub_f32_e32 v10, v70, v10
	v_sub_f32_e32 v12, v64, v12
	ds_write_b32 v119, v75
	s_add_i32 s5, s4, s19
	v_sub_f32_e32 v70, v12, v13
	v_sub_f32_e32 v119, v10, v11
	v_mov_b32_e32 v99, s5
	ds_read2_b32 v[64:65], v127 offset0:15 offset1:16
	ds_read_b128 v[10:13], v99
	v_pk_mul_f32 v[24:25], v[74:75], v[80:81]
	v_pk_mul_f32 v[26:27], v[74:75], v[26:27]
	v_sub_f32_e32 v24, v62, v24
	v_sub_f32_e32 v26, v124, v26
	;; [unrolled: 1-line block ×4, first 2 shown]
	ds_read_b128 v[94:97], v99 offset:16
	ds_read_b128 v[24:27], v99 offset:32
	s_waitcnt lgkmcnt(2)
	v_fma_f32 v10, -v50, v10, v48
	v_fma_f32 v10, -v51, v11, v10
	;; [unrolled: 1-line block ×4, first 2 shown]
	s_waitcnt lgkmcnt(1)
	v_fma_f32 v10, -v67, v94, v10
	v_fma_f32 v10, -v71, v95, v10
	v_pk_mul_f32 v[22:23], v[74:75], v[22:23]
	v_fma_f32 v10, -v35, v96, v10
	v_mul_f32_e32 v81, v70, v82
	v_mov_b32_e32 v80, v75
	v_sub_f32_e32 v22, v122, v22
	v_fma_f32 v122, -v75, v97, v10
	v_pk_mul_f32 v[10:11], v[80:81], v[104:105]
	s_or_b32 s5, s16, 0x980
	v_sub_f32_e32 v10, v66, v10
	v_sub_f32_e32 v74, v22, v23
	v_add_u32_e32 v62, s18, v1
	v_pk_mul_f32 v[12:13], v[80:81], v[110:111]
	v_pk_mul_f32 v[22:23], v[80:81], v[114:115]
	;; [unrolled: 1-line block ×3, first 2 shown]
	v_sub_f32_e32 v48, v10, v11
	v_pk_mul_f32 v[10:11], v[80:81], v[32:33]
	s_add_i32 s18, s4, s5
	v_sub_f32_e32 v12, v101, v12
	v_sub_f32_e32 v22, v34, v22
	;; [unrolled: 1-line block ×3, first 2 shown]
	ds_write_b32 v120, v81
	v_sub_f32_e32 v10, v98, v10
	v_mov_b32_e32 v70, s18
	v_sub_f32_e32 v82, v12, v13
	v_sub_f32_e32 v110, v34, v85
	;; [unrolled: 1-line block ×3, first 2 shown]
	ds_read_b128 v[94:97], v70
	ds_read_b128 v[10:13], v99 offset:48
	ds_read_b96 v[32:34], v99 offset:64
	v_sub_f32_e32 v105, v22, v23
	ds_read_b128 v[98:101], v70 offset:16
	ds_read_b96 v[102:104], v70 offset:32
	s_waitcnt lgkmcnt(4)
	v_fma_f32 v22, -v50, v94, v49
	v_fma_f32 v22, -v51, v95, v22
	;; [unrolled: 1-line block ×4, first 2 shown]
	s_or_b32 s18, s16, 0xa00
	v_add_u32_e32 v66, s19, v1
	s_waitcnt lgkmcnt(1)
	v_fma_f32 v22, -v67, v98, v22
	s_add_i32 s19, s4, s18
	v_fma_f32 v22, -v71, v99, v22
	v_mov_b32_e32 v114, s19
	v_fma_f32 v22, -v35, v100, v22
	v_mul_f32_e32 v49, v48, v83
	v_mov_b32_e32 v48, v81
	ds_read_b128 v[94:97], v114
	v_fma_f32 v22, -v75, v101, v22
	v_pk_mul_f32 v[6:7], v[48:49], v[6:7]
	s_waitcnt lgkmcnt(1)
	v_fma_f32 v100, -v81, v102, v22
	v_pk_mul_f32 v[22:23], v[48:49], v[36:37]
	v_sub_f32_e32 v6, v118, v6
	v_sub_f32_e32 v22, v74, v22
	;; [unrolled: 1-line block ×3, first 2 shown]
	v_pk_mul_f32 v[6:7], v[48:49], v[24:25]
	v_sub_f32_e32 v36, v22, v23
	v_sub_f32_e32 v6, v122, v6
	ds_read_b128 v[22:25], v114 offset:16
	v_pk_mul_f32 v[14:15], v[48:49], v[14:15]
	v_pk_mul_f32 v[18:19], v[48:49], v[18:19]
	v_sub_f32_e32 v48, v6, v7
	s_waitcnt lgkmcnt(1)
	v_fma_f32 v6, -v50, v94, v46
	v_fma_f32 v6, -v51, v95, v6
	;; [unrolled: 1-line block ×4, first 2 shown]
	s_waitcnt lgkmcnt(0)
	v_fma_f32 v6, -v67, v22, v6
	v_sub_f32_e32 v14, v119, v14
	v_fma_f32 v6, -v71, v23, v6
	ds_write_b32 v93, v49
	v_sub_f32_e32 v93, v14, v15
	v_fma_f32 v6, -v35, v24, v6
	v_mul_f32_e32 v15, v36, v38
	v_mov_b32_e32 v14, v49
	v_fma_f32 v115, -v75, v25, v6
	v_pk_mul_f32 v[6:7], v[14:15], v[108:109]
	s_or_b32 s19, s16, 0xa80
	v_sub_f32_e32 v6, v82, v6
	v_sub_f32_e32 v46, v6, v7
	v_pk_mul_f32 v[6:7], v[14:15], v[106:107]
	v_mov_b32_e32 v98, v103
	v_mov_b32_e32 v99, v104
	v_sub_f32_e32 v18, v121, v18
	v_sub_f32_e32 v6, v80, v6
	s_add_i32 s20, s4, s19
	v_sub_f32_e32 v102, v18, v19
	v_pk_mul_f32 v[18:19], v[14:15], v[112:113]
	v_pk_mul_f32 v[22:23], v[14:15], v[116:117]
	v_sub_f32_e32 v80, v6, v7
	v_pk_mul_f32 v[6:7], v[14:15], v[98:99]
	v_mov_b32_e32 v14, s20
	ds_read2_b32 v[84:85], v70 offset0:11 offset1:12
	ds_read_b128 v[94:97], v14
	v_sub_f32_e32 v6, v100, v6
	v_sub_f32_e32 v22, v110, v22
	;; [unrolled: 1-line block ×4, first 2 shown]
	s_waitcnt lgkmcnt(0)
	v_fma_f32 v6, -v50, v94, v47
	ds_read_b128 v[98:101], v14 offset:16
	ds_read_b96 v[36:38], v14 offset:32
	ds_read_b128 v[22:25], v114 offset:64
	v_fma_f32 v6, -v51, v95, v6
	v_fma_f32 v6, -v61, v96, v6
	;; [unrolled: 1-line block ×3, first 2 shown]
	s_waitcnt lgkmcnt(2)
	v_fma_f32 v6, -v67, v98, v6
	v_fma_f32 v6, -v71, v99, v6
	;; [unrolled: 1-line block ×4, first 2 shown]
	s_waitcnt lgkmcnt(1)
	v_fma_f32 v6, -v81, v36, v6
	v_fma_f32 v6, -v49, v37, v6
	v_mul_f32_e32 v83, v46, v56
	v_mov_b32_e32 v82, v15
	s_or_b32 s20, s16, 0xb00
	v_fma_f32 v119, -v15, v38, v6
	v_pk_mul_f32 v[6:7], v[82:83], v[8:9]
	v_pk_mul_f32 v[8:9], v[82:83], v[16:17]
	s_add_i32 s21, s4, s20
	v_sub_f32_e32 v6, v74, v6
	v_sub_f32_e32 v8, v93, v8
	v_mov_b32_e32 v121, s21
	v_pk_mul_f32 v[16:17], v[82:83], v[20:21]
	v_sub_f32_e32 v20, v6, v7
	v_sub_f32_e32 v74, v8, v9
	ds_read_b128 v[6:9], v121
	v_sub_f32_e32 v18, v105, v18
	v_sub_f32_e32 v116, v18, v19
	ds_read_b128 v[94:97], v121 offset:16
	ds_read_b128 v[98:101], v121 offset:32
	ds_read2_b32 v[18:19], v14 offset0:19 offset1:20
	s_or_b32 s21, s16, 0xb80
	s_waitcnt lgkmcnt(3)
	v_fma_f32 v6, -v50, v6, v44
	v_fma_f32 v6, -v51, v7, v6
	;; [unrolled: 1-line block ×4, first 2 shown]
	s_waitcnt lgkmcnt(2)
	v_fma_f32 v6, -v67, v94, v6
	v_fma_f32 v6, -v71, v95, v6
	;; [unrolled: 1-line block ×4, first 2 shown]
	s_waitcnt lgkmcnt(1)
	v_fma_f32 v6, -v81, v98, v6
	s_add_i32 s24, s4, s21
	v_fma_f32 v9, -v49, v99, v6
	v_mov_b32_e32 v123, s24
	ds_read_b96 v[6:8], v121 offset:80
	ds_read_b128 v[94:97], v123
	v_sub_f32_e32 v16, v102, v16
	v_sub_f32_e32 v120, v16, v17
	v_pk_mul_f32 v[16:17], v[82:83], v[26:27]
	v_fma_f32 v9, -v15, v100, v9
	v_sub_f32_e32 v16, v48, v16
	v_sub_f32_e32 v122, v16, v17
	v_fma_f32 v9, -v83, v101, v9
	ds_read_b128 v[98:101], v123 offset:16
	ds_read_b128 v[102:105], v123 offset:32
	s_waitcnt lgkmcnt(2)
	v_fma_f32 v16, -v50, v94, v45
	v_fma_f32 v16, -v51, v95, v16
	;; [unrolled: 1-line block ×4, first 2 shown]
	s_or_b32 s24, s16, 0xc00
	s_waitcnt lgkmcnt(1)
	v_fma_f32 v16, -v67, v98, v16
	s_add_i32 s25, s4, s24
	v_fma_f32 v16, -v71, v99, v16
	v_mov_b32_e32 v124, s25
	v_fma_f32 v16, -v35, v100, v16
	ds_read_b128 v[44:47], v124
	v_fma_f32 v16, -v75, v101, v16
	s_waitcnt lgkmcnt(1)
	v_fma_f32 v16, -v81, v102, v16
	v_fma_f32 v16, -v49, v103, v16
	;; [unrolled: 1-line block ×4, first 2 shown]
	s_waitcnt lgkmcnt(0)
	v_fma_f32 v16, -v50, v44, v42
	ds_read_b128 v[94:97], v124 offset:16
	ds_read_b128 v[98:101], v124 offset:32
	;; [unrolled: 1-line block ×3, first 2 shown]
	v_fma_f32 v16, -v51, v45, v16
	v_fma_f32 v16, -v61, v46, v16
	;; [unrolled: 1-line block ×3, first 2 shown]
	s_or_b32 s25, s16, 0xc80
	s_waitcnt lgkmcnt(2)
	v_fma_f32 v16, -v67, v94, v16
	s_add_i32 s27, s4, s25
	v_fma_f32 v16, -v71, v95, v16
	v_mov_b32_e32 v125, s27
	v_fma_f32 v16, -v35, v96, v16
	ds_read_b128 v[44:47], v125
	v_fma_f32 v16, -v75, v97, v16
	s_waitcnt lgkmcnt(2)
	v_fma_f32 v16, -v81, v98, v16
	v_fma_f32 v16, -v49, v99, v16
	;; [unrolled: 1-line block ×4, first 2 shown]
	ds_read_b128 v[94:97], v125 offset:16
	ds_read_b128 v[98:101], v125 offset:32
	s_waitcnt lgkmcnt(2)
	v_fma_f32 v16, -v50, v44, v43
	v_fma_f32 v16, -v51, v45, v16
	;; [unrolled: 1-line block ×4, first 2 shown]
	s_or_b32 s16, s16, 0xd00
	s_waitcnt lgkmcnt(1)
	v_fma_f32 v16, -v67, v94, v16
	s_add_i32 s27, s4, s16
	v_fma_f32 v16, -v71, v95, v16
	v_mov_b32_e32 v127, s27
	s_add_i32 s4, s4, s17
	v_fma_f32 v16, -v35, v96, v16
	ds_read_b128 v[42:45], v127
	ds_read_b128 v[106:109], v127 offset:16
	v_mov_b32_e32 v129, s4
	v_fma_f32 v16, -v75, v97, v16
	ds_read_b128 v[94:97], v129
	s_waitcnt lgkmcnt(3)
	v_fma_f32 v16, -v81, v98, v16
	v_fma_f32 v16, -v49, v99, v16
	s_waitcnt lgkmcnt(2)
	v_fma_f32 v26, -v50, v42, v40
	v_fma_f32 v16, -v15, v100, v16
	v_fma_f32 v26, -v51, v43, v26
	s_waitcnt lgkmcnt(0)
	v_fma_f32 v27, -v50, v94, v41
	v_fma_f32 v128, -v83, v101, v16
	;; [unrolled: 1-line block ×3, first 2 shown]
	ds_read_b128 v[98:101], v114 offset:32
	v_fma_f32 v27, -v51, v95, v27
	v_fma_f32 v26, -v63, v45, v26
	;; [unrolled: 1-line block ×3, first 2 shown]
	ds_read_b96 v[46:48], v123 offset:48
	ds_read2_b32 v[110:111], v123 offset0:15 offset1:16
	v_fma_f32 v50, -v63, v97, v27
	v_mul_f32_e32 v27, v20, v57
	v_fma_f32 v20, -v67, v106, v26
	v_fma_f32 v20, -v71, v107, v20
	;; [unrolled: 1-line block ×4, first 2 shown]
	ds_read_b128 v[106:109], v114 offset:48
	s_waitcnt lgkmcnt(3)
	v_fma_f32 v20, -v81, v98, v115
	s_waitcnt lgkmcnt(2)
	v_fma_f32 v61, -v27, v46, v21
	v_fma_f32 v26, -v49, v99, v20
	v_pk_mul_f32 v[20:21], v[82:83], v[100:101]
	ds_read_b128 v[42:45], v129 offset:16
	ds_read_b128 v[94:97], v127 offset:32
	v_sub_f32_e32 v20, v26, v20
	v_mov_b32_e32 v26, v83
	v_sub_f32_e32 v63, v20, v21
	v_pk_mul_f32 v[20:21], v[26:27], v[58:59]
	v_pk_mul_f32 v[40:41], v[26:27], v[78:79]
	v_sub_f32_e32 v20, v116, v20
	ds_read2_b32 v[98:99], v70 offset0:13 offset1:14
	v_sub_f32_e32 v82, v20, v21
	ds_read2_b32 v[20:21], v14 offset0:11 offset1:12
	v_sub_f32_e32 v40, v117, v40
	v_sub_f32_e32 v78, v40, v41
	v_pk_mul_f32 v[40:41], v[26:27], v[76:77]
	ds_write_b32 v88, v15
	v_sub_f32_e32 v40, v80, v40
	v_sub_f32_e32 v79, v40, v41
	v_pk_mul_f32 v[40:41], v[26:27], v[84:85]
	ds_write_b32 v89, v83
	v_sub_f32_e32 v40, v118, v40
	v_sub_f32_e32 v118, v40, v41
	s_waitcnt lgkmcnt(4)
	v_fma_f32 v41, -v81, v94, v51
	s_waitcnt lgkmcnt(2)
	v_pk_mul_f32 v[20:21], v[26:27], v[20:21]
	ds_read_b96 v[36:38], v125 offset:48
	ds_read2_b32 v[16:17], v125 offset0:23 offset1:24
	ds_read2_b32 v[100:101], v92 offset0:115 offset1:148
	;; [unrolled: 1-line block ×3, first 2 shown]
	v_fma_f32 v41, -v49, v95, v41
	ds_read2_b32 v[76:77], v14 offset0:13 offset1:14
	ds_read2_b32 v[84:85], v14 offset0:15 offset1:16
	;; [unrolled: 1-line block ×3, first 2 shown]
	v_sub_f32_e32 v14, v119, v20
	v_add_u32_e32 v40, 0xc00, v87
	v_fma_f32 v41, -v15, v96, v41
	v_sub_f32_e32 v94, v14, v21
	v_fma_f32 v14, -v67, v42, v50
	v_fma_f32 v80, -v83, v97, v41
	ds_read2_b32 v[20:21], v40 offset0:24 offset1:57
	v_fma_f32 v14, -v71, v43, v14
	ds_read_b128 v[40:43], v129 offset:32
	v_fma_f32 v14, -v35, v44, v14
	v_mov_b32_e32 v112, v47
	v_fma_f32 v14, -v75, v45, v14
	ds_read_b128 v[44:47], v129 offset:48
	s_waitcnt lgkmcnt(1)
	v_fma_f32 v14, -v81, v40, v14
	v_fma_f32 v14, -v49, v41, v14
	v_fma_f32 v14, -v15, v42, v14
	v_fma_f32 v14, -v83, v43, v14
	v_mov_b32_e32 v113, v48
	ds_read_b128 v[48:51], v127 offset:48
	ds_read_b128 v[40:43], v127 offset:64
	s_waitcnt lgkmcnt(2)
	v_fma_f32 v44, -v27, v44, v14
	v_mul_f32_e32 v15, v82, v52
	v_mov_b32_e32 v14, v27
	v_pk_mul_f32 v[2:3], v[14:15], v[2:3]
	ds_read_b128 v[56:59], v121 offset:48
	v_sub_f32_e32 v2, v120, v2
	v_sub_f32_e32 v97, v2, v3
	v_pk_mul_f32 v[2:3], v[14:15], v[10:11]
	ds_write_b32 v91, v27
	v_sub_f32_e32 v2, v122, v2
	v_fma_f32 v71, -v27, v102, v126
	v_fma_f32 v36, -v27, v36, v128
	s_waitcnt lgkmcnt(3)
	v_fma_f32 v48, -v27, v48, v80
	v_pk_mul_f32 v[26:27], v[14:15], v[28:29]
	v_sub_f32_e32 v102, v2, v3
	v_pk_mul_f32 v[2:3], v[14:15], v[106:107]
	v_sub_f32_e32 v26, v74, v26
	v_sub_f32_e32 v2, v63, v2
	;; [unrolled: 1-line block ×4, first 2 shown]
	ds_read_b128 v[26:29], v121 offset:64
	s_waitcnt lgkmcnt(2)
	v_pk_mul_f32 v[2:3], v[14:15], v[56:57]
	ds_write_b32 v90, v15
	v_sub_f32_e32 v2, v9, v2
	v_sub_f32_e32 v9, v2, v3
	v_mul_f32_e32 v3, v52, v30
	v_mov_b32_e32 v2, v15
	ds_read_b96 v[80:82], v129 offset:64
	ds_read2_b32 v[10:11], v129 offset0:19 offset1:20
	v_fma_f32 v103, -v15, v103, v71
	v_fma_f32 v71, -v15, v37, v36
	;; [unrolled: 1-line block ×4, first 2 shown]
	v_pk_mul_f32 v[14:15], v[2:3], v[72:73]
	v_pk_mul_f32 v[36:37], v[2:3], v[68:69]
	v_sub_f32_e32 v14, v78, v14
	v_sub_f32_e32 v30, v14, v15
	v_sub_f32_e32 v36, v79, v36
	s_waitcnt lgkmcnt(1)
	v_mov_b32_e32 v14, v81
	v_sub_f32_e32 v81, v36, v37
	v_pk_mul_f32 v[36:37], v[2:3], v[98:99]
	v_mul_f32_e32 v53, v30, v53
	v_mov_b32_e32 v52, v3
	v_sub_f32_e32 v36, v118, v36
	v_pk_mul_f32 v[68:69], v[2:3], v[76:77]
	v_pk_mul_f32 v[4:5], v[52:53], v[4:5]
	v_sub_f32_e32 v98, v36, v37
	v_pk_mul_f32 v[36:37], v[2:3], v[112:113]
	v_sub_f32_e32 v2, v94, v68
	;; [unrolled: 2-line block ×3, first 2 shown]
	ds_read2_b32 v[44:45], v70 offset0:15 offset1:16
	ds_read2_b32 v[48:49], v70 offset0:17 offset1:18
	;; [unrolled: 1-line block ×3, first 2 shown]
	v_sub_f32_e32 v36, v61, v36
	v_sub_f32_e32 v99, v2, v69
	v_fma_f32 v107, -v3, v38, v71
	ds_read_b128 v[68:71], v124 offset:64
	ds_read_b128 v[72:75], v124 offset:80
	ds_write_b32 v60, v3
	v_fma_f32 v50, -v3, v50, v83
	v_fma_f32 v46, -v3, v46, v90
	v_pk_mul_f32 v[2:3], v[52:53], v[104:105]
	v_pk_mul_f32 v[60:61], v[52:53], v[108:109]
	v_sub_f32_e32 v9, v9, v58
	v_sub_f32_e32 v58, v4, v5
	v_pk_mul_f32 v[4:5], v[52:53], v[12:13]
	v_mov_b32_e32 v15, v82
	v_sub_f32_e32 v106, v36, v37
	ds_read_b96 v[36:38], v127 offset:96
	ds_read_b128 v[76:79], v127 offset:80
	ds_read2_b32 v[82:83], v123 offset0:21 offset1:22
	ds_read2_b32 v[90:91], v123 offset0:19 offset1:20
	;; [unrolled: 1-line block ×3, first 2 shown]
	v_sub_f32_e32 v2, v103, v2
	v_sub_f32_e32 v30, v63, v60
	ds_write_b32 v31, v53
	v_sub_f32_e32 v4, v102, v4
	v_sub_f32_e32 v60, v4, v5
	;; [unrolled: 1-line block ×4, first 2 shown]
	ds_read2_b32 v[2:3], v125 offset0:21 offset1:22
	ds_read2_b32 v[4:5], v125 offset0:15 offset1:16
	;; [unrolled: 1-line block ×4, first 2 shown]
	v_fma_f32 v102, -v53, v47, v46
	v_mul_f32_e32 v47, v58, v54
	v_mov_b32_e32 v46, v53
	v_sub_f32_e32 v9, v9, v59
	v_pk_mul_f32 v[58:59], v[46:47], v[64:65]
	v_fma_f32 v97, -v53, v51, v50
	s_waitcnt lgkmcnt(2)
	v_pk_mul_f32 v[4:5], v[46:47], v[4:5]
	v_pk_mul_f32 v[50:51], v[46:47], v[110:111]
	ds_write_b32 v39, v47
	v_sub_f32_e32 v39, v81, v58
	v_sub_f32_e32 v4, v107, v4
	;; [unrolled: 1-line block ×4, first 2 shown]
	v_pk_mul_f32 v[44:45], v[46:47], v[44:45]
	v_sub_f32_e32 v50, v50, v51
	v_sub_f32_e32 v51, v4, v5
	v_mul_f32_e32 v5, v39, v55
	v_mov_b32_e32 v4, v47
	v_sub_f32_e32 v44, v98, v44
	v_pk_mul_f32 v[32:33], v[4:5], v[32:33]
	v_pk_mul_f32 v[52:53], v[46:47], v[84:85]
	v_sub_f32_e32 v46, v44, v45
	v_pk_mul_f32 v[40:41], v[4:5], v[40:41]
	v_pk_mul_f32 v[44:45], v[4:5], v[68:69]
	;; [unrolled: 1-line block ×4, first 2 shown]
	v_sub_f32_e32 v4, v60, v32
	v_sub_f32_e32 v4, v4, v33
	v_mul_f32_e32 v33, v4, v34
	v_mov_b32_e32 v32, v5
	ds_write_b32 v62, v5
	v_pk_mul_f32 v[4:5], v[32:33], v[48:49]
	v_sub_f32_e32 v52, v99, v52
	v_sub_f32_e32 v4, v46, v4
	;; [unrolled: 1-line block ×7, first 2 shown]
	v_pk_mul_f32 v[22:23], v[32:33], v[92:93]
	v_mul_f32_e32 v5, v4, v100
	v_mov_b32_e32 v4, v33
	v_sub_f32_e32 v22, v52, v22
	v_sub_f32_e32 v9, v9, v27
	v_pk_mul_f32 v[26:27], v[32:33], v[94:95]
	v_pk_mul_f32 v[24:25], v[4:5], v[24:25]
	v_sub_f32_e32 v39, v97, v40
	v_fma_f32 v40, -v47, v80, v102
	v_sub_f32_e32 v26, v50, v26
	s_waitcnt lgkmcnt(2)
	v_pk_mul_f32 v[30:31], v[32:33], v[30:31]
	v_sub_f32_e32 v24, v34, v24
	v_sub_f32_e32 v34, v22, v23
	v_pk_mul_f32 v[22:23], v[4:5], v[28:29]
	v_pk_mul_f32 v[14:15], v[32:33], v[14:15]
	v_sub_f32_e32 v30, v51, v30
	v_sub_f32_e32 v9, v9, v22
	;; [unrolled: 1-line block ×3, first 2 shown]
	v_pk_mul_f32 v[26:27], v[4:5], v[70:71]
	v_pk_mul_f32 v[28:29], v[4:5], v[42:43]
	v_sub_f32_e32 v4, v40, v14
	v_sub_f32_e32 v30, v30, v31
	;; [unrolled: 1-line block ×4, first 2 shown]
	v_add_u32_e32 v114, s5, v1
	v_mul_f32_e32 v15, v4, v101
	v_mov_b32_e32 v14, v5
	ds_write_b32 v114, v5
	v_pk_mul_f32 v[4:5], v[14:15], v[18:19]
	v_sub_f32_e32 v44, v63, v44
	v_sub_f32_e32 v4, v34, v4
	;; [unrolled: 1-line block ×4, first 2 shown]
	v_pk_mul_f32 v[18:19], v[14:15], v[90:91]
	v_mul_f32_e32 v5, v4, v88
	v_mov_b32_e32 v4, v15
	v_sub_f32_e32 v26, v44, v26
	v_sub_f32_e32 v9, v9, v23
	;; [unrolled: 1-line block ×3, first 2 shown]
	v_pk_mul_f32 v[12:13], v[14:15], v[12:13]
	v_pk_mul_f32 v[6:7], v[4:5], v[6:7]
	v_sub_f32_e32 v22, v26, v27
	v_sub_f32_e32 v12, v30, v12
	;; [unrolled: 1-line block ×4, first 2 shown]
	v_pk_mul_f32 v[18:19], v[4:5], v[72:73]
	v_pk_mul_f32 v[10:11], v[14:15], v[10:11]
	v_sub_f32_e32 v18, v22, v18
	v_sub_f32_e32 v22, v12, v13
	v_pk_mul_f32 v[12:13], v[4:5], v[76:77]
	v_sub_f32_e32 v4, v31, v10
	v_sub_f32_e32 v14, v4, v11
	;; [unrolled: 1-line block ×3, first 2 shown]
	v_add_u32_e32 v116, s19, v1
	v_mul_f32_e32 v7, v4, v8
	v_mov_b32_e32 v6, v5
	ds_write_b32 v116, v5
	v_pk_mul_f32 v[4:5], v[6:7], v[82:83]
	v_add_u32_e32 v117, s20, v1
	v_sub_f32_e32 v4, v9, v4
	v_sub_f32_e32 v4, v4, v5
	v_sub_f32_e32 v39, v39, v41
	v_pk_mul_f32 v[2:3], v[6:7], v[2:3]
	v_mul_f32_e32 v5, v4, v89
	v_mov_b32_e32 v4, v7
	v_add_u32_e32 v115, s18, v1
	v_sub_f32_e32 v28, v39, v28
	v_sub_f32_e32 v10, v18, v19
	;; [unrolled: 1-line block ×3, first 2 shown]
	ds_write_b32 v117, v7
	v_pk_mul_f32 v[8:9], v[4:5], v[74:75]
	v_pk_mul_f32 v[6:7], v[6:7], v[56:57]
	v_sub_f32_e32 v23, v28, v29
	ds_write_b32 v115, v15
	v_sub_f32_e32 v8, v10, v8
	v_sub_f32_e32 v15, v2, v3
	v_pk_mul_f32 v[2:3], v[4:5], v[78:79]
	v_sub_f32_e32 v4, v14, v6
	v_sub_f32_e32 v12, v23, v12
	;; [unrolled: 1-line block ×4, first 2 shown]
	v_add_u32_e32 v130, s21, v1
	ds_write_b32 v66, v33
	v_sub_f32_e32 v11, v12, v13
	v_mul_f32_e32 v7, v4, v20
	v_mov_b32_e32 v6, v5
	v_sub_f32_e32 v2, v11, v2
	ds_read2_b32 v[10:11], v129 offset0:23 offset1:24
	ds_read2_b32 v[12:13], v129 offset0:25 offset1:26
	ds_write_b32 v130, v5
	v_pk_mul_f32 v[4:5], v[6:7], v[16:17]
	v_sub_f32_e32 v8, v2, v3
	v_sub_f32_e32 v4, v15, v4
	v_sub_f32_e32 v2, v4, v5
	v_add_u32_e32 v96, s24, v1
	v_mul_f32_e32 v3, v2, v21
	v_mov_b32_e32 v2, v7
	ds_write_b32 v96, v7
	v_pk_mul_f32 v[4:5], v[2:3], v[36:37]
	s_waitcnt lgkmcnt(3)
	v_pk_mul_f32 v[6:7], v[6:7], v[10:11]
	v_sub_f32_e32 v2, v8, v4
	v_sub_f32_e32 v4, v14, v6
	;; [unrolled: 1-line block ×4, first 2 shown]
	ds_read_b32 v7, v87 offset:3564
	v_add_u32_e32 v67, s25, v1
	v_mul_f32_e32 v5, v2, v38
	v_mov_b32_e32 v4, v3
	ds_write_b32 v67, v3
	s_waitcnt lgkmcnt(4)
	v_pk_mul_f32 v[2:3], v[4:5], v[12:13]
	v_add_u32_e32 v35, s16, v1
	v_sub_f32_e32 v2, v6, v2
	v_sub_f32_e32 v2, v2, v3
	s_waitcnt lgkmcnt(1)
	v_mul_f32_e32 v2, v2, v7
	s_or_b32 s7, s7, 28
	ds_write_b32 v35, v5
	ds_write_b32 v86, v2
.LBB36_36:
	s_cmp_ge_i32 s7, s26
	s_cbranch_scc1 .LBB36_41
; %bb.37:
	v_mov_b32_e32 v2, 0x1000
	s_lshl_b32 s4, s7, 7
	v_lshl_or_b32 v2, v0, 2, v2
	s_branch .LBB36_39
.LBB36_38:                              ;   in Loop: Header=BB36_39 Depth=1
	s_mul_i32 s5, s7, 0x84
	v_mov_b32_e32 v5, s5
	ds_read_b32 v5, v5
	s_add_i32 s7, s7, 1
	s_addk_i32 s4, 0x80
	s_cmp_ge_i32 s7, s26
	s_waitcnt lgkmcnt(0)
	v_mul_f32_e32 v4, v4, v5
	ds_write_b32 v3, v4
	s_cbranch_scc1 .LBB36_41
.LBB36_39:                              ; =>This Loop Header: Depth=1
                                        ;     Child Loop BB36_40 Depth 2
	s_lshl_b32 s5, s7, 7
	v_add_u32_e32 v3, s5, v1
	ds_read_b32 v4, v3
	s_cmp_eq_u32 s7, 0
	v_mov_b32_e32 v5, v2
	s_mov_b32 s5, s7
	s_mov_b32 s16, s4
	s_cbranch_scc1 .LBB36_38
.LBB36_40:                              ;   Parent Loop BB36_39 Depth=1
                                        ; =>  This Inner Loop Header: Depth=2
	v_mov_b32_e32 v7, s16
	ds_read_b32 v6, v5
	ds_read_b32 v7, v7
	s_add_i32 s16, s16, 4
	s_add_i32 s5, s5, -1
	v_add_u32_e32 v5, 0x80, v5
	s_cmp_lg_u32 s5, 0
	s_waitcnt lgkmcnt(0)
	v_fma_f32 v4, -v6, v7, v4
	s_cbranch_scc1 .LBB36_40
	s_branch .LBB36_38
.LBB36_41:
	s_mov_b64 s[4:5], 0
.LBB36_42:
	s_and_b64 vcc, exec, s[4:5]
	s_cbranch_vccz .LBB36_76
; %bb.43:
	s_add_i32 s7, s26, -1
	s_cmp_gt_i32 s6, 31
	s_cbranch_scc0 .LBB36_53
; %bb.44:
	v_add_u32_e32 v2, 0xc00, v1
	ds_read2_b32 v[4:5], v2 offset0:192 offset1:224
	ds_read2_b32 v[6:7], v2 offset0:128 offset1:160
	ds_read2_b32 v[8:9], v2 offset0:64 offset1:96
	ds_read2_b32 v[10:11], v2 offset1:32
	v_add_u32_e32 v2, 0x800, v1
	ds_read2_b32 v[12:13], v2 offset0:192 offset1:224
	ds_read2_b32 v[14:15], v2 offset0:128 offset1:160
	ds_read2_b32 v[16:17], v2 offset0:64 offset1:96
	ds_read2_b32 v[18:19], v2 offset1:32
	;; [unrolled: 5-line block ×3, first 2 shown]
	ds_read2_b32 v[28:29], v1 offset0:192 offset1:224
	ds_read2_b32 v[30:31], v1 offset0:128 offset1:160
	;; [unrolled: 1-line block ×3, first 2 shown]
	ds_read2_b32 v[34:35], v1 offset1:32
	s_waitcnt lgkmcnt(14)
	v_mov_b32_e32 v2, v5
	v_mov_b32_e32 v3, v4
	;; [unrolled: 1-line block ×4, first 2 shown]
	s_waitcnt lgkmcnt(13)
	v_mov_b32_e32 v6, v9
	v_mov_b32_e32 v7, v8
	s_waitcnt lgkmcnt(12)
	v_mov_b32_e32 v8, v11
	v_mov_b32_e32 v9, v10
	s_waitcnt lgkmcnt(11)
	v_mov_b32_e32 v10, v13
	v_mov_b32_e32 v11, v12
	s_waitcnt lgkmcnt(10)
	v_mov_b32_e32 v12, v15
	v_mov_b32_e32 v13, v14
	s_waitcnt lgkmcnt(9)
	v_mov_b32_e32 v14, v17
	v_mov_b32_e32 v15, v16
	s_waitcnt lgkmcnt(8)
	v_mov_b32_e32 v16, v19
	v_mov_b32_e32 v17, v18
	s_waitcnt lgkmcnt(7)
	v_mov_b32_e32 v18, v21
	v_mov_b32_e32 v19, v20
	s_waitcnt lgkmcnt(6)
	v_mov_b32_e32 v20, v23
	v_mov_b32_e32 v21, v22
	s_waitcnt lgkmcnt(5)
	v_mov_b32_e32 v22, v25
	v_mov_b32_e32 v23, v24
	s_waitcnt lgkmcnt(4)
	v_mov_b32_e32 v24, v27
	v_mov_b32_e32 v25, v26
	s_waitcnt lgkmcnt(3)
	v_mov_b32_e32 v26, v29
	v_mov_b32_e32 v27, v28
	s_waitcnt lgkmcnt(2)
	v_mov_b32_e32 v28, v31
	v_mov_b32_e32 v29, v30
	s_waitcnt lgkmcnt(1)
	v_mov_b32_e32 v30, v33
	v_mov_b32_e32 v31, v32
	s_waitcnt lgkmcnt(0)
	v_mov_b32_e32 v32, v35
	v_mov_b32_e32 v33, v34
	s_movk_i32 s20, 0xffc
	s_mov_b64 s[4:5], 0
	s_movk_i32 s21, 0xff8
.LBB36_45:                              ; =>This Loop Header: Depth=1
                                        ;     Child Loop BB36_47 Depth 2
                                        ;     Child Loop BB36_50 Depth 2
	s_cmp_eq_u32 s4, 0
	s_cbranch_scc1 .LBB36_48
; %bb.46:                               ;   in Loop: Header=BB36_45 Depth=1
	s_mov_b64 s[16:17], s[4:5]
	s_sub_i32 s24, 31, s4
	s_mov_b64 s[18:19], 0
	s_mov_b32 s17, s20
.LBB36_47:                              ;   Parent Loop BB36_45 Depth=1
                                        ; =>  This Inner Loop Header: Depth=2
	v_mov_b32_e32 v35, s17
	s_set_gpr_idx_on s18, gpr_idx(SRC0)
	v_mov_b32_e32 v34, v2
	s_set_gpr_idx_off
	ds_read_b32 v35, v35
	s_addk_i32 s17, 0xff80
	s_add_u32 s18, s18, 1
	s_addc_u32 s19, s19, 0
	s_set_gpr_idx_on s4, gpr_idx(SRC0)
	v_mov_b32_e32 v36, v2
	s_set_gpr_idx_off
	s_cmp_eq_u32 s4, s18
	s_waitcnt lgkmcnt(0)
	v_fma_f32 v34, -v34, v35, v36
	s_set_gpr_idx_on s4, gpr_idx(DST)
	v_mov_b32_e32 v2, v34
	s_set_gpr_idx_off
	s_cbranch_scc0 .LBB36_47
	s_branch .LBB36_49
.LBB36_48:                              ;   in Loop: Header=BB36_45 Depth=1
	s_mov_b32 s24, 31
	s_mov_b64 s[16:17], 0
.LBB36_49:                              ;   in Loop: Header=BB36_45 Depth=1
	s_mul_i32 s17, s24, 0x84
	v_mov_b32_e32 v34, s17
	ds_read_b32 v34, v34
	s_set_gpr_idx_on s16, gpr_idx(SRC0)
	v_mov_b32_e32 v36, v2
	s_set_gpr_idx_off
	v_lshl_add_u32 v35, s24, 7, v1
	s_or_b32 s18, s4, 1
	s_add_u32 s19, s4, 1
	s_waitcnt lgkmcnt(0)
	v_mul_f32_e32 v34, v36, v34
	ds_write_b32 v35, v34
	s_set_gpr_idx_on s16, gpr_idx(DST)
	v_mov_b32_e32 v2, v34
	s_set_gpr_idx_off
	s_mov_b64 s[16:17], 0
	s_mov_b32 s24, s21
.LBB36_50:                              ;   Parent Loop BB36_45 Depth=1
                                        ; =>  This Inner Loop Header: Depth=2
	v_mov_b32_e32 v35, s24
	s_set_gpr_idx_on s16, gpr_idx(SRC0)
	v_mov_b32_e32 v34, v2
	s_set_gpr_idx_off
	ds_read_b32 v35, v35
	s_add_u32 s16, s16, 1
	s_set_gpr_idx_on s18, gpr_idx(SRC0)
	v_mov_b32_e32 v36, v2
	s_set_gpr_idx_off
	s_addc_u32 s17, s17, 0
	s_addk_i32 s24, 0xff80
	s_waitcnt lgkmcnt(0)
	v_fma_f32 v34, -v34, v35, v36
	s_cmp_lg_u32 s19, s16
	s_set_gpr_idx_on s18, gpr_idx(DST)
	v_mov_b32_e32 v2, v34
	s_set_gpr_idx_off
	s_cbranch_scc1 .LBB36_50
; %bb.51:                               ;   in Loop: Header=BB36_45 Depth=1
	s_sub_i32 s16, 31, s18
	s_mul_i32 s17, s16, 0x84
	v_mov_b32_e32 v35, s17
	ds_read_b32 v35, v35
	s_add_u32 s4, s4, 2
	s_addc_u32 s5, s5, 0
	s_add_i32 s20, s20, -8
	s_add_i32 s21, s21, -8
	v_lshl_add_u32 v36, s16, 7, v1
	s_waitcnt lgkmcnt(0)
	v_mul_f32_e32 v34, v34, v35
	s_cmp_eq_u32 s4, 32
	s_set_gpr_idx_on s18, gpr_idx(DST)
	v_mov_b32_e32 v2, v34
	s_set_gpr_idx_off
	ds_write_b32 v36, v34
	s_cbranch_scc0 .LBB36_45
; %bb.52:
	s_mov_b32 s4, -1
	s_cmp_gt_i32 s4, -1
	s_cbranch_scc1 .LBB36_54
	s_branch .LBB36_76
.LBB36_53:
	s_mov_b32 s4, s7
	s_cmp_gt_i32 s4, -1
	s_cbranch_scc0 .LBB36_76
.LBB36_54:
	s_cmp_lt_u32 s4, 27
	s_cbranch_scc1 .LBB36_59
; %bb.55:
	s_lshl_b32 s5, s4, 7
	v_add_u32_e32 v65, s5, v1
	v_add_u32_e32 v2, 0xffffff80, v65
	v_add_u32_e32 v6, 0xfffffd80, v65
	v_add_u32_e32 v7, 0xfffffd00, v65
	v_add_u32_e32 v3, 0xffffff00, v65
	v_add_u32_e32 v4, 0xfffffe80, v65
	v_add_u32_e32 v5, 0xfffffe00, v65
	v_add_u32_e32 v10, 0xfffffc80, v65
	ds_read_b32 v8, v65
	ds_read_b32 v9, v2
	ds_read_b32 v44, v3
	ds_read_b32 v45, v4
	ds_read_b32 v42, v5
	ds_read_b32 v43, v6
	ds_read_b32 v24, v7
	ds_read_b32 v25, v10
	v_add_u32_e32 v2, 0xfffffc00, v65
	v_add_u32_e32 v6, 0xfffffa00, v65
	v_add_u32_e32 v7, 0xfffff980, v65
	v_add_u32_e32 v3, 0xfffffb80, v65
	v_add_u32_e32 v4, 0xfffffb00, v65
	v_add_u32_e32 v5, 0xfffffa80, v65
	v_add_u32_e32 v12, 0xfffff900, v65
	v_add_u32_e32 v13, 0xfffff880, v65
	ds_read_b32 v46, v2
	ds_read_b32 v47, v3
	ds_read_b32 v10, v4
	ds_read_b32 v11, v5
	ds_read_b32 v40, v6
	ds_read_b32 v41, v7
	ds_read_b32 v38, v12
	ds_read_b32 v39, v13
	;; [unrolled: 16-line block ×3, first 2 shown]
	v_add_u32_e32 v2, 0xfffff400, v65
	v_add_u32_e32 v3, 0xfffff380, v65
	v_add_u32_e32 v18, 0xfffff300, v65
	v_add_u32_e32 v19, 0xfffff280, v65
	ds_read_b32 v4, v2
	ds_read_b32 v5, v3
	;; [unrolled: 1-line block ×4, first 2 shown]
	s_cmp_le_i32 s7, s4
	s_cbranch_scc1 .LBB36_58
; %bb.56:
	s_lshl_b32 s16, s26, 7
	s_lshl_b32 s17, s4, 2
	v_lshl_or_b32 v18, v0, 2, s16
	s_add_i32 s16, s16, s17
	v_add_u32_e32 v18, 0xf80, v18
	s_addk_i32 s16, 0xff14
	s_mov_b32 s17, s7
.LBB36_57:                              ; =>This Inner Loop Header: Depth=1
	v_mov_b32_e32 v19, s16
	ds_read_b32 v20, v18
	ds_read2_b32 v[22:23], v19 offset0:26 offset1:27
	ds_read2_b32 v[26:27], v19 offset0:24 offset1:25
	ds_read2_b32 v[28:29], v19 offset0:22 offset1:23
	ds_read2_b32 v[30:31], v19 offset0:20 offset1:21
	ds_read2_b32 v[32:33], v19 offset0:18 offset1:19
	ds_read2_b32 v[34:35], v19 offset0:16 offset1:17
	ds_read2_b32 v[36:37], v19 offset0:14 offset1:15
	ds_read2_b32 v[48:49], v19 offset0:12 offset1:13
	ds_read2_b32 v[50:51], v19 offset0:10 offset1:11
	ds_read2_b32 v[52:53], v19 offset0:8 offset1:9
	ds_read2_b32 v[54:55], v19 offset0:6 offset1:7
	ds_read2_b32 v[56:57], v19 offset0:4 offset1:5
	ds_read2_b32 v[58:59], v19 offset0:2 offset1:3
	ds_read2_b32 v[60:61], v19 offset1:1
	s_add_i32 s17, s17, -1
	s_addk_i32 s16, 0xff80
	v_add_u32_e32 v18, 0xffffff80, v18
	s_waitcnt lgkmcnt(13)
	v_pk_mul_f32 v[22:23], v[20:21], v[22:23] op_sel_hi:[0,1]
	s_waitcnt lgkmcnt(12)
	v_pk_mul_f32 v[26:27], v[20:21], v[26:27] op_sel_hi:[0,1]
	;; [unrolled: 2-line block ×14, first 2 shown]
	s_cmp_gt_i32 s17, s4
	v_pk_add_f32 v[8:9], v[8:9], v[22:23] op_sel:[0,1] op_sel_hi:[1,0] neg_lo:[0,1] neg_hi:[0,1]
	v_pk_add_f32 v[44:45], v[44:45], v[26:27] op_sel:[0,1] op_sel_hi:[1,0] neg_lo:[0,1] neg_hi:[0,1]
	;; [unrolled: 1-line block ×14, first 2 shown]
	s_cbranch_scc1 .LBB36_57
.LBB36_58:
	s_add_i32 s16, s4, -1
	s_lshl_b32 s17, s16, 2
	s_lshl_b32 s29, s16, 7
	s_add_i32 s16, s17, s29
	v_mov_b32_e32 v19, s16
	s_add_i32 s16, s4, -3
	s_add_i32 s18, s17, s5
	s_lshl_b32 s17, s16, 2
	v_mov_b32_e32 v18, s18
	s_add_i32 s18, s17, s5
	s_lshl_b32 s28, s16, 7
	v_mov_b32_e32 v20, s18
	s_add_i32 s18, s17, s29
	s_add_i32 s16, s17, s28
	v_mov_b32_e32 v21, s18
	ds_read2_b32 v[36:37], v18 offset1:1
	ds_read_b32 v31, v19
	ds_read2_b32 v[52:53], v20 offset1:1
	ds_read2_b32 v[54:55], v21 offset1:1
	s_add_i32 s27, s5, 0xffffff00
	v_mov_b32_e32 v19, s16
	s_add_i32 s16, s4, -5
	s_add_i32 s18, s17, s27
	s_lshl_b32 s17, s16, 2
	v_mov_b32_e32 v18, s18
	s_add_i32 s18, s17, s5
	v_mov_b32_e32 v20, s18
	s_add_i32 s18, s17, s29
	;; [unrolled: 2-line block ×3, first 2 shown]
	ds_read2_b32 v[50:51], v18 offset1:1
	ds_read_b32 v72, v19
	ds_read2_b32 v[62:63], v20 offset1:1
	ds_read2_b32 v[48:49], v21 offset1:1
	v_mov_b32_e32 v18, s18
	s_add_i32 s18, s17, s28
	s_add_i32 s21, s5, 0xfffffe00
	v_mov_b32_e32 v19, s18
	s_add_i32 s18, s17, s21
	v_mov_b32_e32 v20, s18
	s_lshl_b32 s18, s16, 7
	s_add_i32 s16, s17, s18
	s_add_i32 s17, s4, -7
	s_lshl_b32 s19, s17, 2
	v_mov_b32_e32 v21, s16
	s_add_i32 s16, s19, s5
	ds_read2_b32 v[58:59], v18 offset1:1
	ds_read2_b32 v[22:23], v19 offset1:1
	;; [unrolled: 1-line block ×3, first 2 shown]
	ds_read_b32 v69, v21
	v_mov_b32_e32 v18, s16
	s_add_i32 s16, s19, s29
	v_mov_b32_e32 v19, s16
	s_add_i32 s16, s19, s27
	;; [unrolled: 2-line block ×4, first 2 shown]
	ds_read2_b32 v[66:67], v18 offset1:1
	ds_read2_b32 v[78:79], v19 offset1:1
	;; [unrolled: 1-line block ×4, first 2 shown]
	v_mov_b32_e32 v18, s16
	s_add_i32 s16, s19, s18
	ds_read2_b32 v[84:85], v18 offset1:1
	v_mov_b32_e32 v18, s16
	s_add_i32 s16, s5, 0xfffffd00
	s_add_i32 s20, s19, s16
	v_mov_b32_e32 v20, s20
	s_lshl_b32 s20, s17, 7
	s_add_i32 s17, s19, s20
	v_mov_b32_e32 v29, s17
	s_add_i32 s17, s4, -9
	s_lshl_b32 s30, s17, 2
	s_add_i32 s19, s30, s5
	s_waitcnt lgkmcnt(7)
	v_mov_b32_e32 v35, v23
	s_waitcnt lgkmcnt(6)
	v_mov_b32_e32 v23, v26
	v_mov_b32_e32 v26, s19
	s_add_i32 s19, s30, s29
	s_waitcnt lgkmcnt(2)
	v_mov_b32_e32 v57, v82
	s_waitcnt lgkmcnt(1)
	v_mov_b32_e32 v28, v32
	ds_read2_b32 v[18:19], v18 offset1:1
	ds_read2_b32 v[20:21], v20 offset1:1
	ds_read_b32 v68, v29
	v_mov_b32_e32 v34, v59
	v_mov_b32_e32 v61, v50
	;; [unrolled: 1-line block ×6, first 2 shown]
	ds_read2_b32 v[82:83], v26 offset1:1
	ds_read2_b32 v[58:59], v50 offset1:1
	s_add_i32 s19, s30, s27
	v_mov_b32_e32 v26, s19
	s_add_i32 s19, s30, s28
	s_add_i32 s25, s5, 0xfffffc00
	v_mov_b32_e32 v50, s19
	v_mul_f32_e32 v8, v8, v37
	s_add_i32 s19, s30, s25
	s_waitcnt lgkmcnt(5)
	v_mov_b32_e32 v30, v85
	v_fma_f32 v9, -v8, v36, v9
	s_waitcnt lgkmcnt(0)
	v_mov_b32_e32 v85, v59
	v_mov_b32_e32 v59, s19
	s_lshl_b32 s24, s17, 7
	s_add_i32 s19, s4, -11
	v_mov_b32_e32 v60, v54
	v_mov_b32_e32 v54, v53
	s_add_i32 s17, s30, s24
	s_lshl_b32 s34, s19, 2
	v_mul_f32_e32 v9, v9, v31
	v_mov_b32_e32 v80, v63
	ds_read2_b32 v[96:97], v26 offset1:1
	ds_read2_b32 v[36:37], v50 offset1:1
	v_fma_f32 v50, -v8, v52, v45
	v_mov_b32_e32 v86, s17
	s_add_i32 s17, s34, s5
	v_pk_mul_f32 v[52:53], v[8:9], v[54:55]
	v_mov_b32_e32 v56, v78
	v_mov_b32_e32 v29, v84
	;; [unrolled: 1-line block ×4, first 2 shown]
	v_fma_f32 v83, -v8, v62, v43
	v_fma_f32 v88, -v8, v66, v25
	v_mov_b32_e32 v62, s17
	s_add_i32 s17, s34, s29
	v_sub_f32_e32 v25, v44, v52
	v_pk_mul_f32 v[44:45], v[8:9], v[80:81]
	v_mov_b32_e32 v63, s17
	s_add_i32 s17, s5, 0xfffffb00
	v_sub_f32_e32 v26, v42, v44
	v_pk_mul_f32 v[42:43], v[8:9], v[78:79]
	s_add_i32 s31, s34, s17
	v_sub_f32_e32 v24, v24, v42
	s_lshl_b32 s19, s19, 7
	s_add_i32 s36, s4, -13
	v_mov_b32_e32 v31, s31
	v_sub_f32_e32 v87, v25, v53
	v_sub_f32_e32 v73, v24, v43
	v_pk_mul_f32 v[24:25], v[8:9], v[84:85]
	s_add_i32 s31, s34, s19
	s_lshl_b32 s40, s36, 2
	v_sub_f32_e32 v24, v46, v24
	v_mov_b32_e32 v44, s31
	s_add_i32 s31, s40, s5
	v_sub_f32_e32 v79, v26, v45
	v_sub_f32_e32 v26, v24, v25
	v_mov_b32_e32 v24, s31
	ds_read2_b32 v[42:43], v24 offset1:1
	s_add_i32 s35, s4, -15
	s_add_i32 s31, s40, s29
	s_lshl_b32 s39, s35, 2
	v_mov_b32_e32 v45, s31
	s_add_i32 s31, s39, s5
	v_fma_f32 v89, -v8, v82, v47
	ds_read2_b32 v[24:25], v31 offset1:1
	ds_read2_b32 v[46:47], v45 offset1:1
	ds_read_b32 v64, v44
	s_waitcnt lgkmcnt(3)
	v_fma_f32 v31, -v8, v43, v40
	v_mov_b32_e32 v40, s31
	s_add_i32 s31, s39, s29
	v_fma_f32 v84, -v8, v42, v41
	ds_read2_b32 v[42:43], v40 offset1:1
	v_mov_b32_e32 v40, s31
	s_add_i32 s31, s39, s27
	v_mov_b32_e32 v41, s31
	s_add_i32 s31, s39, s28
	v_mov_b32_e32 v66, s31
	s_sub_i32 s31, s4, 17
	s_lshl_b32 s38, s31, 2
	s_add_i32 s33, s38, s5
	v_mov_b32_e32 v44, s33
	s_add_i32 s33, s38, s29
	s_waitcnt lgkmcnt(0)
	v_fma_f32 v85, -v8, v43, v38
	v_mov_b32_e32 v38, s33
	s_add_i32 s33, s38, s27
	v_fma_f32 v90, -v8, v42, v39
	v_mov_b32_e32 v39, s33
	s_add_i32 s33, s38, s28
	v_mov_b32_e32 v42, s33
	ds_read2_b32 v[44:45], v44 offset1:1
	ds_read2_b32 v[52:53], v40 offset1:1
	;; [unrolled: 1-line block ×8, first 2 shown]
	s_waitcnt lgkmcnt(7)
	v_fma_f32 v91, -v8, v45, v14
	v_fma_f32 v92, -v8, v44, v15
	ds_read2_b32 v[62:63], v63 offset1:1
	ds_read2_b32 v[44:45], v59 offset1:1
	ds_read_b32 v78, v86
	s_add_i32 s33, s30, s21
	s_waitcnt lgkmcnt(3)
	v_mov_b32_e32 v14, v81
	s_waitcnt lgkmcnt(2)
	v_mov_b32_e32 v15, v63
	v_pk_mul_f32 v[14:15], v[8:9], v[14:15]
	v_fma_f32 v93, -v8, v80, v11
	v_sub_f32_e32 v10, v10, v14
	v_sub_f32_e32 v82, v10, v15
	v_mul_f32_e32 v15, v87, v51
	v_mov_b32_e32 v14, v9
	v_pk_mul_f32 v[10:11], v[14:15], v[60:61]
	v_fma_f32 v81, -v9, v46, v84
	v_sub_f32_e32 v10, v50, v10
	v_fma_f32 v85, -v9, v53, v85
	v_mov_b32_e32 v53, v37
	v_sub_f32_e32 v84, v10, v11
	v_mov_b32_e32 v37, s33
	s_add_i32 s33, s30, s18
	v_pk_mul_f32 v[10:11], v[14:15], v[48:49]
	v_mov_b32_e32 v46, s33
	s_add_i32 s33, s30, s16
	v_sub_f32_e32 v10, v83, v10
	s_add_i32 s30, s30, s20
	v_fma_f32 v80, -v9, v47, v31
	v_mov_b32_e32 v31, v19
	v_mov_b32_e32 v19, v20
	v_sub_f32_e32 v20, v10, v11
	v_mov_b32_e32 v10, s33
	v_mov_b32_e32 v11, s30
	ds_read2_b32 v[60:61], v37 offset1:1
	ds_read2_b32 v[46:47], v46 offset1:1
	;; [unrolled: 1-line block ×4, first 2 shown]
	v_pk_mul_f32 v[10:11], v[14:15], v[56:57]
	s_add_i32 s30, s34, s27
	v_sub_f32_e32 v10, v88, v10
	v_sub_f32_e32 v83, v10, v11
	v_mov_b32_e32 v10, s30
	v_fma_f32 v94, -v9, v52, v90
	v_fma_f32 v95, -v9, v67, v91
	ds_read2_b32 v[90:91], v10 offset1:1
	v_mov_b32_e32 v59, v96
	v_pk_mul_f32 v[10:11], v[14:15], v[58:59]
	s_add_i32 s30, s34, s28
	v_sub_f32_e32 v10, v89, v10
	s_waitcnt lgkmcnt(3)
	v_mov_b32_e32 v51, v47
	v_sub_f32_e32 v47, v10, v11
	v_mov_b32_e32 v10, s30
	s_add_i32 s30, s34, s21
	v_mov_b32_e32 v11, s30
	s_add_i32 s30, s34, s18
	ds_write_b32 v65, v8
	v_mov_b32_e32 v56, s30
	s_waitcnt lgkmcnt(1)
	v_mov_b32_e32 v63, v90
	s_sub_i32 s41, s4, 19
	ds_read2_b32 v[88:89], v11 offset1:1
	ds_read2_b32 v[56:57], v56 offset1:1
	;; [unrolled: 1-line block ×3, first 2 shown]
	v_pk_mul_f32 v[10:11], v[14:15], v[62:63]
	s_lshl_b32 s33, s41, 2
	v_sub_f32_e32 v10, v93, v10
	s_add_i32 s30, s33, s5
	v_sub_f32_e32 v63, v10, v11
	v_mov_b32_e32 v10, s30
	s_add_i32 s30, s5, 0xfffff800
	v_fma_f32 v96, -v15, v55, v85
	v_fma_f32 v94, -v15, v54, v94
	ds_read2_b32 v[54:55], v10 offset1:1
	s_add_i32 s37, s38, s30
	s_lshl_b32 s31, s31, 7
	v_mov_b32_e32 v10, s37
	s_add_i32 s37, s38, s31
	v_fma_f32 v92, -v9, v66, v92
	v_mov_b32_e32 v14, s37
	s_add_i32 s37, s33, s29
	v_mov_b32_e32 v52, v97
	v_fma_f32 v97, -v15, v38, v92
	v_mov_b32_e32 v38, s37
	v_mov_b32_e32 v50, v61
	;; [unrolled: 1-line block ×3, first 2 shown]
	v_fma_f32 v95, -v15, v39, v95
	ds_read2_b32 v[10:11], v10 offset1:1
	ds_read2_b32 v[60:61], v38 offset1:1
	ds_read_b32 v62, v14
	v_mul_f32_e32 v39, v84, v72
	v_mov_b32_e32 v38, v15
	s_waitcnt lgkmcnt(3)
	v_fma_f32 v100, -v8, v55, v16
	v_fma_f32 v101, -v8, v54, v17
	s_add_i32 s37, s34, s16
	v_pk_mul_f32 v[16:17], v[38:39], v[34:35]
	v_mov_b32_e32 v14, s37
	s_add_i32 s37, s34, s20
	v_sub_f32_e32 v16, v79, v16
	v_mov_b32_e32 v90, v91
	v_mov_b32_e32 v91, v59
	v_sub_f32_e32 v59, v16, v17
	v_mov_b32_e32 v16, s37
	s_add_i32 s37, s34, s25
	v_mov_b32_e32 v17, s37
	s_add_i32 s34, s34, s24
	v_pk_mul_f32 v[32:33], v[38:39], v[32:33]
	v_mov_b32_e32 v34, s34
	ds_read2_b32 v[106:107], v14 offset1:1
	ds_read2_b32 v[92:93], v17 offset1:1
	;; [unrolled: 1-line block ×4, first 2 shown]
	v_sub_f32_e32 v14, v73, v32
	v_sub_f32_e32 v72, v14, v33
	s_add_i32 s34, s40, s27
	v_pk_mul_f32 v[32:33], v[38:39], v[52:53]
	v_mov_b32_e32 v14, s34
	s_add_i32 s34, s40, s28
	v_sub_f32_e32 v26, v26, v32
	v_add_u32_e32 v70, s29, v1
	v_sub_f32_e32 v79, v26, v33
	v_mov_b32_e32 v26, s34
	ds_read2_b32 v[32:33], v14 offset1:1
	v_pk_mul_f32 v[34:35], v[38:39], v[90:91]
	s_add_i32 s34, s40, s21
	ds_write_b32 v70, v9
	v_sub_f32_e32 v14, v82, v34
	v_mov_b32_e32 v34, s34
	s_add_i32 s34, s40, s18
	v_sub_f32_e32 v82, v14, v35
	v_mov_b32_e32 v35, s34
	ds_read2_b32 v[84:85], v26 offset1:1
	ds_read2_b32 v[98:99], v34 offset1:1
	;; [unrolled: 1-line block ×3, first 2 shown]
	s_waitcnt lgkmcnt(4)
	v_fma_f32 v81, -v15, v32, v81
	v_mov_b32_e32 v32, v33
	s_waitcnt lgkmcnt(2)
	v_mov_b32_e32 v33, v85
	v_pk_mul_f32 v[32:33], v[38:39], v[32:33]
	s_add_i32 s34, s40, s16
	v_sub_f32_e32 v26, v80, v32
	v_sub_f32_e32 v32, v26, v33
	v_mov_b32_e32 v26, s34
	s_add_i32 s34, s40, s20
	v_mov_b32_e32 v34, s34
	s_add_i32 s34, s40, s25
	;; [unrolled: 2-line block ×3, first 2 shown]
	v_fma_f32 v33, -v39, v41, v96
	v_fma_f32 v38, -v39, v40, v94
	;; [unrolled: 1-line block ×4, first 2 shown]
	v_mov_b32_e32 v42, s34
	ds_read2_b32 v[108:109], v26 offset1:1
	ds_read2_b32 v[96:97], v34 offset1:1
	ds_read2_b32 v[94:95], v35 offset1:1
	ds_read2_b32 v[52:53], v42 offset1:1
	v_mul_f32_e32 v35, v59, v27
	v_mov_b32_e32 v34, v39
	v_pk_mul_f32 v[22:23], v[34:35], v[22:23]
	s_add_i32 s34, s40, s17
	v_sub_f32_e32 v20, v20, v22
	v_sub_f32_e32 v20, v20, v23
	v_pk_mul_f32 v[22:23], v[34:35], v[28:29]
	v_mov_b32_e32 v80, s34
	s_add_i32 s34, s40, s19
	s_add_i32 s37, s5, 0xfffffa00
	v_sub_f32_e32 v22, v83, v22
	v_mov_b32_e32 v102, s34
	s_add_i32 s34, s40, s37
	v_sub_f32_e32 v83, v22, v23
	s_lshl_b32 s36, s36, 7
	v_pk_mul_f32 v[22:23], v[34:35], v[36:37]
	v_mov_b32_e32 v103, s34
	s_add_i32 s34, s40, s36
	s_add_i32 s40, s38, s21
	v_sub_f32_e32 v22, v47, v22
	v_sub_f32_e32 v105, v22, v23
	v_mov_b32_e32 v22, s40
	v_mov_b32_e32 v59, v88
	ds_read2_b32 v[22:23], v22 offset1:1
	s_add_i32 s40, s38, s18
	v_pk_mul_f32 v[26:27], v[34:35], v[58:59]
	v_mov_b32_e32 v28, s40
	v_sub_f32_e32 v26, v63, v26
	s_add_i32 s40, s38, s16
	s_waitcnt lgkmcnt(6)
	v_mov_b32_e32 v85, v98
	v_sub_f32_e32 v63, v26, v27
	v_mov_b32_e32 v29, s40
	s_add_i32 s40, s38, s20
	v_pk_mul_f32 v[26:27], v[34:35], v[84:85]
	v_mov_b32_e32 v42, s40
	v_sub_f32_e32 v26, v81, v26
	v_sub_f32_e32 v34, v26, v27
	ds_read2_b32 v[26:27], v28 offset1:1
	ds_read2_b32 v[36:37], v29 offset1:1
	;; [unrolled: 1-line block ×3, first 2 shown]
	v_mul_f32_e32 v43, v20, v69
	v_mov_b32_e32 v42, v35
	v_mov_b32_e32 v104, s34
	s_add_i32 s34, s39, s21
	s_waitcnt lgkmcnt(3)
	v_fma_f32 v40, -v35, v23, v40
	v_fma_f32 v41, -v35, v22, v41
	v_pk_mul_f32 v[22:23], v[42:43], v[30:31]
	v_mov_b32_e32 v28, s34
	v_sub_f32_e32 v20, v72, v22
	v_sub_f32_e32 v20, v20, v23
	ds_read2_b32 v[22:23], v28 offset1:1
	v_pk_mul_f32 v[28:29], v[42:43], v[50:51]
	s_add_i32 s34, s39, s18
	v_sub_f32_e32 v28, v79, v28
	v_sub_f32_e32 v79, v28, v29
	v_mov_b32_e32 v28, v89
	v_mov_b32_e32 v29, v57
	v_pk_mul_f32 v[28:29], v[42:43], v[28:29]
	v_mov_b32_e32 v30, s34
	v_sub_f32_e32 v28, v82, v28
	v_sub_f32_e32 v84, v28, v29
	v_mov_b32_e32 v28, v99
	v_mov_b32_e32 v29, v91
	v_pk_mul_f32 v[28:29], v[42:43], v[28:29]
	s_add_i32 s34, s39, s16
	v_sub_f32_e32 v28, v32, v28
	v_sub_f32_e32 v85, v28, v29
	v_mov_b32_e32 v28, s34
	s_add_i32 s34, s39, s20
	s_waitcnt lgkmcnt(3)
	v_fma_f32 v27, -v43, v27, v40
	v_fma_f32 v26, -v43, v26, v41
	v_mul_f32_e32 v41, v20, v21
	v_mov_b32_e32 v40, v43
	v_mov_b32_e32 v29, s34
	ds_read2_b32 v[50:51], v30 offset1:1
	ds_read2_b32 v[88:89], v28 offset1:1
	;; [unrolled: 1-line block ×3, first 2 shown]
	v_pk_mul_f32 v[18:19], v[40:41], v[18:19]
	v_mov_b32_e32 v47, v86
	v_sub_f32_e32 v18, v83, v18
	v_sub_f32_e32 v20, v18, v19
	v_pk_mul_f32 v[18:19], v[40:41], v[46:47]
	s_waitcnt lgkmcnt(3)
	v_fma_f32 v38, -v35, v22, v38
	v_mov_b32_e32 v22, v23
	s_waitcnt lgkmcnt(2)
	v_mov_b32_e32 v23, v51
	v_sub_f32_e32 v18, v105, v18
	v_mov_b32_e32 v57, v106
	v_pk_mul_f32 v[22:23], v[42:43], v[22:23]
	v_sub_f32_e32 v21, v18, v19
	v_pk_mul_f32 v[18:19], v[40:41], v[56:57]
	v_sub_f32_e32 v22, v33, v22
	s_add_i32 s34, s39, s25
	v_sub_f32_e32 v18, v63, v18
	v_mov_b32_e32 v91, v108
	v_sub_f32_e32 v23, v22, v23
	v_sub_f32_e32 v42, v18, v19
	v_mov_b32_e32 v22, s34
	s_add_i32 s34, s39, s24
	v_pk_mul_f32 v[18:19], v[40:41], v[90:91]
	v_mov_b32_e32 v30, s34
	s_add_i32 s34, s39, s17
	v_sub_f32_e32 v18, v34, v18
	v_sub_f32_e32 v34, v18, v19
	v_mov_b32_e32 v18, s34
	s_add_i32 s34, s39, s19
	v_mov_b32_e32 v19, s34
	s_waitcnt lgkmcnt(1)
	v_mov_b32_e32 v51, v88
	ds_read2_b32 v[82:83], v80 offset1:1
	ds_read2_b32 v[32:33], v102 offset1:1
	;; [unrolled: 1-line block ×3, first 2 shown]
	ds_read_b32 v72, v104
	ds_read2_b32 v[110:111], v22 offset1:1
	ds_read2_b32 v[56:57], v30 offset1:1
	;; [unrolled: 1-line block ×4, first 2 shown]
	v_pk_mul_f32 v[18:19], v[40:41], v[50:51]
	v_mul_f32_e32 v47, v20, v68
	v_sub_f32_e32 v18, v38, v18
	v_sub_f32_e32 v38, v18, v19
	v_mov_b32_e32 v18, v87
	v_mov_b32_e32 v19, v49
	;; [unrolled: 1-line block ×3, first 2 shown]
	v_pk_mul_f32 v[18:19], v[46:47], v[18:19]
	v_mov_b32_e32 v22, v58
	v_sub_f32_e32 v18, v79, v18
	v_sub_f32_e32 v20, v18, v19
	v_mov_b32_e32 v18, v107
	v_mov_b32_e32 v19, v17
	v_pk_mul_f32 v[18:19], v[46:47], v[18:19]
	v_mov_b32_e32 v58, v37
	v_sub_f32_e32 v17, v84, v18
	v_sub_f32_e32 v79, v17, v19
	v_mov_b32_e32 v18, v109
	v_mov_b32_e32 v19, v97
	v_pk_mul_f32 v[18:19], v[46:47], v[18:19]
	s_add_i32 s34, s39, s37
	v_sub_f32_e32 v17, v85, v18
	v_sub_f32_e32 v102, v17, v19
	v_mov_b32_e32 v18, v89
	s_waitcnt lgkmcnt(8)
	v_mov_b32_e32 v19, v99
	v_pk_mul_f32 v[18:19], v[46:47], v[18:19]
	v_mov_b32_e32 v49, v44
	v_sub_f32_e32 v17, v23, v18
	v_sub_f32_e32 v103, v17, v19
	v_pk_mul_f32 v[18:19], v[46:47], v[58:59]
	v_mov_b32_e32 v17, s34
	s_add_i32 s34, s39, s36
	v_sub_f32_e32 v18, v27, v18
	v_mul_f32_e32 v45, v20, v45
	v_mov_b32_e32 v44, v47
	v_mov_b32_e32 v23, s34
	s_add_i32 s34, s5, 0xfffff900
	v_sub_f32_e32 v46, v18, v19
	s_lshl_b32 s35, s35, 7
	v_pk_mul_f32 v[18:19], v[44:45], v[48:49]
	s_add_i32 s40, s39, s34
	s_add_i32 s39, s39, s35
	v_sub_f32_e32 v18, v21, v18
	v_fma_f32 v40, -v41, v36, v26
	v_mov_b32_e32 v26, s40
	v_mov_b32_e32 v27, s39
	v_sub_f32_e32 v104, v18, v19
	ds_read2_b32 v[84:85], v17 offset1:1
	ds_read2_b32 v[18:19], v23 offset1:1
	;; [unrolled: 1-line block ×3, first 2 shown]
	ds_read_b32 v68, v27
	v_mov_b32_e32 v17, v92
	v_pk_mul_f32 v[16:17], v[44:45], v[16:17]
	s_add_i32 s39, s38, s25
	v_sub_f32_e32 v16, v42, v16
	v_mov_b32_e32 v97, v94
	v_sub_f32_e32 v42, v16, v17
	v_mov_b32_e32 v23, s39
	s_add_i32 s39, s38, s24
	v_pk_mul_f32 v[16:17], v[44:45], v[96:97]
	v_mov_b32_e32 v26, s39
	s_add_i32 s39, s38, s17
	v_sub_f32_e32 v16, v34, v16
	v_sub_f32_e32 v92, v16, v17
	v_mov_b32_e32 v16, s39
	s_add_i32 s39, s38, s19
	v_mov_b32_e32 v17, s39
	s_add_i32 s39, s38, s37
	ds_read2_b32 v[106:107], v23 offset1:1
	ds_read2_b32 v[48:49], v26 offset1:1
	;; [unrolled: 1-line block ×4, first 2 shown]
	v_mov_b32_e32 v16, s39
	s_add_i32 s39, s38, s36
	v_add_u32_e32 v74, s27, v1
	v_add_u32_e32 v75, s28, v1
	;; [unrolled: 1-line block ×4, first 2 shown]
	v_mov_b32_e32 v17, s39
	s_add_i32 s39, s38, s34
	ds_write_b32 v74, v15
	ds_write_b32 v75, v39
	;; [unrolled: 1-line block ×3, first 2 shown]
	v_mov_b32_e32 v23, s39
	s_add_i32 s38, s38, s35
	ds_write_b32 v77, v43
	v_mov_b32_e32 v34, s38
	ds_read2_b32 v[90:91], v16 offset1:1
	ds_read2_b32 v[26:27], v17 offset1:1
	;; [unrolled: 1-line block ×4, first 2 shown]
	s_waitcnt lgkmcnt(11)
	v_mov_b32_e32 v23, v106
	v_mov_b32_e32 v99, v110
	s_add_i32 s38, s33, s27
	v_pk_mul_f32 v[50:51], v[44:45], v[98:99]
	v_pk_mul_f32 v[22:23], v[44:45], v[22:23]
	v_sub_f32_e32 v38, v38, v50
	v_mov_b32_e32 v50, s38
	s_add_i32 s38, s33, s28
	v_sub_f32_e32 v22, v40, v22
	v_sub_f32_e32 v38, v38, v51
	v_mov_b32_e32 v51, s38
	s_add_i32 s38, s33, s21
	v_sub_f32_e32 v40, v22, v23
	ds_read2_b32 v[22:23], v50 offset1:1
	v_mov_b32_e32 v44, s38
	s_add_i32 s38, s33, s18
	v_mov_b32_e32 v74, s38
	v_fma_f32 v34, -v9, v61, v100
	v_fma_f32 v59, -v9, v60, v101
	ds_read2_b32 v[50:51], v51 offset1:1
	ds_read2_b32 v[60:61], v44 offset1:1
	;; [unrolled: 1-line block ×3, first 2 shown]
	s_waitcnt lgkmcnt(3)
	v_fma_f32 v23, -v15, v23, v34
	v_fma_f32 v22, -v15, v22, v59
	s_waitcnt lgkmcnt(2)
	v_fma_f32 v23, -v39, v51, v23
	s_waitcnt lgkmcnt(1)
	v_fma_f32 v23, -v35, v61, v23
	s_add_i32 s38, s33, s16
	v_fma_f32 v22, -v39, v50, v22
	s_waitcnt lgkmcnt(0)
	v_fma_f32 v34, -v43, v75, v23
	v_mov_b32_e32 v23, s38
	v_fma_f32 v44, -v35, v60, v22
	ds_read2_b32 v[22:23], v23 offset1:1
	s_add_i32 s38, s33, s20
	v_mov_b32_e32 v50, s38
	s_add_i32 s38, s33, s25
	s_sub_i32 s43, s4, 21
	v_mov_b32_e32 v60, s38
	s_add_i32 s38, s33, s24
	s_lshl_b32 s44, s43, 2
	v_mov_b32_e32 v61, s38
	s_add_i32 s38, s44, s5
	s_waitcnt lgkmcnt(0)
	v_fma_f32 v23, -v41, v23, v34
	v_mov_b32_e32 v34, s38
	v_fma_f32 v44, -v43, v74, v44
	ds_read2_b32 v[50:51], v50 offset1:1
	ds_read2_b32 v[76:77], v60 offset1:1
	ds_read2_b32 v[96:97], v61 offset1:1
	ds_read2_b32 v[74:75], v34 offset1:1
	v_fma_f32 v22, -v41, v22, v44
	s_add_i32 s38, s5, 0xfffff700
	s_waitcnt lgkmcnt(3)
	v_fma_f32 v44, -v47, v51, v23
	v_fma_f32 v61, -v47, v50, v22
	v_mov_b32_e32 v99, v86
	s_add_i32 s39, s33, s38
	s_waitcnt lgkmcnt(0)
	v_fma_f32 v86, -v8, v75, v12
	v_mov_b32_e32 v12, v54
	v_mov_b32_e32 v54, v93
	v_mul_f32_e32 v51, v104, v78
	v_mov_b32_e32 v50, v45
	v_mov_b32_e32 v22, s39
	s_lshl_b32 s39, s41, 7
	v_pk_mul_f32 v[54:55], v[50:51], v[54:55]
	s_add_i32 s40, s33, s39
	v_fma_f32 v105, -v8, v74, v13
	v_mov_b32_e32 v13, v24
	v_sub_f32_e32 v24, v79, v54
	v_mov_b32_e32 v54, v52
	v_mov_b32_e32 v52, v95
	;; [unrolled: 1-line block ×3, first 2 shown]
	s_add_i32 s40, s44, s29
	v_pk_mul_f32 v[52:53], v[50:51], v[52:53]
	v_mov_b32_e32 v98, v48
	v_mov_b32_e32 v48, s40
	ds_read2_b32 v[22:23], v22 offset1:1
	ds_read2_b32 v[100:101], v48 offset1:1
	ds_read_b32 v60, v34
	v_sub_f32_e32 v34, v102, v52
	v_sub_f32_e32 v34, v34, v53
	v_mov_b32_e32 v52, v111
	v_mov_b32_e32 v53, v57
	v_pk_mul_f32 v[52:53], v[50:51], v[52:53]
	s_add_i32 s40, s33, s17
	v_sub_f32_e32 v48, v103, v52
	v_sub_f32_e32 v75, v48, v53
	v_mov_b32_e32 v48, s40
	ds_read2_b32 v[94:95], v48 offset1:1
	v_mov_b32_e32 v48, v107
	v_pk_mul_f32 v[48:49], v[50:51], v[48:49]
	v_mov_b32_e32 v52, v77
	v_mov_b32_e32 v53, v97
	v_sub_f32_e32 v46, v46, v48
	v_sub_f32_e32 v77, v46, v49
	v_pk_mul_f32 v[48:49], v[50:51], v[52:53]
	v_sub_f32_e32 v24, v24, v55
	v_sub_f32_e32 v44, v44, v48
	v_fma_f32 v61, -v45, v76, v61
	v_sub_f32_e32 v76, v44, v49
	v_mul_f32_e32 v49, v24, v25
	v_mov_b32_e32 v48, v51
	v_pk_mul_f32 v[12:13], v[48:49], v[12:13]
	v_mov_b32_e32 v55, v82
	v_mov_b32_e32 v57, v80
	s_add_i32 s40, s33, s19
	v_sub_f32_e32 v12, v42, v12
	v_add_u32_e32 v71, s16, v1
	v_mov_b32_e32 v46, s40
	s_add_i32 s40, s33, s37
	v_sub_f32_e32 v78, v12, v13
	v_pk_mul_f32 v[12:13], v[48:49], v[54:55]
	v_pk_mul_f32 v[52:53], v[48:49], v[56:57]
	ds_write_b32 v71, v41
	v_mov_b32_e32 v71, s40
	s_add_i32 s40, s33, s36
	v_sub_f32_e32 v12, v92, v12
	v_sub_f32_e32 v38, v38, v52
	v_mov_b32_e32 v50, s40
	v_sub_f32_e32 v44, v12, v13
	ds_read2_b32 v[24:25], v46 offset1:1
	ds_read2_b32 v[92:93], v71 offset1:1
	;; [unrolled: 1-line block ×3, first 2 shown]
	v_sub_f32_e32 v71, v38, v53
	v_pk_mul_f32 v[52:53], v[48:49], v[98:99]
	s_waitcnt lgkmcnt(4)
	v_mov_b32_e32 v97, v94
	s_add_i32 s40, s44, s27
	v_sub_f32_e32 v40, v40, v52
	v_mov_b32_e32 v38, s40
	s_add_i32 s40, s44, s28
	v_sub_f32_e32 v74, v40, v53
	v_pk_mul_f32 v[52:53], v[48:49], v[96:97]
	v_mov_b32_e32 v46, s40
	s_add_i32 s40, s44, s21
	v_sub_f32_e32 v48, v61, v52
	v_mov_b32_e32 v40, s40
	v_sub_f32_e32 v48, v48, v53
	ds_read2_b32 v[52:53], v38 offset1:1
	ds_read2_b32 v[54:55], v46 offset1:1
	ds_read2_b32 v[56:57], v40 offset1:1
	s_add_i32 s40, s44, s18
	v_mov_b32_e32 v40, s40
	v_fma_f32 v42, -v9, v101, v86
	v_fma_f32 v38, -v9, v100, v105
	ds_read2_b32 v[96:97], v40 offset1:1
	s_add_i32 s40, s44, s16
	s_waitcnt lgkmcnt(3)
	v_fma_f32 v40, -v15, v53, v42
	v_fma_f32 v38, -v15, v52, v38
	v_mov_b32_e32 v42, s40
	s_add_i32 s40, s44, s20
	s_waitcnt lgkmcnt(2)
	v_fma_f32 v40, -v39, v55, v40
	v_mov_b32_e32 v46, s40
	s_add_i32 s40, s44, s25
	v_fma_f32 v38, -v39, v54, v38
	s_waitcnt lgkmcnt(1)
	v_fma_f32 v40, -v35, v57, v40
	v_mov_b32_e32 v50, s40
	v_fma_f32 v38, -v35, v56, v38
	ds_read2_b32 v[52:53], v42 offset1:1
	ds_read2_b32 v[54:55], v46 offset1:1
	;; [unrolled: 1-line block ×3, first 2 shown]
	s_sub_i32 s41, s4, 23
	s_add_i32 s40, s44, s24
	s_lshl_b32 s42, s41, 2
	s_waitcnt lgkmcnt(3)
	v_fma_f32 v40, -v43, v97, v40
	v_fma_f32 v38, -v43, v96, v38
	v_mov_b32_e32 v42, s40
	s_add_i32 s40, s42, s5
	ds_read2_b32 v[96:97], v42 offset1:1
	s_waitcnt lgkmcnt(3)
	v_fma_f32 v40, -v41, v53, v40
	v_fma_f32 v38, -v41, v52, v38
	v_mov_b32_e32 v42, s40
	s_waitcnt lgkmcnt(2)
	v_fma_f32 v40, -v47, v55, v40
	v_fma_f32 v38, -v47, v54, v38
	s_add_i32 s40, s42, s29
	ds_read2_b32 v[54:55], v42 offset1:1
	v_mov_b32_e32 v46, s40
	s_add_i32 s40, s42, s27
	v_mov_b32_e32 v42, s40
	s_add_i32 s40, s42, s28
	v_mov_b32_e32 v50, s40
	ds_read2_b32 v[98:99], v46 offset1:1
	ds_read2_b32 v[100:101], v42 offset1:1
	;; [unrolled: 1-line block ×3, first 2 shown]
	s_waitcnt lgkmcnt(3)
	v_fma_f32 v6, -v8, v55, v6
	s_sub_i32 s45, s4, 25
	s_waitcnt lgkmcnt(2)
	v_fma_f32 v6, -v9, v99, v6
	v_fma_f32 v38, -v45, v56, v38
	s_waitcnt lgkmcnt(1)
	v_fma_f32 v6, -v15, v101, v6
	s_add_i32 s40, s42, s21
	s_lshl_b32 s46, s45, 2
	v_fma_f32 v40, -v45, v57, v40
	v_fma_f32 v42, -v8, v54, v7
	;; [unrolled: 1-line block ×3, first 2 shown]
	s_waitcnt lgkmcnt(0)
	v_fma_f32 v38, -v39, v53, v6
	v_mov_b32_e32 v6, s40
	s_add_i32 s40, s46, s5
	v_fma_f32 v56, -v51, v97, v40
	v_fma_f32 v40, -v9, v98, v42
	v_mov_b32_e32 v42, s40
	ds_read2_b32 v[6:7], v6 offset1:1
	ds_read2_b32 v[54:55], v42 offset1:1
	s_add_i32 s40, s46, s29
	v_mov_b32_e32 v42, s40
	s_add_i32 s40, s46, s27
	v_mov_b32_e32 v46, s40
	s_add_i32 s40, s46, s28
	v_fma_f32 v40, -v15, v100, v40
	v_mov_b32_e32 v50, s40
	ds_read2_b32 v[96:97], v42 offset1:1
	ds_read2_b32 v[98:99], v46 offset1:1
	;; [unrolled: 1-line block ×3, first 2 shown]
	s_sub_i32 s40, s4, 27
	s_lshl_b32 s47, s40, 2
	s_waitcnt lgkmcnt(3)
	v_fma_f32 v4, -v8, v55, v4
	s_add_i32 s48, s47, s5
	v_fma_f32 v5, -v8, v54, v5
	s_waitcnt lgkmcnt(2)
	v_fma_f32 v4, -v9, v97, v4
	v_mov_b32_e32 v42, s48
	s_add_i32 s29, s47, s29
	s_add_i32 s48, s5, 0xfffff400
	v_fma_f32 v5, -v9, v96, v5
	ds_read2_b32 v[54:55], v42 offset1:1
	s_waitcnt lgkmcnt(2)
	v_fma_f32 v42, -v15, v99, v4
	v_mov_b32_e32 v4, s29
	s_add_i32 s29, s46, s48
	v_fma_f32 v46, -v15, v98, v5
	v_mov_b32_e32 v5, s29
	s_mul_i32 s29, s4, 0x84
	s_add_i32 s50, s29, 0xfffff31c
	v_mov_b32_e32 v50, s50
	ds_read2_b32 v[96:97], v4 offset1:1
	ds_read2_b32 v[4:5], v5 offset1:1
	ds_read_b32 v61, v50
	s_waitcnt lgkmcnt(3)
	v_fma_f32 v2, -v8, v55, v2
	s_add_i32 s27, s47, s27
	v_fma_f32 v3, -v8, v54, v3
	s_waitcnt lgkmcnt(2)
	v_fma_f32 v50, -v9, v97, v2
	v_mov_b32_e32 v2, s27
	v_fma_f32 v53, -v9, v96, v3
	ds_read2_b32 v[2:3], v2 offset1:1
	s_add_i32 s27, s47, s28
	s_add_i32 s28, s47, s21
	;; [unrolled: 1-line block ×3, first 2 shown]
	v_mov_b32_e32 v8, s27
	v_mov_b32_e32 v54, s28
	;; [unrolled: 1-line block ×3, first 2 shown]
	ds_read2_b32 v[8:9], v8 offset1:1
	ds_read2_b32 v[54:55], v54 offset1:1
	;; [unrolled: 1-line block ×3, first 2 shown]
	s_add_i32 s49, s42, s18
	s_waitcnt lgkmcnt(3)
	v_fma_f32 v3, -v15, v3, v50
	v_fma_f32 v2, -v15, v2, v53
	s_add_i32 s27, s42, s16
	v_fma_f32 v15, -v39, v52, v40
	v_fma_f32 v40, -v39, v101, v42
	;; [unrolled: 1-line block ×3, first 2 shown]
	v_mov_b32_e32 v46, s49
	s_waitcnt lgkmcnt(2)
	v_fma_f32 v50, -v39, v9, v3
	v_fma_f32 v39, -v39, v8, v2
	v_mov_b32_e32 v8, s27
	s_add_i32 s27, s42, s20
	v_mov_b32_e32 v52, s27
	ds_read2_b32 v[2:3], v46 offset1:1
	ds_read2_b32 v[8:9], v8 offset1:1
	;; [unrolled: 1-line block ×3, first 2 shown]
	v_fma_f32 v6, -v35, v6, v15
	s_add_i32 s21, s46, s21
	v_fma_f32 v7, -v35, v7, v38
	s_waitcnt lgkmcnt(2)
	v_fma_f32 v6, -v43, v2, v6
	v_mov_b32_e32 v2, s21
	v_fma_f32 v7, -v43, v3, v7
	ds_read2_b32 v[2:3], v2 offset1:1
	s_add_i32 s18, s46, s18
	s_waitcnt lgkmcnt(2)
	v_fma_f32 v46, -v41, v8, v6
	v_mov_b32_e32 v6, s18
	s_add_i32 s18, s46, s16
	v_fma_f32 v15, -v41, v9, v7
	v_mov_b32_e32 v7, s18
	s_add_i32 s18, s46, s20
	v_mov_b32_e32 v52, v36
	v_mov_b32_e32 v36, s18
	ds_read2_b32 v[8:9], v6 offset1:1
	ds_read2_b32 v[100:101], v7 offset1:1
	;; [unrolled: 1-line block ×3, first 2 shown]
	s_waitcnt lgkmcnt(3)
	v_fma_f32 v2, -v35, v2, v42
	v_fma_f32 v3, -v35, v3, v40
	s_waitcnt lgkmcnt(2)
	v_fma_f32 v2, -v43, v8, v2
	s_add_i32 s16, s47, s16
	v_mov_b32_e32 v6, v26
	v_fma_f32 v26, -v35, v55, v50
	v_fma_f32 v3, -v43, v9, v3
	v_mov_b32_e32 v55, v28
	s_waitcnt lgkmcnt(1)
	v_fma_f32 v28, -v41, v100, v2
	v_mov_b32_e32 v2, s16
	v_fma_f32 v35, -v35, v54, v39
	v_mov_b32_e32 v39, v19
	v_mov_b32_e32 v19, v20
	v_fma_f32 v20, -v41, v101, v3
	ds_read2_b32 v[2:3], v2 offset1:1
	s_add_i32 s16, s42, s25
	v_mov_b32_e32 v36, s16
	s_add_i32 s16, s47, s20
	v_add_u32_e32 v66, s20, v1
	s_add_i32 s18, s47, s25
	s_add_i32 s20, s47, s24
	v_mov_b32_e32 v8, s16
	v_fma_f32 v26, -v43, v97, v26
	v_fma_f32 v35, -v43, v96, v35
	v_mov_b32_e32 v54, v32
	v_mov_b32_e32 v32, v83
	;; [unrolled: 1-line block ×4, first 2 shown]
	ds_read2_b32 v[8:9], v8 offset1:1
	ds_read2_b32 v[42:43], v40 offset1:1
	;; [unrolled: 1-line block ×3, first 2 shown]
	s_waitcnt lgkmcnt(3)
	v_fma_f32 v26, -v41, v3, v26
	v_fma_f32 v35, -v41, v2, v35
	ds_read2_b32 v[2:3], v36 offset1:1
	s_add_i32 s16, s42, s24
	v_mov_b32_e32 v40, s16
	s_add_i32 s16, s42, s17
	s_waitcnt lgkmcnt(3)
	v_fma_f32 v50, -v47, v9, v26
	v_mov_b32_e32 v26, s16
	s_add_i32 s16, s42, s19
	ds_write_b32 v66, v47
	v_fma_f32 v36, -v47, v98, v46
	v_fma_f32 v35, -v47, v8, v35
	v_mov_b32_e32 v46, s16
	ds_read2_b32 v[8:9], v40 offset1:1
	ds_read2_b32 v[40:41], v26 offset1:1
	;; [unrolled: 1-line block ×3, first 2 shown]
	v_fma_f32 v15, -v47, v99, v15
	s_waitcnt lgkmcnt(4)
	v_fma_f32 v15, -v45, v3, v15
	v_fma_f32 v46, -v45, v2, v36
	s_add_i32 s16, s46, s25
	s_waitcnt lgkmcnt(2)
	v_fma_f32 v15, -v51, v9, v15
	v_fma_f32 v46, -v51, v8, v46
	v_mov_b32_e32 v9, v17
	v_mov_b32_e32 v17, s16
	s_add_i32 s16, s46, s24
	s_waitcnt lgkmcnt(1)
	v_fma_f32 v15, -v49, v41, v15
	v_fma_f32 v79, -v49, v40, v46
	ds_read2_b32 v[40:41], v17 offset1:1
	v_mov_b32_e32 v46, s16
	s_add_i32 s16, s46, s17
	v_add_u32_e32 v67, s25, v1
	v_mov_b32_e32 v66, s16
	s_add_i32 s16, s46, s19
	ds_write_b32 v67, v45
	v_mov_b32_e32 v80, s16
	v_fma_f32 v20, -v47, v103, v20
	v_fma_f32 v28, -v47, v102, v28
	v_mov_b32_e32 v2, v81
	ds_read2_b32 v[46:47], v46 offset1:1
	ds_read2_b32 v[66:67], v66 offset1:1
	;; [unrolled: 1-line block ×3, first 2 shown]
	s_waitcnt lgkmcnt(4)
	v_fma_f32 v20, -v45, v41, v20
	v_fma_f32 v28, -v45, v40, v28
	v_fma_f32 v40, -v45, v43, v50
	s_add_i32 s18, s44, s17
	v_add_u32_e32 v73, s17, v1
	v_mov_b32_e32 v38, v85
	s_waitcnt lgkmcnt(2)
	v_fma_f32 v20, -v51, v47, v20
	v_fma_f32 v28, -v51, v46, v28
	v_mov_b32_e32 v85, v25
	v_fma_f32 v25, -v51, v83, v40
	v_mov_b32_e32 v40, s18
	s_add_i32 s17, s47, s17
	s_waitcnt lgkmcnt(1)
	v_fma_f32 v20, -v49, v67, v20
	v_fma_f32 v28, -v49, v66, v28
	ds_read2_b32 v[66:67], v40 offset1:1
	v_mov_b32_e32 v40, s17
	ds_read2_b32 v[40:41], v40 offset1:1
	v_mov_b32_e32 v7, v88
	v_mov_b32_e32 v3, v31
	v_mov_b32_e32 v8, v89
	v_mul_f32_e32 v89, v78, v64
	v_mov_b32_e32 v88, v49
	v_pk_mul_f32 v[2:3], v[88:89], v[2:3]
	v_mov_b32_e32 v36, v87
	s_add_i32 s17, s44, s19
	v_sub_f32_e32 v2, v75, v2
	v_add_u32_e32 v65, s24, v1
	v_add_u32_e32 v14, s19, v1
	v_fma_f32 v35, -v45, v42, v35
	v_mov_b32_e32 v42, v93
	v_mov_b32_e32 v45, s17
	s_add_i32 s17, s44, s37
	s_add_i32 s18, s47, s19
	;; [unrolled: 1-line block ×3, first 2 shown]
	v_sub_f32_e32 v93, v2, v3
	v_pk_mul_f32 v[2:3], v[88:89], v[36:37]
	v_mov_b32_e32 v31, v84
	v_mov_b32_e32 v84, v95
	v_fma_f32 v35, -v51, v82, v35
	s_add_i32 s16, s33, s34
	ds_write_b32 v65, v51
	ds_write_b32 v73, v49
	s_add_i32 s20, s47, s36
	v_mov_b32_e32 v46, s18
	v_mov_b32_e32 v47, s19
	s_waitcnt lgkmcnt(2)
	v_fma_f32 v73, -v49, v41, v25
	v_mov_b32_e32 v25, s17
	s_add_i32 s17, s44, s36
	v_pk_mul_f32 v[32:33], v[88:89], v[32:33]
	v_sub_f32_e32 v2, v77, v2
	v_mov_b32_e32 v53, v90
	v_mov_b32_e32 v43, v13
	;; [unrolled: 1-line block ×3, first 2 shown]
	s_add_i32 s16, s33, s35
	v_mov_b32_e32 v65, s20
	ds_read2_b32 v[82:83], v46 offset1:1
	ds_read2_b32 v[50:51], v47 offset1:1
	;; [unrolled: 1-line block ×3, first 2 shown]
	v_fma_f32 v90, -v49, v40, v35
	v_mov_b32_e32 v35, s17
	ds_read2_b32 v[98:99], v25 offset1:1
	ds_read2_b32 v[40:41], v35 offset1:1
	;; [unrolled: 1-line block ×3, first 2 shown]
	v_sub_f32_e32 v25, v34, v32
	v_sub_f32_e32 v94, v2, v3
	v_pk_mul_f32 v[2:3], v[88:89], v[84:85]
	v_sub_f32_e32 v45, v25, v33
	v_mov_b32_e32 v25, s16
	s_add_i32 s16, s33, s30
	v_sub_f32_e32 v2, v76, v2
	v_sub_f32_e32 v84, v2, v3
	v_mov_b32_e32 v2, s16
	s_add_i32 s16, s33, s31
	v_mov_b32_e32 v3, s16
	ds_read2_b32 v[64:65], v13 offset1:1
	ds_read2_b32 v[32:33], v25 offset1:1
	;; [unrolled: 1-line block ×4, first 2 shown]
	s_add_i32 s16, s44, s34
	v_mov_b32_e32 v34, v67
	s_waitcnt lgkmcnt(4)
	v_mov_b32_e32 v35, v87
	s_waitcnt lgkmcnt(2)
	v_mov_b32_e32 v37, v33
	v_fma_f32 v33, -v89, v97, v15
	v_mov_b32_e32 v15, s16
	s_add_i32 s16, s44, s35
	v_mov_b32_e32 v26, v91
	v_fma_f32 v91, -v49, v66, v57
	v_pk_mul_f32 v[34:35], v[88:89], v[34:35]
	v_fma_f32 v49, -v89, v80, v28
	v_mov_b32_e32 v28, s16
	s_add_i32 s16, s44, s30
	v_sub_f32_e32 v13, v56, v34
	v_mov_b32_e32 v34, s16
	s_add_i32 s16, s44, s31
	v_sub_f32_e32 v67, v13, v35
	v_fma_f32 v20, -v89, v81, v20
	v_mov_b32_e32 v35, s16
	ds_write_b32 v14, v89
	v_mul_f32_e32 v81, v45, v29
	s_add_i32 s16, s44, s38
	v_mov_b32_e32 v80, v89
	v_fma_f32 v85, -v89, v96, v79
	ds_read2_b32 v[96:97], v15 offset1:1
	ds_read2_b32 v[78:79], v34 offset1:1
	;; [unrolled: 1-line block ×4, first 2 shown]
	v_mov_b32_e32 v45, s16
	s_add_i32 s16, s44, s39
	s_add_i32 s17, s5, 0xfffff600
	v_pk_mul_f32 v[28:29], v[80:81], v[54:55]
	v_mov_b32_e32 v66, s16
	s_add_i32 s16, s44, s17
	v_sub_f32_e32 v28, v44, v28
	v_mov_b32_e32 v25, v92
	v_mov_b32_e32 v57, v41
	v_fma_f32 v41, -v89, v83, v73
	v_fma_f32 v73, -v89, v82, v90
	v_sub_f32_e32 v82, v28, v29
	v_mov_b32_e32 v44, s16
	s_lshl_b32 s16, s43, 7
	v_pk_mul_f32 v[28:29], v[80:81], v[30:31]
	s_add_i32 s18, s44, s16
	v_sub_f32_e32 v28, v71, v28
	v_pk_mul_f32 v[24:25], v[80:81], v[24:25]
	v_mov_b32_e32 v55, s18
	v_sub_f32_e32 v83, v28, v29
	ds_read2_b32 v[76:77], v45 offset1:1
	ds_read2_b32 v[30:31], v66 offset1:1
	;; [unrolled: 1-line block ×3, first 2 shown]
	ds_read_b32 v66, v55
	v_pk_mul_f32 v[44:45], v[80:81], v[52:53]
	s_add_i32 s19, s46, s37
	v_sub_f32_e32 v24, v48, v24
	v_mov_b32_e32 v87, v98
	v_sub_f32_e32 v44, v74, v44
	v_sub_f32_e32 v89, v24, v25
	v_mov_b32_e32 v24, s19
	v_sub_f32_e32 v88, v44, v45
	ds_read2_b32 v[24:25], v24 offset1:1
	v_pk_mul_f32 v[44:45], v[80:81], v[86:87]
	s_add_i32 s19, s46, s36
	v_sub_f32_e32 v44, v91, v44
	v_sub_f32_e32 v80, v44, v45
	v_mov_b32_e32 v44, s19
	s_add_i32 s19, s46, s34
	s_add_i32 s18, s42, s37
	v_mov_b32_e32 v45, s19
	s_add_i32 s19, s46, s35
	v_mov_b32_e32 v71, s18
	v_mov_b32_e32 v87, s19
	ds_read2_b32 v[74:75], v44 offset1:1
	ds_read2_b32 v[52:53], v45 offset1:1
	;; [unrolled: 1-line block ×3, first 2 shown]
	s_waitcnt lgkmcnt(3)
	v_fma_f32 v20, -v81, v25, v20
	v_fma_f32 v87, -v81, v24, v49
	ds_read2_b32 v[24:25], v71 offset1:1
	s_add_i32 s18, s42, s36
	v_fma_f32 v50, -v81, v50, v73
	v_mul_f32_e32 v73, v82, v72
	v_mov_b32_e32 v72, v81
	v_mov_b32_e32 v48, s18
	s_add_i32 s18, s42, s34
	v_pk_mul_f32 v[38:39], v[72:73], v[38:39]
	v_mov_b32_e32 v86, s18
	s_add_i32 s18, s42, s35
	s_waitcnt lgkmcnt(0)
	v_fma_f32 v85, -v81, v24, v85
	v_sub_f32_e32 v24, v93, v38
	v_pk_mul_f32 v[26:27], v[72:73], v[26:27]
	v_add_u32_e32 v70, s37, v1
	v_mov_b32_e32 v49, s18
	v_fma_f32 v41, -v81, v51, v41
	v_sub_f32_e32 v51, v24, v39
	s_add_i32 s18, s42, s30
	v_sub_f32_e32 v24, v94, v26
	ds_write_b32 v70, v81
	v_sub_f32_e32 v81, v24, v27
	v_mov_b32_e32 v24, s18
	s_add_i32 s18, s42, s31
	v_pk_mul_f32 v[26:27], v[72:73], v[42:43]
	v_mov_b32_e32 v38, s18
	s_add_i32 s18, s42, s38
	v_sub_f32_e32 v26, v84, v26
	v_mov_b32_e32 v56, v99
	ds_read2_b32 v[70:71], v48 offset1:1
	ds_read2_b32 v[98:99], v86 offset1:1
	ds_read2_b32 v[48:49], v49 offset1:1
	v_sub_f32_e32 v82, v26, v27
	v_mov_b32_e32 v26, s18
	s_add_i32 s18, s42, s39
	v_mov_b32_e32 v27, s18
	v_pk_mul_f32 v[42:43], v[72:73], v[56:57]
	ds_read2_b32 v[102:103], v24 offset1:1
	ds_read2_b32 v[38:39], v38 offset1:1
	;; [unrolled: 1-line block ×4, first 2 shown]
	s_add_i32 s18, s42, s17
	v_sub_f32_e32 v24, v67, v42
	v_sub_f32_e32 v67, v24, v43
	v_mov_b32_e32 v42, s18
	s_add_i32 s18, s42, s16
	v_mov_b32_e32 v24, v25
	s_waitcnt lgkmcnt(6)
	v_mov_b32_e32 v25, v71
	v_mov_b32_e32 v43, s18
	s_add_i32 s18, s5, 0xfffff500
	v_pk_mul_f32 v[24:25], v[72:73], v[24:25]
	s_add_i32 s19, s42, s18
	v_sub_f32_e32 v24, v33, v24
	v_sub_f32_e32 v84, v24, v25
	v_mov_b32_e32 v24, s19
	s_lshl_b32 s19, s41, 7
	s_add_i32 s20, s42, s19
	v_mov_b32_e32 v33, s20
	s_add_i32 s20, s46, s30
	v_fma_f32 v75, -v73, v75, v20
	v_mov_b32_e32 v20, s20
	s_add_i32 s20, s46, s31
	v_add_u32_e32 v69, s36, v1
	v_fma_f32 v90, -v73, v47, v41
	s_add_i32 s21, s46, s38
	v_mov_b32_e32 v41, s20
	s_add_i32 s20, s46, s39
	v_fma_f32 v74, -v73, v74, v87
	ds_read2_b32 v[106:107], v42 offset1:1
	ds_read2_b32 v[42:43], v43 offset1:1
	;; [unrolled: 1-line block ×3, first 2 shown]
	ds_read_b32 v87, v33
	v_fma_f32 v91, -v73, v46, v50
	v_mov_b32_e32 v33, s21
	ds_write_b32 v69, v73
	v_mov_b32_e32 v46, s20
	v_mul_f32_e32 v57, v51, v21
	v_mov_b32_e32 v56, v73
	s_add_i32 s20, s46, s17
	ds_read2_b32 v[108:109], v20 offset1:1
	ds_read2_b32 v[110:111], v33 offset1:1
	;; [unrolled: 1-line block ×4, first 2 shown]
	v_mov_b32_e32 v33, s20
	s_add_i32 s20, s46, s16
	v_pk_mul_f32 v[18:19], v[56:57], v[18:19]
	v_mov_b32_e32 v41, s20
	v_sub_f32_e32 v18, v83, v18
	s_add_i32 s20, s46, s18
	v_pk_mul_f32 v[6:7], v[56:57], v[6:7]
	v_mov_b32_e32 v13, v64
	v_sub_f32_e32 v69, v18, v19
	v_mov_b32_e32 v18, s20
	s_add_i32 s20, s46, s19
	v_sub_f32_e32 v6, v88, v6
	v_mov_b32_e32 v19, s20
	v_sub_f32_e32 v83, v6, v7
	v_pk_mul_f32 v[6:7], v[56:57], v[12:13]
	ds_read2_b32 v[112:113], v33 offset1:1
	ds_read2_b32 v[114:115], v18 offset1:1
	;; [unrolled: 1-line block ×4, first 2 shown]
	v_sub_f32_e32 v6, v89, v6
	v_mov_b32_e32 v41, v96
	v_sub_f32_e32 v89, v6, v7
	v_pk_mul_f32 v[6:7], v[56:57], v[40:41]
	s_add_i32 s21, s47, s34
	v_sub_f32_e32 v6, v80, v6
	v_sub_f32_e32 v80, v6, v7
	v_mov_b32_e32 v6, s21
	ds_read2_b32 v[6:7], v6 offset1:1
	s_waitcnt lgkmcnt(14)
	v_mov_b32_e32 v71, v98
	v_pk_mul_f32 v[12:13], v[56:57], v[70:71]
	s_add_i32 s24, s47, s35
	s_add_i32 s27, s47, s31
	v_sub_f32_e32 v12, v85, v12
	s_add_i32 s25, s47, s30
	v_sub_f32_e32 v85, v12, v13
	v_mov_b32_e32 v13, v3
	v_mov_b32_e32 v3, s24
	;; [unrolled: 1-line block ×3, first 2 shown]
	v_mul_f32_e32 v69, v69, v68
	v_mov_b32_e32 v68, v57
	v_mov_b32_e32 v56, s25
	ds_read2_b32 v[40:41], v3 offset1:1
	ds_read2_b32 v[70:71], v56 offset1:1
	;; [unrolled: 1-line block ×3, first 2 shown]
	s_waitcnt lgkmcnt(3)
	v_fma_f32 v3, -v57, v7, v90
	v_fma_f32 v90, -v57, v6, v91
	v_pk_mul_f32 v[6:7], v[68:69], v[8:9]
	v_mov_b32_e32 v36, v65
	v_sub_f32_e32 v6, v81, v6
	v_sub_f32_e32 v8, v6, v7
	v_pk_mul_f32 v[6:7], v[68:69], v[36:37]
	v_add_u32_e32 v63, s34, v1
	v_sub_f32_e32 v6, v82, v6
	ds_write_b32 v63, v57
	v_fma_f32 v63, -v57, v52, v74
	v_sub_f32_e32 v74, v6, v7
	v_mov_b32_e32 v6, v97
	v_mov_b32_e32 v7, v35
	v_pk_mul_f32 v[6:7], v[68:69], v[6:7]
	v_add_u32_e32 v59, s30, v1
	v_sub_f32_e32 v6, v67, v6
	v_sub_f32_e32 v67, v6, v7
	v_mov_b32_e32 v6, v99
	v_mov_b32_e32 v7, v49
	v_pk_mul_f32 v[6:7], v[68:69], v[6:7]
	v_add_u32_e32 v54, s17, v1
	s_add_i32 s28, s47, s38
	s_add_i32 s30, s47, s39
	;; [unrolled: 1-line block ×3, first 2 shown]
	v_sub_f32_e32 v6, v84, v6
	v_add_u32_e32 v55, s16, v1
	v_mov_b32_e32 v9, s28
	v_sub_f32_e32 v81, v6, v7
	v_mov_b32_e32 v6, s30
	v_mov_b32_e32 v7, s17
	s_add_i32 s16, s47, s16
	v_mov_b32_e32 v35, s16
	ds_read2_b32 v[96:97], v9 offset1:1
	ds_read2_b32 v[98:99], v7 offset1:1
	;; [unrolled: 1-line block ×4, first 2 shown]
	v_mov_b32_e32 v6, v53
	v_mov_b32_e32 v7, v45
	v_pk_mul_f32 v[6:7], v[68:69], v[6:7]
	s_add_i32 s16, s47, s18
	v_sub_f32_e32 v6, v75, v6
	v_sub_f32_e32 v75, v6, v7
	v_mov_b32_e32 v6, s16
	s_add_i32 s16, s47, s19
	s_lshl_b32 s20, s45, 7
	v_mov_b32_e32 v9, s16
	s_add_i32 s16, s47, s48
	v_mov_b32_e32 v7, s16
	s_add_i32 s16, s47, s20
	v_mov_b32_e32 v12, v101
	v_mov_b32_e32 v33, v100
	s_waitcnt lgkmcnt(7)
	v_fma_f32 v82, -v69, v41, v3
	v_fma_f32 v3, -v69, v40, v90
	v_mov_b32_e32 v35, s16
	ds_read2_b32 v[90:91], v6 offset1:1
	ds_read2_b32 v[100:101], v7 offset1:1
	;; [unrolled: 1-line block ×4, first 2 shown]
	v_mov_b32_e32 v17, v10
	v_mul_f32_e32 v53, v8, v11
	v_mov_b32_e32 v52, v69
	v_pk_mul_f32 v[16:17], v[52:53], v[16:17]
	v_mov_b32_e32 v35, v78
	v_sub_f32_e32 v11, v83, v16
	v_pk_mul_f32 v[32:33], v[52:53], v[32:33]
	v_pk_mul_f32 v[34:35], v[52:53], v[34:35]
	v_mov_b32_e32 v49, v102
	v_mov_b32_e32 v45, v108
	v_sub_f32_e32 v11, v11, v17
	v_sub_f32_e32 v32, v89, v32
	;; [unrolled: 1-line block ×3, first 2 shown]
	v_pk_mul_f32 v[48:49], v[52:53], v[48:49]
	v_pk_mul_f32 v[44:45], v[52:53], v[44:45]
	v_add_u32_e32 v10, s31, v1
	v_sub_f32_e32 v83, v32, v33
	s_waitcnt lgkmcnt(4)
	v_mov_b32_e32 v32, v56
	v_sub_f32_e32 v56, v34, v35
	v_mov_b32_e32 v34, v36
	v_sub_f32_e32 v36, v85, v48
	s_waitcnt lgkmcnt(0)
	v_mov_b32_e32 v48, v40
	v_sub_f32_e32 v40, v63, v44
	v_mul_f32_e32 v63, v11, v62
	v_mov_b32_e32 v62, v53
	ds_write_b32 v10, v63
	v_pk_mul_f32 v[10:11], v[62:63], v[12:13]
	v_add_u32_e32 v58, s35, v1
	v_sub_f32_e32 v10, v74, v10
	v_sub_f32_e32 v12, v10, v11
	ds_write_b32 v58, v69
	v_sub_f32_e32 v40, v40, v45
	v_mov_b32_e32 v45, v19
	v_mov_b32_e32 v19, v4
	v_fma_f32 v4, -v53, v70, v3
	v_mov_b32_e32 v3, v22
	v_mov_b32_e32 v68, v79
	;; [unrolled: 1-line block ×3, first 2 shown]
	v_mul_f32_e32 v13, v12, v23
	v_mov_b32_e32 v12, v63
	v_mov_b32_e32 v22, v109
	;; [unrolled: 1-line block ×3, first 2 shown]
	v_pk_mul_f32 v[68:69], v[62:63], v[68:69]
	v_pk_mul_f32 v[2:3], v[12:13], v[2:3]
	v_mov_b32_e32 v10, v103
	v_mov_b32_e32 v11, v39
	v_pk_mul_f32 v[22:23], v[62:63], v[22:23]
	v_sub_f32_e32 v15, v67, v68
	v_mov_b32_e32 v39, v104
	v_sub_f32_e32 v2, v83, v2
	v_mov_b32_e32 v16, v72
	v_sub_f32_e32 v36, v36, v49
	ds_write_b32 v59, v53
	v_mov_b32_e32 v59, v24
	v_mov_b32_e32 v72, v71
	v_pk_mul_f32 v[10:11], v[62:63], v[10:11]
	v_sub_f32_e32 v24, v15, v69
	v_mov_b32_e32 v15, v76
	v_mov_b32_e32 v51, v110
	v_sub_f32_e32 v22, v75, v22
	v_pk_mul_f32 v[38:39], v[12:13], v[38:39]
	v_sub_f32_e32 v2, v2, v3
	v_add_u32_e32 v65, s38, v1
	v_mov_b32_e32 v17, v96
	v_pk_mul_f32 v[70:71], v[62:63], v[72:73]
	v_mov_b32_e32 v62, v30
	v_mov_b32_e32 v30, v77
	v_sub_f32_e32 v10, v81, v10
	v_pk_mul_f32 v[14:15], v[12:13], v[14:15]
	v_sub_f32_e32 v36, v36, v38
	v_sub_f32_e32 v38, v22, v23
	v_pk_mul_f32 v[22:23], v[12:13], v[50:51]
	v_mul_f32_e32 v3, v2, v60
	v_mov_b32_e32 v2, v13
	v_mov_b32_e32 v63, v28
	;; [unrolled: 1-line block ×4, first 2 shown]
	v_sub_f32_e32 v28, v10, v11
	v_mov_b32_e32 v10, v111
	v_mov_b32_e32 v11, v21
	v_sub_f32_e32 v14, v56, v14
	v_sub_f32_e32 v22, v40, v22
	ds_write_b32 v65, v13
	v_pk_mul_f32 v[30:31], v[2:3], v[30:31]
	v_mov_b32_e32 v56, v97
	v_pk_mul_f32 v[12:13], v[12:13], v[16:17]
	v_sub_f32_e32 v24, v24, v30
	v_sub_f32_e32 v30, v14, v15
	v_pk_mul_f32 v[14:15], v[2:3], v[26:27]
	v_pk_mul_f32 v[10:11], v[2:3], v[10:11]
	v_sub_f32_e32 v27, v22, v23
	v_pk_mul_f32 v[22:23], v[2:3], v[56:57]
	v_sub_f32_e32 v2, v4, v12
	v_sub_f32_e32 v4, v2, v13
	;; [unrolled: 1-line block ×3, first 2 shown]
	v_add_u32_e32 v64, s39, v1
	v_mul_f32_e32 v13, v2, v29
	v_mov_b32_e32 v12, v3
	ds_write_b32 v64, v3
	v_pk_mul_f32 v[2:3], v[12:13], v[62:63]
	v_mov_b32_e32 v69, v106
	v_sub_f32_e32 v14, v28, v14
	v_sub_f32_e32 v2, v30, v2
	v_mov_b32_e32 v21, v112
	v_sub_f32_e32 v67, v82, v70
	v_sub_f32_e32 v26, v36, v39
	;; [unrolled: 1-line block ×4, first 2 shown]
	v_pk_mul_f32 v[14:15], v[12:13], v[68:69]
	v_sub_f32_e32 v2, v2, v3
	v_mov_b32_e32 v33, v98
	v_mov_b32_e32 v58, v42
	;; [unrolled: 1-line block ×3, first 2 shown]
	v_sub_f32_e32 v40, v67, v71
	v_sub_f32_e32 v14, v26, v14
	;; [unrolled: 1-line block ×3, first 2 shown]
	v_pk_mul_f32 v[10:11], v[12:13], v[20:21]
	v_mul_f32_e32 v3, v2, v66
	v_mov_b32_e32 v2, v13
	v_mov_b32_e32 v52, v113
	;; [unrolled: 1-line block ×3, first 2 shown]
	v_sub_f32_e32 v22, v40, v22
	v_sub_f32_e32 v10, v27, v10
	ds_write_b32 v54, v13
	v_pk_mul_f32 v[16:17], v[2:3], v[42:43]
	v_mov_b32_e32 v36, v99
	v_pk_mul_f32 v[12:13], v[12:13], v[32:33]
	v_sub_f32_e32 v20, v22, v23
	v_sub_f32_e32 v16, v24, v16
	;; [unrolled: 1-line block ×3, first 2 shown]
	v_pk_mul_f32 v[14:15], v[2:3], v[52:53]
	v_sub_f32_e32 v22, v10, v11
	v_pk_mul_f32 v[10:11], v[2:3], v[36:37]
	v_sub_f32_e32 v2, v4, v12
	v_sub_f32_e32 v4, v2, v13
	;; [unrolled: 1-line block ×3, first 2 shown]
	v_mul_f32_e32 v13, v2, v25
	v_mov_b32_e32 v12, v3
	ds_write_b32 v55, v3
	v_pk_mul_f32 v[2:3], v[12:13], v[58:59]
	v_mov_b32_e32 v47, v114
	v_sub_f32_e32 v2, v21, v2
	v_sub_f32_e32 v14, v26, v14
	;; [unrolled: 1-line block ×3, first 2 shown]
	v_add_u32_e32 v86, s18, v1
	v_mov_b32_e32 v35, v90
	v_mov_b32_e32 v44, v115
	v_sub_f32_e32 v10, v20, v10
	v_sub_f32_e32 v16, v14, v15
	v_pk_mul_f32 v[14:15], v[12:13], v[46:47]
	v_mul_f32_e32 v3, v2, v87
	v_mov_b32_e32 v2, v13
	v_sub_f32_e32 v14, v22, v14
	v_sub_f32_e32 v17, v10, v11
	ds_write_b32 v86, v13
	v_pk_mul_f32 v[10:11], v[2:3], v[44:45]
	v_mov_b32_e32 v40, v91
	v_pk_mul_f32 v[12:13], v[12:13], v[34:35]
	v_sub_f32_e32 v10, v16, v10
	v_sub_f32_e32 v16, v14, v15
	v_pk_mul_f32 v[14:15], v[2:3], v[40:41]
	v_sub_f32_e32 v2, v4, v12
	v_sub_f32_e32 v12, v2, v13
	;; [unrolled: 1-line block ×3, first 2 shown]
	v_add_u32_e32 v92, s19, v1
	s_addk_i32 s5, 0xf300
	v_mul_f32_e32 v5, v2, v5
	v_mov_b32_e32 v4, v3
	v_add_u32_e32 v94, s5, v1
	s_add_i32 s5, s47, s5
	ds_write_b32 v92, v3
	v_pk_mul_f32 v[2:3], v[4:5], v[18:19]
	v_mov_b32_e32 v8, s5
	v_sub_f32_e32 v2, v16, v2
	v_add_u32_e32 v88, s48, v1
	ds_read2_b32 v[8:9], v8 offset1:1
	v_mov_b32_e32 v49, v100
	v_sub_f32_e32 v2, v2, v3
	v_sub_f32_e32 v14, v17, v14
	ds_write_b32 v88, v5
	v_mul_f32_e32 v3, v2, v61
	v_mov_b32_e32 v2, v5
	v_mov_b32_e32 v10, v101
	;; [unrolled: 1-line block ×3, first 2 shown]
	v_pk_mul_f32 v[4:5], v[4:5], v[48:49]
	v_sub_f32_e32 v13, v14, v15
	v_pk_mul_f32 v[10:11], v[2:3], v[10:11]
	v_sub_f32_e32 v4, v12, v4
	s_add_i32 s5, s29, 0xfffff214
	v_sub_f32_e32 v2, v13, v10
	v_sub_f32_e32 v10, v4, v5
	v_mov_b32_e32 v4, s5
	v_sub_f32_e32 v2, v2, v11
	ds_read_b32 v11, v4
	v_add_u32_e32 v93, s20, v1
	s_waitcnt lgkmcnt(2)
	v_mul_f32_e32 v5, v2, v9
	v_mov_b32_e32 v4, v3
	v_mov_b32_e32 v7, v8
	ds_write_b32 v93, v3
	v_pk_mul_f32 v[2:3], v[4:5], v[6:7]
	s_sub_i32 s4, s4, 28
	v_sub_f32_e32 v2, v10, v2
	v_sub_f32_e32 v2, v2, v3
	s_waitcnt lgkmcnt(1)
	v_mul_f32_e32 v2, v2, v11
	v_lshl_add_u32 v3, s40, 7, v1
	ds_write_b32 v94, v5
	ds_write_b32 v3, v2
.LBB36_59:
	s_cmp_lt_i32 s4, 0
	s_cbranch_scc1 .LBB36_76
; %bb.60:
	s_and_b32 s5, s4, 3
	s_cmp_eq_u32 s5, 3
	s_mov_b32 s5, s4
	s_cbranch_scc1 .LBB36_65
; %bb.61:
	s_add_i32 s5, s4, 1
	s_and_b32 s16, s5, 3
	s_lshl_b32 s5, s26, 7
	s_lshl_b32 s17, s4, 2
	s_add_i32 s17, s5, s17
	v_lshl_or_b32 v2, v0, 2, s5
	s_addk_i32 s17, 0xff80
	v_add_u32_e32 v3, 0xf80, v2
	s_mov_b32 s18, 0
	s_mov_b32 s5, s4
	s_branch .LBB36_63
.LBB36_62:                              ;   in Loop: Header=BB36_63 Depth=1
	s_mul_i32 s19, s5, 0x84
	v_mov_b32_e32 v5, s19
	ds_read_b32 v5, v5
	s_add_i32 s5, s5, -1
	s_add_i32 s18, s18, 1
	s_add_i32 s17, s17, -4
	s_cmp_lg_u32 s18, s16
	s_waitcnt lgkmcnt(0)
	v_mul_f32_e32 v2, v2, v5
	ds_write_b32 v4, v2
	s_cbranch_scc0 .LBB36_65
.LBB36_63:                              ; =>This Loop Header: Depth=1
                                        ;     Child Loop BB36_64 Depth 2
	s_lshl_b32 s19, s5, 7
	v_add_u32_e32 v4, s19, v1
	ds_read_b32 v2, v4
	s_cmp_le_i32 s7, s5
	v_mov_b32_e32 v5, v3
	s_mov_b32 s19, s17
	s_mov_b32 s20, s7
	s_cbranch_scc1 .LBB36_62
.LBB36_64:                              ;   Parent Loop BB36_63 Depth=1
                                        ; =>  This Inner Loop Header: Depth=2
	v_mov_b32_e32 v7, s19
	ds_read_b32 v6, v5
	ds_read_b32 v7, v7
	s_add_i32 s20, s20, -1
	s_addk_i32 s19, 0xff80
	v_add_u32_e32 v5, 0xffffff80, v5
	s_cmp_gt_i32 s20, s5
	s_waitcnt lgkmcnt(0)
	v_fma_f32 v2, -v6, v7, v2
	s_cbranch_scc1 .LBB36_64
	s_branch .LBB36_62
.LBB36_65:
	s_cmp_lt_u32 s4, 3
	s_cbranch_scc1 .LBB36_76
; %bb.66:
	s_lshl_b32 s16, s26, 7
	s_lshl_b32 s4, s5, 2
	s_add_i32 s18, s16, s4
	v_lshl_or_b32 v2, v0, 2, s16
	s_add_i32 s4, s18, 0xffffff80
	v_add_u32_e32 v3, 0xf80, v2
	s_add_i32 s16, s18, 0xffffff7c
	s_add_i32 s17, s18, 0xffffff78
	s_addk_i32 s18, 0xff74
	s_branch .LBB36_68
.LBB36_67:                              ;   in Loop: Header=BB36_68 Depth=1
	s_addk_i32 s19, 0xff7c
	v_mov_b32_e32 v2, s19
	ds_read_b32 v2, v2
	s_add_i32 s19, s5, -4
	s_add_i32 s4, s4, -16
	;; [unrolled: 1-line block ×5, first 2 shown]
	s_waitcnt lgkmcnt(0)
	v_mul_f32_e32 v2, v4, v2
	s_cmp_lt_i32 s5, 4
	s_mov_b32 s5, s19
	ds_write_b32 v5, v2
	s_cbranch_scc1 .LBB36_76
.LBB36_68:                              ; =>This Loop Header: Depth=1
                                        ;     Child Loop BB36_69 Depth 2
                                        ;     Child Loop BB36_71 Depth 2
	;; [unrolled: 1-line block ×4, first 2 shown]
	s_lshl_b32 s20, s5, 7
	v_add_u32_e32 v6, s20, v1
	ds_read_b32 v2, v6
	s_cmp_le_i32 s7, s5
	v_mov_b32_e32 v4, v3
	s_mov_b32 s19, s4
	s_mov_b32 s21, s7
	s_cbranch_scc1 .LBB36_70
.LBB36_69:                              ;   Parent Loop BB36_68 Depth=1
                                        ; =>  This Inner Loop Header: Depth=2
	v_mov_b32_e32 v7, s19
	ds_read_b32 v5, v4
	ds_read_b32 v7, v7
	s_add_i32 s21, s21, -1
	s_addk_i32 s19, 0xff80
	v_add_u32_e32 v4, 0xffffff80, v4
	s_cmp_gt_i32 s21, s5
	s_waitcnt lgkmcnt(0)
	v_fma_f32 v2, -v5, v7, v2
	s_cbranch_scc1 .LBB36_69
.LBB36_70:                              ;   in Loop: Header=BB36_68 Depth=1
	s_mul_i32 s19, s5, 0x84
	v_mov_b32_e32 v4, s19
	ds_read_b32 v7, v4
	s_addk_i32 s20, 0xff80
	v_add_u32_e32 v5, s20, v1
	ds_read_b32 v4, v5
	s_cmp_le_i32 s26, s5
	s_waitcnt lgkmcnt(1)
	v_mul_f32_e32 v2, v2, v7
	ds_write_b32 v6, v2
	v_mov_b32_e32 v2, v3
	s_mov_b32 s20, s16
	s_mov_b32 s21, s26
	s_cbranch_scc1 .LBB36_72
.LBB36_71:                              ;   Parent Loop BB36_68 Depth=1
                                        ; =>  This Inner Loop Header: Depth=2
	v_mov_b32_e32 v7, s20
	ds_read_b32 v6, v2
	ds_read_b32 v7, v7
	s_add_i32 s21, s21, -1
	s_addk_i32 s20, 0xff80
	v_add_u32_e32 v2, 0xffffff80, v2
	s_cmp_gt_i32 s21, s5
	s_waitcnt lgkmcnt(0)
	v_fma_f32 v4, -v6, v7, v4
	s_cbranch_scc1 .LBB36_71
.LBB36_72:                              ;   in Loop: Header=BB36_68 Depth=1
	s_addk_i32 s19, 0xff7c
	v_mov_b32_e32 v2, s19
	s_add_i32 s20, s5, -2
	ds_read_b32 v7, v2
	s_lshl_b32 s21, s20, 7
	v_add_u32_e32 v6, s21, v1
	ds_read_b32 v2, v6
	s_cmp_le_i32 s7, s20
	s_waitcnt lgkmcnt(1)
	v_mul_f32_e32 v4, v4, v7
	ds_write_b32 v5, v4
	v_mov_b32_e32 v4, v3
	s_mov_b32 s21, s17
	s_mov_b32 s24, s7
	s_cbranch_scc1 .LBB36_74
.LBB36_73:                              ;   Parent Loop BB36_68 Depth=1
                                        ; =>  This Inner Loop Header: Depth=2
	v_mov_b32_e32 v7, s21
	ds_read_b32 v5, v4
	ds_read_b32 v7, v7
	s_add_i32 s24, s24, -1
	s_addk_i32 s21, 0xff80
	v_add_u32_e32 v4, 0xffffff80, v4
	s_cmp_gt_i32 s24, s20
	s_waitcnt lgkmcnt(0)
	v_fma_f32 v2, -v5, v7, v2
	s_cbranch_scc1 .LBB36_73
.LBB36_74:                              ;   in Loop: Header=BB36_68 Depth=1
	s_addk_i32 s19, 0xff7c
	v_mov_b32_e32 v4, s19
	s_add_i32 s20, s5, -3
	ds_read_b32 v7, v4
	s_lshl_b32 s21, s20, 7
	v_add_u32_e32 v5, s21, v1
	ds_read_b32 v4, v5
	s_cmp_le_i32 s7, s20
	s_waitcnt lgkmcnt(1)
	v_mul_f32_e32 v2, v2, v7
	ds_write_b32 v6, v2
	v_mov_b32_e32 v2, v3
	s_mov_b32 s21, s18
	s_mov_b32 s24, s7
	s_cbranch_scc1 .LBB36_67
.LBB36_75:                              ;   Parent Loop BB36_68 Depth=1
                                        ; =>  This Inner Loop Header: Depth=2
	v_mov_b32_e32 v7, s21
	ds_read_b32 v6, v2
	ds_read_b32 v7, v7
	s_add_i32 s24, s24, -1
	s_addk_i32 s21, 0xff80
	v_add_u32_e32 v2, 0xffffff80, v2
	s_cmp_gt_i32 s24, s20
	s_waitcnt lgkmcnt(0)
	v_fma_f32 v4, -v6, v7, v4
	s_cbranch_scc1 .LBB36_75
	s_branch .LBB36_67
.LBB36_76:
	s_waitcnt lgkmcnt(0)
	; wave barrier
	s_and_saveexec_b64 s[4:5], s[0:1]
	s_cbranch_execz .LBB36_85
; %bb.77:
	s_andn2_b64 vcc, exec, s[14:15]
	s_cbranch_vccnz .LBB36_85
; %bb.78:
	s_cmp_eq_u32 s6, 1
	s_cbranch_scc1 .LBB36_82
; %bb.79:
	v_mad_i64_i32 v[2:3], s[0:1], s22, v0, 0
	v_lshl_add_u64 v[2:3], v[2:3], 2, s[2:3]
	s_and_b32 s2, s26, 62
	s_mov_b32 s0, 1
	s_mov_b32 s1, 0
	;; [unrolled: 1-line block ×3, first 2 shown]
.LBB36_80:                              ; =>This Inner Loop Header: Depth=1
	v_lshl_add_u32 v4, s1, 7, v1
	v_lshl_add_u32 v5, s0, 7, v1
	ds_read_b32 v4, v4
	ds_read_b32 v5, v5
	s_add_i32 s1, s1, 2
	s_add_i32 s0, s0, 2
	s_add_i32 s3, s3, -2
	s_cmp_lg_u32 s3, 0
	s_waitcnt lgkmcnt(0)
	flat_store_dwordx2 v[2:3], v[4:5]
	v_lshl_add_u64 v[2:3], v[2:3], 0, 8
	s_cbranch_scc1 .LBB36_80
; %bb.81:
	s_cmp_lg_u32 s26, s2
	s_cselect_b64 s[0:1], -1, 0
	s_and_b64 vcc, exec, s[0:1]
	s_cbranch_vccnz .LBB36_83
	s_branch .LBB36_85
.LBB36_82:
	s_mov_b32 s2, 0
	s_cbranch_execz .LBB36_85
.LBB36_83:
	s_sub_i32 s0, s26, s2
	s_lshl_b32 s1, s2, 2
	s_add_u32 s1, s8, s1
	s_addc_u32 s3, s9, 0
	s_add_u32 s4, s1, s10
	v_lshlrev_b32_e32 v2, 2, v0
	v_mov_b32_e32 v3, 0
	s_addc_u32 s5, s3, s11
	v_lshl_add_u64 v[4:5], s[12:13], 2, v[2:3]
	v_mov_b64_e32 v[0:1], s[4:5]
	v_mad_u64_u32 v[0:1], s[4:5], v4, s22, v[0:1]
	v_mul_lo_u32 v3, v4, s23
	v_mul_lo_u32 v4, v5, s22
	v_lshl_or_b32 v2, s2, 7, v2
	v_add3_u32 v1, v4, v1, v3
	v_add_u32_e32 v2, 0x1000, v2
.LBB36_84:                              ; =>This Inner Loop Header: Depth=1
	ds_read_b32 v3, v2
	s_add_i32 s0, s0, -1
	v_add_u32_e32 v2, 0x80, v2
	s_cmp_lg_u32 s0, 0
	s_waitcnt lgkmcnt(0)
	flat_store_dword v[0:1], v3
	v_lshl_add_u64 v[0:1], v[0:1], 0, 4
	s_cbranch_scc1 .LBB36_84
.LBB36_85:
	s_endpgm
	.section	.rodata,"a",@progbits
	.p2align	6, 0x0
	.amdhsa_kernel _ZL38rocblas_trsm_small_left_device_sharedBILi32ELi32ELb0EffPKPKfPKPfEv13rocblas_fill_18rocblas_operation_17rocblas_diagonal_iiT3_T4_lilT5_lili
		.amdhsa_group_segment_fixed_size 8192
		.amdhsa_private_segment_fixed_size 0
		.amdhsa_kernarg_size 352
		.amdhsa_user_sgpr_count 2
		.amdhsa_user_sgpr_dispatch_ptr 0
		.amdhsa_user_sgpr_queue_ptr 0
		.amdhsa_user_sgpr_kernarg_segment_ptr 1
		.amdhsa_user_sgpr_dispatch_id 0
		.amdhsa_user_sgpr_kernarg_preload_length 0
		.amdhsa_user_sgpr_kernarg_preload_offset 0
		.amdhsa_user_sgpr_private_segment_size 0
		.amdhsa_uses_dynamic_stack 0
		.amdhsa_enable_private_segment 0
		.amdhsa_system_sgpr_workgroup_id_x 1
		.amdhsa_system_sgpr_workgroup_id_y 0
		.amdhsa_system_sgpr_workgroup_id_z 1
		.amdhsa_system_sgpr_workgroup_info 0
		.amdhsa_system_vgpr_workitem_id 0
		.amdhsa_next_free_vgpr 131
		.amdhsa_next_free_sgpr 96
		.amdhsa_accum_offset 132
		.amdhsa_reserve_vcc 1
		.amdhsa_float_round_mode_32 0
		.amdhsa_float_round_mode_16_64 0
		.amdhsa_float_denorm_mode_32 3
		.amdhsa_float_denorm_mode_16_64 3
		.amdhsa_dx10_clamp 1
		.amdhsa_ieee_mode 1
		.amdhsa_fp16_overflow 0
		.amdhsa_tg_split 0
		.amdhsa_exception_fp_ieee_invalid_op 0
		.amdhsa_exception_fp_denorm_src 0
		.amdhsa_exception_fp_ieee_div_zero 0
		.amdhsa_exception_fp_ieee_overflow 0
		.amdhsa_exception_fp_ieee_underflow 0
		.amdhsa_exception_fp_ieee_inexact 0
		.amdhsa_exception_int_div_zero 0
	.end_amdhsa_kernel
	.section	.text._ZL38rocblas_trsm_small_left_device_sharedBILi32ELi32ELb0EffPKPKfPKPfEv13rocblas_fill_18rocblas_operation_17rocblas_diagonal_iiT3_T4_lilT5_lili,"axG",@progbits,_ZL38rocblas_trsm_small_left_device_sharedBILi32ELi32ELb0EffPKPKfPKPfEv13rocblas_fill_18rocblas_operation_17rocblas_diagonal_iiT3_T4_lilT5_lili,comdat
.Lfunc_end36:
	.size	_ZL38rocblas_trsm_small_left_device_sharedBILi32ELi32ELb0EffPKPKfPKPfEv13rocblas_fill_18rocblas_operation_17rocblas_diagonal_iiT3_T4_lilT5_lili, .Lfunc_end36-_ZL38rocblas_trsm_small_left_device_sharedBILi32ELi32ELb0EffPKPKfPKPfEv13rocblas_fill_18rocblas_operation_17rocblas_diagonal_iiT3_T4_lilT5_lili
                                        ; -- End function
	.set _ZL38rocblas_trsm_small_left_device_sharedBILi32ELi32ELb0EffPKPKfPKPfEv13rocblas_fill_18rocblas_operation_17rocblas_diagonal_iiT3_T4_lilT5_lili.num_vgpr, 131
	.set _ZL38rocblas_trsm_small_left_device_sharedBILi32ELi32ELb0EffPKPKfPKPfEv13rocblas_fill_18rocblas_operation_17rocblas_diagonal_iiT3_T4_lilT5_lili.num_agpr, 0
	.set _ZL38rocblas_trsm_small_left_device_sharedBILi32ELi32ELb0EffPKPKfPKPfEv13rocblas_fill_18rocblas_operation_17rocblas_diagonal_iiT3_T4_lilT5_lili.numbered_sgpr, 51
	.set _ZL38rocblas_trsm_small_left_device_sharedBILi32ELi32ELb0EffPKPKfPKPfEv13rocblas_fill_18rocblas_operation_17rocblas_diagonal_iiT3_T4_lilT5_lili.num_named_barrier, 0
	.set _ZL38rocblas_trsm_small_left_device_sharedBILi32ELi32ELb0EffPKPKfPKPfEv13rocblas_fill_18rocblas_operation_17rocblas_diagonal_iiT3_T4_lilT5_lili.private_seg_size, 0
	.set _ZL38rocblas_trsm_small_left_device_sharedBILi32ELi32ELb0EffPKPKfPKPfEv13rocblas_fill_18rocblas_operation_17rocblas_diagonal_iiT3_T4_lilT5_lili.uses_vcc, 1
	.set _ZL38rocblas_trsm_small_left_device_sharedBILi32ELi32ELb0EffPKPKfPKPfEv13rocblas_fill_18rocblas_operation_17rocblas_diagonal_iiT3_T4_lilT5_lili.uses_flat_scratch, 0
	.set _ZL38rocblas_trsm_small_left_device_sharedBILi32ELi32ELb0EffPKPKfPKPfEv13rocblas_fill_18rocblas_operation_17rocblas_diagonal_iiT3_T4_lilT5_lili.has_dyn_sized_stack, 0
	.set _ZL38rocblas_trsm_small_left_device_sharedBILi32ELi32ELb0EffPKPKfPKPfEv13rocblas_fill_18rocblas_operation_17rocblas_diagonal_iiT3_T4_lilT5_lili.has_recursion, 0
	.set _ZL38rocblas_trsm_small_left_device_sharedBILi32ELi32ELb0EffPKPKfPKPfEv13rocblas_fill_18rocblas_operation_17rocblas_diagonal_iiT3_T4_lilT5_lili.has_indirect_call, 0
	.section	.AMDGPU.csdata,"",@progbits
; Kernel info:
; codeLenInByte = 18896
; TotalNumSgprs: 57
; NumVgprs: 131
; NumAgprs: 0
; TotalNumVgprs: 131
; ScratchSize: 0
; MemoryBound: 0
; FloatMode: 240
; IeeeMode: 1
; LDSByteSize: 8192 bytes/workgroup (compile time only)
; SGPRBlocks: 12
; VGPRBlocks: 16
; NumSGPRsForWavesPerEU: 102
; NumVGPRsForWavesPerEU: 131
; AccumOffset: 132
; Occupancy: 3
; WaveLimiterHint : 0
; COMPUTE_PGM_RSRC2:SCRATCH_EN: 0
; COMPUTE_PGM_RSRC2:USER_SGPR: 2
; COMPUTE_PGM_RSRC2:TRAP_HANDLER: 0
; COMPUTE_PGM_RSRC2:TGID_X_EN: 1
; COMPUTE_PGM_RSRC2:TGID_Y_EN: 0
; COMPUTE_PGM_RSRC2:TGID_Z_EN: 1
; COMPUTE_PGM_RSRC2:TIDIG_COMP_CNT: 0
; COMPUTE_PGM_RSRC3_GFX90A:ACCUM_OFFSET: 32
; COMPUTE_PGM_RSRC3_GFX90A:TG_SPLIT: 0
	.section	.text._ZL30rocblas_trsm_small_left_deviceILi32ELi32ELb0EffPKPKfPKPfEv13rocblas_fill_18rocblas_operation_17rocblas_diagonal_iiT3_T4_lilT5_lili,"axG",@progbits,_ZL30rocblas_trsm_small_left_deviceILi32ELi32ELb0EffPKPKfPKPfEv13rocblas_fill_18rocblas_operation_17rocblas_diagonal_iiT3_T4_lilT5_lili,comdat
	.globl	_ZL30rocblas_trsm_small_left_deviceILi32ELi32ELb0EffPKPKfPKPfEv13rocblas_fill_18rocblas_operation_17rocblas_diagonal_iiT3_T4_lilT5_lili ; -- Begin function _ZL30rocblas_trsm_small_left_deviceILi32ELi32ELb0EffPKPKfPKPfEv13rocblas_fill_18rocblas_operation_17rocblas_diagonal_iiT3_T4_lilT5_lili
	.p2align	8
	.type	_ZL30rocblas_trsm_small_left_deviceILi32ELi32ELb0EffPKPKfPKPfEv13rocblas_fill_18rocblas_operation_17rocblas_diagonal_iiT3_T4_lilT5_lili,@function
_ZL30rocblas_trsm_small_left_deviceILi32ELi32ELb0EffPKPKfPKPfEv13rocblas_fill_18rocblas_operation_17rocblas_diagonal_iiT3_T4_lilT5_lili: ; @_ZL30rocblas_trsm_small_left_deviceILi32ELi32ELb0EffPKPKfPKPfEv13rocblas_fill_18rocblas_operation_17rocblas_diagonal_iiT3_T4_lilT5_lili
; %bb.0:
	s_load_dwordx4 s[8:11], s[0:1], 0x38
	s_load_dwordx4 s[4:7], s[0:1], 0x4
	s_load_dword s16, s[0:1], 0x14
	s_mov_b32 s20, s3
	s_mov_b32 s21, 0
	s_lshl_b64 s[24:25], s[20:21], 3
	s_waitcnt lgkmcnt(0)
	s_add_u32 s8, s8, s24
	s_addc_u32 s9, s9, s25
	s_load_dwordx2 s[8:9], s[8:9], 0x0
	s_min_i32 s17, s6, 32
	v_cmp_gt_i32_e32 vcc, s17, v0
	s_and_saveexec_b64 s[18:19], vcc
	s_cbranch_execz .LBB37_11
; %bb.1:
	s_load_dwordx4 s[12:15], s[0:1], 0x18
	s_load_dword s22, s[0:1], 0x28
	v_lshlrev_b32_e32 v2, 2, v0
	v_mov_b32_e32 v3, 0
	s_mov_b32 s3, 1
	s_waitcnt lgkmcnt(0)
	s_add_u32 s12, s12, s24
	s_addc_u32 s13, s13, s25
	s_load_dwordx2 s[12:13], s[12:13], 0x0
	s_cmp_lt_u32 s17, 2
	s_cselect_b64 s[26:27], -1, 0
	s_cmp_lg_u32 s22, 1
	s_cselect_b64 s[28:29], -1, 0
	s_or_b64 s[26:27], s[26:27], s[28:29]
	s_mov_b64 s[24:25], -1
	s_and_b64 vcc, exec, s[26:27]
	s_cbranch_vccnz .LBB37_5
; %bb.2:
	s_lshl_b64 s[20:21], s[14:15], 2
	s_waitcnt lgkmcnt(0)
	s_add_u32 s20, s12, s20
	s_addc_u32 s21, s13, s21
	v_lshl_add_u64 v[4:5], s[20:21], 0, v[2:3]
	s_and_b32 s21, s17, -2
	s_mov_b32 s20, 0
	s_mov_b32 s23, s21
.LBB37_3:                               ; =>This Inner Loop Header: Depth=1
	flat_load_dwordx2 v[6:7], v[4:5]
	v_lshl_or_b32 v1, s20, 7, v2
	v_lshl_or_b32 v3, s3, 7, v2
	s_add_i32 s20, s20, 2
	s_add_i32 s3, s3, 2
	s_add_i32 s23, s23, -2
	v_lshl_add_u64 v[4:5], v[4:5], 0, 8
	s_cmp_lg_u32 s23, 0
	s_waitcnt vmcnt(0) lgkmcnt(0)
	ds_write_b32 v1, v6
	ds_write_b32 v3, v7
	s_cbranch_scc1 .LBB37_3
; %bb.4:
	s_cmp_lg_u32 s17, s21
	s_cselect_b64 s[24:25], -1, 0
.LBB37_5:
	s_and_b64 vcc, exec, s[24:25]
	s_cbranch_vccz .LBB37_8
; %bb.6:
	s_ashr_i32 s23, s22, 31
	s_mul_hi_u32 s3, s22, s21
	s_mul_i32 s20, s23, s21
	s_add_i32 s25, s3, s20
	s_mul_i32 s24, s22, s21
	s_lshl_b64 s[24:25], s[24:25], 2
	s_lshl_b64 s[14:15], s[14:15], 2
	s_add_u32 s3, s24, s14
	s_addc_u32 s14, s25, s15
	s_waitcnt lgkmcnt(0)
	s_add_u32 s12, s12, s3
	v_mov_b32_e32 v3, 0
	s_addc_u32 s13, s13, s14
	v_lshl_add_u64 v[4:5], s[12:13], 0, v[2:3]
	s_lshl_b64 s[12:13], s[22:23], 2
	s_sub_i32 s3, s17, s21
	v_lshl_or_b32 v1, s21, 7, v2
.LBB37_7:                               ; =>This Inner Loop Header: Depth=1
	flat_load_dword v3, v[4:5]
	s_add_i32 s3, s3, -1
	v_lshl_add_u64 v[4:5], v[4:5], 0, s[12:13]
	s_cmp_eq_u32 s3, 0
	s_waitcnt vmcnt(0) lgkmcnt(0)
	ds_write_b32 v1, v3
	v_add_u32_e32 v1, 0x80, v1
	s_cbranch_scc0 .LBB37_7
.LBB37_8:
	v_lshlrev_b32_e32 v1, 7, v0
	s_cmpk_lg_i32 s5, 0x84
	v_mov_b32_e32 v3, 1.0
	v_add_u32_e32 v1, v2, v1
	s_cbranch_scc0 .LBB37_10
; %bb.9:
	ds_read_b32 v2, v1
	s_waitcnt lgkmcnt(0)
	v_div_scale_f32 v3, s[12:13], v2, v2, 1.0
	v_rcp_f32_e32 v4, v3
	v_div_scale_f32 v5, vcc, 1.0, v2, 1.0
	v_fma_f32 v6, -v3, v4, 1.0
	v_fmac_f32_e32 v4, v6, v4
	v_mul_f32_e32 v6, v5, v4
	v_fma_f32 v7, -v3, v6, v5
	v_fmac_f32_e32 v6, v7, v4
	v_fma_f32 v3, -v3, v6, v5
	v_div_fmas_f32 v3, v3, v4, v6
	v_div_fixup_f32 v3, v3, v2, 1.0
.LBB37_10:
	ds_write_b32 v1, v3
.LBB37_11:
	s_or_b64 exec, exec, s[18:19]
	s_load_dword s3, s[0:1], 0x60
	s_waitcnt lgkmcnt(0)
	; wave barrier
	s_add_i32 s5, s3, -1
	s_lshl_b32 s3, s2, 5
	s_sub_i32 s7, s7, s3
	s_cmp_ge_u32 s2, s5
	s_cselect_b32 s2, s7, 32
	v_cmp_gt_i32_e32 vcc, s2, v0
	s_and_saveexec_b64 s[12:13], vcc
	s_cbranch_execz .LBB37_72
; %bb.12:
	s_load_dword s2, s[0:1], 0x48
	s_lshl_b64 s[0:1], s[10:11], 2
	s_add_u32 s0, s8, s0
	v_add_u32_e32 v0, s3, v0
	s_addc_u32 s1, s9, s1
	s_waitcnt lgkmcnt(0)
	v_mad_i64_i32 v[0:1], s[2:3], s2, v0, 0
	v_lshl_add_u64 v[32:33], v[0:1], 2, s[0:1]
	s_cmpk_eq_i32 s4, 0x6f
	s_mov_b64 s[0:1], -1
	s_cbranch_scc1 .LBB37_38
; %bb.13:
	s_cmp_lt_i32 s6, 32
	s_cselect_b64 s[4:5], -1, 0
	s_cmp_gt_i32 s6, 31
	s_cbranch_scc0 .LBB37_23
; %bb.14:
	flat_load_dwordx4 v[0:3], v[32:33] offset:112
	flat_load_dwordx4 v[4:7], v[32:33] offset:96
	;; [unrolled: 1-line block ×7, first 2 shown]
	flat_load_dwordx4 v[46:49], v[32:33]
	s_mov_b64 s[0:1], 0
	s_mov_b32 s3, 0
	s_mov_b32 s7, 0
	s_waitcnt vmcnt(0) lgkmcnt(0)
	v_pk_mul_f32 v[30:31], s[16:17], v[2:3] op_sel_hi:[0,1]
	v_pk_mul_f32 v[26:27], s[16:17], v[6:7] op_sel_hi:[0,1]
	v_pk_mul_f32 v[22:23], s[16:17], v[10:11] op_sel_hi:[0,1]
	v_pk_mul_f32 v[18:19], s[16:17], v[14:15] op_sel_hi:[0,1]
	v_pk_mul_f32 v[14:15], s[16:17], v[36:37] op_sel_hi:[0,1]
	v_pk_mul_f32 v[10:11], s[16:17], v[40:41] op_sel_hi:[0,1]
	v_pk_mul_f32 v[6:7], s[16:17], v[44:45] op_sel_hi:[0,1]
	v_pk_mul_f32 v[2:3], s[16:17], v[48:49] op_sel_hi:[0,1]
	v_pk_mul_f32 v[28:29], s[16:17], v[0:1] op_sel_hi:[0,1]
	v_pk_mul_f32 v[24:25], s[16:17], v[4:5] op_sel_hi:[0,1]
	v_pk_mul_f32 v[20:21], s[16:17], v[8:9] op_sel_hi:[0,1]
	v_pk_mul_f32 v[16:17], s[16:17], v[12:13] op_sel_hi:[0,1]
	v_pk_mul_f32 v[12:13], s[16:17], v[34:35] op_sel_hi:[0,1]
	v_pk_mul_f32 v[8:9], s[16:17], v[38:39] op_sel_hi:[0,1]
	v_pk_mul_f32 v[4:5], s[16:17], v[42:43] op_sel_hi:[0,1]
	v_pk_mul_f32 v[0:1], s[16:17], v[46:47] op_sel_hi:[0,1]
.LBB37_15:                              ; =>This Loop Header: Depth=1
                                        ;     Child Loop BB37_17 Depth 2
                                        ;     Child Loop BB37_20 Depth 2
	s_cmp_eq_u32 s0, 0
	s_cbranch_scc1 .LBB37_18
; %bb.16:                               ;   in Loop: Header=BB37_15 Depth=1
	s_mov_b32 s2, s0
	s_mov_b64 s[10:11], 0
	s_mov_b64 s[8:9], s[2:3]
	s_mov_b32 s12, s7
.LBB37_17:                              ;   Parent Loop BB37_15 Depth=1
                                        ; =>  This Inner Loop Header: Depth=2
	v_mov_b32_e32 v35, s12
	s_set_gpr_idx_on s10, gpr_idx(SRC0)
	v_mov_b32_e32 v34, v0
	s_set_gpr_idx_off
	ds_read_b32 v35, v35
	s_add_u32 s10, s10, 1
	s_addc_u32 s11, s11, 0
	s_add_i32 s12, s12, 4
	s_set_gpr_idx_on s2, gpr_idx(SRC0)
	v_mov_b32_e32 v36, v0
	s_set_gpr_idx_off
	s_cmp_eq_u32 s0, s10
	s_waitcnt lgkmcnt(0)
	v_fma_f32 v34, -v34, v35, v36
	s_set_gpr_idx_on s2, gpr_idx(DST)
	v_mov_b32_e32 v0, v34
	s_set_gpr_idx_off
	s_cbranch_scc0 .LBB37_17
	s_branch .LBB37_19
.LBB37_18:                              ;   in Loop: Header=BB37_15 Depth=1
	s_mov_b64 s[8:9], 0
.LBB37_19:                              ;   in Loop: Header=BB37_15 Depth=1
	s_mul_i32 s10, s0, 0x84
	v_mov_b32_e32 v34, s10
	ds_read_b32 v36, v34
	s_set_gpr_idx_on s8, gpr_idx(SRC0)
	v_mov_b32_e32 v37, v0
	s_set_gpr_idx_off
	v_lshl_add_u64 v[34:35], s[8:9], 2, v[32:33]
	s_or_b32 s2, s0, 1
	s_add_u32 s11, s0, 1
	s_waitcnt lgkmcnt(0)
	v_mul_f32_e32 v36, v37, v36
	flat_store_dword v[34:35], v36
	s_set_gpr_idx_on s8, gpr_idx(DST)
	v_mov_b32_e32 v0, v36
	s_set_gpr_idx_off
	s_mov_b64 s[8:9], 0
	s_movk_i32 s12, 0x80
.LBB37_20:                              ;   Parent Loop BB37_15 Depth=1
                                        ; =>  This Inner Loop Header: Depth=2
	s_add_i32 s13, s7, s12
	v_mov_b32_e32 v37, s13
	s_set_gpr_idx_on s8, gpr_idx(SRC0)
	v_mov_b32_e32 v36, v0
	s_set_gpr_idx_off
	ds_read_b32 v37, v37
	s_add_u32 s8, s8, 1
	s_set_gpr_idx_on s2, gpr_idx(SRC0)
	v_mov_b32_e32 v38, v0
	s_set_gpr_idx_off
	s_addc_u32 s9, s9, 0
	s_add_i32 s12, s12, 4
	s_cmp_lg_u32 s11, s8
	s_waitcnt lgkmcnt(0)
	v_fma_f32 v36, -v36, v37, v38
	s_set_gpr_idx_on s2, gpr_idx(DST)
	v_mov_b32_e32 v0, v36
	s_set_gpr_idx_off
	s_cbranch_scc1 .LBB37_20
; %bb.21:                               ;   in Loop: Header=BB37_15 Depth=1
	v_mov_b32_e32 v37, s10
	ds_read_b32 v37, v37 offset:132
	s_add_u32 s0, s0, 2
	s_addc_u32 s1, s1, 0
	s_addk_i32 s7, 0x100
	s_cmp_eq_u32 s0, 32
	s_waitcnt lgkmcnt(0)
	v_mul_f32_e32 v36, v36, v37
	s_set_gpr_idx_on s2, gpr_idx(DST)
	v_mov_b32_e32 v0, v36
	s_set_gpr_idx_off
	flat_store_dword v[34:35], v36 offset:4
	s_cbranch_scc0 .LBB37_15
; %bb.22:
	s_mov_b32 s0, 32
	s_cmp_lt_i32 s0, s17
	s_cbranch_scc1 .LBB37_24
	s_branch .LBB37_37
.LBB37_23:
	s_mov_b32 s0, 0
	s_cmp_lt_i32 s0, s17
	s_cbranch_scc0 .LBB37_37
.LBB37_24:
	s_or_b32 s7, s0, 27
	s_cmp_ge_u32 s7, s17
	s_cbranch_scc1 .LBB37_32
; %bb.25:
	s_lshl_b32 s2, s0, 2
	s_mov_b32 s3, 0
	v_lshl_add_u64 v[24:25], v[32:33], 0, s[2:3]
	flat_load_dwordx4 v[0:3], v[24:25]
	flat_load_dwordx4 v[8:11], v[24:25] offset:16
	flat_load_dwordx4 v[16:19], v[24:25] offset:32
	;; [unrolled: 1-line block ×6, first 2 shown]
	s_andn2_b64 vcc, exec, s[4:5]
	s_waitcnt vmcnt(0) lgkmcnt(0)
	v_pk_mul_f32 v[36:37], s[16:17], v[0:1] op_sel_hi:[0,1]
	v_pk_mul_f32 v[6:7], s[16:17], v[2:3] op_sel_hi:[0,1]
	;; [unrolled: 1-line block ×14, first 2 shown]
	s_cbranch_vccnz .LBB37_27
; %bb.26:
	s_lshl_b32 s3, s0, 7
	s_lshl_b32 s1, s7, 7
	s_mov_b64 s[4:5], 0
	s_branch .LBB37_28
.LBB37_27:
	s_mov_b64 s[4:5], -1
                                        ; implicit-def: $sgpr3
                                        ; implicit-def: $sgpr1
.LBB37_28:
	s_andn2_b64 vcc, exec, s[4:5]
	s_cbranch_vccnz .LBB37_31
; %bb.29:
	s_lshl_b32 s3, s0, 7
	s_lshl_b32 s1, s7, 7
	s_mov_b32 s4, s0
	v_mov_b64_e32 v[2:3], v[32:33]
	s_mov_b32 s5, s3
.LBB37_30:                              ; =>This Inner Loop Header: Depth=1
	flat_load_dwordx2 v[4:5], v[2:3]
	v_mov_b32_e32 v68, s5
	v_add_u32_e32 v88, 0x800, v68
	ds_read2_b64 v[18:21], v68 offset1:16
	ds_read2_b64 v[40:43], v68 offset0:32 offset1:48
	ds_read2_b64 v[44:47], v68 offset0:64 offset1:80
	;; [unrolled: 1-line block ×7, first 2 shown]
	ds_read2_b64 v[68:71], v88 offset1:16
	ds_read2_b64 v[72:75], v88 offset0:32 offset1:48
	ds_read2_b64 v[76:79], v88 offset0:64 offset1:80
	;; [unrolled: 1-line block ×5, first 2 shown]
	s_waitcnt lgkmcnt(0)
	v_mov_b32_e32 v92, v18
	v_mov_b32_e32 v93, v20
	;; [unrolled: 1-line block ×34, first 2 shown]
	s_add_i32 s5, s5, 8
	s_add_i32 s4, s4, -2
	v_mov_b32_e32 v62, v61
	v_mov_b32_e32 v66, v65
	;; [unrolled: 1-line block ×8, first 2 shown]
	v_lshl_add_u64 v[2:3], v[2:3], 0, 8
	s_cmp_lg_u32 s4, 0
	s_waitcnt vmcnt(0)
	v_pk_fma_f32 v[36:37], v[4:5], v[92:93], v[36:37] op_sel_hi:[0,1,1] neg_lo:[1,0,0] neg_hi:[1,0,0]
	v_pk_fma_f32 v[6:7], v[4:5], v[94:95], v[6:7] op_sel_hi:[0,1,1] neg_lo:[1,0,0] neg_hi:[1,0,0]
	;; [unrolled: 1-line block ×14, first 2 shown]
	v_pk_fma_f32 v[36:37], v[4:5], v[20:21], v[36:37] op_sel:[1,0,0] neg_lo:[1,0,0] neg_hi:[1,0,0]
	v_pk_fma_f32 v[6:7], v[4:5], v[42:43], v[6:7] op_sel:[1,0,0] neg_lo:[1,0,0] neg_hi:[1,0,0]
	;; [unrolled: 1-line block ×14, first 2 shown]
	s_cbranch_scc1 .LBB37_30
.LBB37_31:
	s_lshl_b32 s4, s0, 7
	s_add_i32 s4, s2, s4
	s_add_i32 s3, s2, s3
	v_mov_b32_e32 v85, s4
	v_mov_b32_e32 v84, s3
	ds_read_b96 v[90:92], v85 offset:256
	ds_read_b128 v[40:43], v85 offset:384
	ds_read2_b32 v[58:59], v84 offset1:132
	ds_read2_b64 v[52:55], v85 offset0:16 offset1:160
	ds_read_b96 v[44:46], v85 offset:640
	ds_read_b96 v[18:20], v85 offset:784
	;; [unrolled: 1-line block ×3, first 2 shown]
	ds_read_b128 v[60:63], v85 offset:512
	s_add_i32 s3, s4, 0x48c
	v_add_u32_e32 v21, 0x400, v84
	v_mov_b32_e32 v2, s3
	s_add_i32 s3, s4, 0x494
	s_waitcnt lgkmcnt(6)
	v_mov_b32_e32 v69, v42
	s_waitcnt lgkmcnt(3)
	v_mov_b32_e32 v77, v46
	ds_read2_b32 v[46:47], v84 offset0:165 offset1:231
	s_waitcnt lgkmcnt(2)
	v_mov_b32_e32 v95, v50
	ds_read2_b32 v[96:97], v85 offset0:163 offset1:164
	ds_read_b128 v[64:67], v85 offset:768
	ds_read2_b32 v[98:99], v85 offset0:227 offset1:228
	ds_read2_b32 v[70:71], v85 offset0:229 offset1:230
	;; [unrolled: 1-line block ×3, first 2 shown]
	ds_read_b96 v[80:82], v85 offset:1152
	v_mov_b32_e32 v3, s3
	ds_read2_b32 v[100:101], v2 offset1:1
	ds_read2_b32 v[78:79], v3 offset1:1
	ds_read_b32 v42, v85 offset:1408
	ds_read_b128 v[72:75], v85 offset:1024
	ds_read_b128 v[2:5], v85 offset:1040
	v_mul_f32_e32 v36, v36, v58
	s_add_i32 s3, s4, 0x49c
	v_fma_f32 v37, -v36, v52, v37
	v_mov_b32_e32 v68, v41
	v_mov_b32_e32 v41, s3
	v_mul_f32_e32 v37, v37, v53
	v_mov_b32_e32 v76, v45
	ds_read2_b32 v[56:57], v41 offset1:1
	ds_read_b32 v86, v84 offset:1320
	v_fma_f32 v45, -v36, v40, v7
	v_pk_mul_f32 v[40:41], v[36:37], v[54:55]
	s_waitcnt lgkmcnt(4)
	v_fma_f32 v54, -v36, v42, v39
	v_sub_f32_e32 v7, v38, v40
	s_waitcnt lgkmcnt(3)
	v_pk_mul_f32 v[38:39], v[36:37], v[72:73]
	v_mov_b32_e32 v94, v49
	v_fma_f32 v49, -v36, v80, v17
	v_sub_f32_e32 v38, v16, v38
	v_pk_mul_f32 v[16:17], v[36:37], v[64:65]
	v_fma_f32 v48, -v36, v48, v13
	v_sub_f32_e32 v16, v12, v16
	v_pk_mul_f32 v[12:13], v[36:37], v[60:61]
	s_add_i32 s3, s4, 0x584
	v_sub_f32_e32 v12, v8, v12
	v_sub_f32_e32 v58, v12, v13
	v_mov_b32_e32 v12, s3
	s_add_i32 s3, s4, 0x58c
	v_sub_f32_e32 v72, v16, v17
	v_mov_b32_e32 v16, s3
	s_add_i32 s3, s4, 0x594
	v_fma_f32 v44, -v36, v44, v9
	v_pk_mul_f32 v[8:9], v[36:37], v[90:91]
	v_sub_f32_e32 v73, v38, v39
	v_mov_b32_e32 v39, s3
	s_add_i32 s3, s4, 0x59c
	v_sub_f32_e32 v6, v6, v8
	flat_store_dwordx2 v[24:25], v[36:37]
	v_mov_b32_e32 v40, s3
	v_mov_b32_e32 v102, v81
	;; [unrolled: 1-line block ×3, first 2 shown]
	v_sub_f32_e32 v55, v6, v9
	v_sub_f32_e32 v38, v7, v41
	ds_read2_b64 v[80:83], v85 offset0:161 offset1:162
	ds_read2_b64 v[6:9], v85 offset0:163 offset1:164
	ds_read2_b32 v[12:13], v12 offset1:1
	ds_read2_b32 v[16:17], v16 offset1:1
	;; [unrolled: 1-line block ×4, first 2 shown]
	ds_read_b128 v[88:91], v85 offset:1536
	ds_read2_b32 v[52:53], v21 offset0:107 offset1:140
	ds_read_b96 v[40:42], v85 offset:1664
	s_add_i32 s3, s4, 0x5a4
	v_mov_b32_e32 v39, s3
	s_waitcnt lgkmcnt(0)
	v_fma_f32 v10, -v36, v88, v10
	ds_read2_b32 v[60:61], v39 offset1:1
	v_fma_f32 v39, -v37, v89, v10
	v_fma_f32 v10, -v36, v40, v11
	;; [unrolled: 1-line block ×3, first 2 shown]
	v_mul_f32_e32 v41, v55, v92
	v_mov_b32_e32 v40, v37
	v_pk_mul_f32 v[10:11], v[40:41], v[68:69]
	s_add_i32 s3, s4, 0x68c
	v_sub_f32_e32 v10, v45, v10
	v_sub_f32_e32 v45, v10, v11
	v_pk_mul_f32 v[10:11], v[40:41], v[76:77]
	v_mul_f32_e32 v45, v45, v43
	v_sub_f32_e32 v10, v44, v10
	v_sub_f32_e32 v68, v10, v11
	v_pk_mul_f32 v[10:11], v[40:41], v[94:95]
	v_mov_b32_e32 v44, v41
	v_sub_f32_e32 v10, v48, v10
	v_sub_f32_e32 v69, v10, v11
	v_pk_mul_f32 v[10:11], v[40:41], v[102:103]
	v_fma_f32 v87, -v41, v42, v87
	v_sub_f32_e32 v10, v49, v10
	v_sub_f32_e32 v102, v10, v11
	v_pk_mul_f32 v[10:11], v[40:41], v[12:13]
	v_pk_mul_f32 v[12:13], v[44:45], v[80:81]
	v_sub_f32_e32 v10, v54, v10
	v_sub_f32_e32 v40, v10, v11
	v_pk_mul_f32 v[10:11], v[44:45], v[90:91]
	v_sub_f32_e32 v12, v38, v12
	v_sub_f32_e32 v10, v39, v10
	v_pk_mul_f32 v[38:39], v[44:45], v[74:75]
	v_pk_mul_f32 v[48:49], v[44:45], v[62:63]
	v_sub_f32_e32 v38, v73, v38
	v_sub_f32_e32 v106, v38, v39
	v_mov_b32_e32 v38, s3
	s_add_i32 s3, s4, 0x694
	v_pk_mul_f32 v[42:43], v[44:45], v[66:67]
	v_sub_f32_e32 v48, v58, v48
	v_mov_b32_e32 v39, s3
	s_add_i32 s3, s4, 0x69c
	v_sub_f32_e32 v42, v72, v42
	flat_store_dwordx2 v[24:25], v[44:45] offset:8
	v_sub_f32_e32 v44, v48, v49
	v_mov_b32_e32 v48, s3
	s_add_i32 s3, s4, 0x6a4
	v_sub_f32_e32 v103, v42, v43
	v_sub_f32_e32 v107, v12, v13
	;; [unrolled: 1-line block ×3, first 2 shown]
	ds_read_b128 v[88:91], v85 offset:1552
	ds_read_b128 v[10:13], v85 offset:1568
	v_mov_b32_e32 v49, s3
	ds_read2_b32 v[42:43], v38 offset1:1
	ds_read2_b32 v[80:81], v39 offset1:1
	;; [unrolled: 1-line block ×4, first 2 shown]
	s_add_i32 s3, s4, 0x6ac
	ds_read_b128 v[74:77], v85 offset:1792
	ds_read2_b32 v[38:39], v21 offset0:173 offset1:206
	v_mov_b32_e32 v21, s3
	ds_read2_b32 v[62:63], v21 offset1:1
	ds_read_b64 v[48:49], v85 offset:1808
	ds_read_b128 v[92:95], v85 offset:1920
	s_waitcnt lgkmcnt(0)
	v_fma_f32 v0, -v36, v74, v0
	v_fma_f32 v0, -v37, v75, v0
	;; [unrolled: 1-line block ×4, first 2 shown]
	ds_read_b32 v74, v85 offset:1936
	v_fma_f32 v0, -v36, v92, v1
	v_fma_f32 v0, -v37, v93, v0
	v_fma_f32 v0, -v41, v94, v0
	v_mul_f32_e32 v55, v44, v59
	v_mov_b32_e32 v54, v45
	v_fma_f32 v75, -v45, v95, v0
	v_pk_mul_f32 v[0:1], v[54:55], v[96:97]
	v_mov_b32_e32 v58, v55
	v_sub_f32_e32 v0, v68, v0
	v_sub_f32_e32 v44, v0, v1
	v_pk_mul_f32 v[0:1], v[54:55], v[98:99]
	v_mul_f32_e32 v59, v44, v46
	v_sub_f32_e32 v0, v69, v0
	v_sub_f32_e32 v109, v0, v1
	v_pk_mul_f32 v[0:1], v[54:55], v[100:101]
	s_add_i32 s3, s4, 0x794
	v_sub_f32_e32 v0, v102, v0
	v_sub_f32_e32 v110, v0, v1
	v_pk_mul_f32 v[0:1], v[54:55], v[16:17]
	v_pk_mul_f32 v[16:17], v[58:59], v[88:89]
	v_sub_f32_e32 v0, v40, v0
	v_sub_f32_e32 v111, v0, v1
	v_pk_mul_f32 v[0:1], v[54:55], v[42:43]
	v_pk_mul_f32 v[42:43], v[58:59], v[82:83]
	;; [unrolled: 4-line block ×3, first 2 shown]
	v_sub_f32_e32 v0, v21, v0
	v_sub_f32_e32 v21, v107, v42
	v_sub_f32_e32 v87, v21, v43
	v_mov_b32_e32 v21, s3
	s_add_i32 s3, s4, 0x79c
	v_mov_b32_e32 v40, s3
	s_add_i32 s3, s4, 0x7a4
	v_pk_mul_f32 v[18:19], v[58:59], v[18:19]
	v_mov_b32_e32 v42, s3
	s_add_i32 s3, s4, 0x7ac
	v_sub_f32_e32 v16, v108, v16
	v_sub_f32_e32 v2, v106, v2
	;; [unrolled: 1-line block ×3, first 2 shown]
	flat_store_dwordx2 v[24:25], v[58:59] offset:16
	v_mov_b32_e32 v43, s3
	s_waitcnt lgkmcnt(0)
	v_fma_f32 v44, -v55, v74, v75
	v_sub_f32_e32 v46, v18, v19
	v_sub_f32_e32 v58, v2, v3
	;; [unrolled: 1-line block ×4, first 2 shown]
	ds_read2_b64 v[16:19], v85 offset0:227 offset1:228
	ds_read2_b64 v[0:3], v85 offset0:229 offset1:230
	ds_read2_b32 v[88:89], v21 offset1:1
	ds_read2_b32 v[82:83], v40 offset1:1
	;; [unrolled: 1-line block ×4, first 2 shown]
	v_add_u32_e32 v21, 0x600, v84
	ds_read_b128 v[92:95], v85 offset:2048
	ds_read2_b32 v[42:43], v21 offset0:111 offset1:144
	s_add_i32 s3, s4, 0x7b4
	v_mov_b32_e32 v21, s3
	ds_read2_b32 v[48:49], v21 offset1:1
	ds_read_b128 v[96:99], v85 offset:2064
	s_waitcnt lgkmcnt(0)
	v_fma_f32 v21, -v36, v92, v22
	ds_read_b128 v[100:103], v85 offset:2176
	v_fma_f32 v21, -v37, v93, v21
	v_fma_f32 v21, -v41, v94, v21
	;; [unrolled: 1-line block ×4, first 2 shown]
	ds_read_b96 v[94:96], v85 offset:2192
	v_fma_f32 v22, -v59, v97, v21
	s_waitcnt lgkmcnt(0)
	v_fma_f32 v21, -v36, v100, v23
	v_fma_f32 v21, -v37, v101, v21
	;; [unrolled: 1-line block ×6, first 2 shown]
	ds_read_b128 v[92:95], v85 offset:2304
	ds_read_b32 v40, v84 offset:2244
	ds_read_b128 v[100:103], v85 offset:2320
	v_mul_f32_e32 v69, v46, v20
	v_mov_b32_e32 v68, v59
	v_fma_f32 v125, -v69, v96, v23
	s_waitcnt lgkmcnt(0)
	v_fma_f32 v21, -v36, v92, v34
	v_fma_f32 v21, -v37, v93, v21
	;; [unrolled: 1-line block ×6, first 2 shown]
	v_pk_mul_f32 v[20:21], v[68:69], v[70:71]
	v_mov_b32_e32 v70, v69
	v_sub_f32_e32 v20, v109, v20
	v_sub_f32_e32 v46, v20, v21
	v_pk_mul_f32 v[20:21], v[68:69], v[78:79]
	v_mul_f32_e32 v71, v46, v47
	v_sub_f32_e32 v20, v110, v20
	v_sub_f32_e32 v113, v20, v21
	v_pk_mul_f32 v[20:21], v[68:69], v[104:105]
	v_pk_mul_f32 v[6:7], v[70:71], v[6:7]
	v_sub_f32_e32 v20, v111, v20
	v_sub_f32_e32 v124, v20, v21
	v_pk_mul_f32 v[20:21], v[68:69], v[80:81]
	v_pk_mul_f32 v[4:5], v[70:71], v[4:5]
	;; [unrolled: 4-line block ×3, first 2 shown]
	v_sub_f32_e32 v20, v44, v20
	v_sub_f32_e32 v68, v20, v21
	v_pk_mul_f32 v[20:21], v[70:71], v[98:99]
	v_sub_f32_e32 v6, v87, v6
	v_sub_f32_e32 v20, v22, v20
	v_pk_mul_f32 v[22:23], v[70:71], v[90:91]
	v_sub_f32_e32 v4, v58, v4
	v_sub_f32_e32 v22, v106, v22
	flat_store_dwordx2 v[24:25], v[70:71] offset:24
	v_sub_f32_e32 v16, v107, v16
	v_sub_f32_e32 v58, v4, v5
	;; [unrolled: 1-line block ×5, first 2 shown]
	ds_read_b128 v[78:81], v85 offset:2432
	ds_read_b128 v[20:23], v85 offset:2336
	;; [unrolled: 1-line block ×3, first 2 shown]
	v_sub_f32_e32 v126, v16, v17
	v_add_u32_e32 v16, 0x800, v84
	ds_read2_b32 v[46:47], v16 offset0:82 offset1:115
	ds_read_b128 v[88:91], v85 offset:2448
	s_waitcnt lgkmcnt(0)
	v_fma_f32 v17, -v36, v78, v35
	v_fma_f32 v17, -v37, v79, v17
	;; [unrolled: 1-line block ×4, first 2 shown]
	ds_read_b96 v[108:110], v85 offset:2464
	ds_read_b128 v[78:81], v85 offset:2560
	v_fma_f32 v17, -v55, v88, v17
	v_fma_f32 v17, -v59, v89, v17
	v_fma_f32 v17, -v69, v90, v17
	v_fma_f32 v129, -v71, v91, v17
	ds_read_b128 v[88:91], v85 offset:2576
	ds_read_b128 v[92:95], v85 offset:2592
	s_waitcnt lgkmcnt(0)
	v_fma_f32 v17, -v36, v78, v30
	v_fma_f32 v17, -v37, v79, v17
	;; [unrolled: 1-line block ×4, first 2 shown]
	ds_read_b128 v[78:81], v85 offset:2688
	v_fma_f32 v17, -v55, v88, v17
	v_fma_f32 v17, -v59, v89, v17
	;; [unrolled: 1-line block ×5, first 2 shown]
	v_mov_b32_e32 v114, v109
	v_fma_f32 v109, -v71, v91, v17
	ds_read2_b32 v[34:35], v16 offset0:148 offset1:181
	ds_read_b128 v[88:91], v85 offset:2704
	s_waitcnt lgkmcnt(0)
	v_fma_f32 v17, -v36, v78, v31
	v_fma_f32 v17, -v37, v79, v17
	v_fma_f32 v17, -v41, v80, v17
	v_mov_b32_e32 v115, v110
	v_fma_f32 v17, -v45, v81, v17
	ds_read_b96 v[110:112], v85 offset:2720
	ds_read_b128 v[78:81], v85 offset:2816
	v_fma_f32 v17, -v55, v88, v17
	v_fma_f32 v17, -v59, v89, v17
	;; [unrolled: 1-line block ×4, first 2 shown]
	ds_read_b128 v[88:91], v85 offset:2832
	ds_read_b128 v[96:99], v85 offset:2848
	s_waitcnt lgkmcnt(0)
	v_fma_f32 v17, -v36, v78, v28
	v_fma_f32 v17, -v37, v79, v17
	v_fma_f32 v17, -v41, v80, v17
	v_fma_f32 v17, -v45, v81, v17
	ds_read_b128 v[78:81], v85 offset:2944
	v_fma_f32 v17, -v55, v88, v17
	v_fma_f32 v17, -v59, v89, v17
	;; [unrolled: 1-line block ×4, first 2 shown]
	ds_read2_b32 v[30:31], v16 offset0:214 offset1:247
	ds_read_b128 v[88:91], v85 offset:2960
	s_waitcnt lgkmcnt(0)
	v_fma_f32 v16, -v36, v78, v29
	v_fma_f32 v16, -v37, v79, v16
	;; [unrolled: 1-line block ×8, first 2 shown]
	ds_read_b128 v[88:91], v85 offset:2976
	ds_read_b32 v133, v85 offset:2992
	ds_read_b128 v[78:81], v85 offset:3072
	ds_read_b128 v[100:103], v85 offset:3088
	v_mul_f32_e32 v123, v58, v50
	v_mov_b32_e32 v122, v71
	v_pk_mul_f32 v[56:57], v[122:123], v[56:57]
	s_waitcnt lgkmcnt(0)
	v_fma_f32 v14, -v36, v78, v14
	v_fma_f32 v14, -v37, v79, v14
	;; [unrolled: 1-line block ×3, first 2 shown]
	v_sub_f32_e32 v56, v113, v56
	v_fma_f32 v14, -v45, v81, v14
	v_sub_f32_e32 v58, v56, v57
	v_pk_mul_f32 v[56:57], v[122:123], v[64:65]
	v_fma_f32 v14, -v55, v100, v14
	v_sub_f32_e32 v56, v124, v56
	v_fma_f32 v14, -v59, v101, v14
	v_sub_f32_e32 v64, v56, v57
	v_pk_mul_f32 v[56:57], v[122:123], v[72:73]
	v_fma_f32 v14, -v69, v102, v14
	v_sub_f32_e32 v54, v54, v56
	v_fma_f32 v134, -v71, v103, v14
	ds_read_b128 v[100:103], v85 offset:3200
	ds_read_b128 v[104:107], v85 offset:3104
	ds_read_b64 v[78:79], v85 offset:3120
	v_sub_f32_e32 v54, v54, v57
	v_pk_mul_f32 v[56:57], v[122:123], v[82:83]
	ds_read_b32 v44, v84 offset:3168
	ds_read_b32 v14, v85 offset:3216
	v_sub_f32_e32 v56, v68, v56
	v_sub_f32_e32 v65, v56, v57
	v_mul_f32_e32 v57, v58, v51
	v_mov_b32_e32 v56, v123
	s_waitcnt lgkmcnt(0)
	v_fma_f32 v15, -v36, v100, v15
	v_pk_mul_f32 v[8:9], v[56:57], v[8:9]
	v_fma_f32 v15, -v37, v101, v15
	v_sub_f32_e32 v8, v70, v8
	s_add_i32 s3, s4, 0x89c
	s_add_i32 s26, s4, 0x8a4
	;; [unrolled: 1-line block ×5, first 2 shown]
	v_fma_f32 v15, -v41, v102, v15
	v_pk_mul_f32 v[18:19], v[56:57], v[18:19]
	v_sub_f32_e32 v58, v8, v9
	v_mov_b32_e32 v116, s3
	v_fma_f32 v15, -v45, v103, v15
	v_mov_b32_e32 v28, s30
	v_mov_b32_e32 v80, s29
	v_mov_b32_e32 v118, s28
	v_mov_b32_e32 v120, s26
	v_sub_f32_e32 v18, v126, v18
	v_pk_mul_f32 v[10:11], v[56:57], v[10:11]
	v_mul_f32_e32 v83, v58, v86
	v_mov_b32_e32 v82, v57
	v_fma_f32 v135, -v55, v14, v15
	ds_read_b128 v[100:103], v85 offset:2080
	ds_read_b128 v[14:17], v85 offset:2096
	ds_read2_b32 v[116:117], v116 offset1:1
	ds_read2_b32 v[28:29], v28 offset1:1
	ds_read2_b32 v[80:81], v80 offset1:1
	ds_read2_b32 v[118:119], v118 offset1:1
	ds_read2_b32 v[120:121], v120 offset1:1
	v_sub_f32_e32 v10, v87, v10
	v_sub_f32_e32 v87, v18, v19
	v_pk_mul_f32 v[18:19], v[82:83], v[60:61]
	s_waitcnt lgkmcnt(0)
	v_pk_mul_f32 v[116:117], v[122:123], v[116:117]
	v_sub_f32_e32 v18, v64, v18
	v_sub_f32_e32 v60, v18, v19
	v_pk_mul_f32 v[18:19], v[82:83], v[66:67]
	v_pk_mul_f32 v[8:9], v[56:57], v[20:21]
	v_sub_f32_e32 v18, v54, v18
	v_sub_f32_e32 v50, v125, v116
	v_fma_f32 v73, -v123, v92, v109
	v_fma_f32 v92, -v123, v110, v130
	;; [unrolled: 1-line block ×3, first 2 shown]
	v_sub_f32_e32 v8, v128, v8
	v_sub_f32_e32 v54, v18, v19
	v_pk_mul_f32 v[18:19], v[82:83], v[76:77]
	s_add_i32 s33, s4, 0x9ac
	s_add_i32 s31, s4, 0x9b4
	;; [unrolled: 1-line block ×3, first 2 shown]
	v_sub_f32_e32 v68, v50, v117
	v_fma_f32 v72, -v123, v108, v129
	v_pk_mul_f32 v[50:51], v[56:57], v[100:101]
	flat_store_dwordx2 v[24:25], v[56:57] offset:32
	v_sub_f32_e32 v70, v10, v11
	v_sub_f32_e32 v56, v8, v9
	v_pk_mul_f32 v[8:9], v[82:83], v[114:115]
	v_fma_f32 v20, -v57, v111, v92
	v_fma_f32 v21, -v57, v97, v96
	v_pk_mul_f32 v[10:11], v[82:83], v[120:121]
	v_sub_f32_e32 v18, v65, v18
	v_sub_f32_e32 v8, v72, v8
	;; [unrolled: 1-line block ×4, first 2 shown]
	v_fma_f32 v67, -v83, v112, v20
	v_fma_f32 v68, -v83, v98, v21
	v_mov_b32_e32 v18, s33
	v_mov_b32_e32 v20, s31
	;; [unrolled: 1-line block ×3, first 2 shown]
	v_fma_f32 v58, -v57, v93, v73
	v_sub_f32_e32 v65, v10, v11
	v_sub_f32_e32 v66, v8, v9
	ds_read_b128 v[8:11], v85 offset:2608
	ds_read_b64 v[92:93], v85 offset:2864
	ds_read2_b32 v[18:19], v18 offset1:1
	ds_read2_b32 v[96:97], v20 offset1:1
	;; [unrolled: 1-line block ×3, first 2 shown]
	v_mul_f32_e32 v77, v60, v52
	v_mov_b32_e32 v76, v83
	v_pk_mul_f32 v[0:1], v[76:77], v[0:1]
	v_pk_mul_f32 v[12:13], v[76:77], v[12:13]
	v_sub_f32_e32 v0, v87, v0
	v_sub_f32_e32 v12, v70, v12
	;; [unrolled: 1-line block ×4, first 2 shown]
	v_pk_mul_f32 v[0:1], v[76:77], v[22:23]
	v_mul_f32_e32 v23, v12, v53
	v_sub_f32_e32 v0, v56, v0
	v_mov_b32_e32 v22, v77
	v_sub_f32_e32 v126, v0, v1
	s_waitcnt lgkmcnt(0)
	v_pk_mul_f32 v[0:1], v[22:23], v[20:21]
	s_add_i32 s35, s4, 0xc94
	v_sub_f32_e32 v0, v67, v0
	v_fma_f32 v88, -v123, v88, v132
	flat_store_dwordx2 v[24:25], v[76:77] offset:40
	v_pk_mul_f32 v[20:21], v[22:23], v[62:63]
	v_sub_f32_e32 v132, v0, v1
	v_mov_b32_e32 v0, s35
	v_sub_f32_e32 v20, v54, v20
	ds_read2_b32 v[0:1], v0 offset1:1
	v_pk_mul_f32 v[12:13], v[22:23], v[18:19]
	v_pk_mul_f32 v[18:19], v[22:23], v[118:119]
	v_sub_f32_e32 v122, v20, v21
	v_pk_mul_f32 v[20:21], v[22:23], v[74:75]
	s_add_i32 s36, s4, 0xc9c
	s_add_i32 s37, s4, 0xca4
	;; [unrolled: 1-line block ×3, first 2 shown]
	v_sub_f32_e32 v12, v66, v12
	v_sub_f32_e32 v18, v65, v18
	v_sub_f32_e32 v20, v64, v20
	v_sub_f32_e32 v129, v20, v21
	v_sub_f32_e32 v130, v18, v19
	v_sub_f32_e32 v131, v12, v13
	v_mov_b32_e32 v12, s36
	v_mov_b32_e32 v18, s37
	;; [unrolled: 1-line block ×3, first 2 shown]
	ds_read2_b32 v[12:13], v12 offset1:1
	ds_read2_b32 v[18:19], v18 offset1:1
	ds_read2_b32 v[20:21], v20 offset1:1
	s_waitcnt lgkmcnt(0)
	v_fma_f32 v0, -v59, v0, v135
	v_fma_f32 v0, -v69, v1, v0
	;; [unrolled: 1-line block ×7, first 2 shown]
	v_sub_f32_e32 v50, v127, v50
	v_fma_f32 v0, -v77, v20, v0
	v_sub_f32_e32 v100, v50, v51
	v_fma_f32 v50, -v57, v89, v88
	v_fma_f32 v51, -v57, v105, v104
	;; [unrolled: 1-line block ×3, first 2 shown]
	ds_read_b128 v[18:21], v85 offset:3328
	v_fma_f32 v72, -v83, v90, v50
	v_fma_f32 v73, -v83, v106, v51
	v_pk_mul_f32 v[50:51], v[76:77], v[102:103]
	v_pk_mul_f32 v[60:61], v[76:77], v[94:95]
	v_sub_f32_e32 v50, v100, v50
	v_sub_f32_e32 v52, v58, v60
	;; [unrolled: 1-line block ×3, first 2 shown]
	v_fma_f32 v50, -v77, v91, v72
	v_fma_f32 v51, -v77, v107, v73
	v_add_u32_e32 v0, 0xc00, v84
	v_sub_f32_e32 v127, v52, v61
	v_fma_f32 v133, -v23, v133, v50
	v_fma_f32 v134, -v23, v78, v51
	ds_read2_b32 v[0:1], v0 offset0:57 offset1:90
	ds_read_b128 v[50:53], v85 offset:3344
	s_waitcnt lgkmcnt(0)
	v_fma_f32 v13, -v36, v18, v26
	v_fma_f32 v13, -v37, v19, v13
	;; [unrolled: 1-line block ×4, first 2 shown]
	ds_read_b128 v[18:21], v85 offset:3360
	v_fma_f32 v13, -v55, v50, v13
	v_fma_f32 v13, -v59, v51, v13
	;; [unrolled: 1-line block ×4, first 2 shown]
	ds_read_b128 v[50:53], v85 offset:3376
	s_waitcnt lgkmcnt(0)
	v_fma_f32 v13, -v123, v18, v13
	s_add_i32 s39, s4, 0xcb4
	v_fma_f32 v13, -v57, v19, v13
	s_add_i32 s1, s2, s1
	v_mov_b32_e32 v12, s39
	v_fma_f32 v13, -v83, v20, v13
	v_fma_f32 v13, -v77, v21, v13
	v_mov_b32_e32 v136, s1
	ds_read2_b32 v[90:91], v12 offset1:1
	ds_read_b128 v[18:21], v136
	ds_read_b128 v[60:63], v136 offset:16
	ds_read_b128 v[64:67], v136 offset:32
	;; [unrolled: 1-line block ×3, first 2 shown]
	s_add_i32 s18, s4, 0xab4
	s_add_i32 s20, s4, 0xb38
	;; [unrolled: 1-line block ×3, first 2 shown]
	s_waitcnt lgkmcnt(0)
	v_fma_f32 v12, -v36, v18, v27
	v_fma_f32 v12, -v37, v19, v12
	;; [unrolled: 1-line block ×11, first 2 shown]
	s_add_i32 s10, s4, 0x9c4
	s_add_i32 s9, s4, 0xabc
	;; [unrolled: 1-line block ×17, first 2 shown]
	s_addk_i32 s4, 0xd58
	v_fma_f32 v128, -v77, v99, v68
	v_fma_f32 v50, -v23, v50, v13
	;; [unrolled: 1-line block ×3, first 2 shown]
	ds_read_b96 v[76:78], v136 offset:64
	v_mov_b32_e32 v13, s20
	v_mov_b32_e32 v18, s18
	v_fma_f32 v41, -v23, v72, v12
	v_mov_b32_e32 v12, s11
	ds_read2_b64 v[54:57], v13 offset1:1
	ds_read2_b32 v[26:27], v18 offset1:1
	v_mov_b32_e32 v18, s10
	v_mov_b32_e32 v19, s4
	;; [unrolled: 1-line block ×3, first 2 shown]
	ds_read2_b32 v[70:71], v12 offset1:1
	ds_read2_b32 v[82:83], v136 offset0:19 offset1:20
	ds_read2_b32 v[94:95], v136 offset0:21 offset1:22
	;; [unrolled: 1-line block ×3, first 2 shown]
	ds_read2_b32 v[98:99], v18 offset1:1
	ds_read2_b64 v[18:21], v19 offset1:1
	v_mov_b32_e32 v45, s21
	ds_read_b64 v[100:101], v85 offset:2368
	ds_read_b128 v[58:61], v85 offset:2624
	v_mov_b32_e32 v62, s25
	ds_read2_b32 v[102:103], v22 offset1:1
	ds_read2_b32 v[104:105], v45 offset1:1
	;; [unrolled: 1-line block ×3, first 2 shown]
	v_mov_b32_e32 v22, s15
	v_mov_b32_e32 v45, s22
	ds_read2_b64 v[62:65], v22 offset1:1
	ds_read2_b64 v[66:69], v45 offset1:1
	v_mov_b32_e32 v22, s24
	v_mov_b32_e32 v45, s12
	ds_read2_b64 v[86:89], v22 offset1:1
	ds_read2_b32 v[108:109], v45 offset1:1
	v_mov_b32_e32 v22, s19
	s_waitcnt lgkmcnt(0)
	v_mov_b32_e32 v36, v77
	v_mov_b32_e32 v45, s23
	;; [unrolled: 1-line block ×3, first 2 shown]
	ds_read_b64 v[110:111], v85 offset:3160
	ds_read_b64 v[112:113], v85 offset:3128
	v_mov_b32_e32 v77, s14
	ds_read2_b32 v[114:115], v22 offset1:1
	ds_read2_b32 v[116:117], v45 offset1:1
	;; [unrolled: 1-line block ×4, first 2 shown]
	v_mul_f32_e32 v123, v122, v38
	v_mov_b32_e32 v122, v23
	v_pk_mul_f32 v[2:3], v[122:123], v[2:3]
	v_pk_mul_f32 v[22:23], v[122:123], v[92:93]
	v_sub_f32_e32 v2, v124, v2
	v_sub_f32_e32 v38, v2, v3
	v_pk_mul_f32 v[2:3], v[122:123], v[4:5]
	v_pk_mul_f32 v[14:15], v[122:123], v[14:15]
	;; [unrolled: 1-line block ×3, first 2 shown]
	v_sub_f32_e32 v2, v126, v2
	v_mul_f32_e32 v5, v38, v39
	v_mov_b32_e32 v4, v123
	v_sub_f32_e32 v22, v128, v22
	v_sub_f32_e32 v14, v125, v14
	;; [unrolled: 1-line block ×4, first 2 shown]
	s_waitcnt lgkmcnt(0)
	v_pk_mul_f32 v[2:3], v[4:5], v[120:121]
	v_mov_b32_e32 v37, v78
	v_sub_f32_e32 v45, v14, v15
	v_sub_f32_e32 v77, v8, v9
	;; [unrolled: 1-line block ×4, first 2 shown]
	v_pk_mul_f32 v[8:9], v[4:5], v[26:27]
	v_pk_mul_f32 v[14:15], v[4:5], v[96:97]
	;; [unrolled: 1-line block ×4, first 2 shown]
	flat_store_dwordx2 v[24:25], v[122:123] offset:48
	v_fma_f32 v38, -v123, v90, v135
	v_sub_f32_e32 v8, v132, v8
	v_sub_f32_e32 v14, v131, v14
	;; [unrolled: 1-line block ×5, first 2 shown]
	v_mov_b32_e32 v2, s3
	v_fma_f32 v39, -v123, v51, v50
	v_fma_f32 v41, -v123, v73, v41
	v_sub_f32_e32 v4, v4, v27
	v_sub_f32_e32 v73, v22, v23
	;; [unrolled: 1-line block ×4, first 2 shown]
	v_fma_f32 v91, -v5, v91, v38
	v_mov_b32_e32 v3, s7
	v_mov_b32_e32 v38, s8
	ds_read2_b32 v[8:9], v2 offset1:1
	ds_read_b64 v[14:15], v85 offset:3136
	ds_read2_b32 v[22:23], v3 offset1:1
	ds_read_b64 v[26:27], v85 offset:3392
	v_mov_b32_e32 v2, s13
	v_fma_f32 v52, -v5, v52, v39
	ds_read2_b32 v[38:39], v38 offset1:1
	ds_read2_b32 v[48:49], v2 offset1:1
	v_mul_f32_e32 v3, v4, v42
	v_mov_b32_e32 v2, v5
	v_pk_mul_f32 v[16:17], v[2:3], v[16:17]
	v_pk_mul_f32 v[6:7], v[2:3], v[6:7]
	v_sub_f32_e32 v16, v45, v16
	v_pk_mul_f32 v[50:51], v[2:3], v[112:113]
	v_pk_mul_f32 v[54:55], v[2:3], v[54:55]
	;; [unrolled: 1-line block ×3, first 2 shown]
	v_sub_f32_e32 v16, v16, v17
	v_sub_f32_e32 v2, v72, v6
	v_fma_f32 v79, -v123, v79, v134
	v_sub_f32_e32 v10, v77, v10
	v_sub_f32_e32 v45, v2, v7
	v_mul_f32_e32 v7, v16, v43
	v_mov_b32_e32 v6, v3
	v_sub_f32_e32 v4, v79, v50
	v_sub_f32_e32 v42, v78, v54
	;; [unrolled: 1-line block ×3, first 2 shown]
	s_waitcnt lgkmcnt(0)
	v_pk_mul_f32 v[10:11], v[6:7], v[48:49]
	v_pk_mul_f32 v[16:17], v[6:7], v[22:23]
	v_fma_f32 v41, -v5, v74, v41
	v_sub_f32_e32 v54, v42, v55
	v_sub_f32_e32 v51, v4, v51
	;; [unrolled: 1-line block ×4, first 2 shown]
	v_pk_mul_f32 v[22:23], v[6:7], v[118:119]
	v_pk_mul_f32 v[42:43], v[6:7], v[70:71]
	;; [unrolled: 1-line block ×3, first 2 shown]
	v_fma_f32 v10, -v3, v75, v41
	v_sub_f32_e32 v16, v81, v22
	v_sub_f32_e32 v22, v80, v42
	;; [unrolled: 1-line block ×5, first 2 shown]
	v_mov_b32_e32 v2, v5
	v_mov_b32_e32 v4, v7
	v_sub_f32_e32 v6, v6, v29
	flat_store_dwordx3 v[24:25], v[2:4] offset:56
	v_sub_f32_e32 v28, v22, v43
	v_fma_f32 v43, -v7, v76, v10
	v_mov_b32_e32 v2, s5
	ds_read2_b32 v[4:5], v2 offset1:1
	v_mul_f32_e32 v11, v6, v40
	v_mov_b32_e32 v10, v7
	v_fma_f32 v48, -v3, v53, v52
	v_pk_mul_f32 v[2:3], v[10:11], v[100:101]
	v_sub_f32_e32 v29, v16, v23
	v_sub_f32_e32 v2, v45, v2
	;; [unrolled: 1-line block ×3, first 2 shown]
	v_mul_f32_e32 v3, v2, v46
	v_mov_b32_e32 v2, v11
	v_pk_mul_f32 v[16:17], v[10:11], v[56:57]
	v_pk_mul_f32 v[22:23], v[10:11], v[58:59]
	s_waitcnt lgkmcnt(0)
	v_pk_mul_f32 v[4:5], v[2:3], v[4:5]
	v_pk_mul_f32 v[6:7], v[10:11], v[26:27]
	;; [unrolled: 1-line block ×3, first 2 shown]
	v_sub_f32_e32 v16, v54, v16
	v_sub_f32_e32 v10, v50, v22
	v_pk_mul_f32 v[26:27], v[2:3], v[98:99]
	v_sub_f32_e32 v4, v42, v4
	v_sub_f32_e32 v6, v48, v6
	;; [unrolled: 1-line block ×5, first 2 shown]
	v_pk_mul_f32 v[16:17], v[2:3], v[38:39]
	v_sub_f32_e32 v38, v4, v5
	v_pk_mul_f32 v[4:5], v[2:3], v[36:37]
	v_pk_mul_f32 v[8:9], v[2:3], v[8:9]
	v_sub_f32_e32 v28, v6, v7
	v_sub_f32_e32 v6, v22, v27
	;; [unrolled: 1-line block ×4, first 2 shown]
	v_mul_f32_e32 v5, v6, v47
	v_mov_b32_e32 v4, v3
	v_pk_mul_f32 v[6:7], v[4:5], v[60:61]
	v_sub_f32_e32 v8, v29, v8
	v_sub_f32_e32 v2, v10, v6
	;; [unrolled: 1-line block ×7, first 2 shown]
	v_pk_mul_f32 v[8:9], v[4:5], v[62:63]
	v_pk_mul_f32 v[16:17], v[4:5], v[86:87]
	v_mul_f32_e32 v7, v2, v34
	v_mov_b32_e32 v6, v5
	v_sub_f32_e32 v26, v14, v15
	v_sub_f32_e32 v8, v23, v8
	v_pk_mul_f32 v[14:15], v[4:5], v[66:67]
	v_sub_f32_e32 v4, v28, v16
	v_pk_mul_f32 v[22:23], v[6:7], v[108:109]
	v_sub_f32_e32 v10, v26, v14
	v_sub_f32_e32 v16, v27, v22
	;; [unrolled: 1-line block ×3, first 2 shown]
	v_mov_b32_e32 v2, v11
	v_mov_b32_e32 v4, v5
	;; [unrolled: 1-line block ×3, first 2 shown]
	v_sub_f32_e32 v10, v10, v15
	v_pk_mul_f32 v[14:15], v[6:7], v[116:117]
	flat_store_dwordx4 v[24:25], v[2:5] offset:68
	v_sub_f32_e32 v14, v38, v14
	v_sub_f32_e32 v22, v8, v9
	;; [unrolled: 1-line block ×3, first 2 shown]
	v_pk_mul_f32 v[2:3], v[6:7], v[82:83]
	v_mul_f32_e32 v5, v4, v35
	v_sub_f32_e32 v2, v36, v2
	v_mov_b32_e32 v4, v7
	v_sub_f32_e32 v14, v14, v15
	v_sub_f32_e32 v15, v2, v3
	v_pk_mul_f32 v[2:3], v[4:5], v[64:65]
	v_pk_mul_f32 v[8:9], v[6:7], v[114:115]
	v_sub_f32_e32 v2, v22, v2
	v_sub_f32_e32 v2, v2, v3
	;; [unrolled: 1-line block ×3, first 2 shown]
	v_pk_mul_f32 v[6:7], v[4:5], v[68:69]
	v_mul_f32_e32 v3, v2, v30
	v_mov_b32_e32 v2, v5
	v_sub_f32_e32 v16, v8, v9
	v_sub_f32_e32 v6, v10, v6
	v_pk_mul_f32 v[8:9], v[4:5], v[88:89]
	v_pk_mul_f32 v[10:11], v[2:3], v[104:105]
	v_sub_f32_e32 v4, v17, v8
	v_sub_f32_e32 v8, v16, v10
	v_sub_f32_e32 v10, v6, v7
	v_pk_mul_f32 v[6:7], v[2:3], v[106:107]
	v_sub_f32_e32 v8, v8, v11
	v_sub_f32_e32 v6, v14, v6
	v_sub_f32_e32 v16, v6, v7
	;; [unrolled: 4-line block ×3, first 2 shown]
	v_mul_f32_e32 v7, v8, v31
	v_mov_b32_e32 v6, v3
	v_pk_mul_f32 v[8:9], v[6:7], v[110:111]
	s_or_b32 s0, s0, 28
	v_sub_f32_e32 v2, v10, v8
	v_sub_f32_e32 v2, v2, v9
	v_pk_mul_f32 v[10:11], v[6:7], v[18:19]
	v_mul_f32_e32 v9, v2, v44
	v_mov_b32_e32 v8, v7
	v_sub_f32_e32 v4, v4, v10
	v_pk_mul_f32 v[14:15], v[8:9], v[102:103]
	v_sub_f32_e32 v10, v4, v11
	v_sub_f32_e32 v6, v16, v14
	v_mov_b32_e32 v2, v5
	v_mov_b32_e32 v4, v7
	;; [unrolled: 1-line block ×3, first 2 shown]
	flat_store_dwordx4 v[24:25], v[2:5] offset:84
	s_nop 1
	v_sub_f32_e32 v2, v6, v15
	v_mul_f32_e32 v3, v2, v0
	v_mov_b32_e32 v2, v9
	v_pk_mul_f32 v[4:5], v[2:3], v[20:21]
	s_nop 0
	v_sub_f32_e32 v0, v10, v4
	v_sub_f32_e32 v0, v0, v5
	v_mul_f32_e32 v1, v0, v1
	v_mov_b32_e32 v0, v3
	flat_store_dwordx2 v[24:25], v[0:1] offset:100
	ds_read2_b32 v[2:3], v136 offset0:25 offset1:26
	v_pk_mul_f32 v[4:5], v[8:9], v[12:13]
	ds_read_b32 v6, v84 offset:3564
	v_sub_f32_e32 v4, v17, v4
	v_sub_f32_e32 v4, v4, v5
	s_waitcnt lgkmcnt(0)
	v_pk_mul_f32 v[0:1], v[0:1], v[2:3]
	s_nop 0
	v_sub_f32_e32 v0, v4, v0
	v_sub_f32_e32 v0, v0, v1
	v_mul_f32_e32 v0, v0, v6
	flat_store_dword v[24:25], v0 offset:108
.LBB37_32:
	s_cmp_ge_i32 s0, s17
	s_cbranch_scc1 .LBB37_37
; %bb.33:
	s_lshl_b32 s2, s0, 7
	s_branch .LBB37_35
.LBB37_34:                              ;   in Loop: Header=BB37_35 Depth=1
	s_mul_i32 s1, s0, 0x84
	v_mov_b32_e32 v2, s1
	ds_read_b32 v2, v2
	s_add_i32 s0, s0, 1
	s_addk_i32 s2, 0x80
	s_cmp_ge_i32 s0, s17
	s_waitcnt lgkmcnt(0)
	v_mul_f32_e32 v2, v4, v2
	flat_store_dword v[0:1], v2
	s_cbranch_scc1 .LBB37_37
.LBB37_35:                              ; =>This Loop Header: Depth=1
                                        ;     Child Loop BB37_36 Depth 2
	s_ashr_i32 s1, s0, 31
	v_lshl_add_u64 v[0:1], s[0:1], 2, v[32:33]
	flat_load_dword v4, v[0:1]
	v_mov_b64_e32 v[2:3], v[32:33]
	s_mov_b32 s1, s0
	s_cmp_eq_u32 s0, 0
	s_mov_b32 s3, s2
	s_waitcnt vmcnt(0) lgkmcnt(0)
	v_mul_f32_e32 v4, s16, v4
	s_cbranch_scc1 .LBB37_34
.LBB37_36:                              ;   Parent Loop BB37_35 Depth=1
                                        ; =>  This Inner Loop Header: Depth=2
	flat_load_dword v5, v[2:3]
	v_mov_b32_e32 v6, s3
	ds_read_b32 v6, v6
	s_add_i32 s3, s3, 4
	s_add_i32 s1, s1, -1
	v_lshl_add_u64 v[2:3], v[2:3], 0, 4
	s_cmp_lg_u32 s1, 0
	s_waitcnt vmcnt(0) lgkmcnt(0)
	v_fma_f32 v4, -v5, v6, v4
	s_cbranch_scc1 .LBB37_36
	s_branch .LBB37_34
.LBB37_37:
	s_mov_b64 s[0:1], 0
.LBB37_38:
	s_and_b64 vcc, exec, s[0:1]
	s_cbranch_vccz .LBB37_72
; %bb.39:
	s_add_i32 s14, s17, -1
	s_cmp_gt_i32 s6, 31
	s_mov_b32 s1, 0
	s_cbranch_scc0 .LBB37_49
; %bb.40:
	flat_load_dwordx4 v[0:3], v[32:33] offset:112
	flat_load_dwordx4 v[4:7], v[32:33] offset:96
	;; [unrolled: 1-line block ×7, first 2 shown]
	flat_load_dwordx4 v[28:31], v[32:33]
	s_movk_i32 s8, 0xffc
	s_mov_b64 s[2:3], 0
	s_movk_i32 s9, 0xff8
	s_waitcnt vmcnt(0) lgkmcnt(0)
	v_pk_mul_f32 v[2:3], s[16:17], v[2:3] op_sel_hi:[0,1]
	v_pk_mul_f32 v[34:35], s[16:17], v[0:1] op_sel_hi:[0,1]
	;; [unrolled: 1-line block ×16, first 2 shown]
	v_mov_b32_e32 v0, v3
	v_mov_b32_e32 v1, v2
	;; [unrolled: 1-line block ×32, first 2 shown]
.LBB37_41:                              ; =>This Loop Header: Depth=1
                                        ;     Child Loop BB37_43 Depth 2
                                        ;     Child Loop BB37_46 Depth 2
	s_cmp_eq_u32 s2, 0
	s_cbranch_scc1 .LBB37_44
; %bb.42:                               ;   in Loop: Header=BB37_41 Depth=1
	s_mov_b64 s[4:5], s[2:3]
	s_sub_i32 s0, 31, s2
	s_mov_b64 s[6:7], 0
	s_mov_b32 s5, s8
.LBB37_43:                              ;   Parent Loop BB37_41 Depth=1
                                        ; =>  This Inner Loop Header: Depth=2
	v_mov_b32_e32 v35, s5
	s_set_gpr_idx_on s6, gpr_idx(SRC0)
	v_mov_b32_e32 v34, v0
	s_set_gpr_idx_off
	ds_read_b32 v35, v35
	s_addk_i32 s5, 0xff80
	s_add_u32 s6, s6, 1
	s_addc_u32 s7, s7, 0
	s_set_gpr_idx_on s2, gpr_idx(SRC0)
	v_mov_b32_e32 v36, v0
	s_set_gpr_idx_off
	s_cmp_eq_u32 s2, s6
	s_waitcnt lgkmcnt(0)
	v_fma_f32 v34, -v34, v35, v36
	s_set_gpr_idx_on s2, gpr_idx(DST)
	v_mov_b32_e32 v0, v34
	s_set_gpr_idx_off
	s_cbranch_scc0 .LBB37_43
	s_branch .LBB37_45
.LBB37_44:                              ;   in Loop: Header=BB37_41 Depth=1
	s_mov_b32 s0, 31
	s_mov_b64 s[4:5], 0
.LBB37_45:                              ;   in Loop: Header=BB37_41 Depth=1
	s_mul_i32 s5, s0, 0x84
	v_mov_b32_e32 v34, s5
	ds_read_b32 v36, v34
	s_lshl_b32 s0, s0, 2
	s_set_gpr_idx_on s4, gpr_idx(SRC0)
	v_mov_b32_e32 v37, v0
	s_set_gpr_idx_off
	v_lshl_add_u64 v[34:35], v[32:33], 0, s[0:1]
	s_or_b32 s0, s2, 1
	s_waitcnt lgkmcnt(0)
	v_mul_f32_e32 v36, v37, v36
	flat_store_dword v[34:35], v36
	s_set_gpr_idx_on s4, gpr_idx(DST)
	v_mov_b32_e32 v0, v36
	s_set_gpr_idx_off
	s_add_u32 s6, s2, 1
	s_mov_b64 s[4:5], 0
	s_mov_b32 s7, s9
.LBB37_46:                              ;   Parent Loop BB37_41 Depth=1
                                        ; =>  This Inner Loop Header: Depth=2
	v_mov_b32_e32 v35, s7
	s_set_gpr_idx_on s4, gpr_idx(SRC0)
	v_mov_b32_e32 v34, v0
	s_set_gpr_idx_off
	ds_read_b32 v35, v35
	s_add_u32 s4, s4, 1
	s_set_gpr_idx_on s0, gpr_idx(SRC0)
	v_mov_b32_e32 v36, v0
	s_set_gpr_idx_off
	s_addc_u32 s5, s5, 0
	s_addk_i32 s7, 0xff80
	s_waitcnt lgkmcnt(0)
	v_fma_f32 v34, -v34, v35, v36
	s_cmp_lg_u32 s6, s4
	s_set_gpr_idx_on s0, gpr_idx(DST)
	v_mov_b32_e32 v0, v34
	s_set_gpr_idx_off
	s_cbranch_scc1 .LBB37_46
; %bb.47:                               ;   in Loop: Header=BB37_41 Depth=1
	s_sub_i32 s4, 31, s0
	s_mulk_i32 s4, 0x84
	v_mov_b32_e32 v35, s4
	ds_read_b32 v35, v35
	s_bfe_i64 s[4:5], s[0:1], 0x200000
	s_lshl_b64 s[4:5], s[4:5], 2
	s_add_u32 s2, s2, 2
	v_mov_b32_e32 v36, s5
	s_waitcnt lgkmcnt(0)
	v_mul_f32_e32 v37, v34, v35
	v_subrev_co_u32_e32 v34, vcc, s4, v32
	s_addc_u32 s3, s3, 0
	s_add_i32 s8, s8, -8
	s_add_i32 s9, s9, -8
	v_subb_co_u32_e32 v35, vcc, v33, v36, vcc
	s_cmp_eq_u32 s2, 32
	s_set_gpr_idx_on s0, gpr_idx(DST)
	v_mov_b32_e32 v0, v37
	s_set_gpr_idx_off
	flat_store_dword v[34:35], v37 offset:124
	s_cbranch_scc0 .LBB37_41
; %bb.48:
	s_mov_b32 s0, -1
	s_cmp_gt_i32 s0, -1
	s_cbranch_scc1 .LBB37_50
	s_branch .LBB37_72
.LBB37_49:
	s_mov_b32 s0, s14
	s_cmp_gt_i32 s0, -1
	s_cbranch_scc0 .LBB37_72
.LBB37_50:
	s_cmp_lt_u32 s0, 27
	s_cbranch_scc1 .LBB37_55
; %bb.51:
	s_mov_b32 s3, 0
	s_mov_b32 s1, s3
	v_lshl_add_u64 v[42:43], s[0:1], 2, v[32:33]
	v_add_co_u32_e32 v0, vcc, -12, v42
	s_cmp_le_i32 s14, s0
	s_nop 0
	v_addc_co_u32_e32 v1, vcc, -1, v43, vcc
	v_add_co_u32_e32 v4, vcc, 0xffffffe4, v42
	flat_load_dwordx4 v[0:3], v[0:1]
	s_nop 0
	v_addc_co_u32_e32 v5, vcc, -1, v43, vcc
	v_add_co_u32_e32 v8, vcc, 0xffffffd4, v42
	flat_load_dwordx4 v[4:7], v[4:5]
	s_nop 0
	v_addc_co_u32_e32 v9, vcc, -1, v43, vcc
	flat_load_dwordx4 v[16:19], v[8:9]
	v_add_co_u32_e32 v8, vcc, 0xffffffc4, v42
	s_waitcnt vmcnt(0) lgkmcnt(0)
	v_pk_mul_f32 v[0:1], s[16:17], v[0:1] op_sel_hi:[0,1]
	v_addc_co_u32_e32 v9, vcc, -1, v43, vcc
	flat_load_dwordx4 v[20:23], v[8:9]
	v_add_co_u32_e32 v8, vcc, 0xffffffb4, v42
	v_pk_mul_f32 v[2:3], s[16:17], v[2:3] op_sel_hi:[0,1]
	s_nop 0
	v_addc_co_u32_e32 v9, vcc, -1, v43, vcc
	flat_load_dwordx4 v[24:27], v[8:9]
	v_add_co_u32_e32 v8, vcc, 0xffffffa4, v42
	v_mov_b32_e32 v10, v1
	s_nop 0
	v_addc_co_u32_e32 v9, vcc, -1, v43, vcc
	flat_load_dwordx4 v[28:31], v[8:9]
	v_add_co_u32_e32 v8, vcc, 0xffffff94, v42
	v_mov_b32_e32 v11, v0
	s_nop 0
	v_addc_co_u32_e32 v9, vcc, -1, v43, vcc
	flat_load_dwordx4 v[34:37], v[8:9]
	v_pk_mul_f32 v[0:1], s[16:17], v[18:19] op_sel_hi:[0,1]
	v_pk_mul_f32 v[6:7], s[16:17], v[6:7] op_sel_hi:[0,1]
	v_pk_mul_f32 v[4:5], s[16:17], v[4:5] op_sel_hi:[0,1]
	v_mov_b32_e32 v14, v3
	v_mov_b32_e32 v15, v2
	v_pk_mul_f32 v[2:3], s[16:17], v[16:17] op_sel_hi:[0,1]
	v_mov_b32_e32 v8, v1
	v_mov_b32_e32 v9, v0
	;; [unrolled: 1-line block ×8, first 2 shown]
	s_waitcnt vmcnt(0) lgkmcnt(0)
	v_pk_mul_f32 v[16:17], s[16:17], v[22:23] op_sel_hi:[0,1]
	v_pk_mul_f32 v[18:19], s[16:17], v[20:21] op_sel_hi:[0,1]
	v_mov_b32_e32 v4, v17
	v_mov_b32_e32 v5, v16
	;; [unrolled: 1-line block ×4, first 2 shown]
	v_pk_mul_f32 v[0:1], s[16:17], v[26:27] op_sel_hi:[0,1]
	v_pk_mul_f32 v[20:21], s[16:17], v[24:25] op_sel_hi:[0,1]
	v_mov_b32_e32 v18, v1
	v_mov_b32_e32 v19, v0
	;; [unrolled: 1-line block ×4, first 2 shown]
	v_pk_mul_f32 v[16:17], s[16:17], v[30:31] op_sel_hi:[0,1]
	v_pk_mul_f32 v[22:23], s[16:17], v[28:29] op_sel_hi:[0,1]
	v_mov_b32_e32 v24, v23
	v_mov_b32_e32 v25, v22
	v_pk_mul_f32 v[0:1], s[16:17], v[36:37] op_sel_hi:[0,1]
	v_pk_mul_f32 v[20:21], s[16:17], v[34:35] op_sel_hi:[0,1]
	v_mov_b32_e32 v36, v17
	v_mov_b32_e32 v37, v16
	v_mov_b32_e32 v16, v1
	v_mov_b32_e32 v17, v0
	v_mov_b32_e32 v0, v21
	v_mov_b32_e32 v1, v20
	s_cbranch_scc1 .LBB37_54
; %bb.52:
	s_lshl_b32 s1, s17, 7
	s_lshl_b32 s2, s0, 2
	s_add_i32 s1, s1, s2
	s_addk_i32 s1, 0xff14
	s_mov_b32 s2, s14
.LBB37_53:                              ; =>This Inner Loop Header: Depth=1
	v_lshl_add_u64 v[20:21], s[2:3], 2, v[32:33]
	flat_load_dword v20, v[20:21]
	v_mov_b32_e32 v21, s1
	ds_read2_b32 v[22:23], v21 offset0:26 offset1:27
	ds_read2_b32 v[26:27], v21 offset0:24 offset1:25
	;; [unrolled: 1-line block ×13, first 2 shown]
	ds_read2_b32 v[60:61], v21 offset1:1
	s_add_i32 s2, s2, -1
	s_addk_i32 s1, 0xff80
	s_cmp_gt_i32 s2, s0
	s_waitcnt vmcnt(0) lgkmcnt(0)
	v_pk_mul_f32 v[22:23], v[20:21], v[22:23] op_sel_hi:[0,1]
	v_pk_mul_f32 v[26:27], v[20:21], v[26:27] op_sel_hi:[0,1]
	;; [unrolled: 1-line block ×14, first 2 shown]
	v_pk_add_f32 v[14:15], v[14:15], v[22:23] op_sel:[0,1] op_sel_hi:[1,0] neg_lo:[0,1] neg_hi:[0,1]
	v_pk_add_f32 v[10:11], v[10:11], v[26:27] op_sel:[0,1] op_sel_hi:[1,0] neg_lo:[0,1] neg_hi:[0,1]
	;; [unrolled: 1-line block ×14, first 2 shown]
	s_cbranch_scc1 .LBB37_53
.LBB37_54:
	s_add_i32 s2, s0, -1
	s_add_i32 s4, s0, -2
	s_lshl_b32 s15, s0, 7
	s_lshl_b32 s3, s4, 2
	;; [unrolled: 1-line block ×3, first 2 shown]
	s_add_i32 s5, s3, s15
	s_add_i32 s3, s3, s18
	v_mov_b32_e32 v22, s3
	s_mov_b32 s3, 0
	v_lshl_add_u64 v[64:65], s[2:3], 2, v[32:33]
	s_add_i32 s2, s0, -3
	s_lshl_b32 s19, s4, 7
	s_lshl_b32 s6, s2, 2
	s_mul_i32 s1, s0, 0x84
	v_mov_b32_e32 v21, s5
	s_add_i32 s5, s6, s19
	v_mov_b32_e32 v20, s1
	v_mov_b32_e32 v23, s5
	s_mov_b32 s5, s3
	ds_read_b32 v100, v20
	ds_read2_b32 v[56:57], v21 offset1:1
	ds_read2_b32 v[70:71], v22 offset1:1
	;; [unrolled: 1-line block ×3, first 2 shown]
	v_lshl_add_u64 v[20:21], s[4:5], 2, v[32:33]
	s_add_i32 s4, s0, -4
	s_lshl_b32 s5, s4, 2
	s_add_i32 s7, s5, s15
	s_add_i32 s5, s5, s18
	s_lshl_b32 s20, s2, 7
	v_lshl_add_u64 v[22:23], s[2:3], 2, v[32:33]
	s_add_i32 s2, s0, -5
	v_mov_b32_e32 v28, s7
	v_mov_b32_e32 v29, s5
	s_add_i32 s5, s6, s20
	s_lshl_b32 s7, s2, 2
	v_mov_b32_e32 v30, s5
	s_add_i32 s5, s7, s19
	v_mov_b32_e32 v31, s5
	s_add_i32 s5, s7, s20
	s_lshl_b32 s21, s4, 7
	ds_read2_b32 v[76:77], v28 offset1:1
	ds_read2_b32 v[44:45], v29 offset1:1
	ds_read_b32 v138, v30
	ds_read2_b32 v[50:51], v31 offset1:1
	v_mov_b32_e32 v28, s5
	s_add_i32 s5, s7, s21
	v_mov_b32_e32 v29, s5
	s_mov_b32 s5, s3
	s_add_i32 s6, s0, -6
	v_lshl_add_u64 v[60:61], s[4:5], 2, v[32:33]
	s_lshl_b32 s4, s6, 2
	s_add_i32 s5, s4, s15
	s_add_i32 s4, s4, s18
	s_lshl_b32 s22, s2, 7
	v_lshl_add_u64 v[54:55], s[2:3], 2, v[32:33]
	s_add_i32 s2, s0, -7
	v_mov_b32_e32 v30, s5
	v_mov_b32_e32 v31, s4
	s_add_i32 s4, s7, s22
	s_lshl_b32 s5, s2, 2
	ds_read2_b32 v[66:67], v28 offset1:1
	ds_read2_b32 v[58:59], v29 offset1:1
	;; [unrolled: 1-line block ×4, first 2 shown]
	v_mov_b32_e32 v28, s4
	s_add_i32 s4, s5, s19
	v_mov_b32_e32 v29, s4
	s_add_i32 s4, s5, s20
	;; [unrolled: 2-line block ×4, first 2 shown]
	s_lshl_b32 s23, s6, 7
	ds_read_b32 v145, v28
	ds_read2_b32 v[72:73], v29 offset1:1
	ds_read2_b32 v[28:29], v30 offset1:1
	;; [unrolled: 1-line block ×3, first 2 shown]
	v_mov_b32_e32 v30, s4
	s_add_i32 s4, s5, s23
	v_mov_b32_e32 v31, s4
	s_add_i32 s4, s0, -8
	s_lshl_b32 s8, s4, 2
	s_add_i32 s9, s8, s18
	s_mov_b32 s7, s3
	v_mov_b32_e32 v34, s9
	s_waitcnt lgkmcnt(4)
	v_mov_b32_e32 v82, v69
	v_mov_b32_e32 v91, v68
	s_lshl_b32 s24, s2, 7
	v_lshl_add_u64 v[68:69], s[2:3], 2, v[32:33]
	s_add_i32 s2, s0, -9
	ds_read2_b32 v[88:89], v34 offset1:1
	v_lshl_add_u64 v[34:35], s[6:7], 2, v[32:33]
	s_add_i32 s6, s8, s15
	s_add_i32 s5, s5, s24
	s_lshl_b32 s7, s2, 2
	v_mov_b32_e32 v40, s6
	v_mov_b32_e32 v87, v26
	v_mov_b32_e32 v26, s5
	s_add_i32 s5, s7, s19
	ds_read2_b32 v[46:47], v30 offset1:1
	ds_read2_b32 v[62:63], v31 offset1:1
	;; [unrolled: 1-line block ×3, first 2 shown]
	v_mov_b32_e32 v40, s5
	s_add_i32 s5, s7, s20
	v_mov_b32_e32 v41, s5
	s_add_i32 s5, s7, s21
	v_mov_b32_e32 v79, v44
	v_mov_b32_e32 v44, s5
	s_add_i32 s5, s7, s22
	ds_read_b32 v146, v26
	ds_read2_b32 v[106:107], v40 offset1:1
	ds_read2_b32 v[92:93], v41 offset1:1
	;; [unrolled: 1-line block ×3, first 2 shown]
	v_mov_b32_e32 v26, s5
	s_add_i32 s5, s7, s23
	s_waitcnt lgkmcnt(10)
	v_mov_b32_e32 v53, v72
	s_waitcnt lgkmcnt(8)
	v_mov_b32_e32 v81, v74
	v_mov_b32_e32 v72, v75
	ds_read2_b32 v[74:75], v26 offset1:1
	v_mov_b32_e32 v26, s5
	s_add_i32 s5, s7, s24
	s_lshl_b32 s25, s4, 7
	s_add_i32 s6, s0, -10
	v_mov_b32_e32 v40, s5
	s_add_i32 s5, s7, s25
	s_lshl_b32 s8, s6, 2
	v_mov_b32_e32 v44, s5
	s_add_i32 s9, s8, s15
	s_lshl_b32 s26, s2, 7
	v_mov_b32_e32 v86, v45
	ds_read2_b32 v[152:153], v26 offset1:1
	ds_read2_b32 v[40:41], v40 offset1:1
	;; [unrolled: 1-line block ×3, first 2 shown]
	v_mov_b32_e32 v26, s9
	s_add_i32 s9, s8, s18
	s_add_i32 s7, s7, s26
	v_mov_b32_e32 v30, v51
	v_mov_b32_e32 v83, v50
	;; [unrolled: 1-line block ×4, first 2 shown]
	ds_read2_b32 v[108:109], v26 offset1:1
	ds_read2_b32 v[166:167], v50 offset1:1
	ds_read_b32 v144, v51
	v_lshl_add_u64 v[50:51], s[2:3], 2, v[32:33]
	s_add_i32 s2, s0, -11
	s_lshl_b32 s7, s2, 2
	v_mul_f32_e32 v14, v14, v100
	s_add_i32 s9, s7, s19
	s_waitcnt lgkmcnt(2)
	v_fma_f32 v147, -v14, v109, v9
	v_mov_b32_e32 v9, s9
	s_add_i32 s9, s8, s20
	v_mov_b32_e32 v99, v93
	v_fma_f32 v93, -v14, v77, v11
	v_mov_b32_e32 v11, s9
	s_add_i32 s9, s8, s21
	v_fma_f32 v148, -v14, v97, v13
	v_mov_b32_e32 v13, s9
	s_add_i32 s9, s8, s22
	v_mov_b32_e32 v26, s9
	s_add_i32 s9, s8, s23
	v_fma_f32 v104, -v14, v95, v39
	v_mov_b32_e32 v39, s9
	s_add_i32 s9, s8, s24
	flat_store_dword v[42:43], v14
	v_mov_b32_e32 v42, s9
	s_add_i32 s9, s8, s25
	v_mov_b32_e32 v43, s9
	s_add_i32 s9, s8, s26
	v_fma_f32 v15, -v14, v57, v15
	v_mov_b32_e32 v57, s9
	s_add_i32 s9, s7, s15
	v_mov_b32_e32 v84, v56
	v_mov_b32_e32 v90, v94
	;; [unrolled: 1-line block ×3, first 2 shown]
	ds_read2_b32 v[176:177], v9 offset1:1
	ds_read_b32 v107, v11
	ds_read_b32 v100, v13
	ds_read_b32 v101, v26
	ds_read_b32 v94, v39
	ds_read_b32 v95, v42
	ds_read_b32 v56, v43
	ds_read_b32 v57, v57
	v_mov_b32_e32 v9, s9
	ds_read_b32 v9, v9
	s_lshl_b32 s27, s6, 7
	s_add_i32 s8, s8, s27
	v_mov_b32_e32 v85, v70
	v_mov_b32_e32 v11, s8
	s_add_i32 s8, s7, s18
	v_mul_f32_e32 v15, v15, v71
	v_mov_b32_e32 v78, v76
	v_mov_b32_e32 v13, s8
	v_pk_mul_f32 v[42:43], v[14:15], v[84:85]
	ds_read_b32 v26, v13
	ds_read_b32 v143, v11
	s_waitcnt lgkmcnt(0)
	v_fma_f32 v150, -v14, v9, v7
	v_sub_f32_e32 v7, v10, v42
	v_pk_mul_f32 v[10:11], v[14:15], v[78:79]
	v_mov_b32_e32 v102, v96
	v_sub_f32_e32 v9, v38, v10
	v_pk_mul_f32 v[38:39], v[14:15], v[90:91]
	v_mov_b32_e32 v103, v88
	v_sub_f32_e32 v10, v12, v38
	v_mov_b32_e32 v52, v89
	v_mov_b32_e32 v89, v75
	;; [unrolled: 1-line block ×3, first 2 shown]
	v_sub_f32_e32 v139, v9, v11
	v_sub_f32_e32 v75, v10, v39
	v_pk_mul_f32 v[10:11], v[14:15], v[102:103]
	v_sub_f32_e32 v38, v7, v43
	v_sub_f32_e32 v7, v8, v10
	v_pk_mul_f32 v[8:9], v[14:15], v[108:109]
	s_add_i32 s8, s7, s20
	v_sub_f32_e32 v6, v6, v8
	v_mov_b32_e32 v31, v67
	v_mov_b32_e32 v67, v58
	v_sub_f32_e32 v58, v6, v9
	v_mov_b32_e32 v6, s8
	s_add_i32 s8, s7, s21
	v_mov_b32_e32 v80, v28
	v_mov_b32_e32 v28, v73
	;; [unrolled: 1-line block ×4, first 2 shown]
	v_sub_f32_e32 v62, v7, v11
	v_mov_b32_e32 v7, s8
	s_add_i32 s8, s7, s22
	v_mov_b32_e32 v8, s8
	s_add_i32 s8, s7, s23
	;; [unrolled: 2-line block ×4, first 2 shown]
	s_add_i32 s8, s0, -12
	v_mov_b32_e32 v11, s7
	s_lshl_b32 s7, s8, 2
	s_add_i32 s9, s7, s26
	flat_store_dword v[64:65], v15
	v_mov_b32_e32 v12, s9
	s_add_i32 s9, s7, s27
	s_lshl_b32 s28, s2, 7
	v_lshl_add_u64 v[76:77], s[2:3], 2, v[32:33]
	s_add_i32 s2, s0, -13
	ds_read_b32 v116, v6
	ds_read_b32 v117, v7
	;; [unrolled: 1-line block ×6, first 2 shown]
	ds_read2_b32 v[154:155], v12 offset1:1
	v_mov_b32_e32 v10, s9
	s_lshl_b32 s9, s2, 2
	s_add_i32 s10, s9, s15
	v_mov_b32_e32 v6, s10
	s_add_i32 s10, s9, s18
	v_mov_b32_e32 v8, s10
	ds_read2_b32 v[6:7], v6 offset1:1
	ds_read2_b32 v[8:9], v8 offset1:1
	s_add_i32 s10, s7, s28
	v_mov_b32_e32 v11, s10
	s_add_i32 s10, s9, s19
	s_waitcnt lgkmcnt(0)
	v_fma_f32 v4, -v14, v7, v4
	v_fma_f32 v149, -v15, v9, v4
	v_mov_b32_e32 v4, s10
	s_add_i32 s10, s9, s20
	v_mov_b32_e32 v7, s10
	s_add_i32 s10, s9, s21
	;; [unrolled: 2-line block ×3, first 2 shown]
	ds_read2_b32 v[64:65], v10 offset1:1
	ds_read2_b32 v[78:79], v11 offset1:1
	v_mov_b32_e32 v10, s10
	s_add_i32 s10, s9, s23
	ds_read2_b32 v[110:111], v4 offset1:1
	ds_read2_b32 v[118:119], v7 offset1:1
	;; [unrolled: 1-line block ×4, first 2 shown]
	v_mov_b32_e32 v4, s10
	s_add_i32 s10, s9, s24
	s_lshl_b32 s29, s8, 7
	v_mov_b32_e32 v7, s10
	s_add_i32 s7, s7, s29
	s_add_i32 s10, s0, -14
	s_add_i32 s9, s9, s25
	v_mov_b32_e32 v10, s7
	s_lshl_b32 s7, s10, 2
	v_mov_b32_e32 v9, s9
	ds_read2_b32 v[162:163], v4 offset1:1
	ds_read2_b32 v[96:97], v7 offset1:1
	;; [unrolled: 1-line block ×3, first 2 shown]
	ds_read_b32 v142, v10
	v_fma_f32 v4, -v14, v6, v5
	s_add_i32 s9, s7, s26
	v_fma_f32 v151, -v15, v8, v4
	v_mov_b32_e32 v4, s9
	s_add_i32 s9, s7, s27
	v_mov_b32_e32 v5, s9
	s_add_i32 s9, s7, s28
	;; [unrolled: 2-line block ×3, first 2 shown]
	v_mov_b32_e32 v7, s9
	ds_read2_b32 v[174:175], v4 offset1:1
	ds_read2_b32 v[70:71], v5 offset1:1
	;; [unrolled: 1-line block ×4, first 2 shown]
	s_lshl_b32 s30, s2, 7
	v_lshl_add_u64 v[4:5], s[2:3], 2, v[32:33]
	s_add_i32 s2, s0, -15
	s_lshl_b32 s9, s2, 2
	s_add_i32 s11, s9, s15
	v_mov_b32_e32 v6, s11
	s_add_i32 s11, s9, s18
	v_mov_b32_e32 v8, s11
	ds_read2_b32 v[6:7], v6 offset1:1
	ds_read2_b32 v[8:9], v8 offset1:1
	s_add_i32 s11, s7, s30
	v_mov_b32_e32 v10, s11
	s_add_i32 s11, s9, s19
	v_mov_b32_e32 v11, s11
	s_waitcnt lgkmcnt(0)
	v_fma_f32 v2, -v14, v7, v2
	s_add_i32 s11, s9, s20
	v_mov_b32_e32 v88, v157
	v_fma_f32 v157, -v15, v9, v2
	v_mov_b32_e32 v2, s11
	s_add_i32 s11, s9, s21
	v_mov_b32_e32 v7, s11
	s_add_i32 s11, s9, s22
	s_lshl_b32 s31, s10, 7
	v_mov_b32_e32 v9, s11
	s_add_i32 s11, s9, s23
	s_add_i32 s7, s7, s31
	s_add_i32 s12, s0, -16
	ds_read2_b32 v[114:115], v11 offset1:1
	ds_read2_b32 v[12:13], v10 offset1:1
	v_mov_b32_e32 v10, s11
	ds_read2_b32 v[126:127], v2 offset1:1
	ds_read2_b32 v[122:123], v7 offset1:1
	;; [unrolled: 1-line block ×4, first 2 shown]
	s_add_i32 s11, s9, s24
	s_add_i32 s9, s9, s25
	v_mov_b32_e32 v9, s7
	s_lshl_b32 s7, s12, 2
	v_mov_b32_e32 v7, s9
	v_fma_f32 v3, -v14, v6, v3
	s_add_i32 s9, s7, s26
	v_mov_b32_e32 v2, s11
	v_fma_f32 v166, -v15, v8, v3
	v_mov_b32_e32 v3, s9
	s_add_i32 s9, s7, s27
	ds_read2_b32 v[108:109], v2 offset1:1
	ds_read2_b32 v[178:179], v7 offset1:1
	ds_read_b32 v140, v9
	ds_read2_b32 v[164:165], v3 offset1:1
	v_mov_b32_e32 v2, s9
	s_add_i32 s9, s7, s28
	v_mov_b32_e32 v3, s9
	s_add_i32 s9, s7, s29
	;; [unrolled: 2-line block ×3, first 2 shown]
	v_mov_b32_e32 v7, s9
	ds_read2_b32 v[84:85], v2 offset1:1
	ds_read2_b32 v[168:169], v3 offset1:1
	;; [unrolled: 1-line block ×4, first 2 shown]
	s_lshl_b32 s33, s2, 7
	v_lshl_add_u64 v[2:3], s[2:3], 2, v[32:33]
	s_sub_i32 s2, s0, 17
	s_add_i32 s9, s7, s31
	s_lshl_b32 s35, s2, 2
	v_mov_b32_e32 v6, s9
	s_add_i32 s9, s35, s15
	v_mov_b32_e32 v7, s9
	s_add_i32 s9, s35, s18
	v_mov_b32_e32 v8, s9
	ds_read2_b32 v[124:125], v7 offset1:1
	ds_read2_b32 v[134:135], v8 offset1:1
	s_add_i32 s9, s7, s33
	v_mov_b32_e32 v8, s9
	s_add_i32 s9, s35, s19
	s_waitcnt lgkmcnt(0)
	v_fma_f32 v18, -v14, v125, v18
	v_fma_f32 v182, -v15, v135, v18
	v_mov_b32_e32 v18, s9
	s_add_i32 s9, s35, s20
	v_mov_b32_e32 v39, s9
	s_add_i32 s9, s35, s21
	v_mov_b32_e32 v105, s9
	s_add_i32 s9, s35, s22
	v_mov_b32_e32 v125, s9
	s_add_i32 s9, s35, s23
	ds_read2_b32 v[6:7], v6 offset1:1
	ds_read2_b32 v[8:9], v8 offset1:1
	v_fma_f32 v124, -v14, v124, v19
	ds_read2_b32 v[18:19], v18 offset1:1
	ds_read2_b32 v[132:133], v39 offset1:1
	;; [unrolled: 1-line block ×4, first 2 shown]
	v_mov_b32_e32 v39, s9
	s_add_i32 s9, s35, s24
	s_lshl_b32 s34, s12, 7
	v_mov_b32_e32 v105, s9
	s_add_i32 s9, s35, s25
	s_add_i32 s7, s7, s34
	v_fma_f32 v183, -v15, v134, v124
	v_mov_b32_e32 v124, s9
	v_mov_b32_e32 v125, s7
	ds_read2_b32 v[134:135], v39 offset1:1
	ds_read2_b32 v[186:187], v124 offset1:1
	ds_read_b32 v141, v125
	ds_read2_b32 v[136:137], v105 offset1:1
	v_mul_f32_e32 v39, v38, v27
	v_mov_b32_e32 v38, v15
	flat_store_dword v[20:21], v39
	v_pk_mul_f32 v[20:21], v[38:39], v[86:87]
	v_pk_mul_f32 v[82:83], v[38:39], v[82:83]
	v_sub_f32_e32 v20, v93, v20
	v_sub_f32_e32 v184, v20, v21
	v_mov_b32_e32 v20, v167
	v_mov_b32_e32 v21, v106
	s_mov_b32 s5, s3
	v_sub_f32_e32 v27, v104, v82
	v_pk_mul_f32 v[20:21], v[38:39], v[20:21]
	v_lshl_add_u64 v[124:125], s[4:5], 2, v[32:33]
	v_sub_f32_e32 v167, v27, v83
	v_mov_b32_e32 v27, v176
	v_sub_f32_e32 v20, v147, v20
	s_add_i32 s4, s35, s26
	v_mov_b32_e32 v106, v177
	v_sub_f32_e32 v147, v20, v21
	v_pk_mul_f32 v[20:21], v[38:39], v[26:27]
	s_waitcnt lgkmcnt(0)
	v_fma_f32 v177, -v39, v18, v183
	v_mov_b32_e32 v18, s4
	s_add_i32 s4, s35, s27
	v_sub_f32_e32 v20, v150, v20
	v_fma_f32 v176, -v39, v19, v182
	v_mov_b32_e32 v19, s4
	s_add_i32 s4, s35, s28
	v_pk_mul_f32 v[52:53], v[38:39], v[52:53]
	v_sub_f32_e32 v38, v20, v21
	v_mov_b32_e32 v20, s4
	s_add_i32 s4, s35, s29
	v_mov_b32_e32 v21, s4
	s_add_i32 s4, s35, s30
	;; [unrolled: 2-line block ×3, first 2 shown]
	v_sub_f32_e32 v52, v148, v52
	v_mov_b32_e32 v27, s4
	s_add_i32 s4, s35, s33
	v_sub_f32_e32 v148, v52, v53
	v_mov_b32_e32 v52, s4
	s_add_i32 s4, s35, s34
	v_mov_b32_e32 v53, s4
	v_fma_f32 v150, -v39, v115, v157
	v_fma_f32 v166, -v39, v114, v166
	ds_read_b32 v114, v18
	ds_read_b32 v115, v19
	;; [unrolled: 1-line block ×8, first 2 shown]
	v_mul_f32_e32 v53, v184, v138
	v_mov_b32_e32 v52, v39
	flat_store_dword v[22:23], v53
	v_pk_mul_f32 v[22:23], v[52:53], v[30:31]
	v_pk_mul_f32 v[30:31], v[52:53], v[98:99]
	v_sub_f32_e32 v22, v139, v22
	v_sub_f32_e32 v30, v62, v30
	;; [unrolled: 1-line block ×4, first 2 shown]
	v_pk_mul_f32 v[30:31], v[52:53], v[106:107]
	v_mul_f32_e32 v59, v182, v59
	v_sub_f32_e32 v30, v58, v30
	v_mov_b32_e32 v58, v53
	flat_store_dword v[60:61], v59
	v_pk_mul_f32 v[60:61], v[58:59], v[66:67]
	v_mov_b32_e32 v99, v11
	v_sub_f32_e32 v11, v167, v60
	v_sub_f32_e32 v11, v11, v61
	v_pk_mul_f32 v[60:61], v[58:59], v[80:81]
	v_mov_b32_e32 v93, v156
	v_mov_b32_e32 v157, v41
	v_sub_f32_e32 v41, v148, v60
	v_sub_f32_e32 v148, v41, v61
	v_pk_mul_f32 v[60:61], v[58:59], v[92:93]
	v_pk_mul_f32 v[28:29], v[52:53], v[28:29]
	v_sub_f32_e32 v41, v147, v60
	v_sub_f32_e32 v28, v75, v28
	v_sub_f32_e32 v147, v41, v61
	v_pk_mul_f32 v[60:61], v[58:59], v[116:117]
	v_sub_f32_e32 v183, v28, v29
	v_mov_b32_e32 v29, v119
	v_sub_f32_e32 v38, v38, v60
	v_mov_b32_e32 v119, v158
	v_fma_f32 v151, -v39, v110, v151
	v_mov_b32_e32 v28, v111
	v_sub_f32_e32 v38, v38, v61
	v_pk_mul_f32 v[60:61], v[58:59], v[118:119]
	v_pk_mul_f32 v[28:29], v[52:53], v[28:29]
	v_mov_b32_e32 v41, v44
	v_sub_f32_e32 v44, v151, v60
	v_mov_b32_e32 v138, v136
	v_sub_f32_e32 v136, v30, v31
	;; [unrolled: 2-line block ×3, first 2 shown]
	v_mov_b32_e32 v66, v159
	v_mov_b32_e32 v67, v113
	v_sub_f32_e32 v44, v44, v61
	v_mul_f32_e32 v61, v11, v145
	v_mov_b32_e32 v60, v59
	v_sub_f32_e32 v12, v12, v29
	v_pk_mul_f32 v[66:67], v[60:61], v[66:67]
	v_pk_mul_f32 v[72:73], v[60:61], v[72:73]
	v_sub_f32_e32 v11, v12, v66
	v_sub_f32_e32 v66, v183, v72
	flat_store_dword v[54:55], v61
	v_sub_f32_e32 v66, v66, v73
	v_pk_mul_f32 v[54:55], v[60:61], v[88:89]
	v_mul_f32_e32 v63, v66, v63
	v_sub_f32_e32 v54, v62, v54
	v_mov_b32_e32 v62, v61
	v_mov_b32_e32 v113, v162
	flat_store_dword v[34:35], v63
	v_pk_mul_f32 v[34:35], v[62:63], v[46:47]
	v_sub_f32_e32 v11, v11, v67
	v_pk_mul_f32 v[66:67], v[62:63], v[112:113]
	v_sub_f32_e32 v34, v148, v34
	v_mov_b32_e32 v107, v78
	v_fma_f32 v78, -v53, v133, v176
	v_pk_mul_f32 v[100:101], v[60:61], v[100:101]
	v_sub_f32_e32 v44, v44, v66
	v_sub_f32_e32 v34, v34, v35
	v_fma_f32 v149, -v53, v132, v177
	v_fma_f32 v58, -v59, v131, v78
	v_sub_f32_e32 v12, v136, v100
	v_sub_f32_e32 v88, v44, v67
	v_mul_f32_e32 v67, v34, v146
	v_mov_b32_e32 v66, v63
	v_mov_b32_e32 v136, v135
	;; [unrolled: 1-line block ×3, first 2 shown]
	v_fma_f32 v52, -v53, v126, v166
	v_mov_b32_e32 v116, v123
	v_mov_b32_e32 v117, v121
	v_fma_f32 v78, -v59, v130, v149
	v_mov_b32_e32 v121, v172
	v_fma_f32 v58, -v61, v129, v58
	v_pk_mul_f32 v[34:35], v[66:67], v[136:137]
	s_mov_b32 s9, s3
	v_fma_f32 v52, -v59, v122, v52
	v_pk_mul_f32 v[116:117], v[60:61], v[116:117]
	v_sub_f32_e32 v60, v54, v55
	v_fma_f32 v78, -v61, v128, v78
	v_pk_mul_f32 v[54:55], v[62:63], v[120:121]
	v_pk_mul_f32 v[74:75], v[62:63], v[74:75]
	v_sub_f32_e32 v34, v58, v34
	s_mov_b32 s7, s3
	v_lshl_add_u64 v[86:87], s[8:9], 2, v[32:33]
	v_mov_b32_e32 v29, v7
	v_fma_f32 v7, -v53, v127, v150
	v_mov_b32_e32 v92, v163
	v_mov_b32_e32 v93, v97
	v_sub_f32_e32 v52, v52, v54
	v_sub_f32_e32 v54, v147, v74
	v_fma_f32 v58, -v63, v134, v78
	v_sub_f32_e32 v78, v34, v35
	s_lshl_b32 s9, s2, 7
	v_lshl_add_u64 v[34:35], s[2:3], 2, v[32:33]
	s_sub_i32 s2, s0, 18
	v_lshl_add_u64 v[104:105], s[6:7], 2, v[32:33]
	v_mov_b32_e32 v156, v153
	v_mov_b32_e32 v118, v173
	;; [unrolled: 1-line block ×3, first 2 shown]
	v_sub_f32_e32 v7, v7, v116
	v_pk_mul_f32 v[72:73], v[62:63], v[102:103]
	v_sub_f32_e32 v62, v54, v75
	v_sub_f32_e32 v52, v52, v55
	v_pk_mul_f32 v[54:55], v[66:67], v[92:93]
	s_add_i32 s4, s35, s9
	s_lshl_b32 s6, s2, 2
	v_sub_f32_e32 v7, v7, v117
	v_sub_f32_e32 v38, v38, v72
	v_pk_mul_f32 v[46:47], v[66:67], v[118:119]
	v_sub_f32_e32 v11, v11, v54
	v_pk_mul_f32 v[74:75], v[66:67], v[156:157]
	v_mov_b32_e32 v54, s4
	s_add_i32 s4, s6, s20
	v_sub_f32_e32 v12, v12, v101
	v_sub_f32_e32 v38, v38, v73
	v_sub_f32_e32 v7, v7, v46
	v_pk_mul_f32 v[72:73], v[66:67], v[94:95]
	v_sub_f32_e32 v44, v60, v74
	v_sub_f32_e32 v60, v11, v55
	s_add_i32 s5, s6, s15
	v_mov_b32_e32 v55, s4
	s_add_i32 s4, s6, s21
	v_sub_f32_e32 v12, v12, v72
	v_sub_f32_e32 v66, v7, v47
	v_mov_b32_e32 v7, v8
	v_mov_b32_e32 v8, s5
	s_add_i32 s5, s6, s18
	v_mov_b32_e32 v72, s4
	s_add_i32 s4, s6, s22
	v_sub_f32_e32 v12, v12, v73
	v_mov_b32_e32 v46, s5
	s_add_i32 s5, s6, s19
	v_mov_b32_e32 v73, s4
	s_add_i32 s4, s6, s23
	flat_store_dword v[68:69], v67
	v_mov_b32_e32 v47, s5
	v_mov_b32_e32 v74, s4
	v_sub_f32_e32 v44, v44, v75
	ds_read_b32 v75, v8
	ds_read_b32 v46, v46
	;; [unrolled: 1-line block ×8, first 2 shown]
	s_waitcnt lgkmcnt(0)
	v_fma_f32 v48, -v14, v75, v48
	v_fma_f32 v46, -v15, v46, v48
	s_add_i32 s4, s6, s24
	v_fma_f32 v46, -v39, v47, v46
	v_mov_b32_e32 v47, s4
	ds_read_b32 v47, v47
	v_fma_f32 v46, -v53, v55, v46
	v_fma_f32 v46, -v59, v72, v46
	;; [unrolled: 1-line block ×3, first 2 shown]
	s_add_i32 s4, s6, s25
	v_fma_f32 v46, -v63, v74, v46
	v_mov_b32_e32 v48, s4
	s_add_i32 s4, s6, s26
	v_mul_f32_e32 v75, v44, v45
	v_mov_b32_e32 v74, v67
	v_mov_b32_e32 v97, v160
	;; [unrolled: 1-line block ×3, first 2 shown]
	v_pk_mul_f32 v[40:41], v[74:75], v[40:41]
	s_sub_i32 s4, s0, 19
	v_mov_b32_e32 v139, v186
	v_mov_b32_e32 v109, v178
	s_waitcnt lgkmcnt(0)
	v_fma_f32 v100, -v67, v47, v46
	v_sub_f32_e32 v40, v62, v40
	v_pk_mul_f32 v[44:45], v[74:75], v[90:91]
	v_pk_mul_f32 v[46:47], v[74:75], v[96:97]
	s_lshl_b32 s5, s4, 2
	ds_read_b32 v72, v48
	ds_read_b32 v73, v54
	v_sub_f32_e32 v38, v38, v44
	v_sub_f32_e32 v44, v88, v46
	v_pk_mul_f32 v[54:55], v[74:75], v[108:109]
	v_sub_f32_e32 v48, v40, v41
	v_pk_mul_f32 v[40:41], v[74:75], v[138:139]
	s_add_i32 s7, s5, s27
	v_sub_f32_e32 v46, v52, v54
	v_sub_f32_e32 v52, v44, v47
	;; [unrolled: 1-line block ×3, first 2 shown]
	v_mov_b32_e32 v44, s7
	s_add_i32 s7, s6, s28
	v_sub_f32_e32 v74, v40, v41
	v_mov_b32_e32 v40, s7
	s_add_i32 s7, s6, s29
	v_mov_b32_e32 v41, s7
	s_add_i32 s7, s6, s30
	v_sub_f32_e32 v38, v38, v45
	v_mov_b32_e32 v45, s7
	s_add_i32 s7, s6, s31
	s_mov_b32 s11, s3
	v_sub_f32_e32 v62, v46, v55
	v_mov_b32_e32 v46, s7
	s_add_i32 s7, s6, s33
	v_lshl_add_u64 v[26:27], s[10:11], 2, v[32:33]
	v_mov_b32_e32 v47, s7
	s_add_i32 s7, s6, s34
	s_lshl_b32 s11, s2, 7
	flat_store_dword v[124:125], v75
	v_mov_b32_e32 v58, s7
	s_add_i32 s7, s6, s9
	s_add_i32 s6, s6, s11
	v_mov_b32_e32 v88, s7
	ds_read2_b32 v[108:109], v44 offset1:1
	ds_read_b32 v89, v40
	ds_read_b32 v54, v41
	;; [unrolled: 1-line block ×7, first 2 shown]
	v_mov_b32_e32 v58, s6
	s_add_i32 s6, s5, s15
	v_mov_b32_e32 v90, s6
	s_add_i32 s6, s5, s18
	;; [unrolled: 2-line block ×3, first 2 shown]
	v_lshl_add_u64 v[40:41], s[2:3], 2, v[32:33]
	s_add_i32 s2, s5, s21
	v_mov_b32_e32 v92, s6
	s_add_i32 s6, s5, s20
	v_mov_b32_e32 v94, s2
	;; [unrolled: 2-line block ×3, first 2 shown]
	v_mov_b32_e32 v95, s2
	s_add_i32 s2, s5, s23
	v_mov_b32_e32 v96, s2
	ds_read_b32 v134, v58
	ds_read_b32 v58, v90
	;; [unrolled: 1-line block ×8, first 2 shown]
	s_waitcnt lgkmcnt(0)
	v_fma_f32 v49, -v14, v58, v49
	v_fma_f32 v49, -v15, v90, v49
	s_add_i32 s2, s5, s24
	v_fma_f32 v49, -v39, v91, v49
	v_mov_b32_e32 v58, s2
	s_add_i32 s2, s5, s25
	v_fma_f32 v49, -v53, v92, v49
	v_mov_b32_e32 v90, s2
	ds_read_b32 v58, v58
	ds_read_b32 v91, v90
	v_fma_f32 v49, -v59, v93, v49
	v_fma_f32 v49, -v61, v94, v49
	;; [unrolled: 1-line block ×3, first 2 shown]
	v_mov_b32_e32 v126, v161
	v_mov_b32_e32 v127, v154
	s_waitcnt lgkmcnt(0)
	v_fma_f32 v49, -v67, v58, v49
	v_mul_f32_e32 v95, v48, v144
	v_mov_b32_e32 v94, v75
	v_mov_b32_e32 v132, v179
	;; [unrolled: 1-line block ×3, first 2 shown]
	s_add_i32 s2, s5, s26
	v_fma_f32 v97, -v75, v91, v49
	v_pk_mul_f32 v[48:49], v[94:95], v[56:57]
	v_pk_mul_f32 v[56:57], v[94:95], v[126:127]
	v_mov_b32_e32 v90, s2
	v_sub_f32_e32 v12, v12, v48
	v_sub_f32_e32 v48, v60, v56
	v_pk_mul_f32 v[92:93], v[94:95], v[132:133]
	s_sub_i32 s2, s0, 20
	v_sub_f32_e32 v56, v66, v92
	v_sub_f32_e32 v12, v12, v49
	v_sub_f32_e32 v66, v48, v57
	v_pk_mul_f32 v[48:49], v[94:95], v[72:73]
	s_lshl_b32 s7, s2, 2
	v_mov_b32_e32 v68, v187
	v_mov_b32_e32 v69, v164
	v_sub_f32_e32 v48, v100, v48
	s_add_i32 s6, s7, s28
	v_pk_mul_f32 v[68:69], v[94:95], v[68:69]
	v_sub_f32_e32 v94, v48, v49
	v_mov_b32_e32 v48, s6
	s_add_i32 s6, s5, s29
	v_mov_b32_e32 v49, s6
	s_add_i32 s6, s5, s30
	ds_read_b32 v90, v90
	flat_store_dword v[50:51], v95
	v_mov_b32_e32 v50, s6
	s_add_i32 s6, s5, s31
	v_mov_b32_e32 v51, s6
	s_add_i32 s6, s5, s33
	v_sub_f32_e32 v102, v56, v93
	v_mov_b32_e32 v56, s6
	s_add_i32 s6, s5, s34
	v_sub_f32_e32 v58, v78, v68
	v_mov_b32_e32 v57, s6
	s_add_i32 s6, s5, s9
	s_lshl_b32 s35, s4, 7
	v_sub_f32_e32 v103, v58, v69
	v_mov_b32_e32 v58, s6
	s_add_i32 s6, s5, s11
	s_add_i32 s5, s5, s35
	v_mov_b32_e32 v60, s6
	ds_read2_b32 v[112:113], v48 offset1:1
	ds_read_b32 v127, v49
	ds_read_b32 v68, v50
	;; [unrolled: 1-line block ×7, first 2 shown]
	v_mov_b32_e32 v58, s5
	s_mov_b32 s5, s3
	v_lshl_add_u64 v[48:49], s[4:5], 2, v[32:33]
	s_add_i32 s4, s7, s15
	v_mov_b32_e32 v60, s4
	s_add_i32 s4, s7, s18
	v_mov_b32_e32 v72, s4
	s_add_i32 s4, s7, s19
	v_mov_b32_e32 v73, s4
	s_add_i32 s4, s7, s20
	v_mov_b32_e32 v78, s4
	s_add_i32 s4, s7, s21
	v_mov_b32_e32 v92, s4
	s_add_i32 s4, s7, s22
	v_mov_b32_e32 v93, s4
	s_add_i32 s4, s7, s23
	v_mov_b32_e32 v96, s4
	ds_read_b32 v135, v58
	ds_read_b32 v58, v60
	;; [unrolled: 1-line block ×8, first 2 shown]
	s_waitcnt lgkmcnt(0)
	v_fma_f32 v36, -v14, v58, v36
	s_add_i32 s4, s7, s24
	v_fma_f32 v36, -v15, v60, v36
	v_mov_b32_e32 v58, s4
	s_add_i32 s4, s7, s25
	v_fma_f32 v36, -v39, v72, v36
	v_mov_b32_e32 v60, s4
	;; [unrolled: 3-line block ×3, first 2 shown]
	v_fma_f32 v36, -v59, v78, v36
	ds_read_b32 v58, v58
	ds_read_b32 v60, v60
	;; [unrolled: 1-line block ×3, first 2 shown]
	v_fma_f32 v36, -v61, v92, v36
	v_fma_f32 v36, -v63, v93, v36
	v_mov_b32_e32 v106, v64
	v_mov_b32_e32 v64, v155
	s_add_i32 s4, s7, s27
	s_waitcnt lgkmcnt(0)
	v_fma_f32 v36, -v67, v58, v36
	v_mul_f32_e32 v101, v12, v143
	v_mov_b32_e32 v100, v95
	v_mov_b32_e32 v80, v165
	;; [unrolled: 1-line block ×4, first 2 shown]
	v_fma_f32 v36, -v75, v60, v36
	v_pk_mul_f32 v[64:65], v[100:101], v[64:65]
	v_mov_b32_e32 v91, v108
	ds_read_b32 v96, v73
	v_fma_f32 v108, -v95, v72, v36
	v_sub_f32_e32 v12, v38, v64
	v_pk_mul_f32 v[72:73], v[100:101], v[80:81]
	v_mov_b32_e32 v110, v70
	v_mov_b32_e32 v70, v175
	v_sub_f32_e32 v38, v62, v72
	v_sub_f32_e32 v62, v12, v65
	v_pk_mul_f32 v[64:65], v[100:101], v[114:115]
	v_pk_mul_f32 v[70:71], v[100:101], v[70:71]
	v_sub_f32_e32 v12, v74, v64
	s_sub_i32 s6, s0, 21
	v_sub_f32_e32 v36, v52, v70
	v_sub_f32_e32 v12, v12, v65
	v_pk_mul_f32 v[64:65], v[100:101], v[90:91]
	s_lshl_b32 s4, s6, 2
	v_sub_f32_e32 v58, v36, v71
	v_sub_f32_e32 v36, v97, v64
	s_add_i32 s5, s4, s29
	v_sub_f32_e32 v52, v38, v73
	v_sub_f32_e32 v38, v36, v65
	v_mov_b32_e32 v36, s5
	s_add_i32 s5, s7, s30
	v_mov_b32_e32 v60, s5
	s_add_i32 s5, s7, s31
	;; [unrolled: 2-line block ×7, first 2 shown]
	flat_store_dword v[104:105], v101
	v_mov_b32_e32 v78, s5
	s_lshl_b32 s36, s2, 7
	s_add_i32 s5, s4, s15
	ds_read2_b32 v[114:115], v36 offset1:1
	ds_read_b32 v93, v60
	ds_read_b32 v80, v64
	;; [unrolled: 1-line block ×7, first 2 shown]
	v_mov_b32_e32 v36, s5
	s_add_i32 s5, s7, s36
	v_mov_b32_e32 v60, s5
	s_add_i32 s5, s4, s18
	;; [unrolled: 2-line block ×7, first 2 shown]
	v_mov_b32_e32 v91, s5
	ds_read_b32 v36, v36
	ds_read_b32 v100, v64
	;; [unrolled: 1-line block ×8, first 2 shown]
	s_waitcnt lgkmcnt(0)
	v_fma_f32 v36, -v14, v36, v37
	v_lshl_add_u64 v[64:65], s[2:3], 2, v[32:33]
	v_fma_f32 v36, -v15, v100, v36
	s_add_i32 s2, s4, s24
	v_fma_f32 v36, -v39, v104, v36
	v_mov_b32_e32 v37, s2
	s_add_i32 s2, s4, s25
	v_fma_f32 v36, -v53, v74, v36
	v_mov_b32_e32 v60, s2
	s_add_i32 s2, s4, s26
	v_fma_f32 v36, -v59, v78, v36
	v_mov_b32_e32 v74, s2
	s_add_i32 s2, s4, s27
	v_fma_f32 v36, -v61, v90, v36
	v_mov_b32_e32 v78, s2
	s_add_i32 s2, s4, s28
	v_fma_f32 v36, -v63, v91, v36
	v_mov_b32_e32 v90, s2
	ds_read_b32 v37, v37
	ds_read_b32 v60, v60
	ds_read_b32 v74, v74
	ds_read_b32 v78, v78
	ds_read_b32 v130, v90
	s_waitcnt lgkmcnt(0)
	v_fma_f32 v36, -v67, v37, v36
	v_fma_f32 v36, -v75, v60, v36
	v_mov_b32_e32 v126, v113
	v_mov_b32_e32 v97, v112
	v_fma_f32 v36, -v95, v74, v36
	v_mul_f32_e32 v113, v62, v79
	v_mov_b32_e32 v112, v101
	v_fma_f32 v60, -v101, v78, v36
	v_pk_mul_f32 v[36:37], v[112:113], v[106:107]
	v_mov_b32_e32 v88, v109
	v_sub_f32_e32 v36, v66, v36
	v_sub_f32_e32 v62, v36, v37
	v_pk_mul_f32 v[36:37], v[112:113], v[88:89]
	s_sub_i32 s2, s0, 22
	v_sub_f32_e32 v36, v94, v36
	v_sub_f32_e32 v139, v36, v37
	v_pk_mul_f32 v[36:37], v[112:113], v[96:97]
	s_lshl_b32 s5, s2, 2
	v_mov_b32_e32 v111, v180
	v_sub_f32_e32 v36, v108, v36
	s_add_i32 s4, s5, s30
	v_mov_b32_e32 v85, v168
	v_pk_mul_f32 v[78:79], v[112:113], v[110:111]
	v_sub_f32_e32 v138, v36, v37
	v_mov_b32_e32 v36, s4
	s_add_i32 s4, s5, s31
	v_sub_f32_e32 v66, v102, v78
	v_pk_mul_f32 v[84:85], v[112:113], v[84:85]
	v_mov_b32_e32 v37, s4
	s_add_i32 s4, s5, s33
	v_sub_f32_e32 v74, v103, v84
	v_sub_f32_e32 v144, v66, v79
	v_mov_b32_e32 v66, s4
	s_add_i32 s4, s5, s34
	flat_store_dword v[76:77], v113
	v_sub_f32_e32 v143, v74, v85
	v_mov_b32_e32 v74, s4
	s_add_i32 s4, s5, s9
	ds_read2_b32 v[150:151], v36 offset1:1
	ds_read2_b32 v[96:97], v37 offset1:1
	;; [unrolled: 1-line block ×4, first 2 shown]
	v_mov_b32_e32 v36, s4
	s_add_i32 s4, s5, s11
	v_mov_b32_e32 v37, s4
	s_add_i32 s4, s5, s35
	;; [unrolled: 2-line block ×3, first 2 shown]
	s_lshl_b32 s8, s6, 7
	v_mov_b32_e32 v74, s4
	s_add_i32 s4, s5, s8
	ds_read2_b32 v[156:157], v36 offset1:1
	ds_read2_b32 v[88:89], v37 offset1:1
	;; [unrolled: 1-line block ×4, first 2 shown]
	v_mov_b32_e32 v66, s4
	s_sub_i32 s4, s0, 23
	s_lshl_b32 s10, s4, 2
	s_add_i32 s7, s10, s15
	v_mov_b32_e32 v74, s7
	s_add_i32 s7, s10, s18
	v_mov_b32_e32 v76, s7
	;; [unrolled: 2-line block ×3, first 2 shown]
	s_mov_b32 s7, s3
	ds_read2_b32 v[102:103], v74 offset1:1
	ds_read2_b32 v[104:105], v76 offset1:1
	;; [unrolled: 1-line block ×4, first 2 shown]
	v_lshl_add_u64 v[76:77], s[6:7], 2, v[32:33]
	s_add_i32 s6, s10, s20
	v_mov_b32_e32 v66, s6
	s_add_i32 s6, s5, s21
	v_mov_b32_e32 v74, s6
	;; [unrolled: 2-line block ×4, first 2 shown]
	s_add_i32 s6, s5, s24
	s_waitcnt lgkmcnt(0)
	v_fma_f32 v24, -v14, v103, v24
	v_mov_b32_e32 v94, s6
	s_add_i32 s6, s5, s25
	v_fma_f32 v24, -v15, v105, v24
	v_mov_b32_e32 v100, s6
	s_add_i32 s6, s5, s26
	;; [unrolled: 3-line block ×3, first 2 shown]
	v_mov_b32_e32 v105, s6
	ds_read2_b32 v[108:109], v66 offset1:1
	ds_read_b32 v66, v74
	ds_read_b32 v74, v84
	;; [unrolled: 1-line block ×7, first 2 shown]
	s_waitcnt lgkmcnt(0)
	v_fma_f32 v24, -v53, v109, v24
	v_fma_f32 v24, -v59, v66, v24
	s_add_i32 s6, s5, s28
	v_fma_f32 v24, -v61, v74, v24
	v_mov_b32_e32 v66, s6
	v_fma_f32 v24, -v63, v84, v24
	ds_read_b32 v66, v66
	s_lshl_b32 s10, s2, 7
	v_fma_f32 v24, -v67, v85, v24
	s_add_i32 s6, s5, s29
	s_add_i32 s5, s5, s10
	v_lshl_add_u64 v[84:85], s[2:3], 2, v[32:33]
	s_sub_i32 s2, s0, 24
	v_fma_f32 v24, -v75, v94, v24
	v_mov_b32_e32 v94, s5
	s_lshl_b32 s5, s2, 2
	v_fma_f32 v24, -v95, v100, v24
	v_mov_b32_e32 v74, s6
	s_add_i32 s6, s5, s21
	v_mov_b32_e32 v131, v114
	v_fma_f32 v24, -v101, v103, v24
	v_mov_b32_e32 v100, s6
	ds_read_b32 v114, v74
	ds_read_b32 v137, v94
	ds_read2_b32 v[110:111], v100 offset1:1
	s_add_i32 s6, s5, s22
	s_waitcnt lgkmcnt(0)
	v_fma_f32 v146, -v113, v66, v24
	v_fma_f32 v24, -v14, v102, v25
	v_mov_b32_e32 v25, s6
	s_add_i32 s6, s5, s23
	v_fma_f32 v24, -v15, v104, v24
	v_mov_b32_e32 v66, s6
	ds_read2_b32 v[104:105], v25 offset1:1
	ds_read2_b32 v[116:117], v66 offset1:1
	s_add_i32 s6, s5, s24
	v_fma_f32 v24, -v39, v106, v24
	v_mov_b32_e32 v25, s6
	s_add_i32 s6, s5, s25
	v_fma_f32 v24, -v53, v108, v24
	v_mov_b32_e32 v66, s6
	ds_read2_b32 v[106:107], v25 offset1:1
	ds_read2_b32 v[108:109], v66 offset1:1
	s_add_i32 s6, s5, s26
	v_fma_f32 v24, -v59, v111, v24
	v_mov_b32_e32 v25, s6
	s_add_i32 s6, s5, s27
	s_waitcnt lgkmcnt(0)
	v_fma_f32 v24, -v61, v105, v24
	v_mov_b32_e32 v66, s6
	s_add_i32 s6, s5, s28
	v_fma_f32 v24, -v63, v117, v24
	v_mov_b32_e32 v74, s6
	ds_read2_b32 v[124:125], v25 offset1:1
	ds_read2_b32 v[128:129], v66 offset1:1
	ds_read2_b32 v[148:149], v74 offset1:1
	s_add_i32 s6, s5, s29
	v_fma_f32 v24, -v67, v107, v24
	v_mov_b32_e32 v25, s6
	s_add_i32 s6, s5, s30
	v_fma_f32 v24, -v75, v109, v24
	v_mov_b32_e32 v74, s6
	s_sub_i32 s6, s0, 25
	s_waitcnt lgkmcnt(0)
	v_fma_f32 v24, -v95, v125, v24
	s_lshl_b32 s45, s6, 2
	v_fma_f32 v24, -v101, v129, v24
	s_add_i32 s7, s45, s15
	v_fma_f32 v66, -v113, v149, v24
	v_mov_b32_e32 v24, s7
	ds_read2_b32 v[132:133], v25 offset1:1
	ds_read2_b32 v[152:153], v24 offset1:1
	s_add_i32 s7, s45, s18
	v_mov_b32_e32 v24, s7
	s_add_i32 s7, s45, s19
	v_mov_b32_e32 v25, s7
	;; [unrolled: 2-line block ×3, first 2 shown]
	v_mov_b32_e32 v11, v170
	v_mov_b32_e32 v94, s7
	ds_read2_b32 v[154:155], v24 offset1:1
	ds_read2_b32 v[170:171], v25 offset1:1
	ds_read2_b32 v[172:173], v94 offset1:1
	s_waitcnt lgkmcnt(0)
	v_fma_f32 v16, -v14, v153, v16
	s_mov_b32 s13, s3
	v_fma_f32 v16, -v15, v155, v16
	v_fma_f32 v16, -v39, v171, v16
	;; [unrolled: 1-line block ×5, first 2 shown]
	v_lshl_add_u64 v[22:23], s[12:13], 2, v[32:33]
	s_add_i32 s12, s5, s8
	v_fma_f32 v16, -v63, v116, v16
	v_mov_b32_e32 v24, s12
	s_add_i32 s12, s5, s10
	v_fma_f32 v16, -v67, v106, v16
	v_mov_b32_e32 v25, s12
	s_lshl_b32 s12, s4, 7
	v_fma_f32 v16, -v75, v108, v16
	s_add_i32 s13, s5, s12
	v_fma_f32 v16, -v95, v124, v16
	v_mov_b32_e32 v30, v42
	v_mov_b32_e32 v42, v181
	v_mov_b32_e32 v94, s13
	s_add_i32 s13, s1, 0xfffff3a0
	v_fma_f32 v16, -v101, v128, v16
	v_mul_f32_e32 v129, v62, v142
	v_mov_b32_e32 v128, v113
	s_add_i32 s7, s5, s31
	ds_read2_b32 v[166:167], v24 offset1:1
	ds_read2_b32 v[102:103], v25 offset1:1
	;; [unrolled: 1-line block ×3, first 2 shown]
	v_mov_b32_e32 v94, s13
	v_pk_mul_f32 v[42:43], v[128:129], v[42:43]
	ds_read_b32 v145, v94
	v_mov_b32_e32 v94, s7
	s_add_i32 s7, s5, s33
	v_sub_f32_e32 v42, v58, v42
	v_mov_b32_e32 v100, s7
	s_add_i32 s7, s5, s34
	v_mov_b32_e32 v125, v97
	v_sub_f32_e32 v97, v42, v43
	v_pk_mul_f32 v[42:43], v[128:129], v[82:83]
	v_mov_b32_e32 v105, s7
	s_add_i32 s7, s5, s9
	v_sub_f32_e32 v12, v12, v42
	ds_read2_b32 v[122:123], v74 offset1:1
	ds_read2_b32 v[162:163], v100 offset1:1
	;; [unrolled: 1-line block ×4, first 2 shown]
	v_mov_b32_e32 v74, s7
	s_add_i32 s7, s5, s11
	v_sub_f32_e32 v142, v12, v43
	v_pk_mul_f32 v[42:43], v[128:129], v[126:127]
	v_mov_b32_e32 v98, v169
	v_mov_b32_e32 v94, s7
	s_add_i32 s7, s5, s35
	s_add_i32 s5, s5, s36
	v_sub_f32_e32 v12, v38, v42
	v_mov_b32_e32 v100, s7
	v_mov_b32_e32 v104, s5
	ds_read2_b32 v[164:165], v74 offset1:1
	ds_read2_b32 v[168:169], v100 offset1:1
	;; [unrolled: 1-line block ×4, first 2 shown]
	v_fma_f32 v94, -v14, v152, v17
	v_pk_mul_f32 v[98:99], v[128:129], v[98:99]
	v_sub_f32_e32 v147, v12, v43
	v_pk_mul_f32 v[42:43], v[128:129], v[130:131]
	v_fma_f32 v94, -v15, v154, v94
	s_add_i32 s67, s45, s21
	s_add_i32 s66, s45, s22
	;; [unrolled: 1-line block ×8, first 2 shown]
	v_sub_f32_e32 v52, v52, v98
	v_sub_f32_e32 v12, v60, v42
	v_fma_f32 v74, -v113, v148, v16
	v_fma_f32 v94, -v39, v170, v94
	flat_store_dword v[86:87], v129
	v_sub_f32_e32 v148, v52, v99
	v_sub_f32_e32 v128, v12, v43
	v_mov_b32_e32 v12, s67
	v_mov_b32_e32 v38, s66
	;; [unrolled: 1-line block ×8, first 2 shown]
	v_fma_f32 v94, -v53, v172, v94
	ds_read_b32 v12, v12
	ds_read_b32 v38, v38
	;; [unrolled: 1-line block ×8, first 2 shown]
	s_waitcnt lgkmcnt(0)
	v_fma_f32 v12, -v59, v12, v94
	v_fma_f32 v12, -v61, v38, v12
	;; [unrolled: 1-line block ×3, first 2 shown]
	s_mov_b32 s5, s3
	v_fma_f32 v12, -v67, v43, v12
	v_lshl_add_u64 v[104:105], s[4:5], 2, v[32:33]
	s_sub_i32 s4, s0, 27
	v_fma_f32 v12, -v75, v52, v12
	s_add_i32 s59, s45, s29
	s_add_i32 s58, s45, s30
	;; [unrolled: 1-line block ×3, first 2 shown]
	s_lshl_b32 s5, s4, 2
	v_fma_f32 v12, -v95, v58, v12
	s_add_i32 s56, s45, s33
	s_add_i32 s55, s45, s34
	;; [unrolled: 1-line block ×6, first 2 shown]
	v_mov_b32_e32 v38, s59
	v_fma_f32 v12, -v101, v60, v12
	v_mov_b32_e32 v42, s58
	v_mov_b32_e32 v43, s57
	s_add_i32 s51, s45, s36
	s_lshl_b32 s13, s2, 7
	v_mov_b32_e32 v124, v151
	v_fma_f32 v149, -v129, v133, v66
	v_fma_f32 v12, -v113, v62, v12
	v_mov_b32_e32 v52, s56
	v_mov_b32_e32 v58, s55
	;; [unrolled: 1-line block ×5, first 2 shown]
	ds_read_b32 v38, v38
	ds_read_b32 v153, v42
	;; [unrolled: 1-line block ×8, first 2 shown]
	v_mov_b32_e32 v43, s47
	s_add_i32 s50, s45, s8
	s_add_i32 s49, s45, s10
	;; [unrolled: 1-line block ×6, first 2 shown]
	s_waitcnt lgkmcnt(0)
	v_fma_f32 v154, -v129, v38, v12
	v_mov_b32_e32 v12, s51
	ds_read2_b32 v[130:131], v43 offset1:1
	v_mov_b32_e32 v92, v115
	s_add_i32 s41, s5, s19
	v_mov_b32_e32 v115, v150
	v_fma_f32 v152, -v129, v132, v74
	v_mov_b32_e32 v38, s50
	v_mov_b32_e32 v52, s49
	;; [unrolled: 1-line block ×6, first 2 shown]
	ds_read_b32 v43, v12
	ds_read_b32 v126, v38
	ds_read2_b32 v[132:133], v58 offset1:1
	ds_read_b32 v127, v52
	ds_read_b32 v98, v60
	;; [unrolled: 1-line block ×4, first 2 shown]
	s_add_i32 s42, s5, s20
	s_add_i32 s43, s5, s21
	s_waitcnt lgkmcnt(0)
	v_fma_f32 v12, -v14, v133, v0
	v_mov_b32_e32 v0, s41
	v_fma_f32 v14, -v14, v132, v1
	v_mov_b32_e32 v38, s42
	v_mov_b32_e32 v52, s43
	ds_read2_b32 v[0:1], v0 offset1:1
	ds_read2_b32 v[132:133], v38 offset1:1
	;; [unrolled: 1-line block ×3, first 2 shown]
	v_fma_f32 v12, -v15, v131, v12
	s_add_i32 s39, s5, s22
	s_add_i32 s40, s5, s23
	;; [unrolled: 1-line block ×3, first 2 shown]
	v_fma_f32 v14, -v15, v130, v14
	s_waitcnt lgkmcnt(0)
	v_fma_f32 v1, -v39, v1, v12
	v_fma_f32 v12, -v53, v133, v1
	;; [unrolled: 1-line block ×3, first 2 shown]
	v_mov_b32_e32 v1, s39
	v_mov_b32_e32 v14, s40
	;; [unrolled: 1-line block ×3, first 2 shown]
	v_fma_f32 v58, -v53, v132, v0
	ds_read2_b32 v[0:1], v1 offset1:1
	ds_read2_b32 v[14:15], v14 offset1:1
	;; [unrolled: 1-line block ×3, first 2 shown]
	s_add_i32 s37, s5, s25
	v_fma_f32 v12, -v59, v171, v12
	v_mov_b32_e32 v52, s37
	ds_read2_b32 v[52:53], v52 offset1:1
	s_waitcnt lgkmcnt(0)
	v_fma_f32 v1, -v61, v1, v12
	v_fma_f32 v1, -v63, v15, v1
	s_add_i32 s25, s5, s26
	v_fma_f32 v12, -v67, v39, v1
	v_fma_f32 v1, -v59, v170, v58
	s_add_i32 s24, s5, s27
	s_add_i32 s23, s5, s28
	;; [unrolled: 1-line block ×3, first 2 shown]
	v_mov_b32_e32 v15, s25
	v_fma_f32 v0, -v61, v0, v1
	v_mov_b32_e32 v39, s24
	v_mov_b32_e32 v58, s23
	;; [unrolled: 1-line block ×3, first 2 shown]
	v_fma_f32 v62, -v63, v14, v0
	ds_read2_b32 v[0:1], v15 offset1:1
	ds_read2_b32 v[14:15], v39 offset1:1
	;; [unrolled: 1-line block ×4, first 2 shown]
	v_fma_f32 v12, -v75, v53, v12
	s_waitcnt lgkmcnt(0)
	v_fma_f32 v1, -v95, v1, v12
	v_fma_f32 v1, -v101, v15, v1
	s_mov_b32 s7, s3
	s_add_i32 s21, s5, s30
	v_fma_f32 v1, -v113, v61, v1
	v_fma_f32 v15, -v67, v38, v62
	v_lshl_add_u64 v[106:107], s[6:7], 2, v[32:33]
	s_add_i32 s20, s5, s31
	s_add_i32 s19, s5, s33
	;; [unrolled: 1-line block ×5, first 2 shown]
	v_fma_f32 v155, -v129, v179, v1
	v_mov_b32_e32 v1, s21
	v_fma_f32 v15, -v75, v52, v15
	s_add_i32 s11, s5, s11
	s_add_i32 s9, s5, s35
	v_mov_b32_e32 v12, s20
	v_mov_b32_e32 v38, s19
	;; [unrolled: 1-line block ×3, first 2 shown]
	ds_read2_b32 v[132:133], v1 offset1:1
	ds_read2_b32 v[130:131], v12 offset1:1
	;; [unrolled: 1-line block ×4, first 2 shown]
	v_mov_b32_e32 v1, s15
	v_fma_f32 v0, -v95, v0, v15
	v_mov_b32_e32 v15, s7
	s_add_i32 s7, s5, s8
	v_mov_b32_e32 v12, s11
	v_mov_b32_e32 v38, s9
	ds_read2_b32 v[62:63], v1 offset1:1
	ds_read2_b32 v[176:177], v12 offset1:1
	;; [unrolled: 1-line block ×4, first 2 shown]
	v_mov_b32_e32 v1, s7
	s_add_i32 s7, s5, s10
	v_mov_b32_e32 v12, s7
	s_add_i32 s7, s5, s12
	v_fma_f32 v0, -v101, v14, v0
	v_lshl_add_u64 v[16:17], s[2:3], 2, v[32:33]
	s_sub_i32 s2, s0, 26
	s_lshl_b32 s6, s6, 7
	v_mov_b32_e32 v15, s7
	s_add_i32 s7, s5, s13
	v_fma_f32 v60, -v113, v60, v0
	v_lshl_add_u64 v[108:109], s[2:3], 2, v[32:33]
	v_mov_b32_e32 v14, s7
	ds_read2_b32 v[52:53], v1 offset1:1
	ds_read2_b32 v[174:175], v12 offset1:1
	;; [unrolled: 1-line block ×4, first 2 shown]
	s_add_i32 s6, s5, s6
	s_lshl_b32 s2, s2, 7
	v_fma_f32 v180, -v129, v178, v60
	v_mul_f32_e32 v179, v97, v13
	v_mov_b32_e32 v178, v129
	v_mov_b32_e32 v1, s6
	s_add_i32 s2, s5, s2
	v_pk_mul_f32 v[30:31], v[178:179], v[30:31]
	v_pk_mul_f32 v[54:55], v[178:179], v[54:55]
	v_mov_b32_e32 v12, s2
	ds_read2_b32 v[0:1], v1 offset1:1
	ds_read2_b32 v[14:15], v12 offset1:1
	s_waitcnt lgkmcnt(0)
	v_mov_b32_e32 v100, v52
	flat_store_dword v[4:5], v179
	v_mov_b32_e32 v5, v24
	v_sub_f32_e32 v24, v144, v30
	v_sub_f32_e32 v52, v139, v54
	;; [unrolled: 1-line block ×4, first 2 shown]
	v_pk_mul_f32 v[54:55], v[178:179], v[92:93]
	v_fma_f32 v129, -v179, v133, v155
	v_sub_f32_e32 v54, v138, v54
	v_fma_f32 v138, -v179, v132, v180
	v_mul_f32_e32 v133, v24, v140
	v_mov_b32_e32 v132, v179
	v_pk_mul_f32 v[92:93], v[178:179], v[114:115]
	v_mov_b32_e32 v114, v123
	v_mov_b32_e32 v115, v121
	v_pk_mul_f32 v[20:21], v[132:133], v[20:21]
	v_pk_mul_f32 v[114:115], v[132:133], v[114:115]
	;; [unrolled: 1-line block ×4, first 2 shown]
	v_sub_f32_e32 v20, v142, v20
	v_sub_f32_e32 v24, v149, v114
	;; [unrolled: 1-line block ×5, first 2 shown]
	v_pk_mul_f32 v[20:21], v[132:133], v[68:69]
	v_pk_mul_f32 v[10:11], v[178:179], v[10:11]
	flat_store_dword v[26:27], v133
	v_sub_f32_e32 v26, v28, v29
	v_sub_f32_e32 v20, v147, v20
	;; [unrolled: 1-line block ×4, first 2 shown]
	v_mul_f32_e32 v21, v26, v9
	v_mov_b32_e32 v20, v133
	v_mov_b32_e32 v12, v38
	v_sub_f32_e32 v38, v10, v11
	v_pk_mul_f32 v[6:7], v[20:21], v[6:7]
	flat_store_dword v[2:3], v21
	v_sub_f32_e32 v6, v38, v6
	v_pk_mul_f32 v[2:3], v[20:21], v[46:47]
	v_mov_b32_e32 v94, v62
	v_sub_f32_e32 v62, v146, v92
	v_mov_b32_e32 v97, v158
	v_mov_b32_e32 v121, v162
	v_sub_f32_e32 v6, v6, v7
	v_sub_f32_e32 v2, v52, v2
	v_mov_b32_e32 v60, v58
	v_mov_b32_e32 v31, v78
	v_sub_f32_e32 v58, v54, v55
	v_sub_f32_e32 v62, v62, v93
	v_fma_f32 v78, -v179, v122, v152
	v_pk_mul_f32 v[26:27], v[20:21], v[120:121]
	v_pk_mul_f32 v[28:29], v[20:21], v[96:97]
	;; [unrolled: 1-line block ×3, first 2 shown]
	v_sub_f32_e32 v38, v2, v3
	v_mul_f32_e32 v3, v6, v141
	v_mov_b32_e32 v2, v21
	v_mov_b32_e32 v54, v116
	;; [unrolled: 1-line block ×4, first 2 shown]
	v_fma_f32 v116, -v179, v153, v154
	v_mov_b32_e32 v122, v163
	v_mov_b32_e32 v123, v119
	v_sub_f32_e32 v114, v114, v125
	v_fma_f32 v125, -v133, v131, v129
	v_fma_f32 v129, -v133, v130, v138
	v_sub_f32_e32 v9, v78, v26
	v_sub_f32_e32 v26, v62, v28
	;; [unrolled: 1-line block ×3, first 2 shown]
	v_pk_mul_f32 v[18:19], v[2:3], v[18:19]
	v_sub_f32_e32 v24, v24, v115
	v_fma_f32 v115, -v133, v151, v116
	v_sub_f32_e32 v46, v28, v69
	v_sub_f32_e32 v47, v26, v29
	;; [unrolled: 1-line block ×3, first 2 shown]
	v_pk_mul_f32 v[6:7], v[2:3], v[86:87]
	v_fma_f32 v52, -v21, v75, v125
	v_fma_f32 v58, -v21, v74, v129
	v_pk_mul_f32 v[20:21], v[2:3], v[122:123]
	v_pk_mul_f32 v[26:27], v[2:3], v[92:93]
	;; [unrolled: 1-line block ×3, first 2 shown]
	v_sub_f32_e32 v2, v124, v18
	v_sub_f32_e32 v6, v115, v6
	;; [unrolled: 1-line block ×3, first 2 shown]
	v_mov_b32_e32 v119, v164
	v_sub_f32_e32 v20, v24, v20
	v_sub_f32_e32 v24, v114, v26
	;; [unrolled: 1-line block ×4, first 2 shown]
	v_mul_f32_e32 v7, v2, v8
	v_mov_b32_e32 v6, v3
	v_mov_b32_e32 v91, v156
	flat_store_dword v[22:23], v3
	v_sub_f32_e32 v26, v26, v29
	v_sub_f32_e32 v24, v24, v27
	;; [unrolled: 1-line block ×3, first 2 shown]
	v_fma_f32 v29, -v3, v67, v52
	v_fma_f32 v52, -v3, v66, v58
	v_pk_mul_f32 v[2:3], v[6:7], v[118:119]
	v_pk_mul_f32 v[20:21], v[6:7], v[44:45]
	v_sub_f32_e32 v2, v9, v2
	v_pk_mul_f32 v[8:9], v[6:7], v[90:91]
	v_pk_mul_f32 v[18:19], v[6:7], v[72:73]
	v_sub_f32_e32 v6, v38, v20
	v_sub_f32_e32 v6, v6, v21
	v_mul_f32_e32 v21, v6, v134
	v_mov_b32_e32 v20, v7
	v_mov_b32_e32 v112, v88
	;; [unrolled: 1-line block ×3, first 2 shown]
	v_sub_f32_e32 v18, v46, v18
	v_pk_mul_f32 v[22:23], v[20:21], v[50:51]
	v_mov_b32_e32 v116, v165
	v_sub_f32_e32 v8, v47, v8
	v_sub_f32_e32 v6, v26, v22
	;; [unrolled: 1-line block ×3, first 2 shown]
	v_pk_mul_f32 v[18:19], v[20:21], v[88:89]
	v_sub_f32_e32 v6, v6, v23
	v_sub_f32_e32 v18, v24, v18
	;; [unrolled: 1-line block ×3, first 2 shown]
	v_pk_mul_f32 v[8:9], v[20:21], v[116:117]
	flat_store_dword v[34:35], v7
	v_sub_f32_e32 v8, v27, v8
	v_sub_f32_e32 v27, v2, v3
	v_pk_mul_f32 v[2:3], v[20:21], v[82:83]
	v_mov_b32_e32 v113, v160
	v_sub_f32_e32 v2, v28, v2
	v_fma_f32 v28, -v7, v63, v29
	v_mul_f32_e32 v7, v6, v135
	v_mov_b32_e32 v6, v21
	v_pk_mul_f32 v[22:23], v[6:7], v[70:71]
	v_mov_b32_e32 v95, v176
	v_mov_b32_e32 v55, v168
	v_sub_f32_e32 v22, v26, v22
	v_sub_f32_e32 v26, v18, v19
	v_pk_mul_f32 v[18:19], v[6:7], v[112:113]
	flat_store_dword v[40:41], v21
	v_sub_f32_e32 v18, v24, v18
	v_sub_f32_e32 v24, v8, v9
	v_pk_mul_f32 v[8:9], v[6:7], v[54:55]
	v_mov_b32_e32 v58, v177
	v_pk_mul_f32 v[20:21], v[20:21], v[94:95]
	v_sub_f32_e32 v8, v27, v8
	v_sub_f32_e32 v27, v2, v3
	v_pk_mul_f32 v[2:3], v[6:7], v[58:59]
	v_sub_f32_e32 v6, v52, v20
	v_sub_f32_e32 v2, v28, v2
	;; [unrolled: 1-line block ×4, first 2 shown]
	v_mov_b32_e32 v30, v36
	v_mov_b32_e32 v36, v161
	v_mul_f32_e32 v21, v6, v136
	v_mov_b32_e32 v20, v7
	v_mov_b32_e32 v10, v110
	;; [unrolled: 1-line block ×3, first 2 shown]
	flat_store_dword v[48:49], v7
	v_pk_mul_f32 v[6:7], v[20:21], v[36:37]
	v_sub_f32_e32 v22, v18, v19
	v_sub_f32_e32 v6, v26, v6
	v_pk_mul_f32 v[18:19], v[20:21], v[110:111]
	v_mov_b32_e32 v61, v172
	v_sub_f32_e32 v18, v24, v18
	v_sub_f32_e32 v24, v2, v3
	;; [unrolled: 1-line block ×3, first 2 shown]
	v_mul_f32_e32 v3, v2, v79
	v_mov_b32_e32 v2, v21
	v_mov_b32_e32 v11, v166
	v_sub_f32_e32 v23, v8, v9
	v_pk_mul_f32 v[8:9], v[20:21], v[42:43]
	v_pk_mul_f32 v[6:7], v[2:3], v[30:31]
	v_sub_f32_e32 v8, v27, v8
	v_sub_f32_e32 v6, v22, v6
	;; [unrolled: 1-line block ×3, first 2 shown]
	v_pk_mul_f32 v[10:11], v[2:3], v[10:11]
	v_mov_b32_e32 v52, v173
	v_pk_mul_f32 v[18:19], v[20:21], v[60:61]
	v_sub_f32_e32 v10, v23, v10
	v_sub_f32_e32 v23, v8, v9
	v_pk_mul_f32 v[8:9], v[2:3], v[52:53]
	v_sub_f32_e32 v2, v28, v18
	v_sub_f32_e32 v18, v2, v19
	;; [unrolled: 1-line block ×3, first 2 shown]
	v_mov_b32_e32 v4, v102
	v_mov_b32_e32 v102, v167
	v_mul_f32_e32 v7, v2, v137
	v_mov_b32_e32 v6, v3
	flat_store_dword v[76:77], v3
	v_pk_mul_f32 v[2:3], v[6:7], v[102:103]
	v_mov_b32_e32 v101, v174
	v_sub_f32_e32 v2, v22, v2
	v_sub_f32_e32 v2, v2, v3
	v_mul_f32_e32 v3, v2, v25
	v_mov_b32_e32 v2, v7
	v_sub_f32_e32 v8, v24, v8
	v_sub_f32_e32 v19, v10, v11
	v_pk_mul_f32 v[10:11], v[6:7], v[126:127]
	flat_store_dword v[84:85], v7
	v_pk_mul_f32 v[4:5], v[2:3], v[4:5]
	v_mov_b32_e32 v38, v175
	v_pk_mul_f32 v[6:7], v[6:7], v[100:101]
	v_sub_f32_e32 v10, v23, v10
	v_sub_f32_e32 v20, v8, v9
	;; [unrolled: 1-line block ×3, first 2 shown]
	v_pk_mul_f32 v[8:9], v[2:3], v[38:39]
	v_sub_f32_e32 v2, v18, v6
	v_sub_f32_e32 v10, v10, v11
	;; [unrolled: 1-line block ×4, first 2 shown]
	v_mul_f32_e32 v5, v2, v145
	v_mov_b32_e32 v4, v3
	flat_store_dword v[104:105], v3
	v_pk_mul_f32 v[2:3], v[4:5], v[98:99]
	v_sub_f32_e32 v8, v20, v8
	v_sub_f32_e32 v2, v10, v2
	;; [unrolled: 1-line block ×3, first 2 shown]
	v_mul_f32_e32 v3, v2, v150
	v_mov_b32_e32 v2, v5
	v_mov_b32_e32 v6, v171
	;; [unrolled: 1-line block ×4, first 2 shown]
	v_sub_f32_e32 v8, v8, v9
	v_pk_mul_f32 v[6:7], v[2:3], v[6:7]
	flat_store_dword v[16:17], v5
	v_sub_f32_e32 v1, v8, v6
	v_pk_mul_f32 v[4:5], v[4:5], v[12:13]
	v_sub_f32_e32 v1, v1, v7
	v_sub_f32_e32 v2, v11, v4
	;; [unrolled: 1-line block ×3, first 2 shown]
	v_mul_f32_e32 v5, v1, v15
	s_addk_i32 s1, 0xf214
	flat_store_dword v[64:65], v21
	flat_store_dword v[106:107], v3
	;; [unrolled: 1-line block ×3, first 2 shown]
	v_mov_b32_e32 v1, s1
	v_mov_b32_e32 v4, v3
	ds_read_b32 v3, v1
	v_mov_b32_e32 v1, v14
	v_pk_mul_f32 v[0:1], v[4:5], v[0:1]
	s_mov_b32 s5, s3
	v_sub_f32_e32 v0, v2, v0
	v_sub_f32_e32 v0, v0, v1
	s_waitcnt lgkmcnt(0)
	v_mul_f32_e32 v2, v0, v3
	v_lshl_add_u64 v[0:1], s[4:5], 2, v[32:33]
	s_sub_i32 s0, s0, 28
	flat_store_dword v[0:1], v2
.LBB37_55:
	s_cmp_lt_i32 s0, 0
	s_cbranch_scc1 .LBB37_72
; %bb.56:
	s_and_b32 s1, s0, 3
	s_cmp_eq_u32 s1, 3
	s_mov_b32 s2, s0
	s_cbranch_scc1 .LBB37_61
; %bb.57:
	s_lshl_b32 s2, s17, 7
	s_lshl_b32 s3, s0, 2
	s_add_i32 s1, s0, 1
	s_add_i32 s2, s2, s3
	s_and_b32 s1, s1, 3
	s_add_i32 s6, s2, 0xffffff80
	s_mov_b32 s5, 0
	s_mov_b32 s2, s0
	;; [unrolled: 1-line block ×3, first 2 shown]
	s_branch .LBB37_59
.LBB37_58:                              ;   in Loop: Header=BB37_59 Depth=1
	s_mul_i32 s3, s2, 0x84
	v_mov_b32_e32 v1, s3
	ds_read_b32 v1, v1
	s_add_i32 s2, s2, -1
	s_add_i32 s7, s7, 1
	s_add_i32 s6, s6, -4
	s_cmp_lg_u32 s7, s1
	s_waitcnt lgkmcnt(0)
	v_mul_f32_e32 v0, v0, v1
	flat_store_dword v[2:3], v0
	s_cbranch_scc0 .LBB37_61
.LBB37_59:                              ; =>This Loop Header: Depth=1
                                        ;     Child Loop BB37_60 Depth 2
	s_mov_b32 s3, s5
	v_lshl_add_u64 v[2:3], s[2:3], 2, v[32:33]
	flat_load_dword v0, v[2:3]
	s_cmp_le_i32 s14, s2
	s_mov_b32 s3, s6
	s_mov_b32 s4, s14
	s_waitcnt vmcnt(0) lgkmcnt(0)
	v_mul_f32_e32 v0, s16, v0
	s_cbranch_scc1 .LBB37_58
.LBB37_60:                              ;   Parent Loop BB37_59 Depth=1
                                        ; =>  This Inner Loop Header: Depth=2
	v_lshl_add_u64 v[4:5], s[4:5], 2, v[32:33]
	flat_load_dword v1, v[4:5]
	v_mov_b32_e32 v4, s3
	ds_read_b32 v4, v4
	s_add_i32 s4, s4, -1
	s_addk_i32 s3, 0xff80
	s_cmp_gt_i32 s4, s2
	s_waitcnt vmcnt(0) lgkmcnt(0)
	v_fma_f32 v0, -v1, v4, v0
	s_cbranch_scc1 .LBB37_60
	s_branch .LBB37_58
.LBB37_61:
	s_cmp_lt_u32 s0, 3
	s_cbranch_scc1 .LBB37_72
; %bb.62:
	s_lshl_b32 s0, s17, 7
	s_lshl_b32 s1, s2, 2
	s_add_i32 s0, s0, s1
	s_add_i32 s6, s0, 0xffffff80
	;; [unrolled: 1-line block ×5, first 2 shown]
	s_mov_b32 s1, 0
	s_branch .LBB37_64
.LBB37_63:                              ;   in Loop: Header=BB37_64 Depth=1
	s_add_i32 s0, s3, 0xffffff7c
	v_mov_b32_e32 v1, s0
	ds_read_b32 v1, v1
	s_add_i32 s0, s2, -4
	s_add_i32 s6, s6, -16
	;; [unrolled: 1-line block ×5, first 2 shown]
	s_waitcnt lgkmcnt(0)
	v_mul_f32_e32 v0, v0, v1
	s_cmp_lt_i32 s2, 4
	s_mov_b32 s2, s0
	flat_store_dword v[2:3], v0
	s_cbranch_scc1 .LBB37_72
.LBB37_64:                              ; =>This Loop Header: Depth=1
                                        ;     Child Loop BB37_65 Depth 2
                                        ;     Child Loop BB37_67 Depth 2
	;; [unrolled: 1-line block ×4, first 2 shown]
	s_mov_b32 s3, s1
	v_lshl_add_u64 v[4:5], s[2:3], 2, v[32:33]
	flat_load_dword v0, v[4:5]
	s_cmp_le_i32 s14, s2
	s_mov_b32 s3, s6
	s_mov_b32 s0, s14
	s_waitcnt vmcnt(0) lgkmcnt(0)
	v_mul_f32_e32 v0, s16, v0
	s_cbranch_scc1 .LBB37_66
.LBB37_65:                              ;   Parent Loop BB37_64 Depth=1
                                        ; =>  This Inner Loop Header: Depth=2
	v_lshl_add_u64 v[2:3], s[0:1], 2, v[32:33]
	flat_load_dword v1, v[2:3]
	v_mov_b32_e32 v2, s3
	ds_read_b32 v2, v2
	s_add_i32 s0, s0, -1
	s_addk_i32 s3, 0xff80
	s_cmp_gt_i32 s0, s2
	s_waitcnt vmcnt(0) lgkmcnt(0)
	v_fma_f32 v0, -v1, v2, v0
	s_cbranch_scc1 .LBB37_65
.LBB37_66:                              ;   in Loop: Header=BB37_64 Depth=1
	s_add_i32 s0, s2, -1
	v_lshl_add_u64 v[2:3], s[0:1], 2, v[32:33]
	flat_load_dword v1, v[2:3]
	s_mul_i32 s3, s2, 0x84
	v_mov_b32_e32 v6, s3
	ds_read_b32 v6, v6
	s_mov_b32 s4, s7
	s_cmp_le_i32 s17, s2
	s_mov_b32 s0, s17
	s_waitcnt lgkmcnt(0)
	v_mul_f32_e32 v0, v0, v6
	flat_store_dword v[4:5], v0
	s_waitcnt vmcnt(0)
	v_mul_f32_e32 v0, s16, v1
	s_cbranch_scc1 .LBB37_68
.LBB37_67:                              ;   Parent Loop BB37_64 Depth=1
                                        ; =>  This Inner Loop Header: Depth=2
	s_add_i32 s0, s0, -1
	v_lshl_add_u64 v[4:5], s[0:1], 2, v[32:33]
	flat_load_dword v1, v[4:5]
	v_mov_b32_e32 v4, s4
	ds_read_b32 v4, v4
	s_addk_i32 s4, 0xff80
	s_cmp_gt_i32 s0, s2
	s_waitcnt vmcnt(0) lgkmcnt(0)
	v_fma_f32 v0, -v1, v4, v0
	s_cbranch_scc1 .LBB37_67
.LBB37_68:                              ;   in Loop: Header=BB37_64 Depth=1
	s_add_i32 s4, s2, -2
	s_mov_b32 s5, s1
	v_lshl_add_u64 v[4:5], s[4:5], 2, v[32:33]
	flat_load_dword v1, v[4:5]
	s_addk_i32 s3, 0xff7c
	v_mov_b32_e32 v6, s3
	ds_read_b32 v6, v6
	s_mov_b32 s5, s8
	s_cmp_le_i32 s14, s4
	s_mov_b32 s0, s14
	s_waitcnt lgkmcnt(0)
	v_mul_f32_e32 v0, v0, v6
	flat_store_dword v[2:3], v0
	s_waitcnt vmcnt(0)
	v_mul_f32_e32 v0, s16, v1
	s_cbranch_scc1 .LBB37_70
.LBB37_69:                              ;   Parent Loop BB37_64 Depth=1
                                        ; =>  This Inner Loop Header: Depth=2
	v_lshl_add_u64 v[2:3], s[0:1], 2, v[32:33]
	flat_load_dword v1, v[2:3]
	v_mov_b32_e32 v2, s5
	ds_read_b32 v2, v2
	s_add_i32 s0, s0, -1
	s_addk_i32 s5, 0xff80
	s_cmp_gt_i32 s0, s4
	s_waitcnt vmcnt(0) lgkmcnt(0)
	v_fma_f32 v0, -v1, v2, v0
	s_cbranch_scc1 .LBB37_69
.LBB37_70:                              ;   in Loop: Header=BB37_64 Depth=1
	s_add_i32 s4, s2, -3
	s_mov_b32 s5, s1
	v_lshl_add_u64 v[2:3], s[4:5], 2, v[32:33]
	flat_load_dword v1, v[2:3]
	s_addk_i32 s3, 0xff7c
	v_mov_b32_e32 v6, s3
	ds_read_b32 v6, v6
	s_mov_b32 s5, s9
	s_cmp_le_i32 s14, s4
	s_mov_b32 s0, s14
	s_waitcnt lgkmcnt(0)
	v_mul_f32_e32 v0, v0, v6
	flat_store_dword v[4:5], v0
	s_waitcnt vmcnt(0)
	v_mul_f32_e32 v0, s16, v1
	s_cbranch_scc1 .LBB37_63
.LBB37_71:                              ;   Parent Loop BB37_64 Depth=1
                                        ; =>  This Inner Loop Header: Depth=2
	v_lshl_add_u64 v[4:5], s[0:1], 2, v[32:33]
	flat_load_dword v1, v[4:5]
	v_mov_b32_e32 v4, s5
	ds_read_b32 v4, v4
	s_add_i32 s0, s0, -1
	s_addk_i32 s5, 0xff80
	s_cmp_gt_i32 s0, s4
	s_waitcnt vmcnt(0) lgkmcnt(0)
	v_fma_f32 v0, -v1, v4, v0
	s_cbranch_scc1 .LBB37_71
	s_branch .LBB37_63
.LBB37_72:
	s_endpgm
	.section	.rodata,"a",@progbits
	.p2align	6, 0x0
	.amdhsa_kernel _ZL30rocblas_trsm_small_left_deviceILi32ELi32ELb0EffPKPKfPKPfEv13rocblas_fill_18rocblas_operation_17rocblas_diagonal_iiT3_T4_lilT5_lili
		.amdhsa_group_segment_fixed_size 4096
		.amdhsa_private_segment_fixed_size 0
		.amdhsa_kernarg_size 352
		.amdhsa_user_sgpr_count 2
		.amdhsa_user_sgpr_dispatch_ptr 0
		.amdhsa_user_sgpr_queue_ptr 0
		.amdhsa_user_sgpr_kernarg_segment_ptr 1
		.amdhsa_user_sgpr_dispatch_id 0
		.amdhsa_user_sgpr_kernarg_preload_length 0
		.amdhsa_user_sgpr_kernarg_preload_offset 0
		.amdhsa_user_sgpr_private_segment_size 0
		.amdhsa_uses_dynamic_stack 0
		.amdhsa_enable_private_segment 0
		.amdhsa_system_sgpr_workgroup_id_x 1
		.amdhsa_system_sgpr_workgroup_id_y 0
		.amdhsa_system_sgpr_workgroup_id_z 1
		.amdhsa_system_sgpr_workgroup_info 0
		.amdhsa_system_vgpr_workitem_id 0
		.amdhsa_next_free_vgpr 188
		.amdhsa_next_free_sgpr 68
		.amdhsa_accum_offset 188
		.amdhsa_reserve_vcc 1
		.amdhsa_float_round_mode_32 0
		.amdhsa_float_round_mode_16_64 0
		.amdhsa_float_denorm_mode_32 3
		.amdhsa_float_denorm_mode_16_64 3
		.amdhsa_dx10_clamp 1
		.amdhsa_ieee_mode 1
		.amdhsa_fp16_overflow 0
		.amdhsa_tg_split 0
		.amdhsa_exception_fp_ieee_invalid_op 0
		.amdhsa_exception_fp_denorm_src 0
		.amdhsa_exception_fp_ieee_div_zero 0
		.amdhsa_exception_fp_ieee_overflow 0
		.amdhsa_exception_fp_ieee_underflow 0
		.amdhsa_exception_fp_ieee_inexact 0
		.amdhsa_exception_int_div_zero 0
	.end_amdhsa_kernel
	.section	.text._ZL30rocblas_trsm_small_left_deviceILi32ELi32ELb0EffPKPKfPKPfEv13rocblas_fill_18rocblas_operation_17rocblas_diagonal_iiT3_T4_lilT5_lili,"axG",@progbits,_ZL30rocblas_trsm_small_left_deviceILi32ELi32ELb0EffPKPKfPKPfEv13rocblas_fill_18rocblas_operation_17rocblas_diagonal_iiT3_T4_lilT5_lili,comdat
.Lfunc_end37:
	.size	_ZL30rocblas_trsm_small_left_deviceILi32ELi32ELb0EffPKPKfPKPfEv13rocblas_fill_18rocblas_operation_17rocblas_diagonal_iiT3_T4_lilT5_lili, .Lfunc_end37-_ZL30rocblas_trsm_small_left_deviceILi32ELi32ELb0EffPKPKfPKPfEv13rocblas_fill_18rocblas_operation_17rocblas_diagonal_iiT3_T4_lilT5_lili
                                        ; -- End function
	.set _ZL30rocblas_trsm_small_left_deviceILi32ELi32ELb0EffPKPKfPKPfEv13rocblas_fill_18rocblas_operation_17rocblas_diagonal_iiT3_T4_lilT5_lili.num_vgpr, 188
	.set _ZL30rocblas_trsm_small_left_deviceILi32ELi32ELb0EffPKPKfPKPfEv13rocblas_fill_18rocblas_operation_17rocblas_diagonal_iiT3_T4_lilT5_lili.num_agpr, 0
	.set _ZL30rocblas_trsm_small_left_deviceILi32ELi32ELb0EffPKPKfPKPfEv13rocblas_fill_18rocblas_operation_17rocblas_diagonal_iiT3_T4_lilT5_lili.numbered_sgpr, 68
	.set _ZL30rocblas_trsm_small_left_deviceILi32ELi32ELb0EffPKPKfPKPfEv13rocblas_fill_18rocblas_operation_17rocblas_diagonal_iiT3_T4_lilT5_lili.num_named_barrier, 0
	.set _ZL30rocblas_trsm_small_left_deviceILi32ELi32ELb0EffPKPKfPKPfEv13rocblas_fill_18rocblas_operation_17rocblas_diagonal_iiT3_T4_lilT5_lili.private_seg_size, 0
	.set _ZL30rocblas_trsm_small_left_deviceILi32ELi32ELb0EffPKPKfPKPfEv13rocblas_fill_18rocblas_operation_17rocblas_diagonal_iiT3_T4_lilT5_lili.uses_vcc, 1
	.set _ZL30rocblas_trsm_small_left_deviceILi32ELi32ELb0EffPKPKfPKPfEv13rocblas_fill_18rocblas_operation_17rocblas_diagonal_iiT3_T4_lilT5_lili.uses_flat_scratch, 0
	.set _ZL30rocblas_trsm_small_left_deviceILi32ELi32ELb0EffPKPKfPKPfEv13rocblas_fill_18rocblas_operation_17rocblas_diagonal_iiT3_T4_lilT5_lili.has_dyn_sized_stack, 0
	.set _ZL30rocblas_trsm_small_left_deviceILi32ELi32ELb0EffPKPKfPKPfEv13rocblas_fill_18rocblas_operation_17rocblas_diagonal_iiT3_T4_lilT5_lili.has_recursion, 0
	.set _ZL30rocblas_trsm_small_left_deviceILi32ELi32ELb0EffPKPKfPKPfEv13rocblas_fill_18rocblas_operation_17rocblas_diagonal_iiT3_T4_lilT5_lili.has_indirect_call, 0
	.section	.AMDGPU.csdata,"",@progbits
; Kernel info:
; codeLenInByte = 19068
; TotalNumSgprs: 74
; NumVgprs: 188
; NumAgprs: 0
; TotalNumVgprs: 188
; ScratchSize: 0
; MemoryBound: 1
; FloatMode: 240
; IeeeMode: 1
; LDSByteSize: 4096 bytes/workgroup (compile time only)
; SGPRBlocks: 9
; VGPRBlocks: 23
; NumSGPRsForWavesPerEU: 74
; NumVGPRsForWavesPerEU: 188
; AccumOffset: 188
; Occupancy: 2
; WaveLimiterHint : 1
; COMPUTE_PGM_RSRC2:SCRATCH_EN: 0
; COMPUTE_PGM_RSRC2:USER_SGPR: 2
; COMPUTE_PGM_RSRC2:TRAP_HANDLER: 0
; COMPUTE_PGM_RSRC2:TGID_X_EN: 1
; COMPUTE_PGM_RSRC2:TGID_Y_EN: 0
; COMPUTE_PGM_RSRC2:TGID_Z_EN: 1
; COMPUTE_PGM_RSRC2:TIDIG_COMP_CNT: 0
; COMPUTE_PGM_RSRC3_GFX90A:ACCUM_OFFSET: 46
; COMPUTE_PGM_RSRC3_GFX90A:TG_SPLIT: 0
	.section	.text._ZL38rocblas_trsm_small_left_device_sharedBILi32ELi32ELb1EffPKPKfPKPfEv13rocblas_fill_18rocblas_operation_17rocblas_diagonal_iiT3_T4_lilT5_lili,"axG",@progbits,_ZL38rocblas_trsm_small_left_device_sharedBILi32ELi32ELb1EffPKPKfPKPfEv13rocblas_fill_18rocblas_operation_17rocblas_diagonal_iiT3_T4_lilT5_lili,comdat
	.globl	_ZL38rocblas_trsm_small_left_device_sharedBILi32ELi32ELb1EffPKPKfPKPfEv13rocblas_fill_18rocblas_operation_17rocblas_diagonal_iiT3_T4_lilT5_lili ; -- Begin function _ZL38rocblas_trsm_small_left_device_sharedBILi32ELi32ELb1EffPKPKfPKPfEv13rocblas_fill_18rocblas_operation_17rocblas_diagonal_iiT3_T4_lilT5_lili
	.p2align	8
	.type	_ZL38rocblas_trsm_small_left_device_sharedBILi32ELi32ELb1EffPKPKfPKPfEv13rocblas_fill_18rocblas_operation_17rocblas_diagonal_iiT3_T4_lilT5_lili,@function
_ZL38rocblas_trsm_small_left_device_sharedBILi32ELi32ELb1EffPKPKfPKPfEv13rocblas_fill_18rocblas_operation_17rocblas_diagonal_iiT3_T4_lilT5_lili: ; @_ZL38rocblas_trsm_small_left_device_sharedBILi32ELi32ELb1EffPKPKfPKPfEv13rocblas_fill_18rocblas_operation_17rocblas_diagonal_iiT3_T4_lilT5_lili
; %bb.0:
	s_load_dwordx4 s[8:11], s[0:1], 0x38
	s_load_dwordx4 s[4:7], s[0:1], 0x4
	s_load_dword s16, s[0:1], 0x14
	s_mov_b32 s20, s3
	s_mov_b32 s21, 0
	s_lshl_b64 s[24:25], s[20:21], 3
	s_waitcnt lgkmcnt(0)
	s_add_u32 s8, s8, s24
	s_addc_u32 s9, s9, s25
	s_load_dwordx2 s[8:9], s[8:9], 0x0
	s_min_i32 s26, s6, 32
	v_cmp_gt_i32_e32 vcc, s26, v0
	s_and_saveexec_b64 s[18:19], vcc
	s_cbranch_execz .LBB38_11
; %bb.1:
	s_load_dwordx4 s[12:15], s[0:1], 0x18
	s_load_dword s22, s[0:1], 0x28
	v_lshlrev_b32_e32 v2, 2, v0
	v_mov_b32_e32 v3, 0
	s_mov_b32 s3, 1
	s_waitcnt lgkmcnt(0)
	s_add_u32 s12, s12, s24
	s_addc_u32 s13, s13, s25
	s_load_dwordx2 s[12:13], s[12:13], 0x0
	s_cmp_lt_u32 s26, 2
	s_cselect_b64 s[28:29], -1, 0
	s_cmp_lg_u32 s22, 1
	s_cselect_b64 s[30:31], -1, 0
	s_or_b64 s[28:29], s[28:29], s[30:31]
	s_mov_b64 s[24:25], -1
	s_and_b64 vcc, exec, s[28:29]
	s_cbranch_vccnz .LBB38_5
; %bb.2:
	s_lshl_b64 s[20:21], s[14:15], 2
	s_waitcnt lgkmcnt(0)
	s_add_u32 s20, s12, s20
	s_addc_u32 s21, s13, s21
	v_lshl_add_u64 v[4:5], s[20:21], 0, v[2:3]
	s_and_b32 s21, s26, -2
	s_mov_b32 s17, 0
	s_mov_b32 s20, s21
.LBB38_3:                               ; =>This Inner Loop Header: Depth=1
	flat_load_dwordx2 v[6:7], v[4:5]
	v_lshl_or_b32 v1, s17, 7, v2
	v_lshl_or_b32 v3, s3, 7, v2
	s_add_i32 s17, s17, 2
	s_add_i32 s3, s3, 2
	s_add_i32 s20, s20, -2
	v_lshl_add_u64 v[4:5], v[4:5], 0, 8
	s_cmp_lg_u32 s20, 0
	s_waitcnt vmcnt(0) lgkmcnt(0)
	ds_write_b32 v1, v6
	ds_write_b32 v3, v7
	s_cbranch_scc1 .LBB38_3
; %bb.4:
	s_cmp_lg_u32 s26, s21
	s_cselect_b64 s[24:25], -1, 0
.LBB38_5:
	s_and_b64 vcc, exec, s[24:25]
	s_cbranch_vccz .LBB38_8
; %bb.6:
	s_ashr_i32 s23, s22, 31
	s_mul_hi_u32 s3, s22, s21
	s_mul_i32 s17, s23, s21
	s_add_i32 s25, s3, s17
	s_mul_i32 s24, s22, s21
	s_lshl_b64 s[24:25], s[24:25], 2
	s_lshl_b64 s[14:15], s[14:15], 2
	s_add_u32 s3, s24, s14
	s_addc_u32 s14, s25, s15
	s_waitcnt lgkmcnt(0)
	s_add_u32 s12, s12, s3
	v_mov_b32_e32 v3, 0
	s_addc_u32 s13, s13, s14
	v_lshl_add_u64 v[4:5], s[12:13], 0, v[2:3]
	s_lshl_b64 s[12:13], s[22:23], 2
	s_sub_i32 s3, s26, s21
	v_lshl_or_b32 v1, s21, 7, v2
.LBB38_7:                               ; =>This Inner Loop Header: Depth=1
	flat_load_dword v3, v[4:5]
	s_add_i32 s3, s3, -1
	v_lshl_add_u64 v[4:5], v[4:5], 0, s[12:13]
	s_cmp_eq_u32 s3, 0
	s_waitcnt vmcnt(0) lgkmcnt(0)
	ds_write_b32 v1, v3
	v_add_u32_e32 v1, 0x80, v1
	s_cbranch_scc0 .LBB38_7
.LBB38_8:
	v_lshlrev_b32_e32 v1, 7, v0
	s_cmpk_lg_i32 s5, 0x84
	v_mov_b32_e32 v3, 1.0
	v_add_u32_e32 v1, v2, v1
	s_cbranch_scc0 .LBB38_10
; %bb.9:
	ds_read_b32 v2, v1
	s_waitcnt lgkmcnt(0)
	v_div_scale_f32 v3, s[12:13], v2, v2, 1.0
	v_rcp_f32_e32 v4, v3
	v_div_scale_f32 v5, vcc, 1.0, v2, 1.0
	v_fma_f32 v6, -v3, v4, 1.0
	v_fmac_f32_e32 v4, v6, v4
	v_mul_f32_e32 v6, v5, v4
	v_fma_f32 v7, -v3, v6, v5
	v_fmac_f32_e32 v6, v7, v4
	v_fma_f32 v3, -v3, v6, v5
	v_div_fmas_f32 v3, v3, v4, v6
	v_div_fixup_f32 v3, v3, v2, 1.0
.LBB38_10:
	ds_write_b32 v1, v3
.LBB38_11:
	s_or_b64 exec, exec, s[18:19]
	s_load_dword s3, s[0:1], 0x60
	s_load_dword s22, s[0:1], 0x48
	s_lshl_b64 s[10:11], s[10:11], 2
	s_waitcnt lgkmcnt(0)
	s_ashr_i32 s23, s22, 31
	s_add_u32 s5, s8, s10
	s_addc_u32 s14, s9, s11
	s_lshl_b32 s12, s2, 5
	s_add_i32 s3, s3, -1
	s_sub_i32 s0, s7, s12
	s_cmp_ge_u32 s2, s3
	s_cselect_b32 s7, s0, 32
	s_mul_hi_i32 s1, s22, s12
	s_mul_i32 s0, s22, s12
	s_ashr_i32 s13, s12, 31
	s_lshl_b64 s[0:1], s[0:1], 2
	s_add_u32 s2, s5, s0
	s_addc_u32 s3, s14, s1
	s_cmp_gt_i32 s6, 0
	v_cmp_gt_i32_e64 s[0:1], s7, v0
	s_cselect_b64 s[14:15], -1, 0
	s_mov_b32 s5, 0
	s_and_b64 s[20:21], s[0:1], s[14:15]
	s_and_saveexec_b64 s[18:19], s[20:21]
	s_cbranch_execz .LBB38_19
; %bb.12:
	s_cmp_lt_i32 s6, 2
	s_mov_b64 s[20:21], -1
	s_cbranch_scc1 .LBB38_16
; %bb.13:
	v_mad_i64_i32 v[2:3], s[20:21], s22, v0, 0
	v_mov_b32_e32 v1, 0x1000
	s_and_b32 s5, s26, 62
	v_lshl_add_u64 v[2:3], v[2:3], 2, s[2:3]
	v_lshl_or_b32 v1, v0, 2, v1
	s_mov_b32 s17, s16
	s_mov_b32 s7, 1
	;; [unrolled: 1-line block ×4, first 2 shown]
.LBB38_14:                              ; =>This Inner Loop Header: Depth=1
	flat_load_dwordx2 v[4:5], v[2:3]
	v_lshl_add_u32 v6, s20, 7, v1
	v_lshl_add_u32 v7, s7, 7, v1
	s_add_i32 s20, s20, 2
	s_add_i32 s7, s7, 2
	s_add_i32 s21, s21, -2
	v_lshl_add_u64 v[2:3], v[2:3], 0, 8
	s_cmp_lg_u32 s21, 0
	s_waitcnt vmcnt(0) lgkmcnt(0)
	v_pk_mul_f32 v[4:5], s[16:17], v[4:5]
	ds_write_b32 v6, v4
	ds_write_b32 v7, v5
	s_cbranch_scc1 .LBB38_14
; %bb.15:
	s_cmp_lg_u32 s26, s5
	s_cselect_b64 s[20:21], -1, 0
.LBB38_16:
	s_and_b64 vcc, exec, s[20:21]
	s_cbranch_vccz .LBB38_19
; %bb.17:
	s_sub_i32 s7, s26, s5
	s_lshl_b32 s17, s5, 2
	s_add_u32 s17, s8, s17
	s_addc_u32 s21, s9, 0
	s_add_u32 s20, s17, s10
	v_lshlrev_b32_e32 v4, 2, v0
	v_mov_b32_e32 v5, 0
	s_addc_u32 s21, s21, s11
	v_lshl_add_u64 v[6:7], s[12:13], 2, v[4:5]
	v_mov_b64_e32 v[2:3], s[20:21]
	v_mad_u64_u32 v[2:3], s[20:21], v6, s22, v[2:3]
	v_mul_lo_u32 v1, v6, s23
	v_mul_lo_u32 v5, v7, s22
	v_add3_u32 v3, v5, v3, v1
	v_lshl_or_b32 v1, s5, 7, v4
	v_add_u32_e32 v1, 0x1000, v1
.LBB38_18:                              ; =>This Inner Loop Header: Depth=1
	flat_load_dword v4, v[2:3]
	s_add_i32 s7, s7, -1
	v_lshl_add_u64 v[2:3], v[2:3], 0, 4
	s_cmp_lg_u32 s7, 0
	s_waitcnt vmcnt(0) lgkmcnt(0)
	v_mul_f32_e32 v4, s16, v4
	ds_write_b32 v1, v4
	v_add_u32_e32 v1, 0x80, v1
	s_cbranch_scc1 .LBB38_18
.LBB38_19:
	s_or_b64 exec, exec, s[18:19]
	v_mov_b32_e32 v1, 0x1000
	s_cmpk_eq_i32 s4, 0x6f
	v_lshl_or_b32 v1, v0, 2, v1
	s_mov_b64 s[4:5], -1
	s_waitcnt lgkmcnt(0)
	; wave barrier
	s_cbranch_scc1 .LBB38_55
; %bb.20:
	s_add_i32 s7, s26, -1
	s_cmp_gt_i32 s6, 31
	s_cbranch_scc0 .LBB38_31
; %bb.21:
	v_add_u32_e32 v2, 0xc00, v1
	ds_read2_b32 v[4:5], v2 offset0:192 offset1:224
	ds_read2_b32 v[6:7], v2 offset0:128 offset1:160
	ds_read2_b32 v[8:9], v2 offset0:64 offset1:96
	ds_read2_b32 v[10:11], v2 offset1:32
	v_add_u32_e32 v2, 0x800, v1
	ds_read2_b32 v[12:13], v2 offset0:192 offset1:224
	ds_read2_b32 v[14:15], v2 offset0:128 offset1:160
	ds_read2_b32 v[16:17], v2 offset0:64 offset1:96
	ds_read2_b32 v[18:19], v2 offset1:32
	;; [unrolled: 5-line block ×3, first 2 shown]
	ds_read2_b32 v[28:29], v1 offset0:192 offset1:224
	ds_read2_b32 v[30:31], v1 offset0:128 offset1:160
	;; [unrolled: 1-line block ×3, first 2 shown]
	ds_read2_b32 v[34:35], v1 offset1:32
	s_waitcnt lgkmcnt(14)
	v_mov_b32_e32 v2, v5
	v_mov_b32_e32 v3, v4
	;; [unrolled: 1-line block ×4, first 2 shown]
	s_waitcnt lgkmcnt(13)
	v_mov_b32_e32 v6, v9
	v_mov_b32_e32 v7, v8
	s_waitcnt lgkmcnt(12)
	v_mov_b32_e32 v8, v11
	v_mov_b32_e32 v9, v10
	;; [unrolled: 3-line block ×14, first 2 shown]
	s_movk_i32 s20, 0xffc
	s_mov_b64 s[4:5], 0
	s_movk_i32 s21, 0xf7c
.LBB38_22:                              ; =>This Loop Header: Depth=1
                                        ;     Child Loop BB38_24 Depth 2
                                        ;     Child Loop BB38_28 Depth 2
	s_cmp_eq_u32 s4, 0
	s_cbranch_scc1 .LBB38_26
; %bb.23:                               ;   in Loop: Header=BB38_22 Depth=1
	s_mov_b64 s[16:17], s[4:5]
	s_mov_b64 s[18:19], 0
	s_mov_b32 s17, s20
.LBB38_24:                              ;   Parent Loop BB38_22 Depth=1
                                        ; =>  This Inner Loop Header: Depth=2
	v_mov_b32_e32 v35, s17
	s_set_gpr_idx_on s18, gpr_idx(SRC0)
	v_mov_b32_e32 v34, v2
	s_set_gpr_idx_off
	ds_read_b32 v35, v35
	s_add_i32 s17, s17, -4
	s_add_u32 s18, s18, 1
	s_addc_u32 s19, s19, 0
	s_set_gpr_idx_on s4, gpr_idx(SRC0)
	v_mov_b32_e32 v36, v2
	s_set_gpr_idx_off
	s_cmp_eq_u32 s4, s18
	s_waitcnt lgkmcnt(0)
	v_fma_f32 v34, -v34, v35, v36
	s_set_gpr_idx_on s4, gpr_idx(DST)
	v_mov_b32_e32 v2, v34
	s_set_gpr_idx_off
	s_cbranch_scc0 .LBB38_24
; %bb.25:                               ;   in Loop: Header=BB38_22 Depth=1
	s_sub_i32 s17, 31, s4
	s_lshl_b32 s18, s17, 7
	s_mul_i32 s19, s17, 0x84
	s_branch .LBB38_27
.LBB38_26:                              ;   in Loop: Header=BB38_22 Depth=1
	s_movk_i32 s18, 0xf80
	s_movk_i32 s19, 0xffc
	s_mov_b64 s[16:17], 0
.LBB38_27:                              ;   in Loop: Header=BB38_22 Depth=1
	v_mov_b32_e32 v34, s19
	ds_read_b32 v34, v34
	s_set_gpr_idx_on s16, gpr_idx(SRC0)
	v_mov_b32_e32 v36, v2
	s_set_gpr_idx_off
	v_add_u32_e32 v35, s18, v1
	s_or_b32 s18, s4, 1
	s_add_u32 s19, s4, 1
	s_waitcnt lgkmcnt(0)
	v_mul_f32_e32 v34, v36, v34
	ds_write_b32 v35, v34
	s_set_gpr_idx_on s16, gpr_idx(DST)
	v_mov_b32_e32 v2, v34
	s_set_gpr_idx_off
	s_mov_b64 s[16:17], 0
	s_mov_b32 s24, s21
.LBB38_28:                              ;   Parent Loop BB38_22 Depth=1
                                        ; =>  This Inner Loop Header: Depth=2
	v_mov_b32_e32 v35, s24
	s_set_gpr_idx_on s16, gpr_idx(SRC0)
	v_mov_b32_e32 v34, v2
	s_set_gpr_idx_off
	ds_read_b32 v35, v35
	s_add_i32 s24, s24, -4
	s_add_u32 s16, s16, 1
	s_set_gpr_idx_on s18, gpr_idx(SRC0)
	v_mov_b32_e32 v36, v2
	s_set_gpr_idx_off
	s_addc_u32 s17, s17, 0
	s_waitcnt lgkmcnt(0)
	v_fma_f32 v34, -v34, v35, v36
	s_cmp_lg_u32 s19, s16
	s_set_gpr_idx_on s18, gpr_idx(DST)
	v_mov_b32_e32 v2, v34
	s_set_gpr_idx_off
	s_cbranch_scc1 .LBB38_28
; %bb.29:                               ;   in Loop: Header=BB38_22 Depth=1
	s_sub_i32 s16, 31, s18
	s_lshl_b32 s17, s16, 7
	s_lshl_b32 s16, s16, 2
	s_or_b32 s16, s17, s16
	v_mov_b32_e32 v35, s16
	ds_read_b32 v35, v35
	s_add_u32 s4, s4, 2
	s_addc_u32 s5, s5, 0
	s_addk_i32 s20, 0xff00
	s_addk_i32 s21, 0xff00
	v_add_u32_e32 v36, s17, v1
	s_waitcnt lgkmcnt(0)
	v_mul_f32_e32 v34, v34, v35
	s_cmp_eq_u32 s4, 32
	s_set_gpr_idx_on s18, gpr_idx(DST)
	v_mov_b32_e32 v2, v34
	s_set_gpr_idx_off
	ds_write_b32 v36, v34
	s_cbranch_scc0 .LBB38_22
; %bb.30:
	s_mov_b32 s4, -1
	s_cmp_gt_i32 s4, -1
	s_cbranch_scc1 .LBB38_32
	s_branch .LBB38_54
.LBB38_31:
	s_mov_b32 s4, s7
	s_cmp_gt_i32 s4, -1
	s_cbranch_scc0 .LBB38_54
.LBB38_32:
	s_cmp_lt_u32 s4, 27
	s_cbranch_scc1 .LBB38_37
; %bb.33:
	s_lshl_b32 s5, s4, 7
	v_add_u32_e32 v46, s5, v1
	v_add_u32_e32 v2, 0xffffff80, v46
	v_add_u32_e32 v6, 0xfffffd80, v46
	v_add_u32_e32 v7, 0xfffffd00, v46
	v_add_u32_e32 v3, 0xffffff00, v46
	v_add_u32_e32 v4, 0xfffffe80, v46
	v_add_u32_e32 v5, 0xfffffe00, v46
	v_add_u32_e32 v8, 0xfffffc80, v46
	ds_read_b32 v30, v46
	ds_read_b32 v31, v2
	ds_read_b32 v28, v3
	ds_read_b32 v29, v4
	ds_read_b32 v24, v5
	ds_read_b32 v25, v6
	ds_read_b32 v20, v7
	ds_read_b32 v21, v8
	v_add_u32_e32 v2, 0xfffffc00, v46
	v_add_u32_e32 v6, 0xfffffa00, v46
	v_add_u32_e32 v7, 0xfffff980, v46
	v_add_u32_e32 v3, 0xfffffb80, v46
	v_add_u32_e32 v4, 0xfffffb00, v46
	v_add_u32_e32 v5, 0xfffffa80, v46
	v_add_u32_e32 v8, 0xfffff900, v46
	v_add_u32_e32 v9, 0xfffff880, v46
	ds_read_b32 v26, v2
	ds_read_b32 v27, v3
	ds_read_b32 v22, v4
	ds_read_b32 v23, v5
	ds_read_b32 v16, v6
	ds_read_b32 v17, v7
	ds_read_b32 v12, v8
	ds_read_b32 v13, v9
	;; [unrolled: 16-line block ×3, first 2 shown]
	v_add_u32_e32 v2, 0xfffff400, v46
	v_add_u32_e32 v3, 0xfffff380, v46
	;; [unrolled: 1-line block ×4, first 2 shown]
	ds_read_b32 v4, v2
	ds_read_b32 v5, v3
	ds_read_b32 v2, v10
	ds_read_b32 v3, v11
	s_cmp_le_i32 s7, s4
	s_cbranch_scc1 .LBB38_36
; %bb.34:
	v_lshlrev_b32_e32 v10, 2, v0
	s_lshl_b32 s16, s26, 2
	v_lshl_or_b32 v10, s26, 7, v10
	s_add_i32 s5, s5, s16
	v_add_u32_e32 v10, 0xf80, v10
	s_addk_i32 s5, 0xf27c
	s_mov_b32 s16, s7
.LBB38_35:                              ; =>This Inner Loop Header: Depth=1
	v_mov_b32_e32 v11, s5
	v_add_u32_e32 v33, 0xc00, v11
	ds_read_b32 v32, v10
	v_add_u32_e32 v34, 0x800, v11
	v_add_u32_e32 v35, 0x400, v11
	ds_read2_b32 v[36:37], v11 offset0:192 offset1:224
	ds_read2_b32 v[38:39], v11 offset0:128 offset1:160
	;; [unrolled: 1-line block ×3, first 2 shown]
	ds_read2_b32 v[42:43], v11 offset1:32
	ds_read2_b32 v[44:45], v33 offset0:64 offset1:96
	ds_read2_b32 v[48:49], v33 offset1:32
	ds_read2_b32 v[50:51], v34 offset0:192 offset1:224
	ds_read2_b32 v[52:53], v34 offset0:128 offset1:160
	;; [unrolled: 1-line block ×3, first 2 shown]
	ds_read2_b32 v[56:57], v34 offset1:32
	ds_read2_b32 v[58:59], v35 offset0:192 offset1:224
	ds_read2_b32 v[60:61], v35 offset0:128 offset1:160
	;; [unrolled: 1-line block ×3, first 2 shown]
	ds_read2_b32 v[64:65], v35 offset1:32
	s_add_i32 s16, s16, -1
	s_add_i32 s5, s5, -4
	s_waitcnt lgkmcnt(13)
	v_mov_b32_e32 v34, v37
	v_mov_b32_e32 v35, v36
	s_waitcnt lgkmcnt(12)
	v_mov_b32_e32 v36, v39
	v_mov_b32_e32 v37, v38
	;; [unrolled: 3-line block ×14, first 2 shown]
	v_add_u32_e32 v10, 0xffffff80, v10
	s_cmp_gt_i32 s16, s4
	v_pk_fma_f32 v[8:9], v[32:33], v[34:35], v[8:9] op_sel_hi:[0,1,1] neg_lo:[1,0,0] neg_hi:[1,0,0]
	v_pk_fma_f32 v[6:7], v[32:33], v[36:37], v[6:7] op_sel_hi:[0,1,1] neg_lo:[1,0,0] neg_hi:[1,0,0]
	;; [unrolled: 1-line block ×14, first 2 shown]
	s_cbranch_scc1 .LBB38_35
.LBB38_36:
	s_mul_i32 s5, s4, 0x84
	v_mov_b32_e32 v10, s5
	s_add_i32 s5, s4, -1
	s_lshl_b32 s16, s5, 7
	s_lshl_b32 s17, s5, 2
	s_add_i32 s5, s16, s17
	v_mov_b32_e32 v11, s5
	s_add_i32 s5, s4, -2
	v_add_u32_e32 v74, s16, v1
	s_lshl_b32 s16, s5, 7
	s_lshl_b32 s5, s5, 2
	s_add_i32 s35, s16, s17
	s_add_i32 s5, s16, s5
	v_add_u32_e32 v47, s16, v1
	s_add_i32 s16, s4, -3
	v_mov_b32_e32 v32, s5
	s_lshl_b32 s18, s16, 7
	s_lshl_b32 s5, s4, 2
	s_add_i32 s19, s18, s5
	s_lshl_b32 s16, s16, 2
	v_mov_b32_e32 v33, s19
	s_add_i32 s62, s19, -8
	s_add_i32 s19, s18, s16
	v_add_u32_e32 v48, s18, v1
	s_add_i32 s18, s4, -4
	v_mov_b32_e32 v34, s19
	s_lshl_b32 s19, s18, 7
	s_lshl_b32 s18, s18, 2
	s_add_i32 s18, s19, s18
	v_mov_b32_e32 v35, s18
	s_add_i32 s18, s4, -5
	s_add_i32 s27, s19, s17
	s_add_i32 s57, s19, s16
	v_add_u32_e32 v49, s19, v1
	s_lshl_b32 s19, s18, 7
	s_add_i32 s20, s19, s5
	s_lshl_b32 s18, s18, 2
	v_mov_b32_e32 v36, s20
	s_add_i32 s64, s20, -8
	s_add_i32 s30, s20, -16
	s_add_i32 s20, s19, s18
	v_add_u32_e32 v67, s19, v1
	s_add_i32 s19, s4, -6
	v_mov_b32_e32 v37, s20
	s_lshl_b32 s20, s19, 7
	s_lshl_b32 s19, s19, 2
	s_add_i32 s19, s20, s19
	ds_read_b32 v10, v10
	ds_read2_b32 v[42:43], v11 offset1:1
	ds_read_b32 v77, v32
	ds_read_b32 v54, v33
	;; [unrolled: 1-line block ×6, first 2 shown]
	v_mov_b32_e32 v11, s19
	s_add_i32 s19, s4, -7
	s_add_i32 s42, s20, s17
	s_add_i32 s58, s20, s16
	;; [unrolled: 1-line block ×3, first 2 shown]
	v_add_u32_e32 v68, s20, v1
	s_lshl_b32 s20, s19, 7
	s_add_i32 s21, s20, s5
	s_lshl_b32 s19, s19, 2
	v_mov_b32_e32 v32, s21
	s_add_i32 s63, s21, -8
	s_add_i32 s49, s21, -16
	s_sub_i32 s39, s21, 24
	s_add_i32 s21, s20, s19
	v_add_u32_e32 v69, s20, v1
	s_add_i32 s20, s4, -8
	v_mov_b32_e32 v33, s21
	s_lshl_b32 s21, s20, 7
	s_add_i32 s24, s21, s17
	s_lshl_b32 s20, s20, 2
	v_mov_b32_e32 v34, s24
	s_add_i32 s24, s21, s16
	s_add_i32 s20, s21, s20
	ds_read_b32 v73, v11
	ds_read_b32 v61, v32
	;; [unrolled: 1-line block ×3, first 2 shown]
	ds_read2_b32 v[38:39], v34 offset1:1
	v_mov_b32_e32 v11, s24
	s_add_i32 s24, s21, s18
	v_mov_b32_e32 v36, s20
	s_add_i32 s20, s4, -9
	v_mov_b32_e32 v32, s24
	s_lshl_b32 s24, s20, 7
	s_lshl_b32 s20, s20, 2
	s_add_i32 s50, s21, s19
	v_add_u32_e32 v70, s21, v1
	s_add_i32 s21, s24, s5
	s_add_i32 s25, s24, s20
	v_add_u32_e32 v52, s24, v1
	s_add_i32 s24, s4, -10
	v_mov_b32_e32 v37, s21
	ds_read2_b32 v[34:35], v11 offset1:1
	ds_read2_b32 v[32:33], v32 offset1:1
	ds_read_b32 v51, v36
	ds_read_b32 v82, v37
	v_mov_b32_e32 v11, s25
	s_lshl_b32 s25, s24, 7
	s_add_i32 s48, s25, s17
	s_add_i32 s17, s4, -11
	s_add_i32 s52, s25, s18
	s_lshl_b32 s18, s17, 7
	s_lshl_b32 s17, s17, 2
	s_add_i32 s59, s25, s16
	s_lshl_b32 s16, s24, 2
	s_add_i32 s17, s18, s17
	s_add_i32 s16, s25, s16
	v_mov_b32_e32 v40, s17
	s_add_i32 s17, s4, -12
	v_mov_b32_e32 v36, s16
	s_add_i32 s16, s18, s5
	v_add_u32_e32 v64, s18, v1
	s_lshl_b32 s18, s17, 7
	s_add_i32 s24, s18, s5
	s_lshl_b32 s17, s17, 2
	s_add_i32 s29, s25, s19
	s_add_i32 s19, s24, -4
	s_add_i32 s17, s18, s17
	v_add_u32_e32 v62, s18, v1
	s_add_i32 s18, s4, -13
	v_mov_b32_e32 v41, s19
	s_add_i32 s60, s24, -12
	s_sub_i32 s43, s24, 20
	s_sub_i32 s31, s24, 28
	;; [unrolled: 1-line block ×4, first 2 shown]
	s_lshl_b32 s24, s18, 7
	s_lshl_b32 s18, s18, 2
	s_add_i32 s34, s24, s5
	s_add_i32 s18, s24, s18
	v_mov_b32_e32 v37, s16
	v_mov_b32_e32 v44, s17
	;; [unrolled: 1-line block ×3, first 2 shown]
	ds_read_b32 v50, v11
	ds_read_b32 v71, v36
	;; [unrolled: 1-line block ×4, first 2 shown]
	ds_read2_b32 v[78:79], v41 offset1:1
	ds_read_b32 v65, v44
	ds_read_b32 v84, v45
	v_mov_b32_e32 v36, s18
	s_add_i32 s18, s4, -14
	s_lshl_b32 s40, s18, 7
	s_add_i32 s45, s40, s5
	s_add_i32 s65, s4, -15
	s_add_i32 s17, s34, -8
	v_add_u32_e32 v57, s24, v1
	s_add_i32 s24, s45, -4
	s_lshl_b32 s18, s18, 2
	s_lshl_b32 s66, s65, 7
	v_mov_b32_e32 v11, s17
	v_mov_b32_e32 v37, s24
	s_add_i32 s24, s45, -12
	s_add_i32 s18, s40, s18
	s_add_i32 s61, s66, s5
	v_mov_b32_e32 v44, s24
	ds_read2_b32 v[40:41], v11 offset1:1
	ds_read_b32 v59, v36
	ds_read2_b32 v[80:81], v37 offset1:1
	ds_read2_b32 v[36:37], v44 offset1:1
	v_mov_b32_e32 v11, s18
	s_add_i32 s18, s61, -8
	v_mov_b32_e32 v44, s61
	v_mov_b32_e32 v45, s18
	ds_read_b32 v56, v11
	ds_read_b32 v85, v44
	ds_read2_b32 v[44:45], v45 offset1:1
	s_waitcnt lgkmcnt(14)
	v_mul_f32_e32 v11, v30, v10
	v_fma_f32 v10, -v11, v43, v31
	v_mul_f32_e32 v10, v10, v42
	v_mov_b32_e32 v42, s35
	ds_read2_b32 v[42:43], v42 offset1:1
	v_fma_f32 v87, -v11, v54, v29
	s_lshl_b32 s35, s65, 2
	s_add_i32 s35, s66, s35
	v_mov_b32_e32 v86, s35
	s_waitcnt lgkmcnt(0)
	v_pk_mul_f32 v[42:43], v[10:11], v[42:43]
	v_fma_f32 v89, -v11, v61, v21
	v_sub_f32_e32 v28, v28, v43
	v_sub_f32_e32 v42, v28, v42
	v_mov_b32_e32 v28, s27
	ds_read2_b32 v[28:29], v28 offset1:1
	v_fma_f32 v43, -v11, v60, v25
	v_mov_b32_e32 v25, s42
	ds_read_b32 v61, v86
	s_add_i32 s18, s61, -16
	s_waitcnt lgkmcnt(1)
	v_pk_mul_f32 v[28:29], v[10:11], v[28:29]
	v_mov_b32_e32 v58, s18
	v_sub_f32_e32 v24, v24, v29
	v_sub_f32_e32 v88, v24, v28
	ds_read2_b32 v[24:25], v25 offset1:1
	s_add_i32 s27, s4, -16
	ds_read2_b32 v[30:31], v58 offset1:1
	s_lshl_b32 s65, s27, 7
	v_fma_f32 v82, -v11, v82, v27
	s_waitcnt lgkmcnt(1)
	v_pk_mul_f32 v[24:25], v[10:11], v[24:25]
	s_add_i32 s69, s65, s5
	v_sub_f32_e32 v20, v20, v25
	v_sub_f32_e32 v90, v20, v24
	v_mov_b32_e32 v24, s48
	v_pk_mul_f32 v[20:21], v[10:11], v[38:39]
	s_add_i32 s35, s69, -4
	v_sub_f32_e32 v21, v26, v21
	ds_read2_b32 v[26:27], v24 offset1:1
	v_mov_b32_e32 v28, s35
	s_add_i32 s35, s69, -12
	v_mov_b32_e32 v25, s35
	s_sub_i32 s35, s69, 20
	v_mov_b32_e32 v54, s35
	s_waitcnt lgkmcnt(0)
	v_pk_mul_f32 v[26:27], v[10:11], v[26:27]
	s_lshl_b32 s27, s27, 2
	v_sub_f32_e32 v86, v21, v20
	ds_read2_b32 v[28:29], v28 offset1:1
	ds_read2_b32 v[24:25], v25 offset1:1
	v_sub_f32_e32 v22, v22, v27
	ds_read2_b32 v[20:21], v54 offset1:1
	s_add_i32 s27, s65, s27
	v_add_u32_e32 v54, s65, v1
	s_sub_i32 s65, s4, 17
	v_fma_f32 v38, -v11, v83, v23
	v_sub_f32_e32 v83, v22, v26
	v_mov_b32_e32 v22, s27
	s_lshl_b32 s27, s65, 7
	s_add_i32 s70, s27, s5
	v_fma_f32 v39, -v11, v84, v17
	v_mov_b32_e32 v17, s70
	ds_read_b32 v60, v22
	ds_read_b32 v17, v17
	v_fma_f32 v16, -v11, v79, v16
	s_add_i32 s71, s70, -8
	v_fma_f32 v78, -v10, v78, v16
	v_mov_b32_e32 v16, s71
	s_add_i32 s71, s70, -16
	v_mov_b32_e32 v26, s71
	v_fma_f32 v12, -v11, v81, v12
	v_fma_f32 v79, -v11, v85, v13
	ds_read2_b32 v[22:23], v16 offset1:1
	v_fma_f32 v80, -v10, v80, v12
	ds_read2_b32 v[12:13], v26 offset1:1
	v_mov_b32_e32 v16, s62
	s_waitcnt lgkmcnt(2)
	v_fma_f32 v81, -v11, v17, v19
	v_fma_f32 v17, -v11, v29, v18
	ds_read2_b32 v[18:19], v16 offset1:1
	v_mov_b32_e32 v16, s64
	v_fma_f32 v84, -v10, v28, v17
	ds_read2_b32 v[26:27], v16 offset1:1
	v_mul_f32_e32 v16, v42, v77
	v_mov_b32_e32 v17, v10
	s_waitcnt lgkmcnt(1)
	v_pk_mul_f32 v[18:19], v[16:17], v[18:19]
	s_add_i32 s67, s21, -8
	v_sub_f32_e32 v19, v87, v19
	v_sub_f32_e32 v28, v19, v18
	v_mov_b32_e32 v18, s63
	ds_read2_b32 v[18:19], v18 offset1:1
	s_waitcnt lgkmcnt(1)
	v_pk_mul_f32 v[26:27], v[16:17], v[26:27]
	s_add_i32 s68, s16, -8
	v_sub_f32_e32 v27, v43, v27
	v_sub_f32_e32 v85, v27, v26
	v_mov_b32_e32 v26, s67
	ds_read2_b32 v[26:27], v26 offset1:1
	s_waitcnt lgkmcnt(1)
	v_pk_mul_f32 v[18:19], v[16:17], v[18:19]
	v_mov_b32_e32 v77, s36
	v_sub_f32_e32 v19, v89, v19
	v_sub_f32_e32 v87, v19, v18
	v_mov_b32_e32 v18, s68
	ds_read2_b32 v[18:19], v18 offset1:1
	s_sub_i32 s36, s4, 18
	s_waitcnt lgkmcnt(1)
	v_pk_mul_f32 v[26:27], v[16:17], v[26:27]
	v_mov_b32_e32 v89, s30
	s_lshl_b32 s30, s36, 7
	s_waitcnt lgkmcnt(0)
	v_pk_mul_f32 v[18:19], v[16:17], v[18:19]
	v_mov_b32_e32 v29, s39
	v_sub_f32_e32 v17, v38, v19
	v_sub_f32_e32 v17, v17, v18
	v_fma_f32 v18, -v10, v41, v39
	s_add_i32 s39, s30, s5
	s_sub_i32 s71, s70, 24
	v_sub_f32_e32 v27, v82, v27
	v_fma_f32 v91, -v16, v40, v18
	v_fma_f32 v18, -v10, v45, v79
	s_add_i32 s63, s39, -4
	v_sub_f32_e32 v82, v27, v26
	v_mov_b32_e32 v26, s71
	v_fma_f32 v79, -v16, v44, v18
	v_mov_b32_e32 v18, s63
	ds_read2_b32 v[38:39], v26 offset1:1
	ds_read2_b32 v[18:19], v18 offset1:1
	v_mov_b32_e32 v26, s57
	ds_read2_b32 v[26:27], v26 offset1:1
	v_fma_f32 v23, -v10, v23, v81
	v_fma_f32 v81, -v16, v22, v23
	s_waitcnt lgkmcnt(1)
	v_fma_f32 v14, -v11, v19, v14
	v_fma_f32 v14, -v10, v18, v14
	v_mov_b32_e32 v18, s58
	ds_read2_b32 v[18:19], v18 offset1:1
	v_mul_f32_e32 v22, v28, v76
	v_mov_b32_e32 v23, v16
	s_waitcnt lgkmcnt(1)
	v_pk_mul_f32 v[26:27], v[22:23], v[26:27]
	s_sub_i32 s51, s21, 24
	v_sub_f32_e32 v27, v88, v27
	v_sub_f32_e32 v40, v27, v26
	ds_read2_b32 v[42:43], v29 offset1:1
	ds_read2_b32 v[26:27], v77 offset1:1
	v_pk_mul_f32 v[28:29], v[22:23], v[34:35]
	s_waitcnt lgkmcnt(2)
	v_pk_mul_f32 v[18:19], v[22:23], v[18:19]
	v_sub_f32_e32 v29, v86, v29
	v_sub_f32_e32 v19, v90, v19
	;; [unrolled: 1-line block ×3, first 2 shown]
	v_mov_b32_e32 v28, s60
	v_sub_f32_e32 v88, v19, v18
	v_mov_b32_e32 v18, s59
	ds_read2_b32 v[28:29], v28 offset1:1
	ds_read2_b32 v[18:19], v18 offset1:1
	v_fma_f32 v25, -v16, v25, v84
	v_mov_b32_e32 v34, s49
	v_fma_f32 v37, -v16, v37, v80
	v_fma_f32 v80, -v22, v24, v25
	v_mov_b32_e32 v24, s51
	ds_read2_b32 v[34:35], v34 offset1:1
	ds_read2_b32 v[76:77], v24 offset1:1
	s_waitcnt lgkmcnt(3)
	v_pk_mul_f32 v[28:29], v[22:23], v[28:29]
	s_add_i32 s55, s21, -16
	s_waitcnt lgkmcnt(2)
	v_pk_mul_f32 v[18:19], v[22:23], v[18:19]
	v_sub_f32_e32 v23, v78, v29
	s_add_i32 s49, s39, -12
	v_sub_f32_e32 v23, v23, v28
	v_mov_b32_e32 v28, s55
	v_fma_f32 v78, -v22, v36, v37
	v_mov_b32_e32 v36, s49
	ds_read2_b32 v[28:29], v28 offset1:1
	ds_read2_b32 v[36:37], v36 offset1:1
	v_sub_f32_e32 v19, v83, v19
	v_sub_f32_e32 v83, v19, v18
	ds_read2_b32 v[18:19], v89 offset1:1
	v_mov_b32_e32 v41, s50
	ds_read2_b32 v[44:45], v41 offset1:1
	s_waitcnt lgkmcnt(2)
	v_fma_f32 v14, -v16, v37, v14
	v_fma_f32 v14, -v22, v36, v14
	v_mov_b32_e32 v36, s52
	v_mul_f32_e32 v24, v40, v75
	v_mov_b32_e32 v25, v22
	ds_write_b32 v74, v10
	ds_read2_b32 v[74:75], v36 offset1:1
	s_waitcnt lgkmcnt(3)
	v_pk_mul_f32 v[18:19], v[24:25], v[18:19]
	s_add_i32 s56, s16, -16
	v_sub_f32_e32 v19, v85, v19
	s_sub_i32 s62, s70, 32
	v_sub_f32_e32 v84, v19, v18
	v_pk_mul_f32 v[18:19], v[24:25], v[34:35]
	v_pk_mul_f32 v[28:29], v[24:25], v[28:29]
	s_add_i32 s54, s34, -16
	ds_write_b32 v46, v11
	ds_write_b32 v47, v16
	v_mov_b32_e32 v37, s56
	v_mov_b32_e32 v40, s62
	v_sub_f32_e32 v19, v87, v19
	v_sub_f32_e32 v29, v82, v29
	;; [unrolled: 1-line block ×3, first 2 shown]
	ds_read2_b32 v[18:19], v37 offset1:1
	ds_read2_b32 v[40:41], v40 offset1:1
	v_sub_f32_e32 v82, v29, v28
	v_mov_b32_e32 v28, s54
	ds_read2_b32 v[28:29], v28 offset1:1
	s_waitcnt lgkmcnt(2)
	v_pk_mul_f32 v[18:19], v[24:25], v[18:19]
	s_sub_i32 s49, s70, 40
	v_sub_f32_e32 v17, v17, v19
	v_sub_f32_e32 v17, v17, v18
	s_waitcnt lgkmcnt(0)
	v_pk_mul_f32 v[18:19], v[24:25], v[28:29]
	v_mov_b32_e32 v34, s49
	v_sub_f32_e32 v19, v91, v19
	v_sub_f32_e32 v25, v19, v18
	v_fma_f32 v19, -v22, v31, v79
	v_fma_f32 v79, -v24, v30, v19
	v_mul_f32_e32 v30, v84, v63
	v_mov_b32_e32 v31, v24
	v_pk_mul_f32 v[26:27], v[30:31], v[26:27]
	s_sub_i32 s49, s70, 48
	v_sub_f32_e32 v27, v88, v27
	v_mov_b32_e32 v35, s49
	ds_read2_b32 v[46:47], v34 offset1:1
	ds_read2_b32 v[36:37], v35 offset1:1
	v_sub_f32_e32 v34, v27, v26
	v_pk_mul_f32 v[26:27], v[30:31], v[32:33]
	s_sub_i32 s49, s70, 56
	v_sub_f32_e32 v27, v86, v27
	v_add_u32_e32 v58, s66, v1
	s_sub_i32 s48, s69, 28
	s_sub_i32 s42, s69, 36
	;; [unrolled: 1-line block ×5, first 2 shown]
	v_mov_b32_e32 v18, s49
	v_fma_f32 v13, -v22, v13, v81
	v_sub_f32_e32 v86, v27, v26
	v_mov_b32_e32 v26, s43
	v_mov_b32_e32 v28, s69
	v_fma_f32 v81, -v24, v12, v13
	ds_read2_b32 v[18:19], v18 offset1:1
	ds_read2_b32 v[12:13], v28 offset1:1
	;; [unrolled: 1-line block ×3, first 2 shown]
	v_pk_mul_f32 v[28:29], v[30:31], v[74:75]
	s_sub_i32 s46, s45, 20
	v_sub_f32_e32 v29, v83, v29
	v_sub_f32_e32 v74, v29, v28
	s_waitcnt lgkmcnt(0)
	v_pk_mul_f32 v[26:27], v[30:31], v[26:27]
	v_mov_b32_e32 v28, s46
	v_sub_f32_e32 v23, v23, v27
	v_sub_f32_e32 v23, v23, v26
	ds_read2_b32 v[26:27], v28 offset1:1
	s_sub_i32 s44, s34, 48
	v_mov_b32_e32 v75, s44
	s_sub_i32 s44, s39, 20
	s_lshl_b32 s43, s65, 2
	s_waitcnt lgkmcnt(0)
	v_pk_mul_f32 v[26:27], v[30:31], v[26:27]
	s_sub_i32 s47, s45, 52
	v_sub_f32_e32 v27, v78, v27
	v_sub_f32_e32 v31, v27, v26
	v_mov_b32_e32 v26, s44
	ds_read2_b32 v[26:27], v26 offset1:1
	s_add_i32 s43, s27, s43
	v_fma_f32 v21, -v24, v21, v80
	s_sub_i32 s41, s34, 24
	s_sub_i32 s28, s34, 32
	;; [unrolled: 1-line block ×6, first 2 shown]
	v_add_u32_e32 v55, s40, v1
	s_sub_i32 s53, s61, 24
	s_sub_i32 s40, s61, 32
	;; [unrolled: 1-line block ×5, first 2 shown]
	v_mov_b32_e32 v84, s47
	v_mov_b32_e32 v32, s66
	v_fma_f32 v78, -v30, v20, v21
	v_mov_b32_e32 v20, s43
	s_waitcnt lgkmcnt(0)
	v_fma_f32 v14, -v24, v27, v14
	v_mov_b32_e32 v35, s61
	ds_read_b32 v63, v20
	ds_read2_b32 v[20:21], v35 offset1:1
	v_fma_f32 v14, -v30, v26, v14
	ds_read2_b32 v[28:29], v84 offset1:1
	ds_read2_b32 v[26:27], v32 offset1:1
	v_mul_f32_e32 v32, v34, v73
	v_mov_b32_e32 v33, v30
	v_pk_mul_f32 v[34:35], v[32:33], v[42:43]
	s_sub_i32 s38, s16, 24
	v_sub_f32_e32 v35, v85, v35
	v_sub_f32_e32 v73, v35, v34
	v_mov_b32_e32 v34, s38
	ds_read2_b32 v[34:35], v34 offset1:1
	v_pk_mul_f32 v[42:43], v[32:33], v[76:77]
	s_sub_i32 s21, s21, 32
	v_sub_f32_e32 v43, v82, v43
	v_sub_f32_e32 v76, v43, v42
	v_mov_b32_e32 v42, s41
	ds_read2_b32 v[42:43], v42 offset1:1
	s_waitcnt lgkmcnt(1)
	v_pk_mul_f32 v[34:35], v[32:33], v[34:35]
	s_add_i32 s20, s25, s20
	v_sub_f32_e32 v17, v17, v35
	v_sub_f32_e32 v17, v17, v34
	v_mov_b32_e32 v34, s53
	ds_read2_b32 v[34:35], v34 offset1:1
	s_waitcnt lgkmcnt(1)
	v_pk_mul_f32 v[42:43], v[32:33], v[42:43]
	v_add_u32_e32 v66, s25, v1
	s_sub_i32 s25, s16, 32
	v_sub_f32_e32 v25, v25, v43
	s_waitcnt lgkmcnt(0)
	v_pk_mul_f32 v[34:35], v[32:33], v[34:35]
	v_sub_f32_e32 v25, v25, v42
	v_sub_f32_e32 v33, v79, v35
	v_sub_f32_e32 v33, v33, v34
	v_fma_f32 v34, -v30, v39, v81
	v_fma_f32 v80, -v32, v38, v34
	v_mov_b32_e32 v34, s29
	ds_read2_b32 v[38:39], v34 offset1:1
	v_mul_f32_e32 v34, v73, v72
	v_mov_b32_e32 v35, v32
	v_pk_mul_f32 v[44:45], v[34:35], v[44:45]
	s_sub_i32 s29, s39, 28
	v_sub_f32_e32 v45, v86, v45
	v_sub_f32_e32 v81, v45, v44
	v_mov_b32_e32 v44, s31
	ds_read2_b32 v[44:45], v44 offset1:1
	s_waitcnt lgkmcnt(1)
	v_pk_mul_f32 v[38:39], v[34:35], v[38:39]
	ds_read2_b32 v[42:43], v75 offset1:1
	v_sub_f32_e32 v39, v74, v39
	v_sub_f32_e32 v74, v39, v38
	v_mov_b32_e32 v38, s34
	ds_read2_b32 v[38:39], v38 offset1:1
	s_waitcnt lgkmcnt(2)
	v_pk_mul_f32 v[44:45], v[34:35], v[44:45]
	s_sub_i32 s16, s16, 40
	v_sub_f32_e32 v23, v23, v45
	v_sub_f32_e32 v23, v23, v44
	v_mov_b32_e32 v44, s48
	ds_read2_b32 v[44:45], v44 offset1:1
	s_waitcnt lgkmcnt(1)
	v_pk_mul_f32 v[38:39], v[34:35], v[38:39]
	v_mov_b32_e32 v77, s33
	v_sub_f32_e32 v31, v31, v39
	v_sub_f32_e32 v31, v31, v38
	v_mov_b32_e32 v38, s29
	ds_read2_b32 v[38:39], v38 offset1:1
	s_waitcnt lgkmcnt(1)
	v_pk_mul_f32 v[44:45], v[34:35], v[44:45]
	v_mov_b32_e32 v79, s37
	v_sub_f32_e32 v35, v78, v45
	v_sub_f32_e32 v35, v35, v44
	v_mov_b32_e32 v44, s21
	ds_read2_b32 v[44:45], v44 offset1:1
	s_waitcnt lgkmcnt(1)
	v_fma_f32 v14, -v32, v39, v14
	v_fma_f32 v78, -v34, v38, v14
	v_mov_b32_e32 v14, s25
	ds_read2_b32 v[72:73], v14 offset1:1
	v_mul_f32_e32 v38, v81, v51
	v_mov_b32_e32 v39, v34
	s_waitcnt lgkmcnt(1)
	v_pk_mul_f32 v[44:45], v[38:39], v[44:45]
	s_sub_i32 s21, s4, 19
	v_sub_f32_e32 v14, v76, v45
	v_sub_f32_e32 v51, v14, v44
	v_mov_b32_e32 v14, s28
	s_waitcnt lgkmcnt(0)
	v_pk_mul_f32 v[72:73], v[38:39], v[72:73]
	ds_read2_b32 v[44:45], v14 offset1:1
	v_sub_f32_e32 v14, v17, v73
	v_sub_f32_e32 v17, v14, v72
	v_mov_b32_e32 v14, s40
	ds_read2_b32 v[72:73], v14 offset1:1
	s_waitcnt lgkmcnt(1)
	v_pk_mul_f32 v[44:45], v[38:39], v[44:45]
	v_mov_b32_e32 v76, s20
	v_sub_f32_e32 v14, v25, v45
	v_sub_f32_e32 v25, v14, v44
	s_waitcnt lgkmcnt(0)
	v_pk_mul_f32 v[44:45], v[38:39], v[72:73]
	s_lshl_b32 s20, s21, 7
	v_sub_f32_e32 v14, v33, v45
	v_pk_mul_f32 v[40:41], v[38:39], v[40:41]
	s_add_i32 s28, s20, s5
	v_sub_f32_e32 v33, v14, v44
	v_sub_f32_e32 v14, v80, v41
	s_add_i32 s25, s28, -8
	v_sub_f32_e32 v39, v14, v40
	v_mov_b32_e32 v14, s28
	v_mov_b32_e32 v40, s25
	ds_read_b32 v14, v14
	ds_read2_b32 v[40:41], v40 offset1:1
	s_add_i32 s25, s28, -16
	v_mov_b32_e32 v44, s25
	s_sub_i32 s25, s28, 24
	v_mov_b32_e32 v45, s25
	s_waitcnt lgkmcnt(1)
	v_fma_f32 v72, -v11, v14, v15
	ds_read2_b32 v[14:15], v44 offset1:1
	ds_read2_b32 v[44:45], v45 offset1:1
	s_waitcnt lgkmcnt(2)
	v_fma_f32 v41, -v10, v41, v72
	v_fma_f32 v40, -v16, v40, v41
	v_mov_b32_e32 v41, s19
	s_waitcnt lgkmcnt(1)
	v_fma_f32 v15, -v22, v15, v40
	v_fma_f32 v14, -v24, v14, v15
	s_sub_i32 s19, s28, 32
	s_waitcnt lgkmcnt(0)
	v_fma_f32 v40, -v30, v45, v14
	v_mov_b32_e32 v14, s19
	ds_read2_b32 v[72:73], v76 offset1:1
	ds_read2_b32 v[14:15], v14 offset1:1
	v_fma_f32 v40, -v32, v44, v40
	s_sub_i32 s19, s39, 36
	v_mov_b32_e32 v76, s24
	v_mov_b32_e32 v82, s19
	s_waitcnt lgkmcnt(0)
	v_fma_f32 v15, -v34, v15, v40
	v_fma_f32 v81, -v38, v14, v15
	ds_read2_b32 v[14:15], v41 offset1:1
	v_mul_f32_e32 v40, v51, v50
	v_mov_b32_e32 v41, v38
	v_pk_mul_f32 v[44:45], v[40:41], v[72:73]
	v_mov_b32_e32 v80, s42
	s_waitcnt lgkmcnt(0)
	v_pk_mul_f32 v[14:15], v[40:41], v[14:15]
	v_sub_f32_e32 v45, v74, v45
	v_sub_f32_e32 v15, v23, v15
	;; [unrolled: 1-line block ×3, first 2 shown]
	ds_read2_b32 v[44:45], v76 offset1:1
	ds_read2_b32 v[50:51], v80 offset1:1
	v_sub_f32_e32 v23, v15, v14
	ds_read2_b32 v[14:15], v82 offset1:1
	s_sub_i32 s24, s4, 20
	s_lshl_b32 s19, s24, 7
	s_add_i32 s25, s19, s5
	s_add_i32 s29, s25, -4
	s_waitcnt lgkmcnt(0)
	v_pk_mul_f32 v[14:15], v[40:41], v[14:15]
	v_pk_mul_f32 v[50:51], v[40:41], v[50:51]
	v_sub_f32_e32 v15, v78, v15
	v_sub_f32_e32 v82, v15, v14
	v_mov_b32_e32 v14, s29
	ds_read2_b32 v[14:15], v14 offset1:1
	v_pk_mul_f32 v[44:45], v[40:41], v[44:45]
	v_sub_f32_e32 v35, v35, v51
	s_add_i32 s29, s25, -12
	v_sub_f32_e32 v31, v31, v45
	v_sub_f32_e32 v80, v35, v50
	v_mov_b32_e32 v35, s29
	s_sub_i32 s29, s25, 20
	v_sub_f32_e32 v31, v31, v44
	v_mov_b32_e32 v41, s29
	ds_read2_b32 v[44:45], v35 offset1:1
	ds_read2_b32 v[72:73], v41 offset1:1
	s_waitcnt lgkmcnt(2)
	v_fma_f32 v8, -v11, v15, v8
	s_sub_i32 s29, s25, 28
	v_fma_f32 v8, -v10, v14, v8
	v_mov_b32_e32 v14, s29
	ds_read2_b32 v[14:15], v14 offset1:1
	s_waitcnt lgkmcnt(2)
	v_fma_f32 v8, -v16, v45, v8
	v_fma_f32 v8, -v22, v44, v8
	s_waitcnt lgkmcnt(1)
	v_fma_f32 v8, -v24, v73, v8
	s_sub_i32 s29, s25, 36
	v_fma_f32 v8, -v30, v72, v8
	v_mov_b32_e32 v41, s29
	ds_read2_b32 v[44:45], v41 offset1:1
	s_waitcnt lgkmcnt(1)
	v_fma_f32 v8, -v32, v15, v8
	v_mov_b32_e32 v75, s45
	v_fma_f32 v8, -v34, v14, v8
	v_mov_b32_e32 v14, s16
	ds_read2_b32 v[50:51], v75 offset1:1
	ds_read2_b32 v[14:15], v14 offset1:1
	s_waitcnt lgkmcnt(2)
	v_fma_f32 v8, -v38, v45, v8
	v_fma_f32 v84, -v40, v44, v8
	v_mul_f32_e32 v44, v83, v71
	v_mov_b32_e32 v45, v40
	s_waitcnt lgkmcnt(0)
	v_pk_mul_f32 v[14:15], v[44:45], v[14:15]
	ds_read2_b32 v[72:73], v77 offset1:1
	ds_read2_b32 v[74:75], v79 offset1:1
	v_sub_f32_e32 v8, v17, v15
	v_sub_f32_e32 v17, v8, v14
	v_mov_b32_e32 v8, s17
	ds_write_b32 v48, v22
	ds_write_b32 v49, v24
	ds_read2_b32 v[48:49], v8 offset1:1
	v_mov_b32_e32 v14, s18
	ds_read2_b32 v[78:79], v14 offset1:1
	s_sub_i32 s49, s70, 64
	v_mov_b32_e32 v35, s35
	v_mov_b32_e32 v8, s49
	s_waitcnt lgkmcnt(1)
	v_pk_mul_f32 v[48:49], v[44:45], v[48:49]
	ds_read2_b32 v[76:77], v35 offset1:1
	ds_read2_b32 v[14:15], v8 offset1:1
	v_sub_f32_e32 v8, v25, v49
	v_sub_f32_e32 v71, v8, v48
	s_waitcnt lgkmcnt(2)
	v_pk_mul_f32 v[48:49], v[44:45], v[78:79]
	s_sub_i32 s17, s28, 40
	v_sub_f32_e32 v8, v33, v49
	v_sub_f32_e32 v41, v8, v48
	v_mov_b32_e32 v8, s17
	ds_read2_b32 v[48:49], v8 offset1:1
	s_sub_i32 s16, s39, 44
	v_mov_b32_e32 v25, s16
	s_sub_i32 s16, s39, 52
	v_pk_mul_f32 v[46:47], v[44:45], v[46:47]
	ds_write_b32 v68, v32
	v_mov_b32_e32 v68, s16
	s_sub_i32 s16, s39, 60
	s_sub_i32 s18, s4, 21
	ds_read2_b32 v[78:79], v25 offset1:1
	v_sub_f32_e32 v8, v39, v47
	v_sub_f32_e32 v39, v8, v46
	v_mov_b32_e32 v33, s16
	s_waitcnt lgkmcnt(2)
	v_pk_mul_f32 v[46:47], v[44:45], v[48:49]
	s_lshl_b32 s16, s18, 7
	ds_write_b32 v67, v30
	v_add_u32_e32 v67, s27, v1
	v_sub_f32_e32 v8, v81, v47
	s_add_i32 s27, s16, s5
	v_sub_f32_e32 v35, v8, v46
	v_mov_b32_e32 v8, s27
	ds_read_b32 v8, v8
	s_add_i32 s29, s27, -8
	v_mov_b32_e32 v45, s29
	s_add_i32 s29, s27, -16
	ds_read2_b32 v[46:47], v45 offset1:1
	s_waitcnt lgkmcnt(1)
	v_fma_f32 v45, -v11, v8, v9
	v_mov_b32_e32 v8, s29
	ds_read2_b32 v[8:9], v8 offset1:1
	s_sub_i32 s31, s27, 24
	s_waitcnt lgkmcnt(1)
	v_fma_f32 v45, -v10, v47, v45
	v_fma_f32 v45, -v16, v46, v45
	s_lshl_b32 s29, s36, 2
	s_waitcnt lgkmcnt(0)
	v_fma_f32 v9, -v22, v9, v45
	v_fma_f32 v45, -v24, v8, v9
	v_mov_b32_e32 v8, s31
	ds_read2_b32 v[8:9], v8 offset1:1
	s_sub_i32 s31, s27, 32
	v_mov_b32_e32 v46, s31
	s_sub_i32 s31, s27, 40
	ds_read2_b32 v[46:47], v46 offset1:1
	s_waitcnt lgkmcnt(1)
	v_fma_f32 v9, -v30, v9, v45
	v_fma_f32 v45, -v32, v8, v9
	v_mov_b32_e32 v8, s31
	ds_read2_b32 v[8:9], v8 offset1:1
	s_waitcnt lgkmcnt(1)
	v_fma_f32 v45, -v34, v47, v45
	s_add_i32 s29, s30, s29
	v_fma_f32 v45, -v38, v46, v45
	ds_write_b32 v69, v34
	ds_write_b32 v70, v38
	v_mov_b32_e32 v48, s29
	s_waitcnt lgkmcnt(2)
	v_fma_f32 v9, -v40, v9, v45
	v_fma_f32 v45, -v44, v8, v9
	ds_read2_b32 v[46:47], v68 offset1:1
	ds_read2_b32 v[8:9], v33 offset1:1
	ds_read_b32 v69, v48
	v_mul_f32_e32 v48, v17, v53
	v_mov_b32_e32 v49, v44
	v_pk_mul_f32 v[72:73], v[48:49], v[72:73]
	v_add_u32_e32 v68, s30, v1
	v_sub_f32_e32 v17, v23, v73
	v_sub_f32_e32 v81, v17, v72
	s_sub_i32 s30, s25, 44
	v_pk_mul_f32 v[72:73], v[48:49], v[74:75]
	v_mov_b32_e32 v17, s30
	v_sub_f32_e32 v23, v31, v73
	v_sub_f32_e32 v31, v23, v72
	ds_read2_b32 v[72:73], v17 offset1:1
	v_pk_mul_f32 v[74:75], v[48:49], v[76:77]
	s_sub_i32 s38, s4, 22
	v_sub_f32_e32 v17, v80, v75
	s_lshl_b32 s36, s38, 7
	v_sub_f32_e32 v25, v17, v74
	v_pk_mul_f32 v[74:75], v[48:49], v[78:79]
	s_add_i32 s35, s36, s5
	v_sub_f32_e32 v17, v82, v75
	s_waitcnt lgkmcnt(0)
	v_pk_mul_f32 v[72:73], v[48:49], v[72:73]
	s_add_i32 s30, s35, -4
	v_sub_f32_e32 v23, v17, v74
	v_sub_f32_e32 v17, v84, v73
	v_mov_b32_e32 v33, s30
	v_sub_f32_e32 v17, v17, v72
	ds_read2_b32 v[72:73], v33 offset1:1
	s_add_i32 s30, s35, -12
	v_mov_b32_e32 v33, s30
	s_sub_i32 s30, s35, 20
	ds_read2_b32 v[74:75], v33 offset1:1
	v_mov_b32_e32 v33, s30
	ds_read2_b32 v[76:77], v33 offset1:1
	s_waitcnt lgkmcnt(2)
	v_fma_f32 v6, -v11, v73, v6
	s_sub_i32 s30, s35, 28
	v_fma_f32 v6, -v10, v72, v6
	v_mov_b32_e32 v33, s30
	s_waitcnt lgkmcnt(1)
	v_fma_f32 v6, -v16, v75, v6
	ds_read2_b32 v[72:73], v33 offset1:1
	v_fma_f32 v6, -v22, v74, v6
	s_sub_i32 s30, s35, 36
	s_waitcnt lgkmcnt(1)
	v_fma_f32 v6, -v24, v77, v6
	v_mov_b32_e32 v33, s30
	s_sub_i32 s30, s35, 44
	v_fma_f32 v6, -v30, v76, v6
	v_mov_b32_e32 v49, s30
	ds_read2_b32 v[74:75], v33 offset1:1
	ds_read2_b32 v[76:77], v49 offset1:1
	s_waitcnt lgkmcnt(2)
	v_fma_f32 v6, -v32, v73, v6
	v_fma_f32 v6, -v34, v72, v6
	s_sub_i32 s43, s4, 23
	s_waitcnt lgkmcnt(1)
	v_fma_f32 v6, -v38, v75, v6
	v_fma_f32 v6, -v40, v74, v6
	s_lshl_b32 s30, s43, 7
	s_sub_i32 s29, s28, 48
	s_waitcnt lgkmcnt(0)
	v_fma_f32 v6, -v44, v77, v6
	s_add_i32 s31, s30, s5
	v_mov_b32_e32 v49, s29
	v_fma_f32 v33, -v48, v76, v6
	v_mov_b32_e32 v6, s31
	s_add_i32 s29, s31, -8
	v_mov_b32_e32 v53, s29
	ds_read_b32 v6, v6
	ds_read2_b32 v[72:73], v53 offset1:1
	s_add_i32 s29, s31, -16
	v_mov_b32_e32 v53, s29
	s_sub_i32 s29, s31, 24
	ds_read2_b32 v[74:75], v53 offset1:1
	s_waitcnt lgkmcnt(2)
	v_fma_f32 v53, -v11, v6, v7
	v_mov_b32_e32 v6, s29
	ds_read2_b32 v[6:7], v6 offset1:1
	s_sub_i32 s29, s31, 32
	s_waitcnt lgkmcnt(2)
	v_fma_f32 v53, -v10, v73, v53
	v_mov_b32_e32 v70, s29
	v_fma_f32 v53, -v16, v72, v53
	ds_read2_b32 v[72:73], v70 offset1:1
	s_sub_i32 s29, s31, 40
	s_waitcnt lgkmcnt(2)
	v_fma_f32 v53, -v22, v75, v53
	v_mov_b32_e32 v70, s29
	v_fma_f32 v53, -v24, v74, v53
	ds_read2_b32 v[74:75], v70 offset1:1
	s_waitcnt lgkmcnt(2)
	v_fma_f32 v7, -v30, v7, v53
	v_fma_f32 v6, -v32, v6, v7
	s_sub_i32 s37, s4, 24
	s_waitcnt lgkmcnt(1)
	v_fma_f32 v6, -v34, v73, v6
	s_lshl_b32 s33, s37, 7
	v_fma_f32 v6, -v38, v72, v6
	s_add_i32 s34, s33, s5
	s_waitcnt lgkmcnt(0)
	v_fma_f32 v6, -v40, v75, v6
	s_add_i32 s29, s34, -4
	v_fma_f32 v76, -v44, v74, v6
	v_mov_b32_e32 v6, s29
	ds_read2_b32 v[6:7], v6 offset1:1
	s_add_i32 s29, s34, -12
	v_mov_b32_e32 v53, s29
	s_sub_i32 s29, s34, 20
	ds_read2_b32 v[72:73], v53 offset1:1
	v_mov_b32_e32 v70, s29
	s_waitcnt lgkmcnt(1)
	v_fma_f32 v4, -v11, v7, v4
	v_fma_f32 v4, -v10, v6, v4
	ds_read2_b32 v[6:7], v70 offset1:1
	s_sub_i32 s29, s34, 28
	s_waitcnt lgkmcnt(1)
	v_fma_f32 v4, -v16, v73, v4
	v_mov_b32_e32 v53, s29
	v_fma_f32 v4, -v22, v72, v4
	s_sub_i32 s29, s28, 56
	ds_read2_b32 v[72:73], v53 offset1:1
	v_mov_b32_e32 v53, s29
	s_waitcnt lgkmcnt(1)
	v_fma_f32 v4, -v24, v7, v4
	s_sub_i32 s29, s34, 36
	v_fma_f32 v4, -v30, v6, v4
	v_mov_b32_e32 v6, s29
	ds_read2_b32 v[6:7], v6 offset1:1
	s_waitcnt lgkmcnt(1)
	v_fma_f32 v4, -v32, v73, v4
	v_fma_f32 v4, -v34, v72, v4
	s_sub_i32 s29, s34, 44
	ds_read2_b32 v[72:73], v49 offset1:1
	v_mov_b32_e32 v49, s29
	s_waitcnt lgkmcnt(1)
	v_fma_f32 v4, -v38, v7, v4
	v_fma_f32 v4, -v40, v6, v4
	ds_read2_b32 v[74:75], v49 offset1:1
	ds_read2_b32 v[6:7], v53 offset1:1
	s_sub_i32 s42, s4, 25
	s_lshl_b32 s41, s42, 7
	s_add_i32 s44, s41, s5
	s_waitcnt lgkmcnt(1)
	v_fma_f32 v4, -v44, v75, v4
	v_fma_f32 v82, -v48, v74, v4
	v_mov_b32_e32 v4, s44
	s_add_i32 s29, s44, -8
	ds_read_b32 v4, v4
	v_mov_b32_e32 v49, s29
	ds_write_b32 v52, v40
	ds_read2_b32 v[52:53], v49 offset1:1
	s_add_i32 s29, s44, -16
	s_waitcnt lgkmcnt(2)
	v_fma_f32 v49, -v11, v4, v5
	v_mov_b32_e32 v4, s29
	s_sub_i32 s29, s44, 24
	ds_read2_b32 v[4:5], v4 offset1:1
	s_waitcnt lgkmcnt(1)
	v_fma_f32 v49, -v10, v53, v49
	v_fma_f32 v49, -v16, v52, v49
	v_mov_b32_e32 v52, s29
	ds_read2_b32 v[52:53], v52 offset1:1
	s_waitcnt lgkmcnt(1)
	v_fma_f32 v5, -v22, v5, v49
	v_fma_f32 v4, -v24, v4, v5
	s_sub_i32 s29, s44, 32
	s_lshl_b32 s21, s21, 2
	s_waitcnt lgkmcnt(0)
	v_fma_f32 v49, -v30, v53, v4
	v_mov_b32_e32 v4, s29
	ds_read2_b32 v[4:5], v4 offset1:1
	s_sub_i32 s29, s44, 40
	v_fma_f32 v49, -v32, v52, v49
	v_mov_b32_e32 v52, s29
	ds_read2_b32 v[52:53], v52 offset1:1
	s_waitcnt lgkmcnt(1)
	v_fma_f32 v5, -v34, v5, v49
	s_add_i32 s21, s20, s21
	v_fma_f32 v4, -v38, v4, v5
	v_mov_b32_e32 v5, s21
	v_add_u32_e32 v49, s20, v1
	s_sub_i32 s20, s25, 52
	s_waitcnt lgkmcnt(0)
	v_fma_f32 v4, -v40, v53, v4
	s_lshl_b32 s21, s24, 2
	v_fma_f32 v74, -v44, v52, v4
	v_mov_b32_e32 v4, s20
	s_add_i32 s21, s19, s21
	ds_read_b32 v70, v5
	ds_read2_b32 v[52:53], v4 offset1:1
	v_mov_b32_e32 v4, s21
	ds_write_b32 v66, v44
	ds_read_b32 v66, v4
	v_mul_f32_e32 v4, v81, v65
	v_mov_b32_e32 v5, v48
	v_pk_mul_f32 v[50:51], v[4:5], v[50:51]
	s_lshl_b32 s18, s18, 2
	v_sub_f32_e32 v41, v41, v51
	v_pk_mul_f32 v[42:43], v[4:5], v[42:43]
	s_add_i32 s18, s16, s18
	v_sub_f32_e32 v86, v41, v50
	v_add_u32_e32 v50, s16, v1
	s_lshl_b32 s16, s38, 2
	v_pk_mul_f32 v[36:37], v[4:5], v[36:37]
	v_sub_f32_e32 v43, v71, v43
	v_add_u32_e32 v65, s19, v1
	s_sub_i32 s19, s27, 48
	s_add_i32 s16, s36, s16
	v_sub_f32_e32 v37, v39, v37
	v_sub_f32_e32 v83, v43, v42
	v_mov_b32_e32 v42, s19
	v_sub_f32_e32 v87, v37, v36
	v_mov_b32_e32 v36, s16
	ds_write_b32 v64, v48
	ds_read2_b32 v[42:43], v42 offset1:1
	ds_read_b32 v64, v36
	v_pk_mul_f32 v[36:37], v[4:5], v[72:73]
	s_sub_i32 s16, s31, 48
	v_sub_f32_e32 v35, v35, v37
	v_sub_f32_e32 v88, v35, v36
	v_mov_b32_e32 v35, s16
	ds_read2_b32 v[36:37], v35 offset1:1
	s_waitcnt lgkmcnt(2)
	v_pk_mul_f32 v[42:43], v[4:5], v[42:43]
	v_mov_b32_e32 v41, s18
	s_sub_i32 s18, s44, 48
	v_sub_f32_e32 v5, v45, v43
	s_sub_i32 s57, s4, 26
	s_lshl_b32 s16, s43, 2
	v_sub_f32_e32 v89, v5, v42
	v_mov_b32_e32 v5, s18
	s_lshl_b32 s58, s57, 7
	s_add_i32 s16, s30, s16
	ds_read2_b32 v[42:43], v5 offset1:1
	s_waitcnt lgkmcnt(1)
	v_fma_f32 v5, -v48, v37, v76
	s_add_i32 s55, s58, s5
	v_fma_f32 v90, -v4, v36, v5
	v_mov_b32_e32 v5, s16
	s_add_i32 s16, s55, -4
	v_mov_b32_e32 v35, s16
	ds_read_b32 v72, v5
	ds_read2_b32 v[36:37], v35 offset1:1
	s_sub_i32 s18, s4, 27
	s_lshl_b32 s16, s18, 7
	s_waitcnt lgkmcnt(2)
	v_fma_f32 v5, -v48, v43, v74
	s_add_i32 s53, s16, s5
	s_waitcnt lgkmcnt(0)
	v_fma_f32 v2, -v11, v37, v2
	v_fma_f32 v91, -v4, v42, v5
	;; [unrolled: 1-line block ×3, first 2 shown]
	v_mov_b32_e32 v2, s53
	ds_read_b32 v71, v41
	ds_read_b32 v2, v2
	s_add_i32 s21, s53, -8
	s_sub_i32 s49, s25, 60
	s_add_i32 s40, s25, 0xffffffbc
	s_add_i32 s20, s25, 0xffffffb4
	s_waitcnt lgkmcnt(0)
	v_fma_f32 v11, -v11, v2, v3
	v_mov_b32_e32 v2, s21
	ds_read2_b32 v[2:3], v2 offset1:1
	s_add_i32 s25, s55, -12
	s_sub_i32 s21, s34, 52
	s_add_i32 s17, s39, 0xffffffbc
	s_lshl_b32 s57, s57, 2
	s_waitcnt lgkmcnt(0)
	v_fma_f32 v3, -v10, v3, v11
	v_mov_b32_e32 v10, s25
	ds_read2_b32 v[10:11], v10 offset1:1
	v_fma_f32 v2, -v16, v2, v3
	v_mov_b32_e32 v3, s21
	s_lshl_b32 s21, s37, 2
	s_add_i32 s21, s33, s21
	s_add_i32 s25, s53, -16
	v_mov_b32_e32 v35, s21
	s_waitcnt lgkmcnt(0)
	v_fma_f32 v5, -v16, v11, v5
	ds_read2_b32 v[36:37], v3 offset1:1
	ds_read_b32 v74, v35
	v_mov_b32_e32 v3, s25
	v_fma_f32 v5, -v22, v10, v5
	ds_read2_b32 v[10:11], v3 offset1:1
	s_sub_i32 s25, s55, 20
	s_add_i32 s57, s58, s57
	v_add_u32_e32 v77, s58, v1
	s_sub_i32 s58, s53, 24
	s_waitcnt lgkmcnt(0)
	v_fma_f32 v11, -v22, v11, v2
	v_mov_b32_e32 v2, s17
	v_fma_f32 v16, -v24, v10, v11
	v_mov_b32_e32 v10, s25
	ds_read2_b32 v[2:3], v2 offset1:1
	ds_read2_b32 v[10:11], v10 offset1:1
	s_sub_i32 s60, s55, 28
	s_sub_i32 s65, s53, 32
	;; [unrolled: 1-line block ×4, first 2 shown]
	s_waitcnt lgkmcnt(0)
	v_fma_f32 v5, -v24, v11, v5
	v_fma_f32 v5, -v30, v10, v5
	v_mov_b32_e32 v10, s58
	ds_read2_b32 v[10:11], v10 offset1:1
	v_mov_b32_e32 v24, s49
	ds_read2_b32 v[80:81], v24 offset1:1
	v_mov_b32_e32 v22, s39
	s_sub_i32 s66, s53, 40
	s_waitcnt lgkmcnt(1)
	v_fma_f32 v11, -v30, v11, v16
	v_mov_b32_e32 v16, s60
	ds_read2_b32 v[42:43], v16 offset1:1
	v_fma_f32 v16, -v32, v10, v11
	v_mov_b32_e32 v10, s65
	ds_read2_b32 v[10:11], v10 offset1:1
	s_sub_i32 s54, s27, 56
	s_waitcnt lgkmcnt(1)
	v_fma_f32 v5, -v32, v43, v5
	v_mov_b32_e32 v32, s61
	v_fma_f32 v5, -v34, v42, v5
	ds_read2_b32 v[78:79], v32 offset1:1
	ds_read2_b32 v[42:43], v22 offset1:1
	s_waitcnt lgkmcnt(2)
	v_fma_f32 v11, -v34, v11, v16
	ds_write_b32 v62, v4
	v_fma_f32 v22, -v38, v10, v11
	v_mov_b32_e32 v10, s66
	v_mov_b32_e32 v30, s54
	ds_read2_b32 v[10:11], v10 offset1:1
	ds_read2_b32 v[34:35], v30 offset1:1
	s_sub_i32 s56, s35, 52
	s_sub_i32 s62, s55, 44
	v_mov_b32_e32 v16, s56
	s_waitcnt lgkmcnt(4)
	v_fma_f32 v5, -v38, v79, v5
	s_waitcnt lgkmcnt(1)
	v_fma_f32 v11, -v40, v11, v22
	v_mov_b32_e32 v22, s62
	v_fma_f32 v5, -v40, v78, v5
	ds_read2_b32 v[38:39], v16 offset1:1
	ds_read2_b32 v[40:41], v22 offset1:1
	s_lshl_b32 s25, s42, 2
	v_add_u32_e32 v73, s30, v1
	s_sub_i32 s30, s44, 56
	s_add_i32 s59, s41, s25
	s_sub_i32 s63, s55, 52
	s_sub_i32 s67, s53, 48
	v_mov_b32_e32 v16, s30
	v_fma_f32 v22, -v44, v10, v11
	v_mov_b32_e32 v10, s59
	ds_read2_b32 v[78:79], v16 offset1:1
	ds_read_b32 v62, v10
	s_waitcnt lgkmcnt(2)
	v_fma_f32 v5, -v44, v41, v5
	v_mov_b32_e32 v10, s67
	v_mov_b32_e32 v16, s63
	ds_read2_b32 v[10:11], v10 offset1:1
	v_fma_f32 v5, -v48, v40, v5
	ds_read2_b32 v[40:41], v16 offset1:1
	s_sub_i32 s64, s55, 60
	s_sub_i32 s58, s53, 56
	v_mov_b32_e32 v30, s64
	v_fma_f32 v24, -v4, v37, v82
	s_waitcnt lgkmcnt(1)
	v_fma_f32 v11, -v48, v11, v22
	v_mov_b32_e32 v16, s57
	ds_read2_b32 v[44:45], v30 offset1:1
	ds_read_b32 v48, v16
	s_waitcnt lgkmcnt(2)
	v_fma_f32 v30, -v4, v41, v5
	v_mov_b32_e32 v5, s58
	v_mul_f32_e32 v82, v83, v59
	v_mov_b32_e32 v83, v4
	v_fma_f32 v32, -v4, v10, v11
	ds_read2_b32 v[84:85], v5 offset1:1
	v_pk_mul_f32 v[4:5], v[82:83], v[28:29]
	s_sub_i32 s68, s53, 64
	v_sub_f32_e32 v5, v31, v5
	v_sub_f32_e32 v37, v5, v4
	v_pk_mul_f32 v[4:5], v[82:83], v[26:27]
	s_add_i32 s69, s53, 0xffffffb8
	v_sub_f32_e32 v5, v25, v5
	v_mov_b32_e32 v10, s68
	v_sub_f32_e32 v41, v5, v4
	v_pk_mul_f32 v[4:5], v[82:83], v[46:47]
	ds_read2_b32 v[28:29], v10 offset1:1
	v_mov_b32_e32 v10, s69
	v_sub_f32_e32 v5, v23, v5
	s_addk_i32 s28, 0xffb8
	v_sub_f32_e32 v59, v5, v4
	ds_read2_b32 v[4:5], v10 offset1:1
	v_pk_mul_f32 v[10:11], v[82:83], v[52:53]
	v_mov_b32_e32 v16, s28
	v_mov_b32_e32 v22, s40
	v_sub_f32_e32 v11, v17, v11
	v_sub_f32_e32 v92, v11, v10
	ds_read2_b32 v[10:11], v16 offset1:1
	ds_read2_b32 v[22:23], v22 offset1:1
	v_pk_mul_f32 v[16:17], v[82:83], v[38:39]
	s_sub_i32 s45, s27, 64
	s_sub_i32 s47, s35, 60
	v_sub_f32_e32 v17, v33, v17
	s_sub_i32 s52, s31, 56
	v_mov_b32_e32 v25, s45
	v_sub_f32_e32 v83, v17, v16
	v_mov_b32_e32 v16, s47
	ds_write_b32 v57, v82
	ds_read2_b32 v[46:47], v25 offset1:1
	v_mov_b32_e32 v17, s52
	v_fma_f32 v40, -v82, v40, v30
	ds_read2_b32 v[38:39], v16 offset1:1
	ds_read2_b32 v[30:31], v17 offset1:1
	v_fma_f32 v57, -v82, v36, v24
	v_mul_f32_e32 v36, v37, v56
	v_mov_b32_e32 v37, v82
	v_pk_mul_f32 v[20:21], v[36:37], v[20:21]
	v_add_u32_e32 v75, s33, v1
	v_sub_f32_e32 v21, v86, v21
	v_add_u32_e32 v76, s41, v1
	s_add_i32 s25, s55, 0xffffffbc
	s_add_i32 s33, s55, 0xffffffb4
	;; [unrolled: 1-line block ×4, first 2 shown]
	s_addk_i32 s55, 0xff9c
	s_add_i32 s70, s53, 0xffffffb0
	s_add_i32 s49, s53, 0xffffffa0
	v_sub_f32_e32 v52, v21, v20
	v_pk_mul_f32 v[18:19], v[36:37], v[18:19]
	v_pk_mul_f32 v[6:7], v[36:37], v[6:7]
	s_add_i32 s39, s53, 0xffffffa8
	v_mov_b32_e32 v24, s70
	v_mov_b32_e32 v20, s49
	;; [unrolled: 1-line block ×3, first 2 shown]
	v_sub_f32_e32 v19, v87, v19
	v_sub_f32_e32 v7, v88, v7
	s_waitcnt lgkmcnt(0)
	v_pk_mul_f32 v[30:31], v[36:37], v[30:31]
	v_mul_f32_e32 v52, v52, v61
	v_mov_b32_e32 v53, v36
	v_add_u32_e32 v51, s36, v1
	s_sub_i32 s36, s31, 64
	s_add_i32 s5, s31, 0xffffffb8
	s_add_i32 s38, s31, 0xffffffb0
	s_add_i32 s46, s31, 0xffffffa8
	s_sub_i32 s43, s34, 60
	s_add_i32 s21, s34, 0xffffffbc
	s_add_i32 s37, s34, 0xffffffb4
	;; [unrolled: 1-line block ×4, first 2 shown]
	s_sub_i32 s31, s44, 64
	s_add_i32 s17, s44, 0xffffffb8
	s_add_i32 s34, s44, 0xffffffb0
	;; [unrolled: 1-line block ×3, first 2 shown]
	s_addk_i32 s44, 0xffa0
	v_fma_f32 v33, -v82, v79, v91
	v_fma_f32 v32, -v82, v85, v32
	v_mov_b32_e32 v26, s39
	ds_read2_b32 v[24:25], v24 offset1:1
	ds_read2_b32 v[16:17], v26 offset1:1
	v_sub_f32_e32 v79, v19, v18
	v_sub_f32_e32 v82, v7, v6
	ds_read2_b32 v[6:7], v20 offset1:1
	ds_read2_b32 v[18:19], v21 offset1:1
	v_pk_mul_f32 v[20:21], v[36:37], v[34:35]
	v_sub_f32_e32 v31, v90, v31
	v_pk_mul_f32 v[12:13], v[52:53], v[12:13]
	v_mov_b32_e32 v26, s44
	v_mov_b32_e32 v27, s51
	v_sub_f32_e32 v21, v89, v21
	v_sub_f32_e32 v86, v31, v30
	v_mov_b32_e32 v30, s42
	v_mov_b32_e32 v34, s46
	v_sub_f32_e32 v13, v41, v13
	v_sub_f32_e32 v85, v21, v20
	ds_read2_b32 v[20:21], v26 offset1:1
	ds_read2_b32 v[26:27], v27 offset1:1
	;; [unrolled: 1-line block ×4, first 2 shown]
	ds_write_b32 v55, v36
	v_sub_f32_e32 v55, v13, v12
	v_pk_mul_f32 v[12:13], v[52:53], v[80:81]
	s_add_i32 s19, s27, 0xffffffb8
	s_add_i32 s29, s27, 0xffffffb0
	;; [unrolled: 1-line block ×4, first 2 shown]
	s_addk_i32 s35, 0xffac
	v_pk_mul_f32 v[8:9], v[52:53], v[8:9]
	v_sub_f32_e32 v13, v92, v13
	v_fma_f32 v78, -v36, v78, v33
	v_mov_b32_e32 v33, s50
	v_mov_b32_e32 v37, s35
	v_fma_f32 v45, -v36, v45, v40
	v_mov_b32_e32 v40, s48
	v_sub_f32_e32 v9, v59, v9
	v_sub_f32_e32 v80, v13, v12
	v_mov_b32_e32 v12, s43
	v_fma_f32 v56, -v36, v84, v32
	ds_read2_b32 v[32:33], v33 offset1:1
	ds_read2_b32 v[36:37], v37 offset1:1
	v_sub_f32_e32 v87, v9, v8
	ds_read2_b32 v[8:9], v40 offset1:1
	ds_read2_b32 v[40:41], v12 offset1:1
	v_fma_f32 v29, -v52, v29, v56
	v_mul_f32_e32 v56, v55, v60
	v_pk_mul_f32 v[12:13], v[52:53], v[38:39]
	v_mov_b32_e32 v61, s41
	s_waitcnt lgkmcnt(0)
	v_pk_mul_f32 v[40:41], v[52:53], v[40:41]
	v_mov_b32_e32 v84, s29
	v_sub_f32_e32 v41, v57, v41
	v_mov_b32_e32 v57, v52
	v_pk_mul_f32 v[42:43], v[56:57], v[42:43]
	v_mov_b32_e32 v59, s38
	v_sub_f32_e32 v13, v83, v13
	v_pk_mul_f32 v[14:15], v[56:57], v[14:15]
	v_sub_f32_e32 v43, v82, v43
	v_sub_f32_e32 v81, v13, v12
	ds_read2_b32 v[12:13], v61 offset1:1
	ds_read2_b32 v[38:39], v84 offset1:1
	v_sub_f32_e32 v83, v41, v40
	ds_read2_b32 v[40:41], v59 offset1:1
	v_mov_b32_e32 v53, s20
	v_fma_f32 v84, -v52, v44, v45
	v_mov_b32_e32 v44, s34
	v_mov_b32_e32 v59, s27
	ds_write_b32 v58, v52
	v_mov_b32_e32 v58, s37
	v_sub_f32_e32 v15, v79, v15
	v_sub_f32_e32 v82, v43, v42
	v_mov_b32_e32 v42, s36
	v_pk_mul_f32 v[46:47], v[56:57], v[46:47]
	ds_read2_b32 v[52:53], v53 offset1:1
	ds_read2_b32 v[44:45], v44 offset1:1
	v_sub_f32_e32 v55, v15, v14
	ds_read2_b32 v[14:15], v59 offset1:1
	ds_read2_b32 v[58:59], v58 offset1:1
	;; [unrolled: 1-line block ×3, first 2 shown]
	v_sub_f32_e32 v47, v85, v47
	v_sub_f32_e32 v85, v47, v46
	v_mov_b32_e32 v46, s31
	ds_read2_b32 v[46:47], v46 offset1:1
	s_waitcnt lgkmcnt(1)
	v_pk_mul_f32 v[42:43], v[56:57], v[42:43]
	v_mov_b32_e32 v60, s33
	v_sub_f32_e32 v43, v86, v43
	v_sub_f32_e32 v86, v43, v42
	s_waitcnt lgkmcnt(0)
	v_pk_mul_f32 v[42:43], v[56:57], v[46:47]
	v_mov_b32_e32 v61, s19
	v_sub_f32_e32 v43, v78, v43
	v_mov_b32_e32 v46, s24
	v_sub_f32_e32 v88, v43, v42
	ds_read2_b32 v[42:43], v60 offset1:1
	v_fma_f32 v89, -v56, v28, v29
	ds_read2_b32 v[28:29], v61 offset1:1
	ds_read2_b32 v[46:47], v46 offset1:1
	ds_write_b32 v54, v56
	v_mul_f32_e32 v54, v55, v63
	v_mov_b32_e32 v55, v56
	v_pk_mul_f32 v[2:3], v[54:55], v[2:3]
	v_mov_b32_e32 v60, s21
	v_mov_b32_e32 v56, s25
	v_sub_f32_e32 v3, v87, v3
	ds_read2_b32 v[56:57], v56 offset1:1
	v_sub_f32_e32 v63, v3, v2
	ds_read2_b32 v[2:3], v60 offset1:1
	v_pk_mul_f32 v[22:23], v[54:55], v[22:23]
	v_mov_b32_e32 v60, s5
	ds_write_b32 v67, v54
	s_waitcnt lgkmcnt(2)
	v_pk_mul_f32 v[56:57], v[54:55], v[56:57]
	s_waitcnt lgkmcnt(1)
	v_pk_mul_f32 v[2:3], v[54:55], v[2:3]
	v_pk_mul_f32 v[46:47], v[54:55], v[46:47]
	v_mov_b32_e32 v79, v54
	v_mov_b32_e32 v54, s17
	v_sub_f32_e32 v23, v80, v23
	ds_read2_b32 v[60:61], v60 offset1:1
	v_mul_f32_e32 v78, v63, v69
	v_sub_f32_e32 v63, v23, v22
	ds_read2_b32 v[22:23], v54 offset1:1
	v_pk_mul_f32 v[10:11], v[78:79], v[10:11]
	s_lshl_b32 s5, s18, 2
	v_sub_f32_e32 v11, v82, v11
	s_add_i32 s30, s53, 0xffffff98
	s_add_i32 s5, s16, s5
	v_sub_f32_e32 v10, v11, v10
	v_mov_b32_e32 v55, s30
	v_mov_b32_e32 v67, s5
	v_sub_f32_e32 v47, v81, v47
	v_sub_f32_e32 v3, v83, v3
	v_mul_f32_e32 v10, v10, v70
	v_mov_b32_e32 v11, v78
	v_sub_f32_e32 v69, v47, v46
	ds_read2_b32 v[46:47], v55 offset1:1
	ds_read_b32 v67, v67
	s_waitcnt lgkmcnt(3)
	v_pk_mul_f32 v[54:55], v[78:79], v[60:61]
	v_sub_f32_e32 v60, v3, v2
	s_waitcnt lgkmcnt(2)
	v_pk_mul_f32 v[2:3], v[78:79], v[22:23]
	v_pk_mul_f32 v[22:23], v[10:11], v[52:53]
	;; [unrolled: 1-line block ×3, first 2 shown]
	v_sub_f32_e32 v55, v86, v55
	v_sub_f32_e32 v3, v88, v3
	;; [unrolled: 1-line block ×4, first 2 shown]
	v_pk_mul_f32 v[28:29], v[78:79], v[28:29]
	v_sub_f32_e32 v53, v55, v54
	v_sub_f32_e32 v54, v3, v2
	v_pk_mul_f32 v[2:3], v[10:11], v[42:43]
	v_sub_f32_e32 v42, v5, v4
	v_sub_f32_e32 v4, v23, v22
	;; [unrolled: 1-line block ×4, first 2 shown]
	v_mul_f32_e32 v4, v4, v66
	v_mov_b32_e32 v5, v10
	v_sub_f32_e32 v56, v57, v56
	v_sub_f32_e32 v52, v29, v28
	v_pk_mul_f32 v[14:15], v[10:11], v[14:15]
	v_pk_mul_f32 v[28:29], v[10:11], v[58:59]
	ds_write_b32 v49, v10
	v_pk_mul_f32 v[10:11], v[4:5], v[38:39]
	v_sub_f32_e32 v29, v60, v29
	v_sub_f32_e32 v3, v56, v3
	;; [unrolled: 1-line block ×7, first 2 shown]
	v_mul_f32_e32 v2, v2, v71
	v_mov_b32_e32 v3, v4
	v_sub_f32_e32 v38, v15, v14
	v_pk_mul_f32 v[14:15], v[4:5], v[40:41]
	v_pk_mul_f32 v[22:23], v[4:5], v[44:45]
	ds_write_b32 v65, v4
	v_pk_mul_f32 v[10:11], v[2:3], v[36:37]
	v_pk_mul_f32 v[4:5], v[4:5], v[24:25]
	v_sub_f32_e32 v15, v53, v15
	v_sub_f32_e32 v23, v54, v23
	;; [unrolled: 1-line block ×3, first 2 shown]
	v_pk_mul_f32 v[8:9], v[2:3], v[8:9]
	v_pk_mul_f32 v[12:13], v[2:3], v[12:13]
	v_sub_f32_e32 v3, v42, v5
	v_sub_f32_e32 v14, v15, v14
	;; [unrolled: 1-line block ×5, first 2 shown]
	v_mul_f32_e32 v4, v3, v64
	v_mov_b32_e32 v5, v2
	ds_write_b32 v50, v2
	v_pk_mul_f32 v[2:3], v[4:5], v[34:35]
	v_sub_f32_e32 v9, v28, v9
	v_sub_f32_e32 v3, v14, v3
	;; [unrolled: 1-line block ×4, first 2 shown]
	v_pk_mul_f32 v[8:9], v[4:5], v[32:33]
	v_mul_f32_e32 v2, v2, v72
	v_mov_b32_e32 v3, v4
	v_sub_f32_e32 v13, v29, v13
	v_sub_f32_e32 v9, v15, v9
	ds_write_b32 v51, v4
	v_pk_mul_f32 v[10:11], v[2:3], v[26:27]
	v_pk_mul_f32 v[4:5], v[4:5], v[16:17]
	v_sub_f32_e32 v12, v13, v12
	v_sub_f32_e32 v11, v14, v11
	;; [unrolled: 1-line block ×3, first 2 shown]
	v_pk_mul_f32 v[8:9], v[2:3], v[30:31]
	v_sub_f32_e32 v3, v22, v5
	v_sub_f32_e32 v9, v12, v9
	;; [unrolled: 1-line block ×4, first 2 shown]
	v_mul_f32_e32 v4, v3, v74
	v_mov_b32_e32 v5, v2
	ds_write_b32 v73, v2
	v_pk_mul_f32 v[2:3], v[4:5], v[20:21]
	v_sub_f32_e32 v10, v9, v8
	v_sub_f32_e32 v3, v13, v3
	v_sub_f32_e32 v2, v3, v2
	v_mul_f32_e32 v2, v2, v62
	v_mov_b32_e32 v3, v4
	v_pk_mul_f32 v[8:9], v[2:3], v[18:19]
	ds_write_b32 v75, v4
	v_sub_f32_e32 v3, v10, v9
	v_pk_mul_f32 v[4:5], v[4:5], v[6:7]
	v_sub_f32_e32 v3, v3, v8
	v_sub_f32_e32 v5, v12, v5
	;; [unrolled: 1-line block ×3, first 2 shown]
	v_mul_f32_e32 v4, v3, v48
	v_mov_b32_e32 v5, v2
	ds_write_b32 v76, v2
	s_waitcnt lgkmcnt(8)
	v_pk_mul_f32 v[2:3], v[4:5], v[46:47]
	s_sub_i32 s4, s4, 28
	v_sub_f32_e32 v3, v6, v3
	v_sub_f32_e32 v2, v3, v2
	s_waitcnt lgkmcnt(7)
	v_mul_f32_e32 v2, v2, v67
	v_add_u32_e32 v3, s16, v1
	ds_write_b32 v68, v78
	ds_write_b32 v77, v4
	;; [unrolled: 1-line block ×3, first 2 shown]
.LBB38_37:
	s_cmp_lt_i32 s4, 0
	s_cbranch_scc1 .LBB38_54
; %bb.38:
	s_and_b32 s5, s4, 3
	s_cmp_eq_u32 s5, 3
	s_mov_b32 s5, s4
	s_cbranch_scc1 .LBB38_43
; %bb.39:
	s_add_i32 s5, s4, 1
	s_and_b32 s16, s5, 3
	s_lshl_b32 s5, s4, 7
	s_lshl_b32 s17, s26, 2
	v_lshlrev_b32_e32 v2, 2, v0
	s_add_i32 s5, s5, s17
	v_lshl_or_b32 v2, s26, 7, v2
	s_add_i32 s17, s5, -4
	v_add_u32_e32 v3, 0xf80, v2
	s_mov_b32 s18, 0
	s_mov_b32 s5, s4
	s_branch .LBB38_41
.LBB38_40:                              ;   in Loop: Header=BB38_41 Depth=1
	s_mul_i32 s19, s5, 0x84
	v_mov_b32_e32 v5, s19
	ds_read_b32 v5, v5
	s_add_i32 s5, s5, -1
	s_add_i32 s18, s18, 1
	s_addk_i32 s17, 0xff80
	s_cmp_lg_u32 s18, s16
	s_waitcnt lgkmcnt(0)
	v_mul_f32_e32 v2, v2, v5
	ds_write_b32 v4, v2
	s_cbranch_scc0 .LBB38_43
.LBB38_41:                              ; =>This Loop Header: Depth=1
                                        ;     Child Loop BB38_42 Depth 2
	s_lshl_b32 s19, s5, 7
	v_add_u32_e32 v4, s19, v1
	ds_read_b32 v2, v4
	s_cmp_le_i32 s7, s5
	v_mov_b32_e32 v5, v3
	s_mov_b32 s19, s17
	s_mov_b32 s20, s7
	s_cbranch_scc1 .LBB38_40
.LBB38_42:                              ;   Parent Loop BB38_41 Depth=1
                                        ; =>  This Inner Loop Header: Depth=2
	v_mov_b32_e32 v7, s19
	ds_read_b32 v6, v5
	ds_read_b32 v7, v7
	s_add_i32 s20, s20, -1
	s_add_i32 s19, s19, -4
	v_add_u32_e32 v5, 0xffffff80, v5
	s_cmp_gt_i32 s20, s5
	s_waitcnt lgkmcnt(0)
	v_fma_f32 v2, -v6, v7, v2
	s_cbranch_scc1 .LBB38_42
	s_branch .LBB38_40
.LBB38_43:
	s_cmp_lt_u32 s4, 3
	s_cbranch_scc1 .LBB38_54
; %bb.44:
	s_lshl_b32 s4, s5, 7
	s_lshl_b32 s16, s26, 2
	v_lshlrev_b32_e32 v2, 2, v0
	s_add_i32 s18, s4, s16
	v_lshl_or_b32 v2, s26, 7, v2
	s_add_i32 s4, s18, -4
	v_add_u32_e32 v3, 0xf80, v2
	s_add_i32 s16, s18, 0xffffff7c
	s_add_i32 s17, s18, 0xfffffefc
	s_addk_i32 s18, 0xfe7c
	s_branch .LBB38_46
.LBB38_45:                              ;   in Loop: Header=BB38_46 Depth=1
	s_addk_i32 s19, 0xff7c
	v_mov_b32_e32 v2, s19
	ds_read_b32 v2, v2
	s_add_i32 s19, s5, -4
	s_addk_i32 s4, 0xfe00
	s_addk_i32 s16, 0xfe00
	;; [unrolled: 1-line block ×4, first 2 shown]
	s_waitcnt lgkmcnt(0)
	v_mul_f32_e32 v2, v4, v2
	s_cmp_lt_i32 s5, 4
	s_mov_b32 s5, s19
	ds_write_b32 v5, v2
	s_cbranch_scc1 .LBB38_54
.LBB38_46:                              ; =>This Loop Header: Depth=1
                                        ;     Child Loop BB38_47 Depth 2
                                        ;     Child Loop BB38_49 Depth 2
	;; [unrolled: 1-line block ×4, first 2 shown]
	s_lshl_b32 s20, s5, 7
	v_add_u32_e32 v6, s20, v1
	ds_read_b32 v2, v6
	s_cmp_le_i32 s7, s5
	v_mov_b32_e32 v4, v3
	s_mov_b32 s19, s4
	s_mov_b32 s21, s7
	s_cbranch_scc1 .LBB38_48
.LBB38_47:                              ;   Parent Loop BB38_46 Depth=1
                                        ; =>  This Inner Loop Header: Depth=2
	v_mov_b32_e32 v7, s19
	ds_read_b32 v5, v4
	ds_read_b32 v7, v7
	s_add_i32 s21, s21, -1
	s_add_i32 s19, s19, -4
	v_add_u32_e32 v4, 0xffffff80, v4
	s_cmp_gt_i32 s21, s5
	s_waitcnt lgkmcnt(0)
	v_fma_f32 v2, -v5, v7, v2
	s_cbranch_scc1 .LBB38_47
.LBB38_48:                              ;   in Loop: Header=BB38_46 Depth=1
	s_mul_i32 s19, s5, 0x84
	v_mov_b32_e32 v4, s19
	ds_read_b32 v7, v4
	s_addk_i32 s20, 0xff80
	v_add_u32_e32 v5, s20, v1
	ds_read_b32 v4, v5
	s_cmp_le_i32 s26, s5
	s_waitcnt lgkmcnt(1)
	v_mul_f32_e32 v2, v2, v7
	ds_write_b32 v6, v2
	v_mov_b32_e32 v2, v3
	s_mov_b32 s20, s16
	s_mov_b32 s21, s26
	s_cbranch_scc1 .LBB38_50
.LBB38_49:                              ;   Parent Loop BB38_46 Depth=1
                                        ; =>  This Inner Loop Header: Depth=2
	v_mov_b32_e32 v7, s20
	ds_read_b32 v6, v2
	ds_read_b32 v7, v7
	s_add_i32 s21, s21, -1
	s_add_i32 s20, s20, -4
	v_add_u32_e32 v2, 0xffffff80, v2
	s_cmp_gt_i32 s21, s5
	s_waitcnt lgkmcnt(0)
	v_fma_f32 v4, -v6, v7, v4
	s_cbranch_scc1 .LBB38_49
.LBB38_50:                              ;   in Loop: Header=BB38_46 Depth=1
	s_addk_i32 s19, 0xff7c
	v_mov_b32_e32 v2, s19
	s_add_i32 s20, s5, -2
	ds_read_b32 v7, v2
	s_lshl_b32 s21, s20, 7
	v_add_u32_e32 v6, s21, v1
	ds_read_b32 v2, v6
	s_cmp_le_i32 s7, s20
	s_waitcnt lgkmcnt(1)
	v_mul_f32_e32 v4, v4, v7
	ds_write_b32 v5, v4
	v_mov_b32_e32 v4, v3
	s_mov_b32 s21, s17
	s_mov_b32 s24, s7
	s_cbranch_scc1 .LBB38_52
.LBB38_51:                              ;   Parent Loop BB38_46 Depth=1
                                        ; =>  This Inner Loop Header: Depth=2
	v_mov_b32_e32 v7, s21
	ds_read_b32 v5, v4
	ds_read_b32 v7, v7
	s_add_i32 s24, s24, -1
	s_add_i32 s21, s21, -4
	v_add_u32_e32 v4, 0xffffff80, v4
	s_cmp_gt_i32 s24, s20
	s_waitcnt lgkmcnt(0)
	v_fma_f32 v2, -v5, v7, v2
	s_cbranch_scc1 .LBB38_51
.LBB38_52:                              ;   in Loop: Header=BB38_46 Depth=1
	s_addk_i32 s19, 0xff7c
	v_mov_b32_e32 v4, s19
	s_add_i32 s20, s5, -3
	ds_read_b32 v7, v4
	s_lshl_b32 s21, s20, 7
	v_add_u32_e32 v5, s21, v1
	ds_read_b32 v4, v5
	s_cmp_le_i32 s7, s20
	s_waitcnt lgkmcnt(1)
	v_mul_f32_e32 v2, v2, v7
	ds_write_b32 v6, v2
	v_mov_b32_e32 v2, v3
	s_mov_b32 s21, s18
	s_mov_b32 s24, s7
	s_cbranch_scc1 .LBB38_45
.LBB38_53:                              ;   Parent Loop BB38_46 Depth=1
                                        ; =>  This Inner Loop Header: Depth=2
	v_mov_b32_e32 v7, s21
	ds_read_b32 v6, v2
	ds_read_b32 v7, v7
	s_add_i32 s24, s24, -1
	s_add_i32 s21, s21, -4
	v_add_u32_e32 v2, 0xffffff80, v2
	s_cmp_gt_i32 s24, s20
	s_waitcnt lgkmcnt(0)
	v_fma_f32 v4, -v6, v7, v4
	s_cbranch_scc1 .LBB38_53
	s_branch .LBB38_45
.LBB38_54:
	s_mov_b64 s[4:5], 0
.LBB38_55:
	s_and_b64 vcc, exec, s[4:5]
	s_cbranch_vccz .LBB38_77
; %bb.56:
	s_cmp_gt_i32 s6, 31
	s_cselect_b64 s[4:5], -1, 0
	s_mov_b32 s7, 0
	s_and_b64 vcc, exec, s[4:5]
	s_cbranch_vccz .LBB38_66
; %bb.57:
	v_add_u32_e32 v16, 0x400, v1
	v_add_u32_e32 v24, 0x800, v1
	;; [unrolled: 1-line block ×3, first 2 shown]
	ds_read2_b32 v[2:3], v1 offset1:32
	ds_read2_b32 v[4:5], v1 offset0:64 offset1:96
	ds_read2_b32 v[6:7], v1 offset0:128 offset1:160
	ds_read2_b32 v[8:9], v1 offset0:192 offset1:224
	ds_read2_b32 v[10:11], v16 offset1:32
	ds_read2_b32 v[12:13], v16 offset0:64 offset1:96
	ds_read2_b32 v[14:15], v16 offset0:128 offset1:160
	ds_read2_b32 v[16:17], v16 offset0:192 offset1:224
	;; [unrolled: 4-line block ×4, first 2 shown]
	s_mov_b64 s[16:17], 0
.LBB38_58:                              ; =>This Loop Header: Depth=1
                                        ;     Child Loop BB38_60 Depth 2
                                        ;     Child Loop BB38_63 Depth 2
	s_cmp_eq_u32 s16, 0
	s_cbranch_scc1 .LBB38_61
; %bb.59:                               ;   in Loop: Header=BB38_58 Depth=1
	s_mov_b64 s[18:19], s[16:17]
	s_mov_b64 s[20:21], 0
	s_mov_b32 s19, s7
.LBB38_60:                              ;   Parent Loop BB38_58 Depth=1
                                        ; =>  This Inner Loop Header: Depth=2
	v_mov_b32_e32 v35, s19
	s_waitcnt lgkmcnt(0)
	s_set_gpr_idx_on s20, gpr_idx(SRC0)
	v_mov_b32_e32 v34, v2
	s_set_gpr_idx_off
	ds_read_b32 v35, v35
	s_addk_i32 s19, 0x80
	s_add_u32 s20, s20, 1
	s_addc_u32 s21, s21, 0
	s_set_gpr_idx_on s16, gpr_idx(SRC0)
	v_mov_b32_e32 v36, v2
	s_set_gpr_idx_off
	s_cmp_eq_u32 s16, s20
	s_waitcnt lgkmcnt(0)
	v_fma_f32 v34, -v34, v35, v36
	s_set_gpr_idx_on s16, gpr_idx(DST)
	v_mov_b32_e32 v2, v34
	s_set_gpr_idx_off
	s_cbranch_scc0 .LBB38_60
	s_branch .LBB38_62
.LBB38_61:                              ;   in Loop: Header=BB38_58 Depth=1
	s_mov_b64 s[18:19], 0
.LBB38_62:                              ;   in Loop: Header=BB38_58 Depth=1
	s_lshl_b32 s21, s16, 2
	s_lshl_b32 s19, s16, 7
	s_add_i32 s21, s21, s19
	v_mov_b32_e32 v34, s21
	ds_read_b32 v34, v34
	s_waitcnt lgkmcnt(1)
	s_set_gpr_idx_on s18, gpr_idx(SRC0)
	v_mov_b32_e32 v36, v2
	s_set_gpr_idx_off
	v_add_u32_e32 v35, s19, v1
	s_or_b32 s20, s16, 1
	s_add_u32 s24, s16, 1
	s_waitcnt lgkmcnt(0)
	v_mul_f32_e32 v34, v36, v34
	ds_write_b32 v35, v34
	s_set_gpr_idx_on s18, gpr_idx(DST)
	v_mov_b32_e32 v2, v34
	s_set_gpr_idx_off
	s_mov_b64 s[18:19], 0
	s_mov_b32 s25, 4
.LBB38_63:                              ;   Parent Loop BB38_58 Depth=1
                                        ; =>  This Inner Loop Header: Depth=2
	s_add_i32 s27, s7, s25
	v_mov_b32_e32 v35, s27
	s_set_gpr_idx_on s18, gpr_idx(SRC0)
	v_mov_b32_e32 v34, v2
	s_set_gpr_idx_off
	ds_read_b32 v35, v35
	s_add_u32 s18, s18, 1
	s_set_gpr_idx_on s20, gpr_idx(SRC0)
	v_mov_b32_e32 v36, v2
	s_set_gpr_idx_off
	s_addc_u32 s19, s19, 0
	s_addk_i32 s25, 0x80
	s_cmp_lg_u32 s24, s18
	s_waitcnt lgkmcnt(0)
	v_fma_f32 v34, -v34, v35, v36
	s_set_gpr_idx_on s20, gpr_idx(DST)
	v_mov_b32_e32 v2, v34
	s_set_gpr_idx_off
	s_cbranch_scc1 .LBB38_63
; %bb.64:                               ;   in Loop: Header=BB38_58 Depth=1
	v_mov_b32_e32 v35, s21
	ds_read_b32 v35, v35 offset:132
	s_add_u32 s16, s16, 2
	s_addc_u32 s17, s17, 0
	s_add_i32 s7, s7, 8
	v_lshl_add_u32 v36, s20, 7, v1
	s_waitcnt lgkmcnt(0)
	v_mul_f32_e32 v34, v34, v35
	s_cmp_eq_u32 s16, 32
	s_set_gpr_idx_on s20, gpr_idx(DST)
	v_mov_b32_e32 v2, v34
	s_set_gpr_idx_off
	ds_write_b32 v36, v34
	s_cbranch_scc0 .LBB38_58
; %bb.65:
	s_mov_b32 s7, 32
.LBB38_66:
	s_cmp_lt_i32 s7, s26
	s_cbranch_scc0 .LBB38_77
; %bb.67:
	s_or_b32 s16, s7, 27
	s_cmp_ge_u32 s16, s26
	s_cbranch_scc1 .LBB38_72
; %bb.68:
	s_lshl_b32 s17, s7, 7
	v_add_u32_e32 v69, s17, v1
	v_add_u32_e32 v2, 0x400, v69
	ds_read2_b32 v[44:45], v69 offset1:32
	ds_read2_b32 v[40:41], v69 offset0:64 offset1:96
	ds_read2_b32 v[34:35], v69 offset0:128 offset1:160
	;; [unrolled: 1-line block ×3, first 2 shown]
	ds_read2_b32 v[24:25], v2 offset1:32
	ds_read2_b32 v[22:23], v2 offset0:64 offset1:96
	ds_read2_b32 v[48:49], v2 offset0:128 offset1:160
	;; [unrolled: 1-line block ×3, first 2 shown]
	v_add_u32_e32 v2, 0x800, v69
	ds_read2_b32 v[42:43], v2 offset1:32
	ds_read2_b32 v[38:39], v2 offset0:64 offset1:96
	ds_read2_b32 v[36:37], v2 offset0:128 offset1:160
	;; [unrolled: 1-line block ×3, first 2 shown]
	v_add_u32_e32 v2, 0xc00, v69
	s_lshl_b32 s18, s16, 7
	ds_read2_b32 v[26:27], v2 offset1:32
	v_add_u32_e32 v68, s18, v1
	ds_read_b32 v30, v69 offset:3328
	ds_read_b32 v31, v68
	s_andn2_b64 vcc, exec, s[4:5]
	s_lshl_b32 s4, s7, 2
	s_cbranch_vccnz .LBB38_71
; %bb.69:
	v_mov_b32_e32 v2, 0x1000
	v_lshl_or_b32 v2, v0, 2, v2
	s_mov_b32 s5, s4
	s_mov_b32 s18, s7
.LBB38_70:                              ; =>This Inner Loop Header: Depth=1
	v_mov_b32_e32 v3, s5
	ds_read_b32 v20, v2
	ds_read_b128 v[4:7], v3
	ds_read_b128 v[8:11], v3 offset:16
	ds_read_b128 v[12:15], v3 offset:32
	;; [unrolled: 1-line block ×6, first 2 shown]
	s_add_i32 s18, s18, -1
	s_addk_i32 s5, 0x80
	v_add_u32_e32 v2, 0x80, v2
	s_cmp_lg_u32 s18, 0
	s_waitcnt lgkmcnt(6)
	v_pk_fma_f32 v[44:45], v[20:21], v[4:5], v[44:45] op_sel_hi:[0,1,1] neg_lo:[1,0,0] neg_hi:[1,0,0]
	v_pk_fma_f32 v[40:41], v[20:21], v[6:7], v[40:41] op_sel_hi:[0,1,1] neg_lo:[1,0,0] neg_hi:[1,0,0]
	s_waitcnt lgkmcnt(5)
	v_pk_fma_f32 v[34:35], v[20:21], v[8:9], v[34:35] op_sel_hi:[0,1,1] neg_lo:[1,0,0] neg_hi:[1,0,0]
	v_pk_fma_f32 v[32:33], v[20:21], v[10:11], v[32:33] op_sel_hi:[0,1,1] neg_lo:[1,0,0] neg_hi:[1,0,0]
	;; [unrolled: 3-line block ×7, first 2 shown]
	s_cbranch_scc1 .LBB38_70
.LBB38_71:
	s_or_b32 s18, s17, 0x80
	s_add_i32 s5, s4, s17
	s_add_i32 s19, s4, s18
	v_mov_b32_e32 v70, s5
	v_mov_b32_e32 v72, s19
	ds_read_b128 v[14:17], v70
	ds_read_b128 v[6:9], v70 offset:16
	ds_read2_b32 v[60:61], v70 offset0:33 offset1:34
	ds_read2_b32 v[62:63], v72 offset0:3 offset1:4
	ds_read2_b64 v[10:13], v70 offset0:33 offset1:34
	ds_read2_b32 v[56:57], v70 offset0:99 offset1:100
	s_waitcnt lgkmcnt(5)
	v_mul_f32_e32 v44, v44, v14
	s_or_b32 s19, s17, 0x180
	ds_read_b128 v[2:5], v70 offset:528
	ds_read2_b32 v[52:53], v70 offset0:165 offset1:166
	s_waitcnt lgkmcnt(3)
	v_mov_b32_e32 v58, v12
	ds_read2_b32 v[54:55], v72 offset0:5 offset1:6
	ds_read2_b32 v[50:51], v72 offset0:7 offset1:8
	v_mov_b32_e32 v64, v62
	v_mov_b32_e32 v66, v16
	;; [unrolled: 1-line block ×3, first 2 shown]
	v_fma_f32 v6, -v44, v15, v45
	v_fma_f32 v12, -v44, v17, v41
	ds_read_b128 v[14:17], v70 offset:48
	ds_read_b128 v[74:77], v70 offset:64
	s_add_i32 s24, s4, s19
	s_or_b32 s20, s17, 0x200
	v_mov_b32_e32 v67, v61
	v_mul_f32_e32 v45, v6, v60
	s_or_b32 s21, s17, 0x100
	v_mov_b32_e32 v71, s24
	s_add_i32 s24, s4, s20
	v_pk_mul_f32 v[60:61], v[44:45], v[66:67]
	s_add_i32 s25, s4, s21
	v_mov_b32_e32 v86, s24
	v_sub_f32_e32 v6, v40, v60
	v_pk_mul_f32 v[40:41], v[44:45], v[62:63]
	v_mov_b32_e32 v73, s25
	v_mov_b32_e32 v65, v11
	ds_read_b128 v[18:21], v70 offset:96
	v_sub_f32_e32 v11, v34, v40
	v_sub_f32_e32 v6, v6, v61
	ds_read_b128 v[78:81], v86 offset:64
	ds_read2_b32 v[60:61], v72 offset0:13 offset1:14
	v_sub_f32_e32 v34, v11, v41
	s_waitcnt lgkmcnt(4)
	v_fma_f32 v87, -v44, v14, v48
	v_fma_f32 v88, -v44, v15, v49
	;; [unrolled: 1-line block ×3, first 2 shown]
	ds_read2_b32 v[40:41], v72 offset0:15 offset1:16
	ds_read2_b32 v[62:63], v72 offset0:17 offset1:18
	v_fma_f32 v46, -v44, v17, v47
	ds_read2_b64 v[14:17], v73 offset0:7 offset1:8
	s_waitcnt lgkmcnt(3)
	v_fma_f32 v11, -v45, v61, v11
	s_waitcnt lgkmcnt(2)
	v_fma_f32 v40, -v45, v40, v46
	v_mul_f32_e32 v47, v6, v10
	v_mov_b32_e32 v46, v45
	s_waitcnt lgkmcnt(0)
	v_fma_f32 v89, -v47, v14, v11
	v_pk_mul_f32 v[10:11], v[46:47], v[64:65]
	v_fma_f32 v42, -v44, v74, v42
	v_sub_f32_e32 v10, v12, v10
	v_fma_f32 v41, -v45, v41, v42
	ds_read_b128 v[82:85], v70 offset:80
	ds_read2_b32 v[48:49], v71 offset0:15 offset1:16
	v_sub_f32_e32 v12, v10, v11
	v_mov_b32_e32 v59, v57
	v_fma_f32 v74, -v47, v15, v40
	v_fma_f32 v6, -v47, v16, v41
	v_mul_f32_e32 v41, v12, v56
	v_mov_b32_e32 v40, v47
	v_pk_mul_f32 v[14:15], v[40:41], v[58:59]
	ds_read2_b32 v[10:11], v71 offset0:17 offset1:18
	ds_read2_b32 v[66:67], v71 offset0:19 offset1:20
	v_sub_f32_e32 v12, v34, v14
	v_sub_f32_e32 v12, v12, v15
	ds_read2_b64 v[56:59], v73 offset0:9 offset1:10
	v_fma_f32 v42, -v44, v75, v43
	s_waitcnt lgkmcnt(3)
	v_fma_f32 v6, -v41, v49, v6
	v_mul_f32_e32 v43, v12, v2
	v_fma_f32 v2, -v44, v76, v38
	v_fma_f32 v49, -v43, v78, v6
	;; [unrolled: 1-line block ×3, first 2 shown]
	ds_read2_b32 v[38:39], v72 offset0:19 offset1:20
	v_fma_f32 v42, -v45, v62, v42
	v_fma_f32 v16, -v47, v17, v42
	;; [unrolled: 1-line block ×3, first 2 shown]
	s_waitcnt lgkmcnt(3)
	v_fma_f32 v10, -v41, v10, v16
	ds_read2_b64 v[14:17], v73 offset0:11 offset1:12
	s_waitcnt lgkmcnt(2)
	v_fma_f32 v2, -v47, v56, v2
	v_fma_f32 v2, -v41, v11, v2
	;; [unrolled: 1-line block ×3, first 2 shown]
	s_waitcnt lgkmcnt(1)
	v_fma_f32 v2, -v45, v38, v6
	v_fma_f32 v2, -v47, v57, v2
	;; [unrolled: 1-line block ×3, first 2 shown]
	v_mov_b32_e32 v12, v54
	v_mov_b32_e32 v54, v8
	v_fma_f32 v38, -v43, v81, v2
	v_fma_f32 v2, -v44, v7, v35
	v_pk_mul_f32 v[6:7], v[44:45], v[54:55]
	v_fma_f32 v76, -v43, v79, v10
	v_sub_f32_e32 v6, v32, v6
	v_sub_f32_e32 v10, v6, v7
	v_pk_mul_f32 v[6:7], v[46:47], v[12:13]
	ds_read_b128 v[62:65], v86 offset:80
	v_sub_f32_e32 v2, v2, v6
	v_fma_f32 v66, -v44, v9, v33
	ds_read2_b32 v[56:57], v72 offset0:21 offset1:22
	ds_read2_b32 v[32:33], v72 offset0:23 offset1:24
	;; [unrolled: 1-line block ×3, first 2 shown]
	v_sub_f32_e32 v11, v2, v7
	v_fma_f32 v2, -v44, v82, v36
	v_fma_f32 v8, -v44, v83, v37
	ds_read2_b64 v[34:37], v73 offset0:3 offset1:4
	ds_read2_b32 v[6:7], v71 offset0:5 offset1:6
	v_fma_f32 v2, -v45, v39, v2
	v_fma_f32 v12, -v47, v58, v2
	s_waitcnt lgkmcnt(4)
	v_fma_f32 v2, -v45, v56, v8
	s_waitcnt lgkmcnt(1)
	v_mov_b32_e32 v39, v35
	s_waitcnt lgkmcnt(0)
	v_mov_b32_e32 v35, v7
	v_pk_mul_f32 v[8:9], v[40:41], v[34:35]
	v_fma_f32 v56, -v47, v59, v2
	v_sub_f32_e32 v2, v10, v8
	v_mov_b32_e32 v7, v3
	v_mov_b32_e32 v42, v41
	v_sub_f32_e32 v8, v2, v9
	v_pk_mul_f32 v[2:3], v[42:43], v[6:7]
	s_or_b32 s24, s17, 0x280
	v_sub_f32_e32 v2, v11, v2
	v_sub_f32_e32 v2, v2, v3
	v_mov_b32_e32 v3, v5
	v_mov_b32_e32 v5, v53
	v_mul_f32_e32 v11, v2, v52
	v_mov_b32_e32 v10, v43
	s_add_i32 s25, s4, s24
	v_pk_mul_f32 v[4:5], v[10:11], v[4:5]
	v_mov_b32_e32 v77, s25
	ds_read2_b32 v[34:35], v71 offset0:23 offset1:24
	v_sub_f32_e32 v2, v8, v4
	v_fma_f32 v52, -v41, v67, v12
	ds_read2_b32 v[8:9], v77 offset0:17 offset1:18
	ds_read2_b32 v[12:13], v77 offset0:19 offset1:20
	v_sub_f32_e32 v2, v2, v5
	ds_read2_b64 v[4:7], v70 offset0:99 offset1:100
	s_or_b32 s25, s17, 0x300
	v_fma_f32 v58, -v44, v18, v26
	s_add_i32 s27, s4, s25
	v_fma_f32 v26, -v43, v62, v52
	v_fma_f32 v59, -v44, v19, v27
	;; [unrolled: 1-line block ×3, first 2 shown]
	v_mov_b32_e32 v79, s27
	s_waitcnt lgkmcnt(1)
	v_fma_f32 v30, -v11, v13, v26
	ds_read2_b32 v[26:27], v77 offset0:21 offset1:22
	v_fma_f32 v78, -v44, v21, v31
	ds_read2_b64 v[18:21], v79 offset0:9 offset1:10
	s_waitcnt lgkmcnt(2)
	v_mul_f32_e32 v13, v2, v4
	v_fma_f32 v2, -v41, v54, v56
	v_fma_f32 v2, -v43, v63, v2
	;; [unrolled: 1-line block ×3, first 2 shown]
	s_waitcnt lgkmcnt(1)
	v_fma_f32 v2, -v11, v26, v2
	s_waitcnt lgkmcnt(0)
	v_fma_f32 v26, -v13, v21, v2
	v_fma_f32 v2, -v45, v57, v28
	;; [unrolled: 1-line block ×10, first 2 shown]
	ds_read2_b32 v[18:19], v71 offset0:7 offset1:8
	ds_read2_b32 v[20:21], v70 offset0:231 offset1:232
	v_fma_f32 v54, -v43, v64, v2
	v_fma_f32 v2, -v45, v32, v29
	ds_read_b128 v[28:31], v70 offset:32
	v_fma_f32 v2, -v47, v15, v2
	v_mov_b32_e32 v38, v50
	v_fma_f32 v2, -v41, v34, v2
	v_fma_f32 v32, -v43, v65, v2
	s_waitcnt lgkmcnt(0)
	v_mov_b32_e32 v50, v28
	v_pk_mul_f32 v[14:15], v[44:45], v[50:51]
	s_or_b32 s27, s17, 0x380
	v_sub_f32_e32 v2, v24, v14
	v_sub_f32_e32 v4, v2, v15
	v_pk_mul_f32 v[14:15], v[46:47], v[38:39]
	s_add_i32 s28, s4, s27
	v_sub_f32_e32 v2, v66, v14
	v_sub_f32_e32 v12, v2, v15
	v_mov_b32_e32 v2, v18
	v_mov_b32_e32 v18, v36
	v_pk_mul_f32 v[14:15], v[40:41], v[18:19]
	v_pk_mul_f32 v[2:3], v[42:43], v[2:3]
	v_sub_f32_e32 v4, v4, v14
	v_sub_f32_e32 v4, v4, v15
	ds_read2_b32 v[14:15], v77 offset0:7 offset1:8
	ds_read_b128 v[50:53], v86 offset:32
	v_sub_f32_e32 v2, v12, v2
	v_sub_f32_e32 v18, v2, v3
	v_mov_b32_e32 v12, v11
	s_waitcnt lgkmcnt(1)
	v_mov_b32_e32 v2, v14
	s_waitcnt lgkmcnt(0)
	v_mov_b32_e32 v14, v50
	v_pk_mul_f32 v[14:15], v[10:11], v[14:15]
	v_mov_b32_e32 v82, s28
	v_sub_f32_e32 v3, v4, v14
	v_sub_f32_e32 v4, v3, v15
	v_mov_b32_e32 v3, v5
	v_pk_mul_f32 v[2:3], v[12:13], v[2:3]
	s_or_b32 s28, s17, 0x400
	v_sub_f32_e32 v2, v18, v2
	v_sub_f32_e32 v2, v2, v3
	v_mul_f32_e32 v19, v2, v20
	v_mov_b32_e32 v20, v6
	v_mov_b32_e32 v18, v13
	v_pk_mul_f32 v[2:3], v[18:19], v[20:21]
	s_add_i32 s29, s4, s28
	v_sub_f32_e32 v2, v4, v2
	ds_read2_b32 v[14:15], v82 offset0:21 offset1:22
	ds_read2_b32 v[66:67], v82 offset0:19 offset1:20
	v_sub_f32_e32 v6, v2, v3
	ds_read2_b64 v[2:5], v79 offset0:11 offset1:12
	v_fma_f32 v20, -v11, v27, v54
	v_mov_b32_e32 v83, s29
	ds_read_b128 v[54:57], v70 offset:1056
	ds_read_b128 v[62:65], v83 offset:80
	s_waitcnt lgkmcnt(4)
	v_fma_f32 v14, -v19, v14, v26
	s_waitcnt lgkmcnt(2)
	v_fma_f32 v2, -v13, v2, v20
	v_fma_f32 v2, -v19, v15, v2
	s_waitcnt lgkmcnt(1)
	v_mul_f32_e32 v21, v6, v54
	s_waitcnt lgkmcnt(0)
	v_fma_f32 v85, -v21, v63, v14
	ds_read2_b32 v[14:15], v77 offset0:23 offset1:24
	ds_read2_b32 v[26:27], v82 offset0:23 offset1:24
	v_fma_f32 v90, -v21, v64, v2
	v_fma_f32 v20, -v44, v31, v23
	;; [unrolled: 1-line block ×3, first 2 shown]
	s_waitcnt lgkmcnt(1)
	v_fma_f32 v2, -v11, v14, v32
	v_fma_f32 v2, -v13, v3, v2
	s_waitcnt lgkmcnt(0)
	v_fma_f32 v2, -v19, v26, v2
	v_fma_f32 v91, -v21, v65, v2
	;; [unrolled: 1-line block ×4, first 2 shown]
	ds_read2_b32 v[2:3], v72 offset0:25 offset1:26
	v_fma_f32 v9, -v19, v67, v9
	v_fma_f32 v84, -v21, v62, v9
	;; [unrolled: 1-line block ×3, first 2 shown]
	ds_read_b128 v[32:35], v86 offset:96
	s_waitcnt lgkmcnt(1)
	v_fma_f32 v2, -v45, v2, v59
	v_fma_f32 v9, -v47, v17, v2
	;; [unrolled: 1-line block ×3, first 2 shown]
	ds_read2_b32 v[2:3], v71 offset0:25 offset1:26
	ds_read_b64 v[16:17], v73 offset:104
	v_mov_b32_e32 v54, v56
	s_waitcnt lgkmcnt(1)
	v_fma_f32 v2, -v41, v2, v9
	s_waitcnt lgkmcnt(0)
	v_fma_f32 v9, -v47, v16, v14
	v_fma_f32 v3, -v41, v3, v9
	ds_read_b32 v9, v72 offset:108
	ds_read_b32 v14, v71 offset:108
	v_fma_f32 v92, -v43, v34, v3
	s_waitcnt lgkmcnt(1)
	v_fma_f32 v9, -v45, v9, v78
	v_fma_f32 v78, -v43, v33, v2
	ds_read2_b32 v[2:3], v72 offset0:9 offset1:10
	v_fma_f32 v9, -v47, v17, v9
	ds_read2_b32 v[16:17], v71 offset0:9 offset1:10
	s_waitcnt lgkmcnt(2)
	v_fma_f32 v9, -v41, v14, v9
	v_fma_f32 v93, -v43, v35, v9
	s_waitcnt lgkmcnt(1)
	v_mov_b32_e32 v36, v2
	v_fma_f32 v9, -v44, v29, v25
	v_mov_b32_e32 v2, v30
	v_pk_mul_f32 v[24:25], v[46:47], v[36:37]
	ds_read2_b64 v[28:31], v73 offset0:5 offset1:6
	ds_read2_b32 v[36:37], v72 offset0:11 offset1:12
	ds_read2_b32 v[38:39], v77 offset0:9 offset1:10
	;; [unrolled: 1-line block ×5, first 2 shown]
	v_pk_mul_f32 v[2:3], v[44:45], v[2:3]
	s_waitcnt lgkmcnt(6)
	v_mov_b32_e32 v50, v16
	s_waitcnt lgkmcnt(5)
	v_mov_b32_e32 v16, v28
	s_waitcnt lgkmcnt(4)
	v_mov_b32_e32 v28, v36
	v_fma_f32 v26, -v47, v31, v23
	v_add_u32_e32 v23, s21, v1
	v_sub_f32_e32 v2, v22, v2
	v_fma_f32 v14, -v43, v32, v6
	s_waitcnt lgkmcnt(3)
	v_mov_b32_e32 v6, v38
	v_mov_b32_e32 v38, v52
	s_waitcnt lgkmcnt(2)
	v_mov_b32_e32 v52, v58
	v_mov_b32_e32 v58, v30
	v_pk_mul_f32 v[60:61], v[46:47], v[28:29]
	ds_write_b32 v23, v47
	ds_read2_b32 v[46:47], v82 offset0:9 offset1:10
	ds_read2_b64 v[28:31], v79 offset0:5 offset1:6
	ds_read_b128 v[32:35], v86 offset:48
	v_sub_f32_e32 v22, v2, v3
	v_sub_f32_e32 v2, v9, v24
	;; [unrolled: 1-line block ×4, first 2 shown]
	v_fma_f32 v23, -v41, v48, v74
	ds_read2_b32 v[72:73], v82 offset0:11 offset1:12
	ds_read2_b32 v[74:75], v77 offset0:13 offset1:14
	v_sub_f32_e32 v20, v2, v61
	v_add_u32_e32 v2, s19, v1
	v_fma_f32 v36, -v45, v37, v87
	ds_write_b32 v2, v41
	v_pk_mul_f32 v[2:3], v[40:41], v[58:59]
	s_waitcnt lgkmcnt(5)
	v_mov_b32_e32 v48, v46
	v_sub_f32_e32 v2, v36, v2
	s_waitcnt lgkmcnt(4)
	v_mov_b32_e32 v46, v28
	v_mov_b32_e32 v28, v62
	v_pk_mul_f32 v[16:17], v[40:41], v[16:17]
	v_sub_f32_e32 v36, v2, v3
	ds_read2_b32 v[2:3], v82 offset0:13 offset1:14
	s_waitcnt lgkmcnt(4)
	v_mov_b32_e32 v62, v32
	v_mov_b32_e32 v32, v64
	v_fma_f32 v64, -v43, v35, v23
	v_add_u32_e32 v23, s20, v1
	v_pk_mul_f32 v[50:51], v[42:43], v[50:51]
	ds_write_b32 v23, v43
	v_add_u32_e32 v23, s18, v1
	v_sub_f32_e32 v16, v22, v16
	ds_write_b32 v23, v45
	v_sub_f32_e32 v37, v16, v17
	ds_read2_b64 v[22:25], v79 offset0:7 offset1:8
	s_waitcnt lgkmcnt(6)
	v_mov_b32_e32 v56, v72
	v_mov_b32_e32 v72, v30
	v_sub_f32_e32 v9, v9, v50
	ds_read2_b32 v[16:17], v77 offset0:15 offset1:16
	s_waitcnt lgkmcnt(6)
	v_mov_b32_e32 v30, v74
	v_mov_b32_e32 v74, v34
	v_pk_mul_f32 v[34:35], v[42:43], v[52:53]
	v_pk_mul_f32 v[32:33], v[42:43], v[32:33]
	v_sub_f32_e32 v40, v9, v51
	v_sub_f32_e32 v9, v20, v34
	;; [unrolled: 1-line block ×5, first 2 shown]
	v_pk_mul_f32 v[32:33], v[10:11], v[38:39]
	s_or_b32 s19, s17, 0x480
	v_sub_f32_e32 v9, v37, v32
	v_fma_f32 v42, -v41, v65, v89
	v_sub_f32_e32 v41, v9, v33
	v_pk_mul_f32 v[32:33], v[10:11], v[62:63]
	s_add_i32 s18, s4, s19
	ds_write_b32 v69, v44
	v_sub_f32_e32 v9, v36, v32
	v_mov_b32_e32 v69, s18
	v_sub_f32_e32 v52, v9, v33
	ds_read2_b32 v[50:51], v69 offset0:11 offset1:12
	ds_read_b128 v[32:35], v83 offset:48
	v_pk_mul_f32 v[36:37], v[10:11], v[74:75]
	s_waitcnt lgkmcnt(3)
	v_fma_f32 v49, -v11, v17, v49
	v_sub_f32_e32 v9, v42, v36
	v_sub_f32_e32 v53, v9, v37
	s_waitcnt lgkmcnt(1)
	v_mov_b32_e32 v62, v50
	s_waitcnt lgkmcnt(0)
	v_mov_b32_e32 v50, v32
	v_mov_b32_e32 v32, v2
	;; [unrolled: 1-line block ×4, first 2 shown]
	ds_read2_b64 v[36:39], v70 offset0:165 offset1:166
	v_fma_f32 v42, -v11, v8, v76
	ds_read2_b32 v[16:17], v69 offset0:13 offset1:14
	ds_read2_b32 v[8:9], v82 offset0:15 offset1:16
	s_or_b32 s21, s17, 0x500
	s_add_i32 s20, s4, s21
	v_pk_mul_f32 v[28:29], v[12:13], v[28:29]
	v_mov_b32_e32 v74, s20
	s_waitcnt lgkmcnt(2)
	v_mov_b32_e32 v10, v38
	s_waitcnt lgkmcnt(1)
	v_mov_b32_e32 v38, v16
	v_mov_b32_e32 v16, v34
	v_fma_f32 v63, -v13, v25, v42
	v_sub_f32_e32 v20, v20, v28
	ds_read2_b64 v[58:61], v74 offset0:7 offset1:8
	s_waitcnt lgkmcnt(1)
	v_mov_b32_e32 v34, v8
	v_mov_b32_e32 v8, v24
	v_pk_mul_f32 v[24:25], v[12:13], v[30:31]
	v_pk_mul_f32 v[22:23], v[12:13], v[22:23]
	v_sub_f32_e32 v65, v20, v29
	v_sub_f32_e32 v20, v26, v24
	v_sub_f32_e32 v67, v20, v25
	v_sub_f32_e32 v20, v64, v22
	v_sub_f32_e32 v64, v20, v23
	v_pk_mul_f32 v[22:23], v[18:19], v[46:47]
	s_or_b32 s18, s17, 0x580
	v_sub_f32_e32 v20, v41, v22
	v_pk_mul_f32 v[6:7], v[12:13], v[6:7]
	v_sub_f32_e32 v41, v20, v23
	s_add_i32 s29, s4, s18
	v_pk_mul_f32 v[22:23], v[18:19], v[72:73]
	v_sub_f32_e32 v6, v40, v6
	v_mov_b32_e32 v71, s29
	v_sub_f32_e32 v20, v52, v22
	v_sub_f32_e32 v12, v6, v7
	ds_read2_b32 v[6:7], v69 offset0:15 offset1:16
	ds_read_b128 v[42:45], v83 offset:64
	v_sub_f32_e32 v52, v20, v23
	ds_read2_b32 v[22:23], v71 offset0:13 offset1:14
	v_pk_mul_f32 v[2:3], v[18:19], v[2:3]
	s_waitcnt lgkmcnt(3)
	v_mov_b32_e32 v47, v61
	v_sub_f32_e32 v2, v53, v2
	v_sub_f32_e32 v53, v2, v3
	v_pk_mul_f32 v[2:3], v[18:19], v[8:9]
	s_waitcnt lgkmcnt(0)
	v_mov_b32_e32 v40, v22
	v_sub_f32_e32 v2, v49, v2
	v_sub_f32_e32 v18, v2, v3
	v_mov_b32_e32 v22, v58
	v_mov_b32_e32 v58, v6
	;; [unrolled: 1-line block ×4, first 2 shown]
	ds_read2_b32 v[24:25], v71 offset0:15 offset1:16
	ds_read_b128 v[6:9], v70 offset:1584
	v_mov_b32_e32 v20, v19
	v_mov_b32_e32 v49, v55
	s_add_i32 s20, s5, 0x4a4
	s_waitcnt lgkmcnt(1)
	v_mov_b32_e32 v61, v25
	s_waitcnt lgkmcnt(0)
	v_mov_b32_e32 v26, v8
	v_mov_b32_e32 v8, v24
	ds_read2_b32 v[24:25], v82 offset0:17 offset1:18
	v_pk_mul_f32 v[28:29], v[20:21], v[32:33]
	v_pk_mul_f32 v[30:31], v[20:21], v[34:35]
	v_pk_mul_f32 v[32:33], v[20:21], v[48:49]
	v_add_u32_e32 v86, s21, v1
	s_waitcnt lgkmcnt(0)
	v_mov_b32_e32 v2, v24
	v_pk_mul_f32 v[2:3], v[20:21], v[2:3]
	v_fma_f32 v72, -v19, v25, v80
	v_sub_f32_e32 v2, v63, v2
	v_pk_mul_f32 v[24:25], v[20:21], v[56:57]
	v_sub_f32_e32 v20, v2, v3
	v_mov_b32_e32 v2, s20
	ds_read2_b32 v[2:3], v2 offset1:1
	v_sub_f32_e32 v12, v12, v32
	v_sub_f32_e32 v24, v65, v24
	;; [unrolled: 1-line block ×5, first 2 shown]
	v_fma_f32 v28, -v19, v66, v81
	v_sub_f32_e32 v56, v24, v29
	v_sub_f32_e32 v24, v64, v30
	s_waitcnt lgkmcnt(0)
	v_mov_b32_e32 v55, v3
	v_mul_f32_e32 v29, v12, v2
	v_fma_f32 v76, -v21, v45, v28
	v_mov_b32_e32 v28, v21
	v_sub_f32_e32 v57, v24, v31
	v_pk_mul_f32 v[30:31], v[28:29], v[54:55]
	v_pk_mul_f32 v[2:3], v[28:29], v[42:43]
	v_sub_f32_e32 v12, v41, v30
	v_sub_f32_e32 v12, v12, v31
	v_pk_mul_f32 v[30:31], v[28:29], v[50:51]
	v_sub_f32_e32 v2, v18, v2
	v_sub_f32_e32 v30, v52, v30
	ds_read2_b32 v[24:25], v69 offset0:17 offset1:18
	ds_read_b32 v75, v77 offset:108
	ds_read2_b32 v[34:35], v77 offset0:25 offset1:26
	ds_read2_b32 v[64:65], v82 offset0:25 offset1:26
	ds_read2_b32 v[66:67], v71 offset0:17 offset1:18
	v_sub_f32_e32 v41, v30, v31
	ds_read2_b64 v[30:33], v74 offset0:9 offset1:10
	v_sub_f32_e32 v80, v2, v3
	ds_read2_b32 v[2:3], v69 offset0:19 offset1:20
	v_pk_mul_f32 v[16:17], v[28:29], v[16:17]
	s_waitcnt lgkmcnt(6)
	v_mov_b32_e32 v46, v24
	v_mov_b32_e32 v24, v44
	v_sub_f32_e32 v16, v53, v16
	v_sub_f32_e32 v77, v16, v17
	v_pk_mul_f32 v[16:17], v[28:29], v[24:25]
	v_mov_b32_e32 v63, v37
	v_mul_f32_e32 v51, v12, v36
	v_mov_b32_e32 v50, v29
	v_sub_f32_e32 v16, v72, v16
	s_waitcnt lgkmcnt(2)
	v_mov_b32_e32 v48, v66
	s_waitcnt lgkmcnt(1)
	v_mov_b32_e32 v66, v30
	;; [unrolled: 2-line block ×3, first 2 shown]
	v_fma_f32 v2, -v11, v15, v14
	v_pk_mul_f32 v[14:15], v[50:51], v[62:63]
	v_sub_f32_e32 v81, v16, v17
	v_pk_mul_f32 v[16:17], v[50:51], v[38:39]
	v_sub_f32_e32 v12, v49, v14
	v_fma_f32 v18, -v13, v4, v2
	v_fma_f32 v2, -v11, v34, v78
	v_sub_f32_e32 v37, v12, v15
	v_sub_f32_e32 v12, v56, v16
	v_pk_mul_f32 v[14:15], v[50:51], v[58:59]
	v_fma_f32 v84, -v29, v3, v84
	ds_read_b128 v[52:55], v83 offset:96
	ds_read_b64 v[24:25], v79 offset:104
	v_fma_f32 v28, -v13, v5, v2
	ds_read2_b64 v[2:5], v70 offset0:231 offset1:232
	ds_read2_b32 v[38:39], v69 offset0:21 offset1:22
	v_sub_f32_e32 v70, v12, v17
	v_sub_f32_e32 v12, v57, v14
	;; [unrolled: 1-line block ×3, first 2 shown]
	v_pk_mul_f32 v[14:15], v[50:51], v[46:47]
	v_add_u32_e32 v12, s24, v1
	v_sub_f32_e32 v14, v20, v14
	s_or_b32 s24, s17, 0x600
	v_sub_f32_e32 v79, v14, v15
	v_add_u32_e32 v14, s25, v1
	s_add_i32 s25, s4, s24
	ds_write_b32 v12, v11
	v_mov_b32_e32 v49, s25
	v_fma_f32 v12, -v11, v35, v92
	s_or_b32 s20, s17, 0x680
	v_fma_f32 v11, -v11, v75, v93
	ds_write_b32 v14, v13
	ds_read_b128 v[14:17], v49 offset:64
	s_waitcnt lgkmcnt(5)
	v_fma_f32 v20, -v13, v24, v12
	s_waitcnt lgkmcnt(3)
	v_fma_f32 v12, -v29, v38, v85
	s_add_i32 s29, s4, s20
	v_fma_f32 v11, -v13, v25, v11
	v_fma_f32 v75, -v51, v33, v12
	v_pk_mul_f32 v[12:13], v[50:51], v[30:31]
	v_mov_b32_e32 v83, s29
	v_sub_f32_e32 v12, v76, v12
	ds_read2_b32 v[72:73], v71 offset0:19 offset1:20
	ds_read2_b32 v[42:43], v83 offset0:17 offset1:18
	;; [unrolled: 1-line block ×5, first 2 shown]
	v_sub_f32_e32 v76, v12, v13
	ds_read_b32 v13, v82 offset:108
	ds_read_b128 v[56:59], v49 offset:80
	v_fma_f32 v12, -v19, v27, v18
	v_add_u32_e32 v85, s19, v1
	s_add_i32 s19, s5, 0x5ac
	s_waitcnt lgkmcnt(1)
	v_fma_f32 v11, -v19, v13, v11
	v_add_u32_e32 v13, s27, v1
	v_fma_f32 v27, -v21, v52, v12
	v_mov_b32_e32 v12, s19
	ds_write_b32 v13, v19
	ds_read2_b32 v[12:13], v12 offset1:1
	v_fma_f32 v20, -v19, v65, v20
	v_fma_f32 v82, -v21, v55, v11
	v_add_u32_e32 v11, s28, v1
	v_fma_f32 v50, -v21, v54, v20
	ds_write_b32 v11, v21
	s_waitcnt lgkmcnt(1)
	v_mov_b32_e32 v11, v13
	v_mul_f32_e32 v55, v37, v12
	v_mov_b32_e32 v54, v51
	v_pk_mul_f32 v[10:11], v[54:55], v[10:11]
	v_fma_f32 v18, -v19, v64, v28
	v_sub_f32_e32 v10, v41, v10
	v_fma_f32 v18, -v21, v53, v18
	v_sub_f32_e32 v37, v10, v11
	ds_read2_b64 v[10:13], v74 offset0:11 offset1:12
	ds_read2_b32 v[52:53], v69 offset0:25 offset1:26
	v_fma_f32 v19, -v29, v39, v90
	v_fma_f32 v20, -v29, v62, v91
	;; [unrolled: 1-line block ×3, first 2 shown]
	s_waitcnt lgkmcnt(1)
	v_fma_f32 v27, -v51, v10, v19
	s_waitcnt lgkmcnt(0)
	v_fma_f32 v10, -v29, v52, v18
	v_fma_f32 v41, -v51, v11, v20
	;; [unrolled: 1-line block ×3, first 2 shown]
	v_pk_mul_f32 v[10:11], v[54:55], v[22:23]
	s_or_b32 s21, s7, 15
	v_pk_mul_f32 v[24:25], v[54:55], v[60:61]
	v_sub_f32_e32 v10, v77, v10
	s_or_b32 s17, s17, 0x700
	s_lshl_b32 s25, s21, 7
	v_sub_f32_e32 v77, v10, v11
	v_sub_f32_e32 v10, v80, v24
	v_mov_b32_e32 v36, v42
	v_mov_b32_e32 v42, v16
	;; [unrolled: 1-line block ×4, first 2 shown]
	s_add_i32 s19, s4, s17
	s_add_i32 s27, s4, s25
	v_sub_f32_e32 v80, v10, v25
	v_pk_mul_f32 v[10:11], v[54:55], v[66:67]
	v_mov_b32_e32 v87, s27
	v_mov_b32_e32 v88, s19
	v_fma_f32 v60, -v51, v12, v21
	v_sub_f32_e32 v10, v81, v10
	v_pk_mul_f32 v[12:13], v[54:55], v[72:73]
	ds_read2_b32 v[64:65], v83 offset0:15 offset1:16
	ds_read2_b32 v[34:35], v87 offset0:17 offset1:18
	ds_read2_b64 v[18:21], v88 offset0:9 offset1:10
	ds_read2_b32 v[38:39], v87 offset0:23 offset1:24
	v_sub_f32_e32 v81, v10, v11
	ds_read2_b32 v[10:11], v71 offset0:21 offset1:22
	v_sub_f32_e32 v12, v84, v12
	v_sub_f32_e32 v72, v12, v13
	ds_read2_b32 v[12:13], v71 offset0:23 offset1:24
	ds_read2_b32 v[30:31], v87 offset0:19 offset1:20
	;; [unrolled: 1-line block ×3, first 2 shown]
	s_waitcnt lgkmcnt(6)
	v_mov_b32_e32 v28, v34
	s_waitcnt lgkmcnt(5)
	v_mov_b32_e32 v34, v18
	v_mov_b32_e32 v18, v44
	;; [unrolled: 1-line block ×3, first 2 shown]
	s_waitcnt lgkmcnt(3)
	v_mov_b32_e32 v56, v10
	v_fma_f32 v73, -v55, v11, v27
	ds_read_b64 v[10:11], v74 offset:104
	s_waitcnt lgkmcnt(3)
	v_fma_f32 v54, -v55, v12, v41
	v_fma_f32 v27, -v55, v13, v60
	ds_read2_b32 v[12:13], v71 offset0:25 offset1:26
	v_mov_b32_e32 v41, v7
	v_mul_f32_e32 v61, v37, v6
	ds_read2_b64 v[22:25], v88 offset0:11 offset1:12
	ds_read_b32 v7, v69 offset:108
	ds_read_b32 v37, v71 offset:108
	v_fma_f32 v6, -v29, v53, v50
	s_waitcnt lgkmcnt(4)
	v_fma_f32 v6, -v51, v10, v6
	v_mov_b32_e32 v60, v55
	s_waitcnt lgkmcnt(3)
	v_fma_f32 v10, -v55, v13, v6
	s_waitcnt lgkmcnt(1)
	v_fma_f32 v6, -v29, v7, v82
	v_pk_mul_f32 v[62:63], v[60:61], v[8:9]
	v_fma_f32 v11, -v51, v11, v6
	ds_read_b128 v[6:9], v49 offset:96
	s_addk_i32 s5, 0x6b4
	v_mov_b32_e32 v13, s5
	s_mul_i32 s5, s21, 0x84
	v_add_u32_e32 v91, s17, v1
	s_waitcnt lgkmcnt(0)
	v_fma_f32 v74, -v61, v6, v27
	v_mov_b32_e32 v6, s5
	s_or_b32 s5, s7, 16
	s_mul_i32 s17, s5, 0x84
	v_fma_f32 v12, -v55, v12, v52
	v_fma_f32 v11, -v55, v37, v11
	ds_read2_b32 v[52:53], v6 offset1:1
	v_mov_b32_e32 v6, s17
	v_fma_f32 v82, -v61, v7, v12
	v_fma_f32 v84, -v61, v8, v10
	;; [unrolled: 1-line block ×3, first 2 shown]
	ds_read2_b32 v[66:67], v13 offset1:1
	ds_read_b128 v[10:13], v6
	v_add_u32_e32 v50, s18, v1
	ds_write_b32 v86, v51
	ds_write_b32 v50, v55
	ds_read2_b32 v[50:51], v83 offset0:23 offset1:24
	v_pk_mul_f32 v[6:7], v[60:61], v[40:41]
	v_mov_b32_e32 v49, v15
	v_mov_b32_e32 v15, v65
	;; [unrolled: 1-line block ×3, first 2 shown]
	v_sub_f32_e32 v3, v70, v6
	v_sub_f32_e32 v6, v78, v62
	ds_write_b32 v85, v29
	v_sub_f32_e32 v3, v3, v7
	s_waitcnt lgkmcnt(4)
	v_mov_b32_e32 v29, v11
	v_sub_f32_e32 v11, v6, v63
	v_pk_mul_f32 v[6:7], v[60:61], v[48:49]
	v_mov_b32_e32 v27, v67
	v_sub_f32_e32 v6, v79, v6
	v_sub_f32_e32 v63, v6, v7
	v_pk_mul_f32 v[6:7], v[60:61], v[16:17]
	v_mul_f32_e32 v17, v3, v66
	v_mov_b32_e32 v16, v61
	v_pk_mul_f32 v[14:15], v[16:17], v[14:15]
	v_pk_mul_f32 v[26:27], v[16:17], v[26:27]
	v_sub_f32_e32 v14, v80, v14
	v_sub_f32_e32 v26, v77, v26
	;; [unrolled: 1-line block ×4, first 2 shown]
	v_pk_mul_f32 v[14:15], v[16:17], v[42:43]
	s_or_b32 s17, s7, 17
	v_sub_f32_e32 v14, v81, v14
	ds_read2_b32 v[70:71], v83 offset0:25 offset1:26
	ds_read_b32 v41, v83 offset:108
	s_mul_i32 s18, s17, 0x84
	v_sub_f32_e32 v43, v14, v15
	v_pk_mul_f32 v[14:15], v[16:17], v[44:45]
	s_lshl_b32 s5, s5, 7
	v_mov_b32_e32 v37, v5
	v_mov_b32_e32 v5, v53
	;; [unrolled: 1-line block ×3, first 2 shown]
	s_lshl_b32 s17, s17, 7
	s_or_b32 s18, s7, 18
	v_sub_f32_e32 v6, v76, v6
	v_mov_b32_e32 v40, v12
	v_mov_b32_e32 v12, v30
	;; [unrolled: 1-line block ×5, first 2 shown]
	v_sub_f32_e32 v14, v72, v14
	v_add_u32_e32 v86, s5, v1
	s_add_i32 s5, s4, s5
	v_add_u32_e32 v62, s17, v1
	s_add_i32 s17, s4, s17
	s_mul_i32 s19, s18, 0x84
	v_sub_f32_e32 v67, v6, v7
	v_pk_mul_f32 v[6:7], v[60:61], v[56:57]
	v_sub_f32_e32 v72, v14, v15
	v_pk_mul_f32 v[14:15], v[16:17], v[46:47]
	v_add_u32_e32 v69, s24, v1
	v_mov_b32_e32 v8, s19
	v_sub_f32_e32 v6, v75, v6
	v_mov_b32_e32 v66, s17
	v_mov_b32_e32 v3, s5
	v_sub_f32_e32 v14, v73, v14
	v_fma_f32 v76, -v61, v59, v54
	v_sub_f32_e32 v75, v6, v7
	ds_read2_b64 v[6:9], v8 offset1:1
	ds_read2_b32 v[48:49], v66 offset0:19 offset1:20
	ds_write_b32 v69, v61
	ds_read_b128 v[54:57], v3 offset:80
	ds_read_b128 v[58:61], v3 offset:96
	v_sub_f32_e32 v73, v14, v15
	s_waitcnt lgkmcnt(6)
	v_fma_f32 v14, -v17, v70, v82
	v_mul_f32_e32 v3, v26, v2
	v_mov_b32_e32 v2, v17
	v_fma_f32 v70, -v17, v71, v84
	v_fma_f32 v71, -v3, v25, v14
	v_pk_mul_f32 v[14:15], v[2:3], v[64:65]
	ds_read2_b32 v[44:45], v66 offset0:21 offset1:22
	ds_read2_b32 v[46:47], v66 offset0:23 offset1:24
	v_sub_f32_e32 v11, v11, v14
	v_sub_f32_e32 v11, v11, v15
	v_pk_mul_f32 v[14:15], v[2:3], v[36:37]
	s_lshl_b32 s18, s18, 7
	v_sub_f32_e32 v14, v63, v14
	s_waitcnt lgkmcnt(5)
	v_mov_b32_e32 v42, v48
	s_waitcnt lgkmcnt(3)
	v_mov_b32_e32 v48, v54
	v_mov_b32_e32 v54, v32
	;; [unrolled: 1-line block ×4, first 2 shown]
	v_sub_f32_e32 v63, v14, v15
	v_pk_mul_f32 v[14:15], v[2:3], v[18:19]
	v_add_u32_e32 v69, s18, v1
	s_add_i32 s17, s4, s18
	s_or_b32 s18, s7, 19
	v_pk_mul_f32 v[22:23], v[2:3], v[22:23]
	v_pk_mul_f32 v[20:21], v[2:3], v[20:21]
	v_sub_f32_e32 v2, v67, v14
	s_mul_i32 s19, s18, 0x84
	s_lshl_b32 s18, s18, 7
	v_sub_f32_e32 v65, v2, v15
	v_sub_f32_e32 v2, v75, v20
	v_add_u32_e32 v79, s18, v1
	s_add_i32 s5, s4, s18
	s_or_b32 s18, s7, 20
	v_fma_f32 v74, -v17, v51, v74
	v_mov_b32_e32 v26, v8
	ds_read2_b32 v[50:51], v66 offset0:25 offset1:26
	s_waitcnt lgkmcnt(2)
	v_mov_b32_e32 v8, v44
	v_mov_b32_e32 v44, v56
	;; [unrolled: 1-line block ×4, first 2 shown]
	ds_read_b64 v[24:25], v88 offset:104
	v_sub_f32_e32 v67, v2, v21
	v_sub_f32_e32 v2, v76, v22
	v_mul_f32_e32 v37, v11, v52
	v_mov_b32_e32 v36, v3
	v_mov_b32_e32 v78, s19
	s_mul_i32 s19, s18, 0x84
	s_lshl_b32 s18, s18, 7
	v_sub_f32_e32 v75, v2, v23
	v_pk_mul_f32 v[22:23], v[36:37], v[34:35]
	v_add_u32_e32 v77, s18, v1
	v_mov_b32_e32 v64, s5
	s_add_i32 s5, s4, s18
	s_or_b32 s18, s7, 21
	v_sub_f32_e32 v22, v43, v22
	v_mov_b32_e32 v83, s19
	s_mul_i32 s19, s18, 0x84
	s_lshl_b32 s18, s18, 7
	v_sub_f32_e32 v43, v22, v23
	v_pk_mul_f32 v[22:23], v[36:37], v[30:31]
	v_add_u32_e32 v90, s20, v1
	v_fma_f32 v41, -v17, v41, v89
	v_mov_b32_e32 v81, s17
	s_add_i32 s17, s4, s18
	v_pk_mul_f32 v[20:21], v[36:37], v[4:5]
	v_sub_f32_e32 v22, v72, v22
	v_pk_mul_f32 v[30:31], v[36:37], v[32:33]
	ds_write_b32 v90, v17
	ds_read_b128 v[14:17], v83
	s_waitcnt lgkmcnt(2)
	v_fma_f32 v70, -v3, v24, v70
	v_fma_f32 v41, -v3, v25, v41
	v_sub_f32_e32 v11, v27, v20
	v_sub_f32_e32 v72, v22, v23
	ds_read2_b64 v[22:25], v81 offset0:11 offset1:12
	v_mov_b32_e32 v83, s17
	v_sub_f32_e32 v30, v73, v30
	ds_read2_b32 v[18:19], v64 offset0:21 offset1:22
	v_sub_f32_e32 v11, v11, v21
	ds_read2_b32 v[20:21], v83 offset0:23 offset1:24
	;; [unrolled: 2-line block ×3, first 2 shown]
	v_add_u32_e32 v80, s18, v1
	s_or_b32 s18, s7, 22
	v_mov_b32_e32 v76, s19
	s_mul_i32 s19, s18, 0x84
	v_pk_mul_f32 v[32:33], v[36:37], v[38:39]
	v_mov_b32_e32 v2, s19
	v_sub_f32_e32 v32, v74, v32
	ds_write_b32 v91, v3
	ds_read2_b64 v[2:5], v2 offset1:1
	v_sub_f32_e32 v33, v32, v33
	s_waitcnt lgkmcnt(4)
	v_mov_b32_e32 v32, v18
	v_mov_b32_e32 v18, v22
	;; [unrolled: 1-line block ×4, first 2 shown]
	s_waitcnt lgkmcnt(2)
	v_mov_b32_e32 v58, v30
	ds_read_b32 v30, v87 offset:108
	v_add_u32_e32 v85, s25, v1
	ds_write_b32 v85, v37
	v_fma_f32 v70, -v37, v31, v70
	v_mov_b32_e32 v34, v37
	s_waitcnt lgkmcnt(1)
	v_fma_f32 v41, -v37, v30, v41
	ds_read_b64 v[36:37], v81 offset:104
	ds_read2_b32 v[38:39], v53 offset1:1
	v_mul_f32_e32 v35, v11, v10
	s_lshl_b32 s18, s18, 7
	v_pk_mul_f32 v[28:29], v[34:35], v[28:29]
	v_add_u32_e32 v82, s18, v1
	s_add_i32 s17, s4, s18
	s_or_b32 s18, s7, 23
	v_sub_f32_e32 v28, v63, v28
	s_mul_i32 s19, s18, 0x84
	s_lshl_b32 s18, s18, 7
	v_pk_mul_f32 v[30:31], v[34:35], v[54:55]
	v_pk_mul_f32 v[12:13], v[34:35], v[12:13]
	v_sub_f32_e32 v55, v28, v29
	v_add_u32_e32 v74, s18, v1
	v_mov_b32_e32 v84, s5
	s_add_i32 s5, s4, s18
	s_or_b32 s18, s7, 24
	v_pk_mul_f32 v[10:11], v[34:35], v[56:57]
	v_fma_f32 v81, -v35, v61, v41
	v_sub_f32_e32 v12, v65, v12
	s_waitcnt lgkmcnt(0)
	v_mov_b32_e32 v41, v39
	v_mul_f32_e32 v39, v55, v38
	v_mov_b32_e32 v38, v35
	v_mov_b32_e32 v27, s19
	s_mul_i32 s19, s18, 0x84
	ds_read2_b32 v[52:53], v64 offset0:23 offset1:24
	ds_read2_b32 v[56:57], v76 offset1:1
	v_pk_mul_f32 v[28:29], v[34:35], v[58:59]
	v_sub_f32_e32 v76, v12, v13
	v_sub_f32_e32 v12, v67, v30
	;; [unrolled: 1-line block ×3, first 2 shown]
	v_pk_mul_f32 v[40:41], v[38:39], v[40:41]
	v_mov_b32_e32 v85, s19
	ds_read2_b32 v[58:59], v64 offset0:25 offset1:26
	ds_read_b32 v34, v64 offset:108
	v_sub_f32_e32 v87, v12, v31
	v_sub_f32_e32 v75, v10, v11
	ds_read_b128 v[10:13], v84 offset:96
	v_sub_f32_e32 v28, v71, v28
	ds_write_b32 v86, v35
	v_sub_f32_e32 v35, v43, v40
	v_sub_f32_e32 v71, v28, v29
	ds_read_b128 v[28:31], v85
	v_lshl_add_u32 v84, s18, 7, v1
	s_or_b32 s18, s7, 25
	v_sub_f32_e32 v35, v35, v41
	v_pk_mul_f32 v[40:41], v[38:39], v[48:49]
	s_mul_i32 s19, s18, 0x84
	s_lshl_b32 s18, s18, 7
	v_mov_b32_e32 v43, s17
	v_sub_f32_e32 v40, v72, v40
	v_add_u32_e32 v85, s18, v1
	s_add_i32 s4, s4, s18
	s_or_b32 s18, s7, 26
	v_sub_f32_e32 v72, v40, v41
	ds_read_b64 v[40:41], v43 offset:104
	v_mov_b32_e32 v54, v16
	s_waitcnt lgkmcnt(7)
	v_mov_b32_e32 v16, v52
	v_mov_b32_e32 v52, v24
	;; [unrolled: 1-line block ×4, first 2 shown]
	s_mul_i32 s20, s18, 0x84
	v_pk_mul_f32 v[44:45], v[38:39], v[44:45]
	v_mov_b32_e32 v64, s19
	ds_write_b32 v62, v39
	v_pk_mul_f32 v[50:51], v[38:39], v[50:51]
	v_pk_mul_f32 v[46:47], v[38:39], v[46:47]
	v_mov_b32_e32 v38, v39
	v_mul_f32_e32 v39, v35, v6
	ds_read2_b32 v[60:61], v78 offset1:1
	v_mov_b32_e32 v43, s20
	s_waitcnt lgkmcnt(5)
	v_mov_b32_e32 v35, v13
	v_sub_f32_e32 v13, v73, v44
	ds_read_b64 v[48:49], v43
	ds_read2_b32 v[64:65], v64 offset1:1
	ds_read2_b32 v[62:63], v27 offset1:1
	v_mov_b32_e32 v43, v7
	v_pk_mul_f32 v[6:7], v[38:39], v[8:9]
	ds_read_b32 v8, v66 offset:108
	v_sub_f32_e32 v13, v13, v45
	ds_read2_b32 v[44:45], v83 offset0:25 offset1:26
	v_sub_f32_e32 v27, v33, v46
	v_mov_b32_e32 v9, v37
	v_sub_f32_e32 v37, v27, v47
	v_sub_f32_e32 v27, v70, v50
	v_pk_mul_f32 v[42:43], v[38:39], v[42:43]
	s_waitcnt lgkmcnt(7)
	v_mov_b32_e32 v47, v41
	v_sub_f32_e32 v41, v27, v51
	v_sub_f32_e32 v27, v76, v42
	;; [unrolled: 1-line block ×3, first 2 shown]
	v_mov_b32_e32 v55, s5
	s_waitcnt lgkmcnt(5)
	v_mov_b32_e32 v27, v61
	v_mul_f32_e32 v61, v33, v60
	v_mov_b32_e32 v60, v39
	ds_read_b32 v46, v83 offset:108
	ds_read2_b32 v[50:51], v55 offset0:25 offset1:26
	ds_read_b32 v42, v55 offset:108
	v_pk_mul_f32 v[26:27], v[60:61], v[26:27]
	s_waitcnt lgkmcnt(4)
	v_pk_mul_f32 v[8:9], v[38:39], v[8:9]
	v_mov_b32_e32 v33, v15
	v_sub_f32_e32 v15, v72, v26
	v_sub_f32_e32 v8, v81, v8
	v_pk_mul_f32 v[22:23], v[38:39], v[22:23]
	v_mov_b32_e32 v66, v4
	v_sub_f32_e32 v4, v87, v6
	v_sub_f32_e32 v26, v8, v9
	;; [unrolled: 1-line block ×3, first 2 shown]
	v_pk_mul_f32 v[24:25], v[38:39], v[24:25]
	v_mov_b32_e32 v43, v31
	v_sub_f32_e32 v31, v4, v7
	v_sub_f32_e32 v4, v75, v22
	v_mul_f32_e32 v9, v8, v14
	v_mov_b32_e32 v8, v61
	v_mov_b32_e32 v7, v29
	v_sub_f32_e32 v29, v4, v23
	v_mov_b32_e32 v22, v20
	v_mov_b32_e32 v23, v3
	;; [unrolled: 1-line block ×4, first 2 shown]
	v_sub_f32_e32 v3, v71, v24
	v_pk_mul_f32 v[14:15], v[8:9], v[32:33]
	v_pk_mul_f32 v[18:19], v[60:61], v[18:19]
	;; [unrolled: 1-line block ×3, first 2 shown]
	v_sub_f32_e32 v3, v3, v25
	v_sub_f32_e32 v14, v31, v14
	v_pk_mul_f32 v[10:11], v[8:9], v[10:11]
	v_sub_f32_e32 v13, v13, v18
	v_sub_f32_e32 v18, v37, v52
	v_mov_b32_e32 v37, v59
	v_sub_f32_e32 v3, v3, v10
	v_sub_f32_e32 v10, v14, v15
	v_mov_b32_e32 v55, v57
	v_pk_mul_f32 v[24:25], v[60:61], v[36:37]
	v_pk_mul_f32 v[16:17], v[8:9], v[16:17]
	v_mul_f32_e32 v15, v10, v56
	v_mov_b32_e32 v14, v9
	v_sub_f32_e32 v24, v41, v24
	v_sub_f32_e32 v13, v13, v19
	;; [unrolled: 1-line block ×4, first 2 shown]
	ds_write_b32 v77, v9
	v_pk_mul_f32 v[18:19], v[14:15], v[54:55]
	v_pk_mul_f32 v[8:9], v[8:9], v[34:35]
	v_sub_f32_e32 v24, v24, v25
	v_sub_f32_e32 v18, v13, v18
	;; [unrolled: 1-line block ×3, first 2 shown]
	v_pk_mul_f32 v[16:17], v[14:15], v[20:21]
	v_sub_f32_e32 v20, v3, v11
	s_waitcnt lgkmcnt(4)
	v_mov_b32_e32 v13, v45
	v_sub_f32_e32 v3, v26, v8
	v_pk_mul_f32 v[10:11], v[14:15], v[12:13]
	v_sub_f32_e32 v12, v3, v9
	v_sub_f32_e32 v3, v18, v19
	v_mul_f32_e32 v3, v3, v2
	v_mov_b32_e32 v2, v15
	v_pk_mul_f32 v[8:9], v[2:3], v[22:23]
	v_mov_b32_e32 v67, v63
	v_sub_f32_e32 v8, v25, v8
	v_sub_f32_e32 v8, v8, v9
	v_mov_b32_e32 v4, v44
	v_sub_f32_e32 v16, v27, v16
	v_sub_f32_e32 v10, v24, v10
	v_mul_f32_e32 v9, v8, v62
	v_mov_b32_e32 v8, v3
	v_sub_f32_e32 v13, v16, v17
	v_pk_mul_f32 v[4:5], v[2:3], v[4:5]
	v_sub_f32_e32 v14, v10, v11
	ds_write_b32 v82, v3
	v_pk_mul_f32 v[10:11], v[8:9], v[66:67]
	s_waitcnt lgkmcnt(4)
	v_pk_mul_f32 v[2:3], v[2:3], v[46:47]
	v_sub_f32_e32 v4, v20, v4
	v_sub_f32_e32 v10, v13, v10
	s_waitcnt lgkmcnt(3)
	v_mov_b32_e32 v41, v51
	v_sub_f32_e32 v2, v12, v2
	v_sub_f32_e32 v13, v4, v5
	v_pk_mul_f32 v[4:5], v[8:9], v[40:41]
	v_sub_f32_e32 v8, v2, v3
	v_sub_f32_e32 v2, v10, v11
	v_mov_b32_e32 v6, v50
	v_mul_f32_e32 v3, v2, v28
	v_mov_b32_e32 v2, v9
	v_pk_mul_f32 v[6:7], v[2:3], v[6:7]
	v_sub_f32_e32 v4, v14, v4
	v_sub_f32_e32 v6, v13, v6
	ds_write_b32 v74, v9
	v_sub_f32_e32 v9, v4, v5
	v_sub_f32_e32 v4, v6, v7
	v_mul_f32_e32 v5, v4, v64
	v_mov_b32_e32 v4, v3
	v_mov_b32_e32 v31, v65
	ds_write_b32 v84, v3
	v_pk_mul_f32 v[6:7], v[4:5], v[30:31]
	s_waitcnt lgkmcnt(4)
	v_pk_mul_f32 v[2:3], v[2:3], v[42:43]
	v_mov_b32_e32 v70, s4
	v_sub_f32_e32 v4, v9, v6
	v_sub_f32_e32 v2, v8, v2
	s_mul_i32 s4, s16, 0x84
	ds_write_b32 v69, v39
	ds_write_b32 v79, v61
	;; [unrolled: 1-line block ×3, first 2 shown]
	v_sub_f32_e32 v8, v2, v3
	ds_write_b32 v85, v5
	v_sub_f32_e32 v3, v4, v7
	v_mov_b32_e32 v4, s4
	ds_read_b32 v2, v70 offset:108
	ds_read_b32 v4, v4
	v_mul_f32_e32 v7, v3, v48
	v_mov_b32_e32 v6, v5
	v_mov_b32_e32 v3, v49
	s_waitcnt lgkmcnt(1)
	v_pk_mul_f32 v[2:3], v[6:7], v[2:3]
	v_lshl_add_u32 v86, s18, 7, v1
	v_sub_f32_e32 v2, v8, v2
	v_sub_f32_e32 v2, v2, v3
	s_waitcnt lgkmcnt(0)
	v_mul_f32_e32 v2, v2, v4
	s_or_b32 s7, s7, 28
	ds_write_b32 v86, v7
	ds_write_b32 v68, v2
.LBB38_72:
	s_cmp_ge_i32 s7, s26
	s_cbranch_scc1 .LBB38_77
; %bb.73:
	v_mov_b32_e32 v2, 0x1000
	s_lshl_b32 s4, s7, 2
	v_lshl_or_b32 v2, v0, 2, v2
	s_branch .LBB38_75
.LBB38_74:                              ;   in Loop: Header=BB38_75 Depth=1
	s_lshl_b32 s16, s7, 2
	s_add_i32 s5, s16, s5
	v_mov_b32_e32 v5, s5
	ds_read_b32 v5, v5
	s_add_i32 s7, s7, 1
	s_add_i32 s4, s4, 4
	s_cmp_ge_i32 s7, s26
	s_waitcnt lgkmcnt(0)
	v_mul_f32_e32 v4, v4, v5
	ds_write_b32 v3, v4
	s_cbranch_scc1 .LBB38_77
.LBB38_75:                              ; =>This Loop Header: Depth=1
                                        ;     Child Loop BB38_76 Depth 2
	s_lshl_b32 s5, s7, 7
	v_add_u32_e32 v3, s5, v1
	ds_read_b32 v4, v3
	s_cmp_eq_u32 s7, 0
	v_mov_b32_e32 v5, v2
	s_mov_b32 s16, s4
	s_mov_b32 s17, s7
	s_cbranch_scc1 .LBB38_74
.LBB38_76:                              ;   Parent Loop BB38_75 Depth=1
                                        ; =>  This Inner Loop Header: Depth=2
	v_mov_b32_e32 v7, s16
	ds_read_b32 v6, v5
	ds_read_b32 v7, v7
	s_add_i32 s17, s17, -1
	s_addk_i32 s16, 0x80
	v_add_u32_e32 v5, 0x80, v5
	s_cmp_lg_u32 s17, 0
	s_waitcnt lgkmcnt(0)
	v_fma_f32 v4, -v6, v7, v4
	s_cbranch_scc1 .LBB38_76
	s_branch .LBB38_74
.LBB38_77:
	s_waitcnt lgkmcnt(0)
	; wave barrier
	s_and_saveexec_b64 s[4:5], s[0:1]
	s_cbranch_execz .LBB38_86
; %bb.78:
	s_andn2_b64 vcc, exec, s[14:15]
	s_cbranch_vccnz .LBB38_86
; %bb.79:
	s_cmp_eq_u32 s6, 1
	s_cbranch_scc1 .LBB38_83
; %bb.80:
	v_mad_i64_i32 v[2:3], s[0:1], s22, v0, 0
	v_lshl_add_u64 v[2:3], v[2:3], 2, s[2:3]
	s_and_b32 s2, s26, 62
	s_mov_b32 s0, 1
	s_mov_b32 s1, 0
	;; [unrolled: 1-line block ×3, first 2 shown]
.LBB38_81:                              ; =>This Inner Loop Header: Depth=1
	v_lshl_add_u32 v4, s1, 7, v1
	v_lshl_add_u32 v5, s0, 7, v1
	ds_read_b32 v4, v4
	ds_read_b32 v5, v5
	s_add_i32 s1, s1, 2
	s_add_i32 s0, s0, 2
	s_add_i32 s3, s3, -2
	s_cmp_lg_u32 s3, 0
	s_waitcnt lgkmcnt(0)
	flat_store_dwordx2 v[2:3], v[4:5]
	v_lshl_add_u64 v[2:3], v[2:3], 0, 8
	s_cbranch_scc1 .LBB38_81
; %bb.82:
	s_cmp_lg_u32 s26, s2
	s_cselect_b64 s[0:1], -1, 0
	s_and_b64 vcc, exec, s[0:1]
	s_cbranch_vccnz .LBB38_84
	s_branch .LBB38_86
.LBB38_83:
	s_mov_b32 s2, 0
	s_cbranch_execz .LBB38_86
.LBB38_84:
	s_sub_i32 s0, s26, s2
	s_lshl_b32 s1, s2, 2
	s_add_u32 s1, s8, s1
	s_addc_u32 s3, s9, 0
	s_add_u32 s4, s1, s10
	v_lshlrev_b32_e32 v2, 2, v0
	v_mov_b32_e32 v3, 0
	s_addc_u32 s5, s3, s11
	v_lshl_add_u64 v[4:5], s[12:13], 2, v[2:3]
	v_mov_b64_e32 v[0:1], s[4:5]
	v_mad_u64_u32 v[0:1], s[4:5], v4, s22, v[0:1]
	v_mul_lo_u32 v3, v4, s23
	v_mul_lo_u32 v4, v5, s22
	v_lshl_or_b32 v2, s2, 7, v2
	v_add3_u32 v1, v4, v1, v3
	v_add_u32_e32 v2, 0x1000, v2
.LBB38_85:                              ; =>This Inner Loop Header: Depth=1
	ds_read_b32 v3, v2
	s_add_i32 s0, s0, -1
	v_add_u32_e32 v2, 0x80, v2
	s_cmp_lg_u32 s0, 0
	s_waitcnt lgkmcnt(0)
	flat_store_dword v[0:1], v3
	v_lshl_add_u64 v[0:1], v[0:1], 0, 4
	s_cbranch_scc1 .LBB38_85
.LBB38_86:
	s_endpgm
	.section	.rodata,"a",@progbits
	.p2align	6, 0x0
	.amdhsa_kernel _ZL38rocblas_trsm_small_left_device_sharedBILi32ELi32ELb1EffPKPKfPKPfEv13rocblas_fill_18rocblas_operation_17rocblas_diagonal_iiT3_T4_lilT5_lili
		.amdhsa_group_segment_fixed_size 8192
		.amdhsa_private_segment_fixed_size 0
		.amdhsa_kernarg_size 352
		.amdhsa_user_sgpr_count 2
		.amdhsa_user_sgpr_dispatch_ptr 0
		.amdhsa_user_sgpr_queue_ptr 0
		.amdhsa_user_sgpr_kernarg_segment_ptr 1
		.amdhsa_user_sgpr_dispatch_id 0
		.amdhsa_user_sgpr_kernarg_preload_length 0
		.amdhsa_user_sgpr_kernarg_preload_offset 0
		.amdhsa_user_sgpr_private_segment_size 0
		.amdhsa_uses_dynamic_stack 0
		.amdhsa_enable_private_segment 0
		.amdhsa_system_sgpr_workgroup_id_x 1
		.amdhsa_system_sgpr_workgroup_id_y 0
		.amdhsa_system_sgpr_workgroup_id_z 1
		.amdhsa_system_sgpr_workgroup_info 0
		.amdhsa_system_vgpr_workitem_id 0
		.amdhsa_next_free_vgpr 94
		.amdhsa_next_free_sgpr 96
		.amdhsa_accum_offset 96
		.amdhsa_reserve_vcc 1
		.amdhsa_float_round_mode_32 0
		.amdhsa_float_round_mode_16_64 0
		.amdhsa_float_denorm_mode_32 3
		.amdhsa_float_denorm_mode_16_64 3
		.amdhsa_dx10_clamp 1
		.amdhsa_ieee_mode 1
		.amdhsa_fp16_overflow 0
		.amdhsa_tg_split 0
		.amdhsa_exception_fp_ieee_invalid_op 0
		.amdhsa_exception_fp_denorm_src 0
		.amdhsa_exception_fp_ieee_div_zero 0
		.amdhsa_exception_fp_ieee_overflow 0
		.amdhsa_exception_fp_ieee_underflow 0
		.amdhsa_exception_fp_ieee_inexact 0
		.amdhsa_exception_int_div_zero 0
	.end_amdhsa_kernel
	.section	.text._ZL38rocblas_trsm_small_left_device_sharedBILi32ELi32ELb1EffPKPKfPKPfEv13rocblas_fill_18rocblas_operation_17rocblas_diagonal_iiT3_T4_lilT5_lili,"axG",@progbits,_ZL38rocblas_trsm_small_left_device_sharedBILi32ELi32ELb1EffPKPKfPKPfEv13rocblas_fill_18rocblas_operation_17rocblas_diagonal_iiT3_T4_lilT5_lili,comdat
.Lfunc_end38:
	.size	_ZL38rocblas_trsm_small_left_device_sharedBILi32ELi32ELb1EffPKPKfPKPfEv13rocblas_fill_18rocblas_operation_17rocblas_diagonal_iiT3_T4_lilT5_lili, .Lfunc_end38-_ZL38rocblas_trsm_small_left_device_sharedBILi32ELi32ELb1EffPKPKfPKPfEv13rocblas_fill_18rocblas_operation_17rocblas_diagonal_iiT3_T4_lilT5_lili
                                        ; -- End function
	.set _ZL38rocblas_trsm_small_left_device_sharedBILi32ELi32ELb1EffPKPKfPKPfEv13rocblas_fill_18rocblas_operation_17rocblas_diagonal_iiT3_T4_lilT5_lili.num_vgpr, 94
	.set _ZL38rocblas_trsm_small_left_device_sharedBILi32ELi32ELb1EffPKPKfPKPfEv13rocblas_fill_18rocblas_operation_17rocblas_diagonal_iiT3_T4_lilT5_lili.num_agpr, 0
	.set _ZL38rocblas_trsm_small_left_device_sharedBILi32ELi32ELb1EffPKPKfPKPfEv13rocblas_fill_18rocblas_operation_17rocblas_diagonal_iiT3_T4_lilT5_lili.numbered_sgpr, 72
	.set _ZL38rocblas_trsm_small_left_device_sharedBILi32ELi32ELb1EffPKPKfPKPfEv13rocblas_fill_18rocblas_operation_17rocblas_diagonal_iiT3_T4_lilT5_lili.num_named_barrier, 0
	.set _ZL38rocblas_trsm_small_left_device_sharedBILi32ELi32ELb1EffPKPKfPKPfEv13rocblas_fill_18rocblas_operation_17rocblas_diagonal_iiT3_T4_lilT5_lili.private_seg_size, 0
	.set _ZL38rocblas_trsm_small_left_device_sharedBILi32ELi32ELb1EffPKPKfPKPfEv13rocblas_fill_18rocblas_operation_17rocblas_diagonal_iiT3_T4_lilT5_lili.uses_vcc, 1
	.set _ZL38rocblas_trsm_small_left_device_sharedBILi32ELi32ELb1EffPKPKfPKPfEv13rocblas_fill_18rocblas_operation_17rocblas_diagonal_iiT3_T4_lilT5_lili.uses_flat_scratch, 0
	.set _ZL38rocblas_trsm_small_left_device_sharedBILi32ELi32ELb1EffPKPKfPKPfEv13rocblas_fill_18rocblas_operation_17rocblas_diagonal_iiT3_T4_lilT5_lili.has_dyn_sized_stack, 0
	.set _ZL38rocblas_trsm_small_left_device_sharedBILi32ELi32ELb1EffPKPKfPKPfEv13rocblas_fill_18rocblas_operation_17rocblas_diagonal_iiT3_T4_lilT5_lili.has_recursion, 0
	.set _ZL38rocblas_trsm_small_left_device_sharedBILi32ELi32ELb1EffPKPKfPKPfEv13rocblas_fill_18rocblas_operation_17rocblas_diagonal_iiT3_T4_lilT5_lili.has_indirect_call, 0
	.section	.AMDGPU.csdata,"",@progbits
; Kernel info:
; codeLenInByte = 19408
; TotalNumSgprs: 78
; NumVgprs: 94
; NumAgprs: 0
; TotalNumVgprs: 94
; ScratchSize: 0
; MemoryBound: 0
; FloatMode: 240
; IeeeMode: 1
; LDSByteSize: 8192 bytes/workgroup (compile time only)
; SGPRBlocks: 12
; VGPRBlocks: 11
; NumSGPRsForWavesPerEU: 102
; NumVGPRsForWavesPerEU: 94
; AccumOffset: 96
; Occupancy: 5
; WaveLimiterHint : 0
; COMPUTE_PGM_RSRC2:SCRATCH_EN: 0
; COMPUTE_PGM_RSRC2:USER_SGPR: 2
; COMPUTE_PGM_RSRC2:TRAP_HANDLER: 0
; COMPUTE_PGM_RSRC2:TGID_X_EN: 1
; COMPUTE_PGM_RSRC2:TGID_Y_EN: 0
; COMPUTE_PGM_RSRC2:TGID_Z_EN: 1
; COMPUTE_PGM_RSRC2:TIDIG_COMP_CNT: 0
; COMPUTE_PGM_RSRC3_GFX90A:ACCUM_OFFSET: 23
; COMPUTE_PGM_RSRC3_GFX90A:TG_SPLIT: 0
	.section	.text._ZL30rocblas_trsm_small_left_deviceILi32ELi32ELb1EffPKPKfPKPfEv13rocblas_fill_18rocblas_operation_17rocblas_diagonal_iiT3_T4_lilT5_lili,"axG",@progbits,_ZL30rocblas_trsm_small_left_deviceILi32ELi32ELb1EffPKPKfPKPfEv13rocblas_fill_18rocblas_operation_17rocblas_diagonal_iiT3_T4_lilT5_lili,comdat
	.globl	_ZL30rocblas_trsm_small_left_deviceILi32ELi32ELb1EffPKPKfPKPfEv13rocblas_fill_18rocblas_operation_17rocblas_diagonal_iiT3_T4_lilT5_lili ; -- Begin function _ZL30rocblas_trsm_small_left_deviceILi32ELi32ELb1EffPKPKfPKPfEv13rocblas_fill_18rocblas_operation_17rocblas_diagonal_iiT3_T4_lilT5_lili
	.p2align	8
	.type	_ZL30rocblas_trsm_small_left_deviceILi32ELi32ELb1EffPKPKfPKPfEv13rocblas_fill_18rocblas_operation_17rocblas_diagonal_iiT3_T4_lilT5_lili,@function
_ZL30rocblas_trsm_small_left_deviceILi32ELi32ELb1EffPKPKfPKPfEv13rocblas_fill_18rocblas_operation_17rocblas_diagonal_iiT3_T4_lilT5_lili: ; @_ZL30rocblas_trsm_small_left_deviceILi32ELi32ELb1EffPKPKfPKPfEv13rocblas_fill_18rocblas_operation_17rocblas_diagonal_iiT3_T4_lilT5_lili
; %bb.0:
	s_load_dwordx4 s[8:11], s[0:1], 0x38
	s_load_dwordx4 s[4:7], s[0:1], 0x4
	s_load_dword s16, s[0:1], 0x14
	s_mov_b32 s20, s3
	s_mov_b32 s21, 0
	s_lshl_b64 s[24:25], s[20:21], 3
	s_waitcnt lgkmcnt(0)
	s_add_u32 s8, s8, s24
	s_addc_u32 s9, s9, s25
	s_load_dwordx2 s[8:9], s[8:9], 0x0
	s_min_i32 s17, s6, 32
	v_cmp_gt_i32_e32 vcc, s17, v0
	s_and_saveexec_b64 s[18:19], vcc
	s_cbranch_execz .LBB39_11
; %bb.1:
	s_load_dwordx4 s[12:15], s[0:1], 0x18
	s_load_dword s22, s[0:1], 0x28
	v_lshlrev_b32_e32 v2, 2, v0
	v_mov_b32_e32 v3, 0
	s_mov_b32 s3, 1
	s_waitcnt lgkmcnt(0)
	s_add_u32 s12, s12, s24
	s_addc_u32 s13, s13, s25
	s_load_dwordx2 s[12:13], s[12:13], 0x0
	s_cmp_lt_u32 s17, 2
	s_cselect_b64 s[26:27], -1, 0
	s_cmp_lg_u32 s22, 1
	s_cselect_b64 s[28:29], -1, 0
	s_or_b64 s[26:27], s[26:27], s[28:29]
	s_mov_b64 s[24:25], -1
	s_and_b64 vcc, exec, s[26:27]
	s_cbranch_vccnz .LBB39_5
; %bb.2:
	s_lshl_b64 s[20:21], s[14:15], 2
	s_waitcnt lgkmcnt(0)
	s_add_u32 s20, s12, s20
	s_addc_u32 s21, s13, s21
	v_lshl_add_u64 v[4:5], s[20:21], 0, v[2:3]
	s_and_b32 s21, s17, -2
	s_mov_b32 s20, 0
	s_mov_b32 s23, s21
.LBB39_3:                               ; =>This Inner Loop Header: Depth=1
	flat_load_dwordx2 v[6:7], v[4:5]
	v_lshl_or_b32 v1, s20, 7, v2
	v_lshl_or_b32 v3, s3, 7, v2
	s_add_i32 s20, s20, 2
	s_add_i32 s3, s3, 2
	s_add_i32 s23, s23, -2
	v_lshl_add_u64 v[4:5], v[4:5], 0, 8
	s_cmp_lg_u32 s23, 0
	s_waitcnt vmcnt(0) lgkmcnt(0)
	ds_write_b32 v1, v6
	ds_write_b32 v3, v7
	s_cbranch_scc1 .LBB39_3
; %bb.4:
	s_cmp_lg_u32 s17, s21
	s_cselect_b64 s[24:25], -1, 0
.LBB39_5:
	s_and_b64 vcc, exec, s[24:25]
	s_cbranch_vccz .LBB39_8
; %bb.6:
	s_ashr_i32 s23, s22, 31
	s_mul_hi_u32 s3, s22, s21
	s_mul_i32 s20, s23, s21
	s_add_i32 s25, s3, s20
	s_mul_i32 s24, s22, s21
	s_lshl_b64 s[24:25], s[24:25], 2
	s_lshl_b64 s[14:15], s[14:15], 2
	s_add_u32 s3, s24, s14
	s_addc_u32 s14, s25, s15
	s_waitcnt lgkmcnt(0)
	s_add_u32 s12, s12, s3
	v_mov_b32_e32 v3, 0
	s_addc_u32 s13, s13, s14
	v_lshl_add_u64 v[4:5], s[12:13], 0, v[2:3]
	s_lshl_b64 s[12:13], s[22:23], 2
	s_sub_i32 s3, s17, s21
	v_lshl_or_b32 v1, s21, 7, v2
.LBB39_7:                               ; =>This Inner Loop Header: Depth=1
	flat_load_dword v3, v[4:5]
	s_add_i32 s3, s3, -1
	v_lshl_add_u64 v[4:5], v[4:5], 0, s[12:13]
	s_cmp_eq_u32 s3, 0
	s_waitcnt vmcnt(0) lgkmcnt(0)
	ds_write_b32 v1, v3
	v_add_u32_e32 v1, 0x80, v1
	s_cbranch_scc0 .LBB39_7
.LBB39_8:
	v_lshlrev_b32_e32 v1, 7, v0
	s_cmpk_lg_i32 s5, 0x84
	v_mov_b32_e32 v3, 1.0
	v_add_u32_e32 v1, v2, v1
	s_cbranch_scc0 .LBB39_10
; %bb.9:
	ds_read_b32 v2, v1
	s_waitcnt lgkmcnt(0)
	v_div_scale_f32 v3, s[12:13], v2, v2, 1.0
	v_rcp_f32_e32 v4, v3
	v_div_scale_f32 v5, vcc, 1.0, v2, 1.0
	v_fma_f32 v6, -v3, v4, 1.0
	v_fmac_f32_e32 v4, v6, v4
	v_mul_f32_e32 v6, v5, v4
	v_fma_f32 v7, -v3, v6, v5
	v_fmac_f32_e32 v6, v7, v4
	v_fma_f32 v3, -v3, v6, v5
	v_div_fmas_f32 v3, v3, v4, v6
	v_div_fixup_f32 v3, v3, v2, 1.0
.LBB39_10:
	ds_write_b32 v1, v3
.LBB39_11:
	s_or_b64 exec, exec, s[18:19]
	s_load_dword s3, s[0:1], 0x60
	s_waitcnt lgkmcnt(0)
	; wave barrier
	s_add_i32 s5, s3, -1
	s_lshl_b32 s3, s2, 5
	s_sub_i32 s7, s7, s3
	s_cmp_ge_u32 s2, s5
	s_cselect_b32 s2, s7, 32
	v_cmp_gt_i32_e32 vcc, s2, v0
	s_and_saveexec_b64 s[12:13], vcc
	s_cbranch_execz .LBB39_123
; %bb.12:
	s_load_dword s2, s[0:1], 0x48
	s_lshl_b64 s[0:1], s[10:11], 2
	s_add_u32 s0, s8, s0
	v_add_u32_e32 v0, s3, v0
	s_addc_u32 s1, s9, s1
	s_waitcnt lgkmcnt(0)
	v_mad_i64_i32 v[0:1], s[2:3], s2, v0, 0
	v_lshl_add_u64 v[54:55], v[0:1], 2, s[0:1]
	s_cmpk_eq_i32 s4, 0x6f
	s_mov_b64 s[0:1], -1
	s_cbranch_scc1 .LBB39_101
; %bb.13:
	s_add_i32 s7, s17, -1
	s_cmp_gt_i32 s6, 31
	s_mov_b32 s1, 0
	s_cbranch_scc0 .LBB39_23
; %bb.14:
	flat_load_dwordx4 v[0:3], v[54:55] offset:112
	flat_load_dwordx4 v[4:7], v[54:55] offset:96
	;; [unrolled: 1-line block ×7, first 2 shown]
	flat_load_dwordx4 v[28:31], v[54:55]
	s_movk_i32 s10, 0xffc
	s_mov_b64 s[2:3], 0
	s_movk_i32 s11, 0xf7c
	s_waitcnt vmcnt(0) lgkmcnt(0)
	v_pk_mul_f32 v[2:3], s[16:17], v[2:3] op_sel_hi:[0,1]
	v_pk_mul_f32 v[32:33], s[16:17], v[0:1] op_sel_hi:[0,1]
	;; [unrolled: 1-line block ×16, first 2 shown]
	v_mov_b32_e32 v0, v3
	v_mov_b32_e32 v1, v2
	;; [unrolled: 1-line block ×32, first 2 shown]
.LBB39_15:                              ; =>This Loop Header: Depth=1
                                        ;     Child Loop BB39_17 Depth 2
                                        ;     Child Loop BB39_20 Depth 2
	s_cmp_eq_u32 s2, 0
	s_cbranch_scc1 .LBB39_18
; %bb.16:                               ;   in Loop: Header=BB39_15 Depth=1
	s_mov_b64 s[4:5], s[2:3]
	s_sub_i32 s0, 31, s2
	s_mov_b64 s[8:9], 0
	s_mov_b32 s5, s10
.LBB39_17:                              ;   Parent Loop BB39_15 Depth=1
                                        ; =>  This Inner Loop Header: Depth=2
	v_mov_b32_e32 v33, s5
	s_set_gpr_idx_on s8, gpr_idx(SRC0)
	v_mov_b32_e32 v32, v0
	s_set_gpr_idx_off
	ds_read_b32 v33, v33
	s_add_i32 s5, s5, -4
	s_add_u32 s8, s8, 1
	s_addc_u32 s9, s9, 0
	s_set_gpr_idx_on s2, gpr_idx(SRC0)
	v_mov_b32_e32 v34, v0
	s_set_gpr_idx_off
	s_cmp_eq_u32 s2, s8
	s_waitcnt lgkmcnt(0)
	v_fma_f32 v32, -v32, v33, v34
	s_set_gpr_idx_on s2, gpr_idx(DST)
	v_mov_b32_e32 v0, v32
	s_set_gpr_idx_off
	s_cbranch_scc0 .LBB39_17
	s_branch .LBB39_19
.LBB39_18:                              ;   in Loop: Header=BB39_15 Depth=1
	s_mov_b32 s0, 31
	s_mov_b64 s[4:5], 0
.LBB39_19:                              ;   in Loop: Header=BB39_15 Depth=1
	s_mul_i32 s5, s0, 0x84
	v_mov_b32_e32 v32, s5
	ds_read_b32 v34, v32
	s_lshl_b32 s0, s0, 2
	s_set_gpr_idx_on s4, gpr_idx(SRC0)
	v_mov_b32_e32 v35, v0
	s_set_gpr_idx_off
	v_lshl_add_u64 v[32:33], v[54:55], 0, s[0:1]
	s_or_b32 s0, s2, 1
	s_waitcnt lgkmcnt(0)
	v_mul_f32_e32 v34, v35, v34
	flat_store_dword v[32:33], v34
	s_set_gpr_idx_on s4, gpr_idx(DST)
	v_mov_b32_e32 v0, v34
	s_set_gpr_idx_off
	s_add_u32 s8, s2, 1
	s_mov_b64 s[4:5], 0
	s_mov_b32 s9, s11
.LBB39_20:                              ;   Parent Loop BB39_15 Depth=1
                                        ; =>  This Inner Loop Header: Depth=2
	v_mov_b32_e32 v33, s9
	s_set_gpr_idx_on s4, gpr_idx(SRC0)
	v_mov_b32_e32 v32, v0
	s_set_gpr_idx_off
	ds_read_b32 v33, v33
	s_add_i32 s9, s9, -4
	s_add_u32 s4, s4, 1
	s_set_gpr_idx_on s0, gpr_idx(SRC0)
	v_mov_b32_e32 v34, v0
	s_set_gpr_idx_off
	s_addc_u32 s5, s5, 0
	s_waitcnt lgkmcnt(0)
	v_fma_f32 v32, -v32, v33, v34
	s_cmp_lg_u32 s8, s4
	s_set_gpr_idx_on s0, gpr_idx(DST)
	v_mov_b32_e32 v0, v32
	s_set_gpr_idx_off
	s_cbranch_scc1 .LBB39_20
; %bb.21:                               ;   in Loop: Header=BB39_15 Depth=1
	s_sub_i32 s4, 31, s0
	s_lshl_b32 s5, s4, 7
	s_lshl_b32 s4, s4, 2
	s_or_b32 s4, s5, s4
	v_mov_b32_e32 v33, s4
	ds_read_b32 v33, v33
	s_bfe_i64 s[4:5], s[0:1], 0x200000
	s_lshl_b64 s[4:5], s[4:5], 2
	s_add_u32 s2, s2, 2
	v_mov_b32_e32 v34, s5
	s_waitcnt lgkmcnt(0)
	v_mul_f32_e32 v35, v32, v33
	v_subrev_co_u32_e32 v32, vcc, s4, v54
	s_addc_u32 s3, s3, 0
	s_addk_i32 s10, 0xff00
	s_addk_i32 s11, 0xff00
	v_subb_co_u32_e32 v33, vcc, v55, v34, vcc
	s_cmp_eq_u32 s2, 32
	s_set_gpr_idx_on s0, gpr_idx(DST)
	v_mov_b32_e32 v0, v35
	s_set_gpr_idx_off
	flat_store_dword v[32:33], v35 offset:124
	s_cbranch_scc0 .LBB39_15
; %bb.22:
	s_mov_b32 s0, -1
	s_cmp_gt_i32 s0, -1
	s_cbranch_scc1 .LBB39_24
	s_branch .LBB39_100
.LBB39_23:
	v_mov_b32_e32 v28, 0
	v_mov_b32_e32 v29, v28
	;; [unrolled: 1-line block ×4, first 2 shown]
	s_mov_b32 s0, s7
	s_cmp_gt_i32 s0, -1
	s_cbranch_scc0 .LBB39_100
.LBB39_24:
	s_cmp_lt_u32 s0, 27
	s_cbranch_scc1 .LBB39_83
; %bb.25:
	s_mov_b32 s3, 0
	s_mov_b32 s1, s3
	v_lshl_add_u64 v[32:33], s[0:1], 2, v[54:55]
	v_add_co_u32_e32 v0, vcc, -12, v32
	s_cmp_le_i32 s7, s0
	s_nop 0
	v_addc_co_u32_e32 v1, vcc, -1, v33, vcc
	v_add_co_u32_e32 v4, vcc, 0xffffffe4, v32
	flat_load_dwordx4 v[0:3], v[0:1]
	s_nop 0
	v_addc_co_u32_e32 v5, vcc, -1, v33, vcc
	v_add_co_u32_e32 v8, vcc, 0xffffffd4, v32
	flat_load_dwordx4 v[4:7], v[4:5]
	;; [unrolled: 4-line block ×6, first 2 shown]
	s_nop 0
	v_addc_co_u32_e32 v25, vcc, -1, v33, vcc
	flat_load_dwordx4 v[24:27], v[24:25]
	s_waitcnt vmcnt(0) lgkmcnt(0)
	v_pk_mul_f32 v[2:3], s[16:17], v[2:3] op_sel_hi:[0,1]
	v_pk_mul_f32 v[34:35], s[16:17], v[0:1] op_sel_hi:[0,1]
	v_mov_b32_e32 v0, v3
	v_mov_b32_e32 v1, v2
	v_mov_b32_e32 v2, v35
	v_pk_mul_f32 v[6:7], s[16:17], v[6:7] op_sel_hi:[0,1]
	v_pk_mul_f32 v[36:37], s[16:17], v[4:5] op_sel_hi:[0,1]
	v_mov_b32_e32 v3, v34
	v_mov_b32_e32 v4, v7
	v_mov_b32_e32 v5, v6
	;; [unrolled: 5-line block ×5, first 2 shown]
	v_mov_b32_e32 v15, v36
	v_pk_mul_f32 v[22:23], s[16:17], v[22:23] op_sel_hi:[0,1]
	v_pk_mul_f32 v[36:37], s[16:17], v[20:21] op_sel_hi:[0,1]
	v_mov_b32_e32 v16, v19
	v_mov_b32_e32 v17, v18
	;; [unrolled: 1-line block ×4, first 2 shown]
	v_pk_mul_f32 v[26:27], s[16:17], v[26:27] op_sel_hi:[0,1]
	v_pk_mul_f32 v[34:35], s[16:17], v[24:25] op_sel_hi:[0,1]
	v_mov_b32_e32 v20, v23
	v_mov_b32_e32 v21, v22
	v_mov_b32_e32 v22, v37
	v_mov_b32_e32 v23, v36
	v_mov_b32_e32 v24, v27
	v_mov_b32_e32 v25, v26
	v_mov_b32_e32 v26, v35
	v_mov_b32_e32 v27, v34
	s_cbranch_scc1 .LBB39_28
; %bb.26:
	s_lshl_b32 s1, s0, 7
	s_lshl_b32 s2, s17, 2
	s_add_i32 s1, s1, s2
	s_addk_i32 s1, 0xf27c
	s_mov_b32 s2, s7
.LBB39_27:                              ; =>This Inner Loop Header: Depth=1
	v_lshl_add_u64 v[34:35], s[2:3], 2, v[54:55]
	flat_load_dword v34, v[34:35]
	v_mov_b32_e32 v35, s1
	v_add_u32_e32 v36, 0xc00, v35
	v_add_u32_e32 v37, 0x800, v35
	v_add_u32_e32 v38, 0x400, v35
	ds_read2_b32 v[40:41], v35 offset0:192 offset1:224
	ds_read2_b32 v[42:43], v35 offset0:128 offset1:160
	;; [unrolled: 1-line block ×3, first 2 shown]
	ds_read2_b32 v[46:47], v35 offset1:32
	ds_read2_b32 v[48:49], v36 offset0:64 offset1:96
	ds_read2_b32 v[50:51], v36 offset1:32
	ds_read2_b32 v[52:53], v37 offset0:192 offset1:224
	ds_read2_b32 v[56:57], v37 offset0:128 offset1:160
	;; [unrolled: 1-line block ×3, first 2 shown]
	ds_read2_b32 v[60:61], v37 offset1:32
	ds_read2_b32 v[62:63], v38 offset0:192 offset1:224
	ds_read2_b32 v[64:65], v38 offset0:128 offset1:160
	;; [unrolled: 1-line block ×3, first 2 shown]
	ds_read2_b32 v[68:69], v38 offset1:32
	s_add_i32 s2, s2, -1
	s_add_i32 s1, s1, -4
	s_waitcnt lgkmcnt(0)
	v_mov_b32_e32 v36, v41
	v_mov_b32_e32 v37, v40
	;; [unrolled: 1-line block ×28, first 2 shown]
	s_cmp_gt_i32 s2, s0
	s_waitcnt vmcnt(0)
	v_pk_fma_f32 v[0:1], v[34:35], v[44:45], v[0:1] op_sel_hi:[0,1,1] neg_lo:[1,0,0] neg_hi:[1,0,0]
	v_pk_fma_f32 v[2:3], v[34:35], v[46:47], v[2:3] op_sel_hi:[0,1,1] neg_lo:[1,0,0] neg_hi:[1,0,0]
	;; [unrolled: 1-line block ×14, first 2 shown]
	s_cbranch_scc1 .LBB39_27
.LBB39_28:
	s_mul_i32 s4, s0, 0x84
	v_mov_b32_e32 v34, s4
	ds_read_b32 v34, v34
	s_add_i32 s1, s4, 0xffffff80
	s_mov_b64 s[2:3], 0
	s_waitcnt lgkmcnt(0)
	v_mul_f32_e32 v0, v0, v34
	flat_store_dword v[32:33], v0
.LBB39_29:                              ; =>This Inner Loop Header: Depth=1
	v_mov_b32_e32 v33, s1
	s_set_gpr_idx_on s2, gpr_idx(SRC0)
	v_mov_b32_e32 v32, v0
	s_set_gpr_idx_off
	ds_read_b32 v33, v33
	s_add_u32 s2, s2, 1
	s_addc_u32 s3, s3, 0
	s_add_i32 s1, s1, -4
	s_cmp_lg_u32 s2, 1
	s_waitcnt lgkmcnt(0)
	v_fma_f32 v1, -v32, v33, v1
	s_cbranch_scc1 .LBB39_29
; %bb.30:
	s_add_i32 s5, s4, 0xffffff7c
	v_mov_b32_e32 v32, s5
	ds_read_b32 v34, v32
	s_ashr_i32 s1, s0, 31
	v_lshl_add_u64 v[32:33], s[0:1], 2, v[54:55]
	v_add_co_u32_e32 v32, vcc, -4, v32
	s_waitcnt lgkmcnt(0)
	v_mul_f32_e32 v1, v1, v34
	v_addc_co_u32_e32 v33, vcc, -1, v33, vcc
	s_add_i32 s8, s4, 0xffffff00
	s_mov_b64 s[2:3], 0
	flat_store_dword v[32:33], v1
.LBB39_31:                              ; =>This Inner Loop Header: Depth=1
	v_mov_b32_e32 v33, s8
	s_set_gpr_idx_on s2, gpr_idx(SRC0)
	v_mov_b32_e32 v32, v0
	s_set_gpr_idx_off
	ds_read_b32 v33, v33
	s_add_u32 s2, s2, 1
	s_addc_u32 s3, s3, 0
	s_add_i32 s8, s8, -4
	s_cmp_lg_u32 s2, 2
	s_waitcnt lgkmcnt(0)
	v_fma_f32 v2, -v32, v33, v2
	s_cbranch_scc1 .LBB39_31
; %bb.32:
	s_addk_i32 s5, 0xff7c
	v_mov_b32_e32 v32, s5
	ds_read_b32 v34, v32
	v_lshl_add_u64 v[32:33], s[0:1], 2, v[54:55]
	v_add_co_u32_e32 v32, vcc, -8, v32
	s_add_i32 s8, s4, 0xfffffe80
	s_waitcnt lgkmcnt(0)
	v_mul_f32_e32 v2, v2, v34
	v_addc_co_u32_e32 v33, vcc, -1, v33, vcc
	s_mov_b64 s[2:3], 0
	flat_store_dword v[32:33], v2
.LBB39_33:                              ; =>This Inner Loop Header: Depth=1
	v_mov_b32_e32 v33, s8
	s_set_gpr_idx_on s2, gpr_idx(SRC0)
	v_mov_b32_e32 v32, v0
	s_set_gpr_idx_off
	ds_read_b32 v33, v33
	s_add_u32 s2, s2, 1
	s_addc_u32 s3, s3, 0
	s_add_i32 s8, s8, -4
	s_cmp_lg_u32 s2, 3
	s_waitcnt lgkmcnt(0)
	v_fma_f32 v3, -v32, v33, v3
	s_cbranch_scc1 .LBB39_33
; %bb.34:
	s_addk_i32 s5, 0xff7c
	v_mov_b32_e32 v32, s5
	ds_read_b32 v34, v32
	v_lshl_add_u64 v[32:33], s[0:1], 2, v[54:55]
	v_add_co_u32_e32 v32, vcc, -12, v32
	s_add_i32 s8, s4, 0xfffffe00
	s_waitcnt lgkmcnt(0)
	v_mul_f32_e32 v3, v3, v34
	v_addc_co_u32_e32 v33, vcc, -1, v33, vcc
	s_mov_b64 s[2:3], 0
	flat_store_dword v[32:33], v3
.LBB39_35:                              ; =>This Inner Loop Header: Depth=1
	v_mov_b32_e32 v33, s8
	s_set_gpr_idx_on s2, gpr_idx(SRC0)
	v_mov_b32_e32 v32, v0
	s_set_gpr_idx_off
	ds_read_b32 v33, v33
	s_add_u32 s2, s2, 1
	s_addc_u32 s3, s3, 0
	s_add_i32 s8, s8, -4
	s_cmp_lg_u32 s2, 4
	s_waitcnt lgkmcnt(0)
	v_fma_f32 v4, -v32, v33, v4
	s_cbranch_scc1 .LBB39_35
; %bb.36:
	s_addk_i32 s5, 0xff7c
	v_mov_b32_e32 v32, s5
	ds_read_b32 v34, v32
	v_lshl_add_u64 v[32:33], s[0:1], 2, v[54:55]
	v_add_co_u32_e32 v32, vcc, -16, v32
	s_add_i32 s8, s4, 0xfffffd80
	s_waitcnt lgkmcnt(0)
	v_mul_f32_e32 v4, v4, v34
	v_addc_co_u32_e32 v33, vcc, -1, v33, vcc
	s_mov_b64 s[2:3], 0
	flat_store_dword v[32:33], v4
.LBB39_37:                              ; =>This Inner Loop Header: Depth=1
	v_mov_b32_e32 v33, s8
	s_set_gpr_idx_on s2, gpr_idx(SRC0)
	v_mov_b32_e32 v32, v0
	s_set_gpr_idx_off
	ds_read_b32 v33, v33
	s_add_u32 s2, s2, 1
	s_addc_u32 s3, s3, 0
	s_add_i32 s8, s8, -4
	s_cmp_lg_u32 s2, 5
	s_waitcnt lgkmcnt(0)
	v_fma_f32 v5, -v32, v33, v5
	s_cbranch_scc1 .LBB39_37
; %bb.38:
	s_addk_i32 s5, 0xff7c
	v_mov_b32_e32 v32, s5
	ds_read_b32 v34, v32
	v_lshl_add_u64 v[32:33], s[0:1], 2, v[54:55]
	v_add_co_u32_e32 v32, vcc, 0xffffffec, v32
	s_add_i32 s8, s4, 0xfffffd00
	s_waitcnt lgkmcnt(0)
	v_mul_f32_e32 v5, v5, v34
	v_addc_co_u32_e32 v33, vcc, -1, v33, vcc
	s_mov_b64 s[2:3], 0
	flat_store_dword v[32:33], v5
.LBB39_39:                              ; =>This Inner Loop Header: Depth=1
	v_mov_b32_e32 v33, s8
	s_set_gpr_idx_on s2, gpr_idx(SRC0)
	v_mov_b32_e32 v32, v0
	s_set_gpr_idx_off
	ds_read_b32 v33, v33
	s_add_u32 s2, s2, 1
	s_addc_u32 s3, s3, 0
	s_add_i32 s8, s8, -4
	s_cmp_lg_u32 s2, 6
	s_waitcnt lgkmcnt(0)
	v_fma_f32 v6, -v32, v33, v6
	s_cbranch_scc1 .LBB39_39
; %bb.40:
	s_addk_i32 s5, 0xff7c
	v_mov_b32_e32 v32, s5
	ds_read_b32 v34, v32
	v_lshl_add_u64 v[32:33], s[0:1], 2, v[54:55]
	v_add_co_u32_e32 v32, vcc, 0xffffffe8, v32
	s_add_i32 s8, s4, 0xfffffc80
	s_waitcnt lgkmcnt(0)
	v_mul_f32_e32 v6, v6, v34
	v_addc_co_u32_e32 v33, vcc, -1, v33, vcc
	;; [unrolled: 25-line block ×21, first 2 shown]
	s_mov_b64 s[2:3], 0
	flat_store_dword v[32:33], v25
.LBB39_79:                              ; =>This Inner Loop Header: Depth=1
	v_mov_b32_e32 v33, s8
	s_set_gpr_idx_on s2, gpr_idx(SRC0)
	v_mov_b32_e32 v32, v0
	s_set_gpr_idx_off
	ds_read_b32 v33, v33
	s_add_u32 s2, s2, 1
	s_addc_u32 s3, s3, 0
	s_add_i32 s8, s8, -4
	s_cmp_lg_u32 s2, 26
	s_waitcnt lgkmcnt(0)
	v_fma_f32 v26, -v32, v33, v26
	s_cbranch_scc1 .LBB39_79
; %bb.80:
	s_addk_i32 s5, 0xff7c
	v_mov_b32_e32 v32, s5
	ds_read_b32 v34, v32
	v_lshl_add_u64 v[32:33], s[0:1], 2, v[54:55]
	v_add_co_u32_e32 v32, vcc, 0xffffff98, v32
	s_addk_i32 s4, 0xf280
	s_waitcnt lgkmcnt(0)
	v_mul_f32_e32 v26, v26, v34
	v_addc_co_u32_e32 v33, vcc, -1, v33, vcc
	s_mov_b64 s[2:3], 0
	flat_store_dword v[32:33], v26
.LBB39_81:                              ; =>This Inner Loop Header: Depth=1
	v_mov_b32_e32 v33, s4
	s_set_gpr_idx_on s2, gpr_idx(SRC0)
	v_mov_b32_e32 v32, v0
	s_set_gpr_idx_off
	ds_read_b32 v33, v33
	s_add_u32 s2, s2, 1
	s_addc_u32 s3, s3, 0
	s_add_i32 s4, s4, -4
	s_cmp_lg_u32 s2, 27
	s_waitcnt lgkmcnt(0)
	v_fma_f32 v27, -v32, v33, v27
	s_cbranch_scc1 .LBB39_81
; %bb.82:
	s_add_i32 s2, s5, 0xffffff7c
	v_mov_b32_e32 v0, s2
	ds_read_b32 v2, v0
	v_lshl_add_u64 v[0:1], s[0:1], 2, v[54:55]
	v_add_co_u32_e32 v0, vcc, 0xffffff94, v0
	s_sub_i32 s0, s0, 28
	s_waitcnt lgkmcnt(0)
	v_mul_f32_e32 v2, v27, v2
	v_addc_co_u32_e32 v1, vcc, -1, v1, vcc
	flat_store_dword v[0:1], v2
.LBB39_83:
	s_cmp_lt_i32 s0, 0
	s_cbranch_scc1 .LBB39_100
; %bb.84:
	s_and_b32 s1, s0, 3
	s_cmp_eq_u32 s1, 3
	s_mov_b32 s2, s0
	s_cbranch_scc1 .LBB39_89
; %bb.85:
	s_lshl_b32 s2, s0, 7
	s_lshl_b32 s3, s17, 2
	s_add_i32 s1, s0, 1
	s_add_i32 s2, s2, s3
	s_and_b32 s1, s1, 3
	s_add_i32 s8, s2, -4
	s_mov_b32 s5, 0
	s_mov_b32 s2, s0
	;; [unrolled: 1-line block ×3, first 2 shown]
	s_branch .LBB39_87
.LBB39_86:                              ;   in Loop: Header=BB39_87 Depth=1
	s_mul_i32 s3, s2, 0x84
	v_mov_b32_e32 v1, s3
	ds_read_b32 v1, v1
	s_add_i32 s2, s2, -1
	s_add_i32 s9, s9, 1
	s_addk_i32 s8, 0xff80
	s_cmp_lg_u32 s9, s1
	s_waitcnt lgkmcnt(0)
	v_mul_f32_e32 v0, v0, v1
	flat_store_dword v[2:3], v0
	s_cbranch_scc0 .LBB39_89
.LBB39_87:                              ; =>This Loop Header: Depth=1
                                        ;     Child Loop BB39_88 Depth 2
	s_mov_b32 s3, s5
	v_lshl_add_u64 v[2:3], s[2:3], 2, v[54:55]
	flat_load_dword v0, v[2:3]
	s_cmp_le_i32 s7, s2
	s_mov_b32 s3, s8
	s_mov_b32 s4, s7
	s_waitcnt vmcnt(0) lgkmcnt(0)
	v_mul_f32_e32 v0, s16, v0
	s_cbranch_scc1 .LBB39_86
.LBB39_88:                              ;   Parent Loop BB39_87 Depth=1
                                        ; =>  This Inner Loop Header: Depth=2
	v_lshl_add_u64 v[4:5], s[4:5], 2, v[54:55]
	flat_load_dword v1, v[4:5]
	v_mov_b32_e32 v4, s3
	ds_read_b32 v4, v4
	s_add_i32 s4, s4, -1
	s_add_i32 s3, s3, -4
	s_cmp_gt_i32 s4, s2
	s_waitcnt vmcnt(0) lgkmcnt(0)
	v_fma_f32 v0, -v1, v4, v0
	s_cbranch_scc1 .LBB39_88
	s_branch .LBB39_86
.LBB39_89:
	s_cmp_lt_u32 s0, 3
	s_cbranch_scc1 .LBB39_100
; %bb.90:
	s_lshl_b32 s0, s2, 7
	s_lshl_b32 s1, s17, 2
	s_add_i32 s0, s0, s1
	s_add_i32 s8, s0, -4
	s_add_i32 s9, s0, 0xffffff7c
	s_add_i32 s10, s0, 0xfffffefc
	;; [unrolled: 1-line block ×3, first 2 shown]
	s_mov_b32 s1, 0
	s_branch .LBB39_92
.LBB39_91:                              ;   in Loop: Header=BB39_92 Depth=1
	s_add_i32 s0, s3, 0xffffff7c
	v_mov_b32_e32 v1, s0
	ds_read_b32 v1, v1
	s_add_i32 s0, s2, -4
	s_addk_i32 s8, 0xfe00
	s_addk_i32 s9, 0xfe00
	;; [unrolled: 1-line block ×4, first 2 shown]
	s_waitcnt lgkmcnt(0)
	v_mul_f32_e32 v0, v0, v1
	s_cmp_lt_i32 s2, 4
	s_mov_b32 s2, s0
	flat_store_dword v[2:3], v0
	s_cbranch_scc1 .LBB39_100
.LBB39_92:                              ; =>This Loop Header: Depth=1
                                        ;     Child Loop BB39_93 Depth 2
                                        ;     Child Loop BB39_95 Depth 2
	;; [unrolled: 1-line block ×4, first 2 shown]
	s_mov_b32 s3, s1
	v_lshl_add_u64 v[4:5], s[2:3], 2, v[54:55]
	flat_load_dword v0, v[4:5]
	s_cmp_le_i32 s7, s2
	s_mov_b32 s3, s8
	s_mov_b32 s0, s7
	s_waitcnt vmcnt(0) lgkmcnt(0)
	v_mul_f32_e32 v0, s16, v0
	s_cbranch_scc1 .LBB39_94
.LBB39_93:                              ;   Parent Loop BB39_92 Depth=1
                                        ; =>  This Inner Loop Header: Depth=2
	v_lshl_add_u64 v[2:3], s[0:1], 2, v[54:55]
	flat_load_dword v1, v[2:3]
	v_mov_b32_e32 v2, s3
	ds_read_b32 v2, v2
	s_add_i32 s0, s0, -1
	s_add_i32 s3, s3, -4
	s_cmp_gt_i32 s0, s2
	s_waitcnt vmcnt(0) lgkmcnt(0)
	v_fma_f32 v0, -v1, v2, v0
	s_cbranch_scc1 .LBB39_93
.LBB39_94:                              ;   in Loop: Header=BB39_92 Depth=1
	s_add_i32 s0, s2, -1
	v_lshl_add_u64 v[2:3], s[0:1], 2, v[54:55]
	flat_load_dword v1, v[2:3]
	s_mul_i32 s3, s2, 0x84
	v_mov_b32_e32 v6, s3
	ds_read_b32 v6, v6
	s_mov_b32 s4, s9
	s_cmp_le_i32 s17, s2
	s_mov_b32 s0, s17
	s_waitcnt lgkmcnt(0)
	v_mul_f32_e32 v0, v0, v6
	flat_store_dword v[4:5], v0
	s_waitcnt vmcnt(0)
	v_mul_f32_e32 v0, s16, v1
	s_cbranch_scc1 .LBB39_96
.LBB39_95:                              ;   Parent Loop BB39_92 Depth=1
                                        ; =>  This Inner Loop Header: Depth=2
	s_add_i32 s0, s0, -1
	v_lshl_add_u64 v[4:5], s[0:1], 2, v[54:55]
	flat_load_dword v1, v[4:5]
	v_mov_b32_e32 v4, s4
	ds_read_b32 v4, v4
	s_add_i32 s4, s4, -4
	s_cmp_gt_i32 s0, s2
	s_waitcnt vmcnt(0) lgkmcnt(0)
	v_fma_f32 v0, -v1, v4, v0
	s_cbranch_scc1 .LBB39_95
.LBB39_96:                              ;   in Loop: Header=BB39_92 Depth=1
	s_add_i32 s4, s2, -2
	s_mov_b32 s5, s1
	v_lshl_add_u64 v[4:5], s[4:5], 2, v[54:55]
	flat_load_dword v1, v[4:5]
	s_addk_i32 s3, 0xff7c
	v_mov_b32_e32 v6, s3
	ds_read_b32 v6, v6
	s_mov_b32 s5, s10
	s_cmp_le_i32 s7, s4
	s_mov_b32 s0, s7
	s_waitcnt lgkmcnt(0)
	v_mul_f32_e32 v0, v0, v6
	flat_store_dword v[2:3], v0
	s_waitcnt vmcnt(0)
	v_mul_f32_e32 v0, s16, v1
	s_cbranch_scc1 .LBB39_98
.LBB39_97:                              ;   Parent Loop BB39_92 Depth=1
                                        ; =>  This Inner Loop Header: Depth=2
	v_lshl_add_u64 v[2:3], s[0:1], 2, v[54:55]
	flat_load_dword v1, v[2:3]
	v_mov_b32_e32 v2, s5
	ds_read_b32 v2, v2
	s_add_i32 s0, s0, -1
	s_add_i32 s5, s5, -4
	s_cmp_gt_i32 s0, s4
	s_waitcnt vmcnt(0) lgkmcnt(0)
	v_fma_f32 v0, -v1, v2, v0
	s_cbranch_scc1 .LBB39_97
.LBB39_98:                              ;   in Loop: Header=BB39_92 Depth=1
	s_add_i32 s4, s2, -3
	s_mov_b32 s5, s1
	v_lshl_add_u64 v[2:3], s[4:5], 2, v[54:55]
	flat_load_dword v1, v[2:3]
	s_addk_i32 s3, 0xff7c
	v_mov_b32_e32 v6, s3
	ds_read_b32 v6, v6
	s_mov_b32 s5, s11
	s_cmp_le_i32 s7, s4
	s_mov_b32 s0, s7
	s_waitcnt lgkmcnt(0)
	v_mul_f32_e32 v0, v0, v6
	flat_store_dword v[4:5], v0
	s_waitcnt vmcnt(0)
	v_mul_f32_e32 v0, s16, v1
	s_cbranch_scc1 .LBB39_91
.LBB39_99:                              ;   Parent Loop BB39_92 Depth=1
                                        ; =>  This Inner Loop Header: Depth=2
	v_lshl_add_u64 v[4:5], s[0:1], 2, v[54:55]
	flat_load_dword v1, v[4:5]
	v_mov_b32_e32 v4, s5
	ds_read_b32 v4, v4
	s_add_i32 s0, s0, -1
	s_add_i32 s5, s5, -4
	s_cmp_gt_i32 s0, s4
	s_waitcnt vmcnt(0) lgkmcnt(0)
	v_fma_f32 v0, -v1, v4, v0
	s_cbranch_scc1 .LBB39_99
	s_branch .LBB39_91
.LBB39_100:
	s_mov_b64 s[0:1], 0
.LBB39_101:
	s_and_b64 vcc, exec, s[0:1]
	s_cbranch_vccz .LBB39_123
; %bb.102:
	s_cmp_gt_i32 s6, 31
	s_cselect_b64 s[2:3], -1, 0
	s_mov_b32 s0, 0
	s_and_b64 vcc, exec, s[2:3]
	s_cbranch_vccz .LBB39_112
; %bb.103:
	flat_load_dwordx4 v[0:3], v[54:55] offset:112
	flat_load_dwordx4 v[4:7], v[54:55] offset:96
	;; [unrolled: 1-line block ×7, first 2 shown]
	flat_load_dwordx4 v[44:47], v[54:55]
	s_mov_b32 s1, 0
	s_mov_b64 s[4:5], 0
	s_mov_b32 s10, 0
	s_waitcnt vmcnt(0) lgkmcnt(0)
	v_pk_mul_f32 v[30:31], s[16:17], v[2:3] op_sel_hi:[0,1]
	v_pk_mul_f32 v[26:27], s[16:17], v[6:7] op_sel_hi:[0,1]
	;; [unrolled: 1-line block ×16, first 2 shown]
.LBB39_104:                             ; =>This Loop Header: Depth=1
                                        ;     Child Loop BB39_106 Depth 2
                                        ;     Child Loop BB39_109 Depth 2
	s_cmp_eq_u32 s4, 0
	s_cbranch_scc1 .LBB39_107
; %bb.105:                              ;   in Loop: Header=BB39_104 Depth=1
	s_mov_b32 s0, s4
	s_mov_b64 s[8:9], 0
	s_mov_b64 s[6:7], s[0:1]
	s_mov_b32 s11, s10
.LBB39_106:                             ;   Parent Loop BB39_104 Depth=1
                                        ; =>  This Inner Loop Header: Depth=2
	v_mov_b32_e32 v33, s11
	s_set_gpr_idx_on s8, gpr_idx(SRC0)
	v_mov_b32_e32 v32, v0
	s_set_gpr_idx_off
	ds_read_b32 v33, v33
	s_addk_i32 s11, 0x80
	s_add_u32 s8, s8, 1
	s_addc_u32 s9, s9, 0
	s_set_gpr_idx_on s0, gpr_idx(SRC0)
	v_mov_b32_e32 v34, v0
	s_set_gpr_idx_off
	s_cmp_eq_u32 s4, s8
	s_waitcnt lgkmcnt(0)
	v_fma_f32 v32, -v32, v33, v34
	s_set_gpr_idx_on s0, gpr_idx(DST)
	v_mov_b32_e32 v0, v32
	s_set_gpr_idx_off
	s_cbranch_scc0 .LBB39_106
	s_branch .LBB39_108
.LBB39_107:                             ;   in Loop: Header=BB39_104 Depth=1
	s_mov_b64 s[6:7], 0
.LBB39_108:                             ;   in Loop: Header=BB39_104 Depth=1
	s_lshl_b32 s8, s4, 2
	s_lshl_b32 s0, s4, 7
	s_add_i32 s8, s8, s0
	v_mov_b32_e32 v32, s8
	ds_read_b32 v34, v32
	s_set_gpr_idx_on s6, gpr_idx(SRC0)
	v_mov_b32_e32 v35, v0
	s_set_gpr_idx_off
	v_lshl_add_u64 v[32:33], s[6:7], 2, v[54:55]
	s_or_b32 s0, s4, 1
	s_add_u32 s9, s4, 1
	s_waitcnt lgkmcnt(0)
	v_mul_f32_e32 v34, v35, v34
	flat_store_dword v[32:33], v34
	s_set_gpr_idx_on s6, gpr_idx(DST)
	v_mov_b32_e32 v0, v34
	s_set_gpr_idx_off
	s_mov_b64 s[6:7], 0
	s_mov_b32 s11, 4
.LBB39_109:                             ;   Parent Loop BB39_104 Depth=1
                                        ; =>  This Inner Loop Header: Depth=2
	s_add_i32 s12, s10, s11
	v_mov_b32_e32 v35, s12
	s_set_gpr_idx_on s6, gpr_idx(SRC0)
	v_mov_b32_e32 v34, v0
	s_set_gpr_idx_off
	ds_read_b32 v35, v35
	s_add_u32 s6, s6, 1
	s_set_gpr_idx_on s0, gpr_idx(SRC0)
	v_mov_b32_e32 v36, v0
	s_set_gpr_idx_off
	s_addc_u32 s7, s7, 0
	s_addk_i32 s11, 0x80
	s_cmp_lg_u32 s9, s6
	s_waitcnt lgkmcnt(0)
	v_fma_f32 v34, -v34, v35, v36
	s_set_gpr_idx_on s0, gpr_idx(DST)
	v_mov_b32_e32 v0, v34
	s_set_gpr_idx_off
	s_cbranch_scc1 .LBB39_109
; %bb.110:                              ;   in Loop: Header=BB39_104 Depth=1
	v_mov_b32_e32 v35, s8
	ds_read_b32 v35, v35 offset:132
	s_add_u32 s4, s4, 2
	s_addc_u32 s5, s5, 0
	s_add_i32 s10, s10, 8
	s_cmp_eq_u32 s4, 32
	s_waitcnt lgkmcnt(0)
	v_mul_f32_e32 v34, v34, v35
	s_set_gpr_idx_on s0, gpr_idx(DST)
	v_mov_b32_e32 v0, v34
	s_set_gpr_idx_off
	flat_store_dword v[32:33], v34 offset:4
	s_cbranch_scc0 .LBB39_104
; %bb.111:
	s_mov_b32 s0, 32
.LBB39_112:
	s_cmp_lt_i32 s0, s17
	s_cbranch_scc0 .LBB39_123
; %bb.113:
	s_or_b32 s1, s0, 27
	s_cmp_ge_u32 s1, s17
	s_cbranch_scc1 .LBB39_118
; %bb.114:
	s_lshl_b32 s4, s0, 2
	s_mov_b32 s5, 0
	v_lshl_add_u64 v[56:57], v[54:55], 0, s[4:5]
	flat_load_dwordx4 v[0:3], v[56:57]
	flat_load_dwordx4 v[4:7], v[56:57] offset:16
	flat_load_dwordx4 v[8:11], v[56:57] offset:32
	;; [unrolled: 1-line block ×6, first 2 shown]
	s_andn2_b64 vcc, exec, s[2:3]
	s_waitcnt vmcnt(0) lgkmcnt(0)
	v_pk_mul_f32 v[52:53], s[16:17], v[0:1] op_sel_hi:[0,1]
	v_pk_mul_f32 v[40:41], s[16:17], v[2:3] op_sel_hi:[0,1]
	;; [unrolled: 1-line block ×14, first 2 shown]
	s_cbranch_vccnz .LBB39_117
; %bb.115:
	v_mov_b64_e32 v[0:1], v[54:55]
	s_mov_b32 s2, s0
.LBB39_116:                             ; =>This Inner Loop Header: Depth=1
	flat_load_dword v18, v[0:1]
	v_mov_b32_e32 v19, s4
	ds_read_b128 v[2:5], v19
	ds_read_b128 v[6:9], v19 offset:16
	ds_read_b128 v[10:13], v19 offset:32
	;; [unrolled: 1-line block ×6, first 2 shown]
	s_add_i32 s2, s2, -1
	s_addk_i32 s4, 0x80
	v_lshl_add_u64 v[0:1], v[0:1], 0, 4
	s_cmp_lg_u32 s2, 0
	s_waitcnt vmcnt(0) lgkmcnt(0)
	v_pk_fma_f32 v[52:53], v[18:19], v[2:3], v[52:53] op_sel_hi:[0,1,1] neg_lo:[1,0,0] neg_hi:[1,0,0]
	v_pk_fma_f32 v[40:41], v[18:19], v[4:5], v[40:41] op_sel_hi:[0,1,1] neg_lo:[1,0,0] neg_hi:[1,0,0]
	v_pk_fma_f32 v[42:43], v[18:19], v[6:7], v[42:43] op_sel_hi:[0,1,1] neg_lo:[1,0,0] neg_hi:[1,0,0]
	v_pk_fma_f32 v[46:47], v[18:19], v[8:9], v[46:47] op_sel_hi:[0,1,1] neg_lo:[1,0,0] neg_hi:[1,0,0]
	v_pk_fma_f32 v[48:49], v[18:19], v[10:11], v[48:49] op_sel_hi:[0,1,1] neg_lo:[1,0,0] neg_hi:[1,0,0]
	v_pk_fma_f32 v[50:51], v[18:19], v[12:13], v[50:51] op_sel_hi:[0,1,1] neg_lo:[1,0,0] neg_hi:[1,0,0]
	v_pk_fma_f32 v[44:45], v[18:19], v[14:15], v[44:45] op_sel_hi:[0,1,1] neg_lo:[1,0,0] neg_hi:[1,0,0]
	v_pk_fma_f32 v[68:69], v[18:19], v[16:17], v[68:69] op_sel_hi:[0,1,1] neg_lo:[1,0,0] neg_hi:[1,0,0]
	v_pk_fma_f32 v[20:21], v[18:19], v[22:23], v[20:21] op_sel_hi:[0,1,1] neg_lo:[1,0,0] neg_hi:[1,0,0]
	v_pk_fma_f32 v[34:35], v[18:19], v[24:25], v[34:35] op_sel_hi:[0,1,1] neg_lo:[1,0,0] neg_hi:[1,0,0]
	v_pk_fma_f32 v[30:31], v[18:19], v[36:37], v[30:31] op_sel_hi:[0,1,1] neg_lo:[1,0,0] neg_hi:[1,0,0]
	v_pk_fma_f32 v[28:29], v[18:19], v[38:39], v[28:29] op_sel_hi:[0,1,1] neg_lo:[1,0,0] neg_hi:[1,0,0]
	v_pk_fma_f32 v[32:33], v[18:19], v[60:61], v[32:33] op_sel_hi:[0,1,1] neg_lo:[1,0,0] neg_hi:[1,0,0]
	v_pk_fma_f32 v[58:59], v[18:19], v[62:63], v[58:59] op_sel_hi:[0,1,1] neg_lo:[1,0,0] neg_hi:[1,0,0]
	s_cbranch_scc1 .LBB39_116
.LBB39_117:
	s_lshl_b32 s2, s0, 2
	s_lshl_b32 s3, s0, 7
	s_add_i32 s3, s2, s3
	v_mov_b32_e32 v140, s3
	ds_read_b128 v[60:63], v140
	ds_read_b128 v[82:85], v140 offset:32
	ds_read2_b32 v[88:89], v140 offset0:33 offset1:34
	ds_read_b128 v[104:107], v140 offset:16
	ds_read2_b32 v[98:99], v140 offset0:35 offset1:36
	ds_read2_b64 v[8:11], v140 offset0:33 offset1:34
	ds_read2_b32 v[110:111], v140 offset0:37 offset1:38
	ds_read2_b32 v[112:113], v140 offset0:39 offset1:40
	;; [unrolled: 1-line block ×3, first 2 shown]
	ds_read_b32 v90, v140 offset:172
	ds_read_b128 v[4:7], v140 offset:528
	ds_read2_b32 v[64:65], v140 offset0:99 offset1:100
	ds_read2_b32 v[18:19], v140 offset0:101 offset1:102
	;; [unrolled: 1-line block ×4, first 2 shown]
	s_add_i32 s4, s3, 0x4a4
	s_waitcnt lgkmcnt(14)
	v_mul_f32_e32 v60, v52, v60
	s_waitcnt lgkmcnt(6)
	v_mov_b32_e32 v102, v114
	s_waitcnt lgkmcnt(2)
	v_mov_b32_e32 v74, v18
	ds_read_b96 v[16:18], v140 offset:544
	ds_read2_b64 v[12:15], v140 offset0:35 offset1:36
	ds_read2_b64 v[0:3], v140 offset0:99 offset1:100
	ds_read_b64 v[76:77], v140 offset:296
	ds_read2_b32 v[72:73], v140 offset0:165 offset1:166
	ds_read2_b32 v[36:37], v140 offset0:167 offset1:168
	;; [unrolled: 1-line block ×4, first 2 shown]
	s_waitcnt lgkmcnt(7)
	v_mov_b32_e32 v81, v17
	s_waitcnt lgkmcnt(5)
	v_mov_b32_e32 v93, v1
	v_mov_b32_e32 v1, s4
	s_waitcnt lgkmcnt(2)
	v_mov_b32_e32 v92, v36
	v_mov_b32_e32 v17, v37
	ds_read2_b32 v[36:37], v1 offset1:1
	v_fma_f32 v1, -v60, v61, v53
	v_mov_b32_e32 v78, v26
	ds_read2_b32 v[70:71], v140 offset0:169 offset1:170
	ds_read_b96 v[24:26], v140 offset:1056
	ds_read_b32 v132, v140 offset:1320
	s_waitcnt lgkmcnt(4)
	v_mov_b32_e32 v38, v22
	ds_read_b32 v22, v140 offset:808
	v_mul_f32_e32 v61, v1, v88
	v_mov_b32_e32 v114, v84
	v_mov_b32_e32 v100, v112
	;; [unrolled: 1-line block ×3, first 2 shown]
	v_pk_mul_f32 v[52:53], v[60:61], v[114:115]
	v_mov_b32_e32 v96, v110
	v_mov_b32_e32 v110, v106
	;; [unrolled: 1-line block ×4, first 2 shown]
	v_sub_f32_e32 v1, v50, v52
	v_fma_f32 v87, -v60, v85, v51
	v_pk_mul_f32 v[50:51], v[60:61], v[112:113]
	v_mov_b32_e32 v66, v98
	v_mov_b32_e32 v67, v9
	;; [unrolled: 1-line block ×5, first 2 shown]
	v_fma_f32 v73, -v60, v83, v49
	v_sub_f32_e32 v9, v48, v50
	v_pk_mul_f32 v[48:49], v[60:61], v[110:111]
	v_mov_b32_e32 v108, v62
	v_mov_b32_e32 v109, v89
	;; [unrolled: 1-line block ×6, first 2 shown]
	v_fma_f32 v65, -v60, v107, v47
	v_sub_f32_e32 v19, v46, v48
	v_pk_mul_f32 v[46:47], v[60:61], v[98:99]
	s_add_i32 s4, s3, 0x42c
	v_mov_b32_e32 v103, v15
	v_mov_b32_e32 v15, v27
	s_waitcnt lgkmcnt(2)
	v_mov_b32_e32 v39, v25
	v_fma_f32 v25, -v60, v105, v43
	v_sub_f32_e32 v27, v42, v46
	v_pk_mul_f32 v[42:43], v[60:61], v[108:109]
	flat_store_dwordx2 v[56:57], v[60:61]
	v_sub_f32_e32 v109, v9, v51
	v_mov_b32_e32 v9, s4
	s_add_i32 s4, s3, 0x4ac
	v_mov_b32_e32 v75, v5
	v_mov_b32_e32 v80, v116
	v_fma_f32 v5, -v60, v63, v41
	ds_read2_b32 v[50:51], v140 offset0:107 offset1:108
	ds_read2_b32 v[112:113], v140 offset0:139 offset1:140
	v_sub_f32_e32 v1, v1, v53
	v_mov_b32_e32 v91, v77
	v_mov_b32_e32 v77, v117
	ds_read_b64 v[52:53], v140 offset:48
	ds_read_b64 v[62:63], v140 offset:176
	;; [unrolled: 1-line block ×3, first 2 shown]
	ds_read2_b32 v[82:83], v140 offset0:171 offset1:172
	ds_read_b32 v89, v140 offset:564
	ds_read_b32 v88, v140 offset:436
	ds_read2_b32 v[114:115], v140 offset0:203 offset1:204
	ds_read2_b32 v[98:99], v140 offset0:235 offset1:236
	ds_read2_b32 v[116:117], v9 offset1:1
	v_mov_b32_e32 v9, s4
	s_add_i32 s4, s3, 0x52c
	v_sub_f32_e32 v107, v27, v47
	v_mov_b32_e32 v27, s4
	s_add_i32 s4, s3, 0x5ac
	v_sub_f32_e32 v40, v40, v42
	ds_read_b32 v142, v140 offset:1584
	ds_read2_b32 v[46:47], v9 offset1:1
	ds_read2_b32 v[118:119], v27 offset1:1
	v_mov_b32_e32 v9, s4
	v_sub_f32_e32 v106, v40, v43
	ds_read2_b32 v[42:43], v9 offset1:1
	s_waitcnt lgkmcnt(0)
	v_fma_f32 v9, -v60, v52, v44
	v_sub_f32_e32 v108, v19, v49
	v_mov_b32_e32 v49, v37
	v_fma_f32 v37, -v61, v62, v9
	v_fma_f32 v9, -v60, v53, v45
	;; [unrolled: 1-line block ×3, first 2 shown]
	v_mul_f32_e32 v63, v106, v8
	v_mov_b32_e32 v62, v61
	v_pk_mul_f32 v[8:9], v[62:63], v[66:67]
	v_mov_b32_e32 v84, v50
	v_sub_f32_e32 v5, v5, v8
	v_sub_f32_e32 v5, v5, v9
	v_pk_mul_f32 v[8:9], v[62:63], v[96:97]
	v_mul_f32_e32 v67, v5, v64
	v_sub_f32_e32 v8, v25, v8
	v_sub_f32_e32 v25, v8, v9
	v_pk_mul_f32 v[8:9], v[62:63], v[100:101]
	v_mov_b32_e32 v66, v63
	v_sub_f32_e32 v8, v65, v8
	v_sub_f32_e32 v110, v8, v9
	v_pk_mul_f32 v[8:9], v[62:63], v[102:103]
	v_mov_b32_e32 v50, v104
	v_sub_f32_e32 v8, v73, v8
	v_sub_f32_e32 v73, v8, v9
	v_pk_mul_f32 v[8:9], v[62:63], v[90:91]
	v_pk_mul_f32 v[14:15], v[66:67], v[14:15]
	v_sub_f32_e32 v8, v87, v8
	v_sub_f32_e32 v62, v8, v9
	v_pk_mul_f32 v[8:9], v[66:67], v[50:51]
	v_pk_mul_f32 v[10:11], v[66:67], v[10:11]
	v_sub_f32_e32 v5, v37, v8
	v_sub_f32_e32 v8, v109, v14
	;; [unrolled: 1-line block ×3, first 2 shown]
	flat_store_dwordx2 v[56:57], v[66:67] offset:8
	v_mov_b32_e32 v85, v112
	v_fma_f32 v37, -v63, v105, v44
	v_pk_mul_f32 v[44:45], v[66:67], v[76:77]
	v_pk_mul_f32 v[12:13], v[66:67], v[12:13]
	v_sub_f32_e32 v66, v10, v11
	v_sub_f32_e32 v111, v8, v15
	ds_read2_b32 v[90:91], v140 offset0:173 offset1:174
	ds_read2_b32 v[120:121], v140 offset0:205 offset1:206
	v_sub_f32_e32 v112, v5, v9
	ds_read_b32 v10, v140 offset:700
	ds_read_b64 v[100:101], v140 offset:568
	ds_read2_b32 v[8:9], v140 offset0:237 offset1:238
	s_add_i32 s4, s3, 0x434
	v_mov_b32_e32 v5, s4
	s_add_i32 s4, s3, 0x4b4
	v_sub_f32_e32 v12, v108, v12
	ds_read2_b32 v[122:123], v5 offset1:1
	v_mov_b32_e32 v5, s4
	s_add_i32 s4, s3, 0x534
	v_sub_f32_e32 v87, v12, v13
	v_mov_b32_e32 v13, s4
	s_add_i32 s4, s3, 0x5b4
	s_waitcnt lgkmcnt(0)
	v_mov_b32_e32 v12, v8
	v_mov_b32_e32 v8, s4
	s_add_i32 s4, s3, 0x634
	v_mov_b32_e32 v19, v114
	v_mov_b32_e32 v40, v98
	;; [unrolled: 1-line block ×3, first 2 shown]
	ds_read_b32 v141, v140 offset:1848
	ds_read_b32 v11, v140 offset:828
	ds_read2_b32 v[96:97], v5 offset1:1
	ds_read2_b32 v[114:115], v13 offset1:1
	;; [unrolled: 1-line block ×3, first 2 shown]
	v_mov_b32_e32 v5, s4
	s_add_i32 s4, s3, 0x6b4
	v_mov_b32_e32 v41, v116
	v_mov_b32_e32 v48, v26
	;; [unrolled: 1-line block ×4, first 2 shown]
	ds_read2_b32 v[116:117], v5 offset1:1
	v_mov_b32_e32 v5, s4
	ds_read2_b32 v[64:65], v5 offset1:1
	ds_read_b64 v[76:77], v140 offset:56
	ds_read_b64 v[102:103], v140 offset:184
	;; [unrolled: 1-line block ×4, first 2 shown]
	v_mov_b32_e32 v53, v43
	s_waitcnt lgkmcnt(0)
	v_fma_f32 v5, -v60, v76, v68
	v_fma_f32 v5, -v61, v102, v5
	;; [unrolled: 1-line block ×7, first 2 shown]
	v_mul_f32_e32 v77, v66, v4
	v_mov_b32_e32 v76, v67
	v_fma_f32 v43, -v67, v109, v5
	v_pk_mul_f32 v[4:5], v[76:77], v[74:75]
	v_mov_b32_e32 v94, v70
	v_sub_f32_e32 v4, v25, v4
	v_sub_f32_e32 v25, v4, v5
	v_pk_mul_f32 v[4:5], v[76:77], v[78:79]
	v_mov_b32_e32 v70, v18
	v_sub_f32_e32 v4, v110, v4
	v_sub_f32_e32 v66, v4, v5
	v_pk_mul_f32 v[4:5], v[76:77], v[80:81]
	v_sub_f32_e32 v1, v1, v44
	v_sub_f32_e32 v4, v73, v4
	;; [unrolled: 1-line block ×3, first 2 shown]
	v_pk_mul_f32 v[4:5], v[76:77], v[84:85]
	v_mul_f32_e32 v81, v25, v72
	v_sub_f32_e32 v4, v62, v4
	v_sub_f32_e32 v62, v4, v5
	v_pk_mul_f32 v[4:5], v[76:77], v[88:89]
	v_mov_b32_e32 v80, v77
	v_sub_f32_e32 v4, v37, v4
	v_sub_f32_e32 v1, v1, v45
	;; [unrolled: 1-line block ×3, first 2 shown]
	v_pk_mul_f32 v[4:5], v[80:81], v[70:71]
	v_pk_mul_f32 v[16:17], v[80:81], v[16:17]
	v_sub_f32_e32 v1, v1, v4
	v_sub_f32_e32 v4, v111, v16
	v_pk_mul_f32 v[6:7], v[80:81], v[6:7]
	flat_store_dwordx2 v[56:57], v[80:81] offset:16
	v_sub_f32_e32 v6, v87, v6
	v_sub_f32_e32 v17, v4, v17
	;; [unrolled: 1-line block ×3, first 2 shown]
	ds_read2_b32 v[4:5], v140 offset0:239 offset1:240
	s_add_i32 s4, s3, 0x43c
	v_mov_b32_e32 v1, s4
	s_add_i32 s4, s3, 0x4bc
	ds_read2_b32 v[128:129], v1 offset1:1
	ds_read_b96 v[102:104], v140 offset:832
	v_mov_b32_e32 v1, s4
	s_add_i32 s4, s3, 0x53c
	s_waitcnt lgkmcnt(0)
	v_mov_b32_e32 v88, v4
	v_mov_b32_e32 v4, s4
	s_add_i32 s4, s3, 0x5bc
	v_sub_f32_e32 v16, v6, v7
	v_mov_b32_e32 v6, s4
	s_add_i32 s4, s3, 0x63c
	v_mov_b32_e32 v27, v118
	v_mov_b32_e32 v14, v90
	;; [unrolled: 1-line block ×4, first 2 shown]
	v_fma_f32 v43, -v77, v101, v43
	ds_read2_b32 v[100:101], v1 offset1:1
	ds_read2_b32 v[148:149], v4 offset1:1
	;; [unrolled: 1-line block ×3, first 2 shown]
	v_mov_b32_e32 v1, s4
	s_add_i32 s4, s3, 0x6bc
	v_mov_b32_e32 v18, v82
	v_mov_b32_e32 v82, v113
	ds_read2_b32 v[162:163], v1 offset1:1
	v_mov_b32_e32 v1, s4
	s_add_i32 s4, s3, 0x73c
	v_pk_mul_f32 v[72:73], v[80:81], v[82:83]
	v_mov_b32_e32 v4, s4
	s_or_b32 s4, s0, 15
	v_sub_f32_e32 v25, v112, v72
	s_mul_i32 s5, s4, 0x84
	v_mov_b32_e32 v107, v114
	v_mov_b32_e32 v44, v50
	;; [unrolled: 1-line block ×3, first 2 shown]
	v_sub_f32_e32 v108, v25, v73
	v_mov_b32_e32 v50, v115
	v_mov_b32_e32 v6, s5
	ds_read2_b32 v[78:79], v1 offset1:1
	ds_read2_b32 v[164:165], v4 offset1:1
	;; [unrolled: 1-line block ×3, first 2 shown]
	ds_read_b96 v[114:116], v140 offset:64
	v_mov_b32_e32 v13, v122
	v_mov_b32_e32 v106, v96
	;; [unrolled: 1-line block ×3, first 2 shown]
	ds_read_b96 v[122:124], v140 offset:192
	v_mov_b32_e32 v89, v128
	s_waitcnt lgkmcnt(0)
	v_fma_f32 v1, -v60, v114, v20
	ds_read_b96 v[126:128], v140 offset:320
	ds_read_b96 v[134:136], v140 offset:448
	ds_read_b96 v[144:146], v140 offset:576
	ds_read_b96 v[150:152], v140 offset:704
	v_fma_f32 v4, -v60, v115, v21
	v_fma_f32 v1, -v61, v122, v1
	s_waitcnt lgkmcnt(0)
	v_fma_f32 v1, -v63, v126, v1
	v_fma_f32 v4, -v61, v123, v4
	;; [unrolled: 1-line block ×3, first 2 shown]
	s_or_b32 s5, s0, 16
	v_fma_f32 v4, -v63, v127, v4
	v_fma_f32 v1, -v77, v144, v1
	s_lshl_b32 s4, s4, 7
	s_mul_i32 s6, s5, 0x84
	v_fma_f32 v4, -v67, v135, v4
	v_fma_f32 v20, -v81, v150, v1
	s_add_i32 s4, s2, s4
	v_mov_b32_e32 v1, s6
	v_fma_f32 v4, -v77, v145, v4
	s_add_i32 s6, s3, 0x444
	v_fma_f32 v21, -v81, v151, v4
	v_mov_b32_e32 v4, s6
	s_add_i32 s6, s3, 0x4c4
	v_mov_b32_e32 v37, s4
	s_lshl_b32 s4, s5, 7
	s_or_b32 s5, s0, 17
	v_pk_mul_f32 v[68:69], v[80:81], v[90:91]
	v_mov_b32_e32 v83, v65
	v_mov_b32_e32 v65, s6
	s_mul_i32 s6, s5, 0x84
	v_sub_f32_e32 v8, v8, v68
	ds_read2_b32 v[6:7], v140 offset0:241 offset1:242
	ds_read_b32 v25, v140 offset:1348
	ds_read_b32 v114, v140 offset:1476
	;; [unrolled: 1-line block ×5, first 2 shown]
	ds_read_b64 v[70:71], v1
	ds_read2_b32 v[112:113], v4 offset1:1
	ds_read2_b32 v[126:127], v65 offset1:1
	ds_read_b32 v68, v37 offset:68
	v_mov_b32_e32 v1, s6
	ds_read_b32 v65, v1
	v_fma_f32 v1, -v60, v116, v34
	v_fma_f32 v1, -v61, v124, v1
	;; [unrolled: 1-line block ×5, first 2 shown]
	v_mul_f32_e32 v91, v16, v0
	v_mov_b32_e32 v90, v81
	v_fma_f32 v34, -v81, v152, v1
	v_pk_mul_f32 v[0:1], v[90:91], v[92:93]
	v_mov_b32_e32 v74, v78
	v_sub_f32_e32 v0, v66, v0
	v_sub_f32_e32 v4, v0, v1
	v_pk_mul_f32 v[0:1], v[90:91], v[94:95]
	v_mov_b32_e32 v15, v120
	v_sub_f32_e32 v0, v105, v0
	v_sub_f32_e32 v78, v0, v1
	v_pk_mul_f32 v[0:1], v[90:91], v[18:19]
	v_sub_f32_e32 v69, v8, v69
	v_sub_f32_e32 v0, v62, v0
	;; [unrolled: 1-line block ×3, first 2 shown]
	v_pk_mul_f32 v[0:1], v[90:91], v[14:15]
	v_mov_b32_e32 v8, v121
	v_sub_f32_e32 v0, v76, v0
	v_sub_f32_e32 v14, v0, v1
	v_pk_mul_f32 v[0:1], v[90:91], v[10:11]
	v_mul_f32_e32 v93, v4, v86
	v_sub_f32_e32 v0, v43, v0
	v_mov_b32_e32 v92, v91
	v_mov_b32_e32 v4, v102
	v_sub_f32_e32 v76, v0, v1
	v_pk_mul_f32 v[0:1], v[92:93], v[4:5]
	v_pk_mul_f32 v[4:5], v[92:93], v[8:9]
	;; [unrolled: 1-line block ×5, first 2 shown]
	v_sub_f32_e32 v0, v20, v0
	v_fma_f32 v20, -v91, v104, v34
	v_sub_f32_e32 v8, v108, v8
	v_sub_f32_e32 v10, v87, v10
	;; [unrolled: 1-line block ×3, first 2 shown]
	flat_store_dwordx2 v[56:57], v[92:93] offset:24
	v_fma_f32 v90, -v91, v103, v21
	v_sub_f32_e32 v4, v69, v4
	v_sub_f32_e32 v15, v2, v3
	v_sub_f32_e32 v69, v10, v11
	v_sub_f32_e32 v66, v8, v9
	v_sub_f32_e32 v34, v0, v1
	ds_read2_b64 v[16:19], v140 offset0:169 offset1:170
	s_waitcnt lgkmcnt(0)
	v_fma_f32 v43, -v93, v7, v20
	ds_read2_b64 v[144:147], v140 offset0:185 offset1:186
	ds_read_b64 v[138:139], v140 offset:1368
	ds_read2_b64 v[20:23], v140 offset0:201 offset1:202
	ds_read2_b64 v[154:157], v140 offset0:217 offset1:218
	;; [unrolled: 1-line block ×4, first 2 shown]
	ds_read_b32 v143, v140 offset:1376
	ds_read_b64 v[136:137], v140 offset:1624
	ds_read_b64 v[172:173], v140 offset:1752
	;; [unrolled: 1-line block ×4, first 2 shown]
	ds_read2_b32 v[0:1], v140 offset0:19 offset1:20
	ds_read2_b32 v[2:3], v140 offset0:51 offset1:52
	;; [unrolled: 1-line block ×3, first 2 shown]
	s_add_i32 s4, s2, s4
	v_mov_b32_e32 v92, s4
	s_waitcnt lgkmcnt(0)
	v_fma_f32 v0, -v60, v0, v35
	v_fma_f32 v0, -v61, v2, v0
	s_lshl_b32 s4, s5, 7
	v_fma_f32 v0, -v63, v98, v0
	v_mov_b32_e32 v82, v117
	s_add_i32 s4, s2, s4
	ds_read2_b32 v[102:103], v140 offset0:21 offset1:22
	ds_read2_b32 v[108:109], v140 offset0:23 offset1:24
	;; [unrolled: 1-line block ×13, first 2 shown]
	s_waitcnt lgkmcnt(0)
	v_fma_f32 v0, -v67, v160, v0
	v_mov_b32_e32 v135, v144
	v_mov_b32_e32 v144, s4
	s_or_b32 s4, s0, 18
	v_fma_f32 v0, -v77, v166, v0
	s_mul_i32 s5, s4, 0x84
	v_fma_f32 v0, -v81, v168, v0
	v_sub_f32_e32 v62, v4, v5
	v_mov_b32_e32 v4, s5
	v_fma_f32 v0, -v91, v174, v0
	s_add_i32 s5, s3, 0x44c
	v_mov_b32_e32 v95, v112
	v_mov_b32_e32 v112, v8
	v_fma_f32 v8, -v93, v176, v0
	v_mov_b32_e32 v0, s5
	s_add_i32 s5, s3, 0x4cc
	v_mov_b32_e32 v94, v6
	ds_read2_b32 v[184:185], v140 offset0:149 offset1:150
	ds_read2_b32 v[186:187], v140 offset0:151 offset1:152
	;; [unrolled: 1-line block ×8, first 2 shown]
	ds_read2_b64 v[4:7], v4 offset1:1
	ds_read2_b32 v[200:201], v0 offset1:1
	v_mov_b32_e32 v0, s5
	s_or_b32 s5, s0, 19
	s_mul_i32 s6, s5, 0x84
	v_mov_b32_e32 v2, s6
	ds_read2_b32 v[202:203], v0 offset1:1
	ds_read2_b32 v[86:87], v2 offset1:1
	v_fma_f32 v2, -v60, v103, v28
	v_fma_f32 v2, -v61, v117, v2
	;; [unrolled: 1-line block ×4, first 2 shown]
	s_waitcnt lgkmcnt(0)
	v_fma_f32 v28, -v77, v185, v28
	v_fma_f32 v28, -v81, v189, v28
	;; [unrolled: 1-line block ×23, first 2 shown]
	v_mul_f32_e32 v131, v15, v24
	v_mov_b32_e32 v130, v93
	v_mov_b32_e32 v120, v100
	v_fma_f32 v0, -v63, v99, v0
	s_lshl_b32 s5, s5, 7
	v_fma_f32 v99, -v93, v196, v28
	v_fma_f32 v100, -v93, v197, v29
	v_pk_mul_f32 v[28:29], v[130:131], v[38:39]
	s_add_i32 s5, s2, s5
	s_or_b32 s6, s0, 20
	v_sub_f32_e32 v15, v78, v28
	v_mov_b32_e32 v121, v148
	s_lshl_b32 s4, s4, 7
	v_fma_f32 v0, -v67, v161, v0
	v_mov_b32_e32 v148, s5
	s_lshl_b32 s5, s6, 7
	v_sub_f32_e32 v24, v15, v29
	v_pk_mul_f32 v[28:29], v[130:131], v[40:41]
	s_add_i32 s4, s2, s4
	v_fma_f32 v0, -v77, v167, v0
	s_add_i32 s9, s2, s5
	s_or_b32 s5, s0, 21
	v_sub_f32_e32 v15, v80, v28
	v_mov_b32_e32 v125, v154
	v_fma_f32 v0, -v81, v169, v0
	s_mul_i32 s7, s6, 0x84
	v_fma_f32 v1, -v67, v178, v1
	s_mul_i32 s6, s5, 0x84
	v_sub_f32_e32 v80, v15, v29
	v_pk_mul_f32 v[28:29], v[130:131], v[88:89]
	v_mov_b32_e32 v154, s4
	s_lshl_b32 s4, s5, 7
	s_or_b32 s5, s0, 22
	v_fma_f32 v0, -v91, v175, v0
	v_fma_f32 v1, -v77, v184, v1
	v_mov_b32_e32 v32, s6
	v_sub_f32_e32 v28, v76, v28
	s_mul_i32 s6, s5, 0x84
	v_mov_b32_e32 v134, v16
	v_fma_f32 v16, -v93, v177, v0
	v_mov_b32_e32 v0, s7
	v_fma_f32 v1, -v81, v188, v1
	s_add_i32 s7, s3, 0x454
	v_pk_mul_f32 v[12:13], v[130:131], v[12:13]
	v_sub_f32_e32 v76, v28, v29
	v_pk_mul_f32 v[28:29], v[130:131], v[94:95]
	v_mov_b32_e32 v38, s6
	s_add_i32 s6, s3, 0x45c
	v_fma_f32 v1, -v91, v190, v1
	v_mov_b32_e32 v30, s7
	v_sub_f32_e32 v12, v14, v12
	v_sub_f32_e32 v28, v90, v28
	v_fma_f32 v78, -v131, v201, v16
	v_mov_b32_e32 v16, s6
	v_mov_b32_e32 v104, v113
	;; [unrolled: 1-line block ×4, first 2 shown]
	v_fma_f32 v20, -v93, v194, v1
	ds_read_b128 v[0:3], v0
	ds_read2_b32 v[30:31], v30 offset1:1
	v_sub_f32_e32 v150, v12, v13
	ds_read2_b64 v[12:15], v92 offset0:9 offset1:10
	ds_read_b64 v[116:117], v92 offset:88
	ds_read2_b64 v[158:161], v144 offset0:9 offset1:10
	ds_read_b64 v[174:175], v144 offset:88
	v_sub_f32_e32 v90, v28, v29
	ds_read2_b32 v[28:29], v16 offset1:1
	s_add_i32 s6, s3, 0x4dc
	v_mul_f32_e32 v41, v24, v36
	v_mov_b32_e32 v40, v131
	v_mov_b32_e32 v111, v162
	v_mov_b32_e32 v75, v164
	v_mov_b32_e32 v16, s6
	s_waitcnt lgkmcnt(0)
	v_fma_f32 v162, -v131, v28, v99
	v_fma_f32 v164, -v131, v29, v100
	v_pk_mul_f32 v[28:29], v[40:41], v[48:49]
	v_mov_b32_e32 v110, v118
	s_add_i32 s7, s3, 0x4d4
	s_add_i32 s4, s2, s4
	v_fma_f32 v20, -v131, v30, v20
	v_fma_f32 v118, -v131, v31, v98
	ds_read_b64 v[108:109], v154 offset:88
	ds_read2_b32 v[30:31], v16 offset1:1
	ds_read_b64 v[88:89], v38
	v_sub_f32_e32 v16, v69, v28
	v_pk_mul_f32 v[38:39], v[40:41], v[46:47]
	v_mov_b32_e32 v35, s7
	v_sub_f32_e32 v36, v16, v29
	v_sub_f32_e32 v16, v66, v38
	v_mov_b32_e32 v66, s4
	s_lshl_b32 s4, s5, 7
	ds_read2_b32 v[28:29], v35 offset1:1
	ds_read2_b32 v[102:103], v148 offset0:21 offset1:22
	ds_read2_b32 v[94:95], v32 offset1:1
	ds_read_b32 v98, v148 offset:92
	v_sub_f32_e32 v32, v16, v39
	v_pk_mul_f32 v[38:39], v[40:41], v[96:97]
	s_add_i32 s11, s2, s4
	s_or_b32 s4, s0, 23
	v_sub_f32_e32 v16, v62, v38
	s_mul_i32 s5, s4, 0x84
	v_mov_b32_e32 v100, v129
	v_mov_b32_e32 v105, v127
	v_sub_f32_e32 v46, v16, v39
	v_mov_b32_e32 v16, s5
	v_pk_mul_f32 v[38:39], v[40:41], v[100:101]
	ds_read_b32 v96, v66 offset:92
	ds_read_b32 v130, v16
	v_sub_f32_e32 v16, v34, v38
	v_pk_mul_f32 v[34:35], v[40:41], v[104:105]
	v_mul_f32_e32 v133, v36, v132
	v_mov_b32_e32 v132, v41
	v_mov_b32_e32 v127, v25
	v_sub_f32_e32 v38, v16, v39
	v_mov_b32_e32 v100, v2
	v_sub_f32_e32 v2, v43, v34
	v_mov_b32_e32 v16, v202
	v_pk_mul_f32 v[26:27], v[132:133], v[26:27]
	v_fma_f32 v8, -v131, v200, v8
	v_sub_f32_e32 v34, v2, v35
	v_mov_b32_e32 v2, v6
	s_waitcnt lgkmcnt(0)
	v_fma_f32 v6, -v41, v28, v20
	v_fma_f32 v20, -v41, v29, v118
	v_pk_mul_f32 v[16:17], v[132:133], v[16:17]
	v_pk_mul_f32 v[28:29], v[132:133], v[126:127]
	v_sub_f32_e32 v26, v80, v26
	v_sub_f32_e32 v8, v8, v16
	v_sub_f32_e32 v16, v90, v28
	v_sub_f32_e32 v28, v26, v27
	v_pk_mul_f32 v[26:27], v[132:133], v[106:107]
	v_mov_b32_e32 v118, v149
	v_sub_f32_e32 v26, v150, v26
	v_sub_f32_e32 v35, v26, v27
	v_pk_mul_f32 v[26:27], v[132:133], v[120:121]
	v_mul_f32_e32 v127, v28, v42
	v_mov_b32_e32 v126, v133
	v_sub_f32_e32 v26, v76, v26
	v_sub_f32_e32 v39, v16, v29
	;; [unrolled: 1-line block ×3, first 2 shown]
	v_mov_b32_e32 v16, v18
	v_mov_b32_e32 v17, v146
	v_fma_f32 v6, -v133, v19, v6
	v_pk_mul_f32 v[18:19], v[126:127], v[118:119]
	v_pk_mul_f32 v[28:29], v[126:127], v[52:53]
	v_mov_b32_e32 v105, v1
	v_fma_f32 v1, -v41, v203, v78
	v_sub_f32_e32 v36, v26, v27
	v_mov_b32_e32 v120, v22
	v_sub_f32_e32 v18, v38, v18
	v_pk_mul_f32 v[16:17], v[126:127], v[16:17]
	v_pk_mul_f32 v[26:27], v[126:127], v[50:51]
	v_sub_f32_e32 v22, v32, v28
	v_mov_b32_e32 v42, v133
	v_mov_b32_e32 v43, v127
	ds_read_b64 v[24:25], v140 offset:1496
	ds_read_b32 v47, v140 offset:1504
	v_mov_b32_e32 v104, v102
	v_mov_b32_e32 v102, v108
	v_sub_f32_e32 v1, v1, v16
	v_sub_f32_e32 v16, v46, v26
	flat_store_dwordx4 v[56:57], v[40:43] offset:32
	v_sub_f32_e32 v22, v22, v29
	v_sub_f32_e32 v108, v18, v19
	v_pk_mul_f32 v[18:19], v[126:127], v[134:135]
	v_mov_b32_e32 v99, v3
	v_mov_b32_e32 v3, v87
	v_sub_f32_e32 v87, v16, v27
	v_sub_f32_e32 v16, v34, v18
	v_mul_f32_e32 v119, v22, v142
	v_mov_b32_e32 v118, v127
	v_mov_b32_e32 v22, v147
	ds_read_b128 v[50:53], v140 offset:1632
	v_mov_b32_e32 v97, v89
	v_sub_f32_e32 v89, v16, v19
	v_sub_f32_e32 v132, v1, v17
	v_pk_mul_f32 v[16:17], v[118:119], v[22:23]
	v_pk_mul_f32 v[22:23], v[118:119], v[44:45]
	v_fma_f32 v30, -v41, v30, v162
	v_fma_f32 v31, -v41, v31, v164
	;; [unrolled: 1-line block ×3, first 2 shown]
	v_mov_b32_e32 v20, v145
	v_sub_f32_e32 v1, v35, v22
	s_lshl_b32 s4, s4, 7
	v_fma_f32 v30, -v133, v139, v30
	v_fma_f32 v31, -v133, v143, v31
	v_pk_mul_f32 v[18:19], v[118:119], v[20:21]
	v_pk_mul_f32 v[20:21], v[118:119], v[114:115]
	v_sub_f32_e32 v139, v1, v23
	v_pk_mul_f32 v[22:23], v[118:119], v[110:111]
	s_add_i32 s12, s2, s4
	v_sub_f32_e32 v16, v6, v16
	s_waitcnt lgkmcnt(0)
	v_fma_f32 v138, -v127, v24, v49
	v_fma_f32 v24, -v127, v25, v30
	;; [unrolled: 1-line block ×3, first 2 shown]
	v_sub_f32_e32 v18, v48, v18
	v_sub_f32_e32 v6, v39, v20
	;; [unrolled: 1-line block ×3, first 2 shown]
	v_mov_b32_e32 v114, v10
	v_mov_b32_e32 v10, s9
	;; [unrolled: 1-line block ×7, first 2 shown]
	v_sub_f32_e32 v1, v1, v23
	v_sub_f32_e32 v6, v6, v21
	;; [unrolled: 1-line block ×4, first 2 shown]
	v_mov_b32_e32 v134, v136
	v_fma_f32 v118, -v119, v137, v24
	v_mov_b32_e32 v106, v12
	ds_read_b128 v[46:49], v140 offset:1760
	v_fma_f32 v95, -v119, v50, v25
	ds_read_b128 v[42:45], v140 offset:1888
	ds_read_b128 v[36:39], v37 offset:96
	;; [unrolled: 1-line block ×8, first 2 shown]
	v_mov_b32_e32 v10, s11
	v_mov_b32_e32 v12, s12
	ds_read2_b32 v[34:35], v140 offset0:25 offset1:26
	ds_read2_b32 v[110:111], v140 offset0:57 offset1:58
	;; [unrolled: 1-line block ×3, first 2 shown]
	ds_read_b128 v[16:19], v10 offset:96
	ds_read_b128 v[142:145], v12 offset:96
	s_waitcnt lgkmcnt(0)
	v_fma_f32 v32, -v60, v34, v33
	v_fma_f32 v34, -v61, v110, v32
	;; [unrolled: 1-line block ×5, first 2 shown]
	ds_read_b32 v12, v140 offset:236
	ds_read_b32 v40, v140 offset:108
	ds_read2_b32 v[32:33], v140 offset0:121 offset1:122
	ds_read_b32 v50, v140 offset:492
	ds_read_b32 v62, v140 offset:364
	v_fma_f32 v58, -v63, v137, v34
	ds_read2_b32 v[34:35], v140 offset0:153 offset1:154
	ds_read2_b32 v[110:111], v140 offset0:185 offset1:186
	s_waitcnt lgkmcnt(0)
	v_fma_f32 v66, -v67, v32, v66
	v_fma_f32 v58, -v67, v33, v58
	ds_read2_b32 v[32:33], v140 offset0:217 offset1:218
	ds_read_b32 v76, v140 offset:748
	ds_read_b32 v80, v140 offset:620
	v_fma_f32 v34, -v77, v34, v66
	s_add_i32 s8, s3, 0x464
	v_fma_f32 v34, -v81, v110, v34
	v_fma_f32 v35, -v77, v35, v58
	s_waitcnt lgkmcnt(0)
	v_fma_f32 v32, -v91, v32, v34
	v_fma_f32 v34, -v81, v111, v35
	v_mov_b32_e32 v35, s8
	v_mov_b32_e32 v8, v155
	ds_read2_b32 v[136:137], v140 offset0:249 offset1:250
	ds_read_b32 v66, v140 offset:1388
	ds_read_b32 v90, v140 offset:1516
	ds_read2_b32 v[154:155], v35 offset1:1
	s_or_b32 s10, s0, 24
	s_add_i32 s7, s3, 0x4e4
	s_mulk_i32 s10, 0x84
	s_add_i32 s4, s3, 0x564
	s_add_i32 s5, s3, 0x5e4
	s_or_b32 s3, s0, 25
	s_waitcnt lgkmcnt(0)
	v_fma_f32 v58, -v93, v136, v32
	v_mov_b32_e32 v32, s7
	s_mul_i32 s6, s3, 0x84
	v_mov_b32_e32 v10, s10
	v_fma_f32 v92, -v91, v33, v34
	ds_read2_b32 v[176:177], v32 offset1:1
	ds_read_b128 v[32:35], v10
	v_fma_f32 v10, -v131, v154, v58
	v_fma_f32 v58, -v93, v137, v92
	v_mov_b32_e32 v92, s4
	v_mov_b32_e32 v110, s5
	;; [unrolled: 1-line block ×3, first 2 shown]
	ds_read2_b32 v[136:137], v92 offset1:1
	ds_read2_b32 v[178:179], v110 offset1:1
	;; [unrolled: 1-line block ×3, first 2 shown]
	s_waitcnt lgkmcnt(0)
	v_fma_f32 v10, -v41, v176, v10
	v_fma_f32 v58, -v131, v155, v58
	v_fma_f32 v10, -v133, v136, v10
	v_fma_f32 v58, -v41, v177, v58
	v_fma_f32 v58, -v133, v137, v58
	v_fma_f32 v10, -v127, v178, v10
	v_fma_f32 v150, -v119, v51, v10
	v_fma_f32 v10, -v127, v179, v58
	v_fma_f32 v40, -v60, v40, v59
	v_mov_b32_e32 v115, v152
	v_fma_f32 v152, -v119, v52, v10
	v_fma_f32 v10, -v61, v12, v40
	;; [unrolled: 1-line block ×4, first 2 shown]
	ds_read2_b32 v[50:51], v140 offset0:219 offset1:251
	v_add_u32_e32 v40, 0x400, v140
	ds_read2_b32 v[58:59], v40 offset0:27 offset1:59
	v_fma_f32 v10, -v77, v80, v10
	v_fma_f32 v10, -v81, v76, v10
	s_waitcnt lgkmcnt(0)
	v_fma_f32 v10, -v91, v50, v10
	v_fma_f32 v10, -v93, v51, v10
	;; [unrolled: 1-line block ×3, first 2 shown]
	v_mul_f32_e32 v137, v139, v64
	v_mov_b32_e32 v136, v119
	v_fma_f32 v10, -v41, v59, v10
	v_pk_mul_f32 v[78:79], v[136:137], v[78:79]
	v_fma_f32 v10, -v133, v66, v10
	v_mov_b32_e32 v61, v19
	v_sub_f32_e32 v19, v108, v78
	v_pk_mul_f32 v[82:83], v[136:137], v[82:83]
	v_fma_f32 v10, -v127, v90, v10
	v_mov_b32_e32 v90, v24
	v_sub_f32_e32 v24, v87, v82
	v_sub_f32_e32 v19, v19, v79
	v_pk_mul_f32 v[78:79], v[136:137], v[124:125]
	v_mov_b32_e32 v81, v27
	v_sub_f32_e32 v24, v24, v83
	v_sub_f32_e32 v27, v89, v78
	v_fma_f32 v51, -v119, v53, v10
	v_sub_f32_e32 v27, v27, v79
	v_mul_f32_e32 v79, v24, v141
	v_mov_b32_e32 v78, v137
	s_lshl_b32 s3, s3, 7
	v_fma_f32 v64, -v137, v48, v152
	v_fma_f32 v51, -v137, v49, v51
	v_pk_mul_f32 v[48:49], v[78:79], v[74:75]
	s_add_i32 s2, s2, s3
	s_or_b32 s3, s0, 26
	v_pk_mul_f32 v[8:9], v[78:79], v[8:9]
	v_sub_f32_e32 v1, v1, v48
	s_mulk_i32 s3, 0x84
	v_mov_b32_e32 v135, v172
	v_sub_f32_e32 v8, v71, v8
	v_sub_f32_e32 v1, v1, v49
	v_mov_b32_e32 v12, s3
	v_mov_b32_e32 v53, v35
	;; [unrolled: 1-line block ×4, first 2 shown]
	v_pk_mul_f32 v[134:135], v[136:137], v[134:135]
	v_fma_f32 v33, -v137, v46, v95
	v_fma_f32 v35, -v137, v47, v150
	v_pk_mul_f32 v[46:47], v[78:79], v[84:85]
	v_sub_f32_e32 v74, v8, v9
	v_mov_b32_e32 v8, v42
	v_mov_b32_e32 v9, v36
	v_fma_f32 v36, -v79, v44, v64
	v_fma_f32 v51, -v79, v45, v51
	v_mul_f32_e32 v45, v1, v72
	v_mov_b32_e32 v44, v79
	v_mov_b32_e32 v121, v156
	ds_read_b64 v[40:41], v12
	ds_read_b32 v50, v10 offset:108
	v_mov_b32_e32 v63, v142
	v_mov_b32_e32 v58, v143
	v_mov_b32_e32 v10, v157
	v_mov_b32_e32 v142, v122
	v_mov_b32_e32 v143, v170
	v_mov_b32_e32 v93, v5
	v_sub_f32_e32 v5, v138, v134
	v_sub_f32_e32 v6, v6, v46
	v_pk_mul_f32 v[8:9], v[44:45], v[8:9]
	v_pk_mul_f32 v[48:49], v[44:45], v[128:129]
	;; [unrolled: 1-line block ×3, first 2 shown]
	v_sub_f32_e32 v5, v5, v135
	v_mov_b32_e32 v122, v173
	v_pk_mul_f32 v[10:11], v[78:79], v[10:11]
	v_sub_f32_e32 v71, v6, v47
	v_sub_f32_e32 v1, v33, v8
	v_pk_mul_f32 v[46:47], v[44:45], v[142:143]
	v_sub_f32_e32 v8, v19, v48
	v_mov_b32_e32 v67, v23
	v_sub_f32_e32 v23, v132, v120
	v_pk_mul_f32 v[82:83], v[78:79], v[122:123]
	v_sub_f32_e32 v10, v73, v10
	v_sub_f32_e32 v5, v5, v46
	;; [unrolled: 1-line block ×6, first 2 shown]
	v_mov_b32_e32 v10, v116
	v_mov_b32_e32 v116, v171
	;; [unrolled: 1-line block ×3, first 2 shown]
	v_pk_mul_f32 v[72:73], v[44:45], v[114:115]
	v_pk_mul_f32 v[48:49], v[44:45], v[112:113]
	v_sub_f32_e32 v5, v5, v47
	v_mul_f32_e32 v47, v8, v70
	v_mov_b32_e32 v46, v45
	v_mov_b32_e32 v28, v37
	v_sub_f32_e32 v24, v24, v83
	v_sub_f32_e32 v19, v23, v72
	;; [unrolled: 1-line block ×4, first 2 shown]
	v_pk_mul_f32 v[8:9], v[46:47], v[28:29]
	v_fma_f32 v27, -v45, v38, v36
	v_pk_mul_f32 v[28:29], v[46:47], v[116:117]
	v_pk_mul_f32 v[36:37], v[46:47], v[68:69]
	v_fma_f32 v35, -v79, v43, v35
	v_sub_f32_e32 v24, v24, v28
	v_sub_f32_e32 v28, v71, v36
	v_sub_f32_e32 v8, v35, v8
	v_sub_f32_e32 v28, v28, v37
	v_mov_b32_e32 v107, v158
	v_mov_b32_e32 v11, v174
	v_sub_f32_e32 v37, v8, v9
	v_mul_f32_e32 v9, v28, v65
	v_mov_b32_e32 v8, v47
	v_sub_f32_e32 v23, v23, v49
	v_sub_f32_e32 v24, v24, v29
	v_pk_mul_f32 v[10:11], v[8:9], v[10:11]
	v_pk_mul_f32 v[28:29], v[8:9], v[106:107]
	v_mov_b32_e32 v12, v151
	v_sub_f32_e32 v10, v5, v10
	v_sub_f32_e32 v5, v23, v28
	v_mov_b32_e32 v126, v14
	v_mov_b32_e32 v14, v153
	v_pk_mul_f32 v[12:13], v[46:47], v[12:13]
	v_sub_f32_e32 v5, v5, v29
	v_mov_b32_e32 v127, v160
	v_mov_b32_e32 v92, v159
	v_fma_f32 v33, -v45, v39, v51
	v_pk_mul_f32 v[14:15], v[46:47], v[14:15]
	v_sub_f32_e32 v12, v74, v12
	v_mul_f32_e32 v5, v5, v4
	v_mov_b32_e32 v4, v9
	v_mov_b32_e32 v6, v161
	;; [unrolled: 1-line block ×4, first 2 shown]
	v_sub_f32_e32 v19, v19, v73
	v_sub_f32_e32 v14, v75, v14
	;; [unrolled: 1-line block ×3, first 2 shown]
	v_mov_b32_e32 v12, v30
	v_mov_b32_e32 v13, v168
	v_fma_f32 v33, -v47, v31, v33
	v_pk_mul_f32 v[30:31], v[8:9], v[126:127]
	v_pk_mul_f32 v[28:29], v[4:5], v[92:93]
	v_sub_f32_e32 v36, v14, v15
	v_pk_mul_f32 v[12:13], v[8:9], v[12:13]
	v_pk_mul_f32 v[14:15], v[8:9], v[42:43]
	v_sub_f32_e32 v8, v19, v30
	v_sub_f32_e32 v19, v35, v28
	v_pk_mul_f32 v[6:7], v[4:5], v[6:7]
	v_sub_f32_e32 v28, v10, v11
	v_pk_mul_f32 v[10:11], v[4:5], v[108:109]
	v_mov_b32_e32 v80, v169
	v_sub_f32_e32 v12, v27, v12
	v_sub_f32_e32 v1, v1, v14
	;; [unrolled: 1-line block ×4, first 2 shown]
	v_mov_b32_e32 v24, v167
	v_sub_f32_e32 v23, v8, v31
	v_sub_f32_e32 v1, v1, v15
	v_pk_mul_f32 v[14:15], v[4:5], v[24:25]
	v_sub_f32_e32 v12, v12, v13
	v_mov_b32_e32 v8, v47
	v_mov_b32_e32 v10, v5
	v_sub_f32_e32 v13, v6, v7
	v_pk_mul_f32 v[6:7], v[4:5], v[80:81]
	v_sub_f32_e32 v14, v37, v14
	flat_store_dwordx3 v[56:57], v[8:10] offset:64
	v_sub_f32_e32 v4, v33, v6
	v_sub_f32_e32 v14, v14, v15
	;; [unrolled: 1-line block ×4, first 2 shown]
	v_mul_f32_e32 v7, v8, v86
	v_mov_b32_e32 v6, v5
	v_mov_b32_e32 v91, v162
	v_pk_mul_f32 v[2:3], v[6:7], v[2:3]
	v_pk_mul_f32 v[8:9], v[6:7], v[90:91]
	v_sub_f32_e32 v2, v23, v2
	v_sub_f32_e32 v8, v1, v8
	;; [unrolled: 1-line block ×4, first 2 shown]
	v_mov_b32_e32 v27, v164
	v_mul_f32_e32 v1, v1, v0
	v_mov_b32_e32 v0, v7
	v_pk_mul_f32 v[10:11], v[6:7], v[26:27]
	v_pk_mul_f32 v[2:3], v[0:1], v[104:105]
	v_mov_b32_e32 v66, v165
	v_pk_mul_f32 v[4:5], v[6:7], v[102:103]
	v_sub_f32_e32 v6, v12, v10
	v_sub_f32_e32 v2, v13, v2
	v_mov_b32_e32 v76, v20
	v_mov_b32_e32 v20, v163
	v_sub_f32_e32 v4, v28, v4
	v_sub_f32_e32 v6, v6, v11
	;; [unrolled: 1-line block ×3, first 2 shown]
	v_pk_mul_f32 v[2:3], v[0:1], v[66:67]
	v_sub_f32_e32 v10, v4, v5
	v_pk_mul_f32 v[4:5], v[0:1], v[98:99]
	v_sub_f32_e32 v12, v8, v9
	;; [unrolled: 2-line block ×3, first 2 shown]
	v_sub_f32_e32 v4, v19, v4
	v_sub_f32_e32 v15, v0, v3
	v_mul_f32_e32 v3, v11, v94
	v_mov_b32_e32 v2, v1
	v_sub_f32_e32 v8, v14, v8
	v_sub_f32_e32 v14, v4, v5
	v_pk_mul_f32 v[4:5], v[2:3], v[100:101]
	v_mov_b32_e32 v77, v146
	v_sub_f32_e32 v0, v10, v4
	v_mov_b32_e32 v23, v148
	v_sub_f32_e32 v0, v0, v5
	v_sub_f32_e32 v19, v8, v9
	v_pk_mul_f32 v[8:9], v[2:3], v[76:77]
	v_pk_mul_f32 v[10:11], v[2:3], v[22:23]
	v_mul_f32_e32 v5, v0, v88
	v_mov_b32_e32 v4, v3
	v_sub_f32_e32 v8, v12, v8
	v_sub_f32_e32 v2, v6, v10
	v_pk_mul_f32 v[12:13], v[4:5], v[96:97]
	v_mov_b32_e32 v60, v149
	v_mov_b32_e32 v62, v16
	;; [unrolled: 1-line block ×3, first 2 shown]
	v_sub_f32_e32 v6, v14, v12
	v_sub_f32_e32 v11, v2, v11
	v_mov_b32_e32 v0, v7
	v_mov_b32_e32 v2, v3
	v_mov_b32_e32 v3, v5
	v_sub_f32_e32 v10, v8, v9
	v_pk_mul_f32 v[8:9], v[4:5], v[16:17]
	flat_store_dwordx4 v[56:57], v[0:3] offset:76
	v_sub_f32_e32 v8, v19, v8
	v_sub_f32_e32 v8, v8, v9
	;; [unrolled: 1-line block ×3, first 2 shown]
	v_pk_mul_f32 v[0:1], v[4:5], v[60:61]
	v_mul_f32_e32 v3, v2, v130
	v_sub_f32_e32 v0, v15, v0
	v_mov_b32_e32 v2, v5
	v_sub_f32_e32 v9, v0, v1
	v_pk_mul_f32 v[0:1], v[2:3], v[62:63]
	v_mov_b32_e32 v19, v144
	v_sub_f32_e32 v0, v10, v0
	v_sub_f32_e32 v0, v0, v1
	v_mul_f32_e32 v1, v0, v32
	v_mov_b32_e32 v0, v3
	v_pk_mul_f32 v[4:5], v[2:3], v[18:19]
	v_pk_mul_f32 v[6:7], v[0:1], v[58:59]
	v_mov_b32_e32 v52, v145
	v_sub_f32_e32 v2, v11, v4
	v_sub_f32_e32 v4, v8, v6
	;; [unrolled: 1-line block ×4, first 2 shown]
	v_pk_mul_f32 v[4:5], v[0:1], v[52:53]
	v_mov_b32_e32 v35, v111
	v_sub_f32_e32 v0, v9, v4
	v_sub_f32_e32 v8, v0, v5
	v_mul_f32_e32 v5, v6, v110
	v_mov_b32_e32 v4, v1
	v_pk_mul_f32 v[6:7], v[4:5], v[34:35]
	v_mov_b32_e32 v138, v79
	v_sub_f32_e32 v0, v2, v6
	v_sub_f32_e32 v0, v0, v7
	s_waitcnt lgkmcnt(0)
	v_mul_f32_e32 v7, v0, v40
	v_mov_b32_e32 v139, v45
	v_mov_b32_e32 v0, v3
	;; [unrolled: 1-line block ×4, first 2 shown]
	s_mulk_i32 s1, 0x84
	flat_store_dwordx4 v[56:57], v[136:139] offset:48
	flat_store_dwordx4 v[56:57], v[0:3] offset:92
	v_mov_b32_e32 v6, v5
	v_mov_b32_e32 v51, v41
	;; [unrolled: 1-line block ×3, first 2 shown]
	ds_read_b32 v2, v0
	v_pk_mul_f32 v[0:1], v[6:7], v[50:51]
	s_or_b32 s0, s0, 28
	v_sub_f32_e32 v0, v8, v0
	v_sub_f32_e32 v0, v0, v1
	s_waitcnt lgkmcnt(0)
	v_mul_f32_e32 v0, v0, v2
	flat_store_dword v[56:57], v0 offset:108
.LBB39_118:
	s_cmp_ge_i32 s0, s17
	s_cbranch_scc1 .LBB39_123
; %bb.119:
	s_lshl_b32 s2, s0, 2
	s_branch .LBB39_121
.LBB39_120:                             ;   in Loop: Header=BB39_121 Depth=1
	s_mul_i32 s1, s0, 0x84
	v_mov_b32_e32 v2, s1
	ds_read_b32 v2, v2
	s_add_i32 s0, s0, 1
	s_add_i32 s2, s2, 4
	s_cmp_ge_i32 s0, s17
	s_waitcnt lgkmcnt(0)
	v_mul_f32_e32 v2, v4, v2
	flat_store_dword v[0:1], v2
	s_cbranch_scc1 .LBB39_123
.LBB39_121:                             ; =>This Loop Header: Depth=1
                                        ;     Child Loop BB39_122 Depth 2
	s_ashr_i32 s1, s0, 31
	v_lshl_add_u64 v[0:1], s[0:1], 2, v[54:55]
	flat_load_dword v4, v[0:1]
	v_mov_b64_e32 v[2:3], v[54:55]
	s_mov_b32 s1, s2
	s_cmp_eq_u32 s0, 0
	s_mov_b32 s3, s0
	s_waitcnt vmcnt(0) lgkmcnt(0)
	v_mul_f32_e32 v4, s16, v4
	s_cbranch_scc1 .LBB39_120
.LBB39_122:                             ;   Parent Loop BB39_121 Depth=1
                                        ; =>  This Inner Loop Header: Depth=2
	flat_load_dword v5, v[2:3]
	v_mov_b32_e32 v6, s1
	ds_read_b32 v6, v6
	s_add_i32 s3, s3, -1
	s_addk_i32 s1, 0x80
	v_lshl_add_u64 v[2:3], v[2:3], 0, 4
	s_cmp_lg_u32 s3, 0
	s_waitcnt vmcnt(0) lgkmcnt(0)
	v_fma_f32 v4, -v5, v6, v4
	s_cbranch_scc1 .LBB39_122
	s_branch .LBB39_120
.LBB39_123:
	s_endpgm
	.section	.rodata,"a",@progbits
	.p2align	6, 0x0
	.amdhsa_kernel _ZL30rocblas_trsm_small_left_deviceILi32ELi32ELb1EffPKPKfPKPfEv13rocblas_fill_18rocblas_operation_17rocblas_diagonal_iiT3_T4_lilT5_lili
		.amdhsa_group_segment_fixed_size 4096
		.amdhsa_private_segment_fixed_size 0
		.amdhsa_kernarg_size 352
		.amdhsa_user_sgpr_count 2
		.amdhsa_user_sgpr_dispatch_ptr 0
		.amdhsa_user_sgpr_queue_ptr 0
		.amdhsa_user_sgpr_kernarg_segment_ptr 1
		.amdhsa_user_sgpr_dispatch_id 0
		.amdhsa_user_sgpr_kernarg_preload_length 0
		.amdhsa_user_sgpr_kernarg_preload_offset 0
		.amdhsa_user_sgpr_private_segment_size 0
		.amdhsa_uses_dynamic_stack 0
		.amdhsa_enable_private_segment 0
		.amdhsa_system_sgpr_workgroup_id_x 1
		.amdhsa_system_sgpr_workgroup_id_y 0
		.amdhsa_system_sgpr_workgroup_id_z 1
		.amdhsa_system_sgpr_workgroup_info 0
		.amdhsa_system_vgpr_workitem_id 0
		.amdhsa_next_free_vgpr 204
		.amdhsa_next_free_sgpr 30
		.amdhsa_accum_offset 204
		.amdhsa_reserve_vcc 1
		.amdhsa_float_round_mode_32 0
		.amdhsa_float_round_mode_16_64 0
		.amdhsa_float_denorm_mode_32 3
		.amdhsa_float_denorm_mode_16_64 3
		.amdhsa_dx10_clamp 1
		.amdhsa_ieee_mode 1
		.amdhsa_fp16_overflow 0
		.amdhsa_tg_split 0
		.amdhsa_exception_fp_ieee_invalid_op 0
		.amdhsa_exception_fp_denorm_src 0
		.amdhsa_exception_fp_ieee_div_zero 0
		.amdhsa_exception_fp_ieee_overflow 0
		.amdhsa_exception_fp_ieee_underflow 0
		.amdhsa_exception_fp_ieee_inexact 0
		.amdhsa_exception_int_div_zero 0
	.end_amdhsa_kernel
	.section	.text._ZL30rocblas_trsm_small_left_deviceILi32ELi32ELb1EffPKPKfPKPfEv13rocblas_fill_18rocblas_operation_17rocblas_diagonal_iiT3_T4_lilT5_lili,"axG",@progbits,_ZL30rocblas_trsm_small_left_deviceILi32ELi32ELb1EffPKPKfPKPfEv13rocblas_fill_18rocblas_operation_17rocblas_diagonal_iiT3_T4_lilT5_lili,comdat
.Lfunc_end39:
	.size	_ZL30rocblas_trsm_small_left_deviceILi32ELi32ELb1EffPKPKfPKPfEv13rocblas_fill_18rocblas_operation_17rocblas_diagonal_iiT3_T4_lilT5_lili, .Lfunc_end39-_ZL30rocblas_trsm_small_left_deviceILi32ELi32ELb1EffPKPKfPKPfEv13rocblas_fill_18rocblas_operation_17rocblas_diagonal_iiT3_T4_lilT5_lili
                                        ; -- End function
	.set _ZL30rocblas_trsm_small_left_deviceILi32ELi32ELb1EffPKPKfPKPfEv13rocblas_fill_18rocblas_operation_17rocblas_diagonal_iiT3_T4_lilT5_lili.num_vgpr, 204
	.set _ZL30rocblas_trsm_small_left_deviceILi32ELi32ELb1EffPKPKfPKPfEv13rocblas_fill_18rocblas_operation_17rocblas_diagonal_iiT3_T4_lilT5_lili.num_agpr, 0
	.set _ZL30rocblas_trsm_small_left_deviceILi32ELi32ELb1EffPKPKfPKPfEv13rocblas_fill_18rocblas_operation_17rocblas_diagonal_iiT3_T4_lilT5_lili.numbered_sgpr, 30
	.set _ZL30rocblas_trsm_small_left_deviceILi32ELi32ELb1EffPKPKfPKPfEv13rocblas_fill_18rocblas_operation_17rocblas_diagonal_iiT3_T4_lilT5_lili.num_named_barrier, 0
	.set _ZL30rocblas_trsm_small_left_deviceILi32ELi32ELb1EffPKPKfPKPfEv13rocblas_fill_18rocblas_operation_17rocblas_diagonal_iiT3_T4_lilT5_lili.private_seg_size, 0
	.set _ZL30rocblas_trsm_small_left_deviceILi32ELi32ELb1EffPKPKfPKPfEv13rocblas_fill_18rocblas_operation_17rocblas_diagonal_iiT3_T4_lilT5_lili.uses_vcc, 1
	.set _ZL30rocblas_trsm_small_left_deviceILi32ELi32ELb1EffPKPKfPKPfEv13rocblas_fill_18rocblas_operation_17rocblas_diagonal_iiT3_T4_lilT5_lili.uses_flat_scratch, 0
	.set _ZL30rocblas_trsm_small_left_deviceILi32ELi32ELb1EffPKPKfPKPfEv13rocblas_fill_18rocblas_operation_17rocblas_diagonal_iiT3_T4_lilT5_lili.has_dyn_sized_stack, 0
	.set _ZL30rocblas_trsm_small_left_deviceILi32ELi32ELb1EffPKPKfPKPfEv13rocblas_fill_18rocblas_operation_17rocblas_diagonal_iiT3_T4_lilT5_lili.has_recursion, 0
	.set _ZL30rocblas_trsm_small_left_deviceILi32ELi32ELb1EffPKPKfPKPfEv13rocblas_fill_18rocblas_operation_17rocblas_diagonal_iiT3_T4_lilT5_lili.has_indirect_call, 0
	.section	.AMDGPU.csdata,"",@progbits
; Kernel info:
; codeLenInByte = 13872
; TotalNumSgprs: 36
; NumVgprs: 204
; NumAgprs: 0
; TotalNumVgprs: 204
; ScratchSize: 0
; MemoryBound: 1
; FloatMode: 240
; IeeeMode: 1
; LDSByteSize: 4096 bytes/workgroup (compile time only)
; SGPRBlocks: 4
; VGPRBlocks: 25
; NumSGPRsForWavesPerEU: 36
; NumVGPRsForWavesPerEU: 204
; AccumOffset: 204
; Occupancy: 2
; WaveLimiterHint : 1
; COMPUTE_PGM_RSRC2:SCRATCH_EN: 0
; COMPUTE_PGM_RSRC2:USER_SGPR: 2
; COMPUTE_PGM_RSRC2:TRAP_HANDLER: 0
; COMPUTE_PGM_RSRC2:TGID_X_EN: 1
; COMPUTE_PGM_RSRC2:TGID_Y_EN: 0
; COMPUTE_PGM_RSRC2:TGID_Z_EN: 1
; COMPUTE_PGM_RSRC2:TIDIG_COMP_CNT: 0
; COMPUTE_PGM_RSRC3_GFX90A:ACCUM_OFFSET: 50
; COMPUTE_PGM_RSRC3_GFX90A:TG_SPLIT: 0
	.section	.text._ZL31rocblas_trsm_small_right_deviceIffPKPKfPKPfLi32EEv13rocblas_fill_18rocblas_operation_17rocblas_diagonal_iiT0_T1_lilT2_lili,"axG",@progbits,_ZL31rocblas_trsm_small_right_deviceIffPKPKfPKPfLi32EEv13rocblas_fill_18rocblas_operation_17rocblas_diagonal_iiT0_T1_lilT2_lili,comdat
	.globl	_ZL31rocblas_trsm_small_right_deviceIffPKPKfPKPfLi32EEv13rocblas_fill_18rocblas_operation_17rocblas_diagonal_iiT0_T1_lilT2_lili ; -- Begin function _ZL31rocblas_trsm_small_right_deviceIffPKPKfPKPfLi32EEv13rocblas_fill_18rocblas_operation_17rocblas_diagonal_iiT0_T1_lilT2_lili
	.p2align	8
	.type	_ZL31rocblas_trsm_small_right_deviceIffPKPKfPKPfLi32EEv13rocblas_fill_18rocblas_operation_17rocblas_diagonal_iiT0_T1_lilT2_lili,@function
_ZL31rocblas_trsm_small_right_deviceIffPKPKfPKPfLi32EEv13rocblas_fill_18rocblas_operation_17rocblas_diagonal_iiT0_T1_lilT2_lili: ; @_ZL31rocblas_trsm_small_right_deviceIffPKPKfPKPfLi32EEv13rocblas_fill_18rocblas_operation_17rocblas_diagonal_iiT0_T1_lilT2_lili
; %bb.0:
	s_load_dwordx4 s[8:11], s[0:1], 0x38
	s_load_dwordx4 s[4:7], s[0:1], 0x0
	s_load_dwordx2 s[16:17], s[0:1], 0x10
	s_mov_b32 s20, s3
	s_mov_b32 s21, 0
	s_lshl_b64 s[24:25], s[20:21], 3
	s_waitcnt lgkmcnt(0)
	s_add_u32 s8, s8, s24
	s_addc_u32 s9, s9, s25
	s_load_dwordx2 s[8:9], s[8:9], 0x0
	s_min_i32 s26, s16, 32
	v_cmp_gt_i32_e32 vcc, s26, v0
	s_and_saveexec_b64 s[18:19], vcc
	s_cbranch_execz .LBB40_10
; %bb.1:
	s_load_dwordx4 s[12:15], s[0:1], 0x18
	s_load_dword s22, s[0:1], 0x28
	v_lshlrev_b32_e32 v2, 2, v0
	v_mov_b32_e32 v3, 0
	s_mov_b32 s3, 1
	s_waitcnt lgkmcnt(0)
	s_add_u32 s12, s12, s24
	s_addc_u32 s13, s13, s25
	s_load_dwordx2 s[12:13], s[12:13], 0x0
	s_cmp_lt_u32 s26, 2
	s_cselect_b64 s[28:29], -1, 0
	s_cmp_lg_u32 s22, 1
	s_cselect_b64 s[30:31], -1, 0
	s_or_b64 s[28:29], s[28:29], s[30:31]
	s_mov_b64 s[24:25], -1
	s_and_b64 vcc, exec, s[28:29]
	s_cbranch_vccnz .LBB40_5
; %bb.2:
	s_lshl_b64 s[20:21], s[14:15], 2
	s_waitcnt lgkmcnt(0)
	s_add_u32 s20, s12, s20
	s_addc_u32 s21, s13, s21
	v_lshl_add_u64 v[4:5], s[20:21], 0, v[2:3]
	s_and_b32 s21, s26, -2
	s_mov_b32 s20, 0
	s_mov_b32 s23, s21
.LBB40_3:                               ; =>This Inner Loop Header: Depth=1
	flat_load_dwordx2 v[6:7], v[4:5]
	v_lshl_or_b32 v1, s20, 7, v2
	v_lshl_or_b32 v3, s3, 7, v2
	s_add_i32 s20, s20, 2
	s_add_i32 s3, s3, 2
	s_add_i32 s23, s23, -2
	v_lshl_add_u64 v[4:5], v[4:5], 0, 8
	s_cmp_lg_u32 s23, 0
	s_waitcnt vmcnt(0) lgkmcnt(0)
	ds_write_b32 v1, v6
	ds_write_b32 v3, v7
	s_cbranch_scc1 .LBB40_3
; %bb.4:
	s_cmp_lg_u32 s26, s21
	s_cselect_b64 s[24:25], -1, 0
.LBB40_5:
	s_and_b64 vcc, exec, s[24:25]
	s_cbranch_vccz .LBB40_8
; %bb.6:
	s_ashr_i32 s23, s22, 31
	s_mul_hi_u32 s3, s22, s21
	s_mul_i32 s20, s23, s21
	s_add_i32 s25, s3, s20
	s_mul_i32 s24, s22, s21
	s_lshl_b64 s[24:25], s[24:25], 2
	s_lshl_b64 s[14:15], s[14:15], 2
	s_add_u32 s3, s24, s14
	s_addc_u32 s14, s25, s15
	s_waitcnt lgkmcnt(0)
	s_add_u32 s12, s12, s3
	v_mov_b32_e32 v3, 0
	s_addc_u32 s13, s13, s14
	v_lshl_add_u64 v[4:5], s[12:13], 0, v[2:3]
	s_lshl_b64 s[12:13], s[22:23], 2
	s_sub_i32 s3, s26, s21
	v_lshl_or_b32 v1, s21, 7, v2
.LBB40_7:                               ; =>This Inner Loop Header: Depth=1
	flat_load_dword v3, v[4:5]
	s_add_i32 s3, s3, -1
	v_lshl_add_u64 v[4:5], v[4:5], 0, s[12:13]
	s_cmp_eq_u32 s3, 0
	s_waitcnt vmcnt(0) lgkmcnt(0)
	ds_write_b32 v1, v3
	v_add_u32_e32 v1, 0x80, v1
	s_cbranch_scc0 .LBB40_7
.LBB40_8:
	s_cmpk_eq_i32 s6, 0x84
	s_cbranch_scc0 .LBB40_10
; %bb.9:
	v_lshl_or_b32 v1, v0, 7, v2
	v_mov_b32_e32 v2, 1.0
	ds_write_b32 v1, v2
.LBB40_10:
	s_or_b64 exec, exec, s[18:19]
	s_load_dword s3, s[0:1], 0x60
	s_load_dword s6, s[0:1], 0x48
	s_lshl_b64 s[10:11], s[10:11], 2
	s_waitcnt lgkmcnt(0)
	s_add_u32 s0, s8, s10
	s_addc_u32 s1, s9, s11
	s_lshl_b32 s12, s2, 5
	s_add_i32 s3, s3, -1
	s_sub_i32 s7, s7, s12
	s_cmp_ge_u32 s2, s3
	s_cselect_b32 s7, s7, 32
	s_ashr_i32 s3, s2, 31
	s_lshl_b64 s[2:3], s[2:3], 7
	s_add_u32 s12, s0, s2
	s_addc_u32 s13, s1, s3
	v_cmp_gt_i32_e64 s[0:1], s7, v0
	s_and_saveexec_b64 s[14:15], s[0:1]
	s_cbranch_execz .LBB40_19
; %bb.11:
	s_cmp_lt_i32 s16, 1
	s_cbranch_scc1 .LBB40_19
; %bb.12:
	s_cmp_eq_u32 s16, 1
	s_cselect_b64 s[18:19], -1, 0
	s_cmp_lg_u32 s6, 1
	s_cselect_b64 s[20:21], -1, 0
	s_or_b64 s[18:19], s[18:19], s[20:21]
	v_mov_b32_e32 v3, 0
	s_and_b64 vcc, exec, s[18:19]
	s_cbranch_vccnz .LBB40_16
; %bb.13:
	v_lshlrev_b32_e32 v2, 2, v0
	v_mov_b32_e32 v1, 0x1000
	s_and_b32 s20, s16, 0x7ffffffe
	v_lshl_add_u64 v[2:3], s[12:13], 0, v[2:3]
	v_lshl_or_b32 v1, v0, 2, v1
	s_mov_b32 s18, s17
	s_mov_b32 s19, s17
	;; [unrolled: 1-line block ×5, first 2 shown]
.LBB40_14:                              ; =>This Inner Loop Header: Depth=1
	flat_load_dwordx2 v[4:5], v[2:3]
	v_lshl_add_u32 v6, s21, 7, v1
	v_lshl_add_u32 v7, s7, 7, v1
	s_add_i32 s21, s21, 2
	s_add_i32 s7, s7, 2
	s_add_i32 s22, s22, -2
	v_lshl_add_u64 v[2:3], v[2:3], 0, 8
	s_cmp_lg_u32 s22, 0
	s_waitcnt vmcnt(0) lgkmcnt(0)
	v_pk_mul_f32 v[4:5], s[18:19], v[4:5]
	ds_write_b32 v6, v4
	ds_write_b32 v7, v5
	s_cbranch_scc1 .LBB40_14
; %bb.15:
	s_cmp_lg_u32 s16, s20
	s_cselect_b64 s[18:19], -1, 0
	s_and_b64 vcc, exec, s[18:19]
	s_cbranch_vccnz .LBB40_17
	s_branch .LBB40_19
.LBB40_16:
	s_mov_b32 s20, 0
	s_cbranch_execz .LBB40_19
.LBB40_17:
	s_mul_hi_i32 s19, s6, s20
	s_mul_i32 s18, s6, s20
	s_ashr_i32 s7, s6, 31
	s_sub_i32 s21, s16, s20
	s_lshl_b64 s[18:19], s[18:19], 2
	s_add_u32 s18, s18, s2
	s_addc_u32 s19, s19, s3
	s_add_u32 s18, s18, s10
	s_addc_u32 s19, s19, s11
	v_lshlrev_b32_e32 v4, 2, v0
	s_add_u32 s18, s8, s18
	v_mov_b32_e32 v5, 0
	s_addc_u32 s19, s9, s19
	v_lshl_or_b32 v1, s20, 7, v4
	v_lshl_add_u64 v[2:3], s[18:19], 0, v[4:5]
	s_lshl_b64 s[18:19], s[6:7], 2
	v_add_u32_e32 v1, 0x1000, v1
.LBB40_18:                              ; =>This Inner Loop Header: Depth=1
	flat_load_dword v4, v[2:3]
	s_add_i32 s21, s21, -1
	v_lshl_add_u64 v[2:3], v[2:3], 0, s[18:19]
	s_cmp_lg_u32 s21, 0
	s_waitcnt vmcnt(0) lgkmcnt(0)
	v_mul_f32_e32 v4, s17, v4
	ds_write_b32 v1, v4
	v_add_u32_e32 v1, 0x80, v1
	s_cbranch_scc1 .LBB40_18
.LBB40_19:
	s_or_b64 exec, exec, s[14:15]
	s_cmpk_eq_i32 s5, 0x6f
	s_cselect_b64 s[18:19], -1, 0
	s_cmpk_lg_i32 s4, 0x79
	s_cselect_b64 s[14:15], -1, 0
	s_cmpk_eq_i32 s4, 0x79
	s_cselect_b64 s[20:21], -1, 0
	s_and_b64 s[20:21], s[20:21], s[18:19]
	s_andn2_b64 vcc, exec, s[20:21]
	s_mov_b64 s[20:21], -1
	s_waitcnt lgkmcnt(0)
	; wave barrier
	s_cbranch_vccz .LBB40_77
; %bb.20:
	s_cmpk_lg_i32 s4, 0x7a
	s_cselect_b64 s[4:5], -1, 0
	s_xor_b64 s[18:19], s[18:19], -1
	s_add_i32 s7, s26, -1
	s_or_b64 s[18:19], s[4:5], s[18:19]
	v_mov_b32_e32 v1, 0x1000
	s_cmp_gt_i32 s16, 3
	v_lshl_or_b32 v1, v0, 2, v1
	s_cselect_b64 s[4:5], -1, 0
	s_and_b64 vcc, exec, s[18:19]
	s_cbranch_vccz .LBB40_56
; %bb.21:
	s_andn2_b64 vcc, exec, s[14:15]
	s_mov_b64 s[14:15], -1
	s_cbranch_vccnz .LBB40_35
; %bb.22:
	s_andn2_b64 vcc, exec, s[4:5]
	s_mov_b32 s17, 0
	s_cbranch_vccnz .LBB40_29
; %bb.23:
	v_mov_b32_e32 v2, 0x1000
	v_lshl_or_b32 v8, v0, 2, v2
	s_mov_b32 s14, 0
	s_mov_b32 s15, 0
.LBB40_24:                              ; =>This Loop Header: Depth=1
                                        ;     Child Loop BB40_25 Depth 2
	s_lshl_b32 s18, s15, 7
	v_add_u32_e32 v10, s18, v1
	s_or_b32 s17, s15, 1
	ds_read2st64_b32 v[6:7], v10 offset1:1
	v_lshl_add_u32 v11, s17, 7, v1
	s_or_b32 s19, s18, 0x180
	v_add_u32_e32 v9, s19, v1
	ds_read_b32 v5, v11
	ds_read_b32 v3, v9
	s_cmp_eq_u32 s15, 0
	v_mov_b32_e32 v12, v8
	s_mov_b32 s19, s14
	s_mov_b32 s20, s15
	s_waitcnt lgkmcnt(2)
	v_mov_b32_e32 v4, v6
	v_mov_b32_e32 v2, v7
	s_cbranch_scc1 .LBB40_27
.LBB40_25:                              ;   Parent Loop BB40_24 Depth=1
                                        ; =>  This Inner Loop Header: Depth=2
	v_mov_b32_e32 v7, s19
	ds_read_b32 v6, v12
	ds_read_b128 v[14:17], v7
	s_add_i32 s20, s20, -1
	s_addk_i32 s19, 0x80
	v_add_u32_e32 v12, 0x80, v12
	s_cmp_eq_u32 s20, 0
	s_waitcnt lgkmcnt(0)
	v_pk_fma_f32 v[4:5], v[6:7], v[14:15], v[4:5] op_sel_hi:[0,1,1] neg_lo:[1,0,0] neg_hi:[1,0,0]
	v_pk_fma_f32 v[2:3], v[6:7], v[16:17], v[2:3] op_sel_hi:[0,1,1] neg_lo:[1,0,0] neg_hi:[1,0,0]
	s_cbranch_scc0 .LBB40_25
; %bb.26:                               ;   in Loop: Header=BB40_24 Depth=1
	v_mov_b32_e32 v7, v2
	v_mov_b32_e32 v6, v4
.LBB40_27:                              ;   in Loop: Header=BB40_24 Depth=1
	s_lshl_b32 s20, s15, 2
	s_add_i32 s21, s20, s18
	v_mov_b32_e32 v18, s21
	ds_read_b128 v[12:15], v18
	ds_read2_b32 v[16:17], v18 offset0:33 offset1:34
	s_addk_i32 s21, 0x84
	s_lshl_b32 s17, s17, 2
	s_sub_i32 s17, s21, s17
	s_waitcnt lgkmcnt(1)
	v_div_scale_f32 v4, s[18:19], v12, v12, v6
	v_rcp_f32_e32 v19, v4
	v_div_scale_f32 v20, vcc, v6, v12, v6
	s_add_i32 s17, s17, s20
	v_fma_f32 v21, -v4, v19, 1.0
	v_fmac_f32_e32 v19, v21, v19
	v_mul_f32_e32 v21, v20, v19
	v_fma_f32 v22, -v4, v21, v20
	v_fmac_f32_e32 v21, v22, v19
	v_fma_f32 v4, -v4, v21, v20
	v_div_fmas_f32 v4, v4, v19, v21
	v_div_fixup_f32 v6, v4, v12, v6
	v_fma_f32 v4, -v6, v13, v5
	s_waitcnt lgkmcnt(0)
	v_div_scale_f32 v5, s[18:19], v16, v16, v4
	v_rcp_f32_e32 v12, v5
	v_div_scale_f32 v13, vcc, v4, v16, v4
	v_fma_f32 v7, -v6, v14, v7
	v_fma_f32 v19, -v5, v12, 1.0
	v_fmac_f32_e32 v12, v19, v12
	v_mul_f32_e32 v19, v13, v12
	v_fma_f32 v20, -v5, v19, v13
	v_fmac_f32_e32 v19, v20, v12
	v_fma_f32 v5, -v5, v19, v13
	v_div_fmas_f32 v5, v5, v12, v19
	v_div_fixup_f32 v12, v5, v16, v4
	ds_read_b64 v[4:5], v18 offset:264
	ds_read_b32 v13, v18 offset:396
	v_fma_f32 v7, -v12, v17, v7
	v_mov_b32_e32 v17, s17
	ds_read_b32 v17, v17 offset:12
	s_waitcnt lgkmcnt(2)
	v_div_scale_f32 v14, s[18:19], v4, v4, v7
	v_rcp_f32_e32 v16, v14
	v_fma_f32 v3, -v6, v15, v3
	s_waitcnt lgkmcnt(0)
	v_fma_f32 v3, -v12, v17, v3
	v_add_u32_e32 v2, 0x100, v10
	v_fma_f32 v18, -v14, v16, 1.0
	v_fmac_f32_e32 v16, v18, v16
	v_div_scale_f32 v18, vcc, v7, v4, v7
	v_mul_f32_e32 v19, v18, v16
	v_fma_f32 v20, -v14, v19, v18
	v_fmac_f32_e32 v19, v20, v16
	v_fma_f32 v14, -v14, v19, v18
	v_div_fmas_f32 v14, v14, v16, v19
	v_div_fixup_f32 v4, v14, v4, v7
	v_fma_f32 v3, -v4, v5, v3
	v_div_scale_f32 v5, s[18:19], v13, v13, v3
	v_rcp_f32_e32 v7, v5
	ds_write_b32 v10, v6
	ds_write_b32 v11, v12
	ds_write_b32 v2, v4
	s_add_i32 s17, s15, 4
	s_add_i32 s15, s15, 7
	v_fma_f32 v2, -v5, v7, 1.0
	v_fmac_f32_e32 v7, v2, v7
	v_div_scale_f32 v2, vcc, v3, v13, v3
	v_mul_f32_e32 v4, v2, v7
	v_fma_f32 v6, -v5, v4, v2
	v_fmac_f32_e32 v4, v6, v7
	v_fma_f32 v2, -v5, v4, v2
	v_div_fmas_f32 v2, v2, v7, v4
	s_add_i32 s14, s14, 16
	v_div_fixup_f32 v2, v2, v13, v3
	s_cmp_ge_i32 s15, s26
	ds_write_b32 v9, v2
	s_cbranch_scc1 .LBB40_29
; %bb.28:                               ;   in Loop: Header=BB40_24 Depth=1
	s_mov_b32 s15, s17
	s_branch .LBB40_24
.LBB40_29:
	s_cmp_ge_i32 s17, s26
	s_cbranch_scc1 .LBB40_34
; %bb.30:
	v_mov_b32_e32 v2, 0x1000
	s_lshl_b32 s14, s17, 2
	v_lshl_or_b32 v2, v0, 2, v2
	s_branch .LBB40_32
.LBB40_31:                              ;   in Loop: Header=BB40_32 Depth=1
	s_lshl_b32 s18, s17, 2
	s_add_i32 s15, s18, s15
	v_mov_b32_e32 v5, s15
	ds_read_b32 v5, v5
	s_add_i32 s17, s17, 1
	s_add_i32 s14, s14, 4
	s_cmp_ge_i32 s17, s26
	s_waitcnt lgkmcnt(0)
	v_div_scale_f32 v6, s[18:19], v5, v5, v4
	v_rcp_f32_e32 v7, v6
	v_div_scale_f32 v8, vcc, v4, v5, v4
	v_fma_f32 v9, -v6, v7, 1.0
	v_fmac_f32_e32 v7, v9, v7
	v_mul_f32_e32 v9, v8, v7
	v_fma_f32 v10, -v6, v9, v8
	v_fmac_f32_e32 v9, v10, v7
	v_fma_f32 v6, -v6, v9, v8
	v_div_fmas_f32 v6, v6, v7, v9
	v_div_fixup_f32 v4, v6, v5, v4
	ds_write_b32 v3, v4
	s_cbranch_scc1 .LBB40_34
.LBB40_32:                              ; =>This Loop Header: Depth=1
                                        ;     Child Loop BB40_33 Depth 2
	s_lshl_b32 s15, s17, 7
	v_add_u32_e32 v3, s15, v1
	ds_read_b32 v4, v3
	s_cmp_eq_u32 s17, 0
	v_mov_b32_e32 v5, v2
	s_mov_b32 s18, s14
	s_mov_b32 s19, s17
	s_cbranch_scc1 .LBB40_31
.LBB40_33:                              ;   Parent Loop BB40_32 Depth=1
                                        ; =>  This Inner Loop Header: Depth=2
	v_mov_b32_e32 v7, s18
	ds_read_b32 v6, v5
	ds_read_b32 v7, v7
	s_add_i32 s19, s19, -1
	s_addk_i32 s18, 0x80
	v_add_u32_e32 v5, 0x80, v5
	s_cmp_eq_u32 s19, 0
	s_waitcnt lgkmcnt(0)
	v_fma_f32 v4, -v6, v7, v4
	s_cbranch_scc0 .LBB40_33
	s_branch .LBB40_31
.LBB40_34:
	s_mov_b64 s[14:15], 0
.LBB40_35:
	s_and_b64 vcc, exec, s[14:15]
	s_cbranch_vccz .LBB40_55
; %bb.36:
	s_andn2_b64 vcc, exec, s[4:5]
	s_mov_b32 s17, s7
	s_cbranch_vccnz .LBB40_42
; %bb.37:
	v_lshlrev_b32_e32 v2, 2, v0
	s_mul_i32 s14, s26, 0x84
	v_lshl_or_b32 v2, s26, 7, v2
	s_addk_i32 s14, 0xff70
	v_add_u32_e32 v6, 0xf80, v2
	s_mov_b32 s15, s7
.LBB40_38:                              ; =>This Loop Header: Depth=1
                                        ;     Child Loop BB40_39 Depth 2
	s_add_i32 s20, s15, -3
	v_lshl_add_u32 v8, s15, 7, v1
	s_add_i32 s19, s15, -1
	s_add_i32 s18, s15, -2
	s_lshl_b32 s17, s20, 7
	v_lshl_add_u32 v9, s19, 7, v1
	v_lshl_add_u32 v10, s18, 7, v1
	v_add_u32_e32 v7, s17, v1
	ds_read_b32 v5, v8
	ds_read_b32 v4, v9
	;; [unrolled: 1-line block ×4, first 2 shown]
	s_cmp_le_i32 s7, s15
	v_mov_b32_e32 v11, v6
	s_mov_b32 s21, s14
	s_mov_b32 s22, s7
	s_cbranch_scc1 .LBB40_40
.LBB40_39:                              ;   Parent Loop BB40_38 Depth=1
                                        ; =>  This Inner Loop Header: Depth=2
	v_mov_b32_e32 v13, s21
	ds_read_b32 v12, v11
	ds_read2_b32 v[14:15], v13 offset0:2 offset1:3
	ds_read2_b32 v[16:17], v13 offset1:1
	s_add_i32 s22, s22, -1
	s_addk_i32 s21, 0xff80
	v_add_u32_e32 v11, 0xffffff80, v11
	s_cmp_le_i32 s22, s15
	s_waitcnt lgkmcnt(1)
	v_pk_fma_f32 v[4:5], v[12:13], v[14:15], v[4:5] op_sel_hi:[0,1,1] neg_lo:[1,0,0] neg_hi:[1,0,0]
	s_waitcnt lgkmcnt(0)
	v_pk_fma_f32 v[2:3], v[12:13], v[16:17], v[2:3] op_sel_hi:[0,1,1] neg_lo:[1,0,0] neg_hi:[1,0,0]
	s_cbranch_scc0 .LBB40_39
.LBB40_40:                              ;   in Loop: Header=BB40_38 Depth=1
	s_lshl_b32 s22, s20, 2
	s_mul_i32 s20, s15, 0x84
	s_lshl_b32 s21, s19, 2
	s_add_i32 s23, s20, -4
	s_lshl_b32 s19, s19, 7
	v_mov_b32_e32 v11, s23
	s_add_i32 s23, s21, s19
	s_add_i32 s20, s20, -12
	s_add_i32 s19, s22, s19
	v_mov_b32_e32 v14, s23
	v_mov_b32_e32 v15, s20
	v_mov_b32_e32 v16, s19
	ds_read2_b32 v[12:13], v11 offset1:1
	ds_read_b32 v11, v14
	ds_read2_b32 v[14:15], v15 offset1:1
	ds_read2_b32 v[16:17], v16 offset1:1
	s_lshl_b32 s18, s18, 2
	s_waitcnt lgkmcnt(3)
	v_div_scale_f32 v18, s[20:21], v13, v13, v5
	v_rcp_f32_e32 v19, v18
	s_sub_i32 s18, s23, s18
	s_add_i32 s18, s18, s22
	s_addk_i32 s18, 0xff7c
	v_fma_f32 v20, -v18, v19, 1.0
	v_fmac_f32_e32 v19, v20, v19
	v_div_scale_f32 v20, vcc, v5, v13, v5
	v_mul_f32_e32 v21, v20, v19
	v_fma_f32 v22, -v18, v21, v20
	v_fmac_f32_e32 v21, v22, v19
	v_fma_f32 v18, -v18, v21, v20
	v_div_fmas_f32 v18, v18, v19, v21
	v_div_fixup_f32 v13, v18, v13, v5
	v_fma_f32 v4, -v13, v12, v4
	s_waitcnt lgkmcnt(2)
	v_div_scale_f32 v5, s[20:21], v11, v11, v4
	v_rcp_f32_e32 v12, v5
	s_waitcnt lgkmcnt(1)
	v_fma_f32 v3, -v13, v15, v3
	s_add_i32 s17, s22, s17
	v_fma_f32 v2, -v13, v14, v2
	v_fma_f32 v18, -v5, v12, 1.0
	v_fmac_f32_e32 v12, v18, v12
	v_div_scale_f32 v18, vcc, v4, v11, v4
	v_mul_f32_e32 v19, v18, v12
	v_fma_f32 v20, -v5, v19, v18
	v_fmac_f32_e32 v19, v20, v12
	v_fma_f32 v5, -v5, v19, v18
	v_div_fmas_f32 v5, v5, v12, v19
	v_div_fixup_f32 v11, v5, v11, v4
	v_mov_b32_e32 v4, s18
	ds_read2_b32 v[4:5], v4 offset1:1
	s_waitcnt lgkmcnt(1)
	v_fma_f32 v3, -v11, v17, v3
	v_mov_b32_e32 v12, s17
	ds_read_b32 v12, v12
	v_fma_f32 v2, -v11, v16, v2
	s_waitcnt lgkmcnt(1)
	v_div_scale_f32 v15, s[18:19], v5, v5, v3
	v_rcp_f32_e32 v17, v15
	s_add_i32 s17, s15, -4
	s_add_i32 s14, s14, -16
	s_cmp_lt_i32 s15, 7
	v_fma_f32 v18, -v15, v17, 1.0
	v_fmac_f32_e32 v17, v18, v17
	v_div_scale_f32 v18, vcc, v3, v5, v3
	v_mul_f32_e32 v19, v18, v17
	v_fma_f32 v20, -v15, v19, v18
	v_fmac_f32_e32 v19, v20, v17
	v_fma_f32 v15, -v15, v19, v18
	v_div_fmas_f32 v15, v15, v17, v19
	v_div_fixup_f32 v3, v15, v5, v3
	v_fma_f32 v2, -v3, v4, v2
	s_waitcnt lgkmcnt(0)
	v_div_scale_f32 v4, s[18:19], v12, v12, v2
	v_rcp_f32_e32 v5, v4
	ds_write_b32 v8, v13
	ds_write_b32 v9, v11
	;; [unrolled: 1-line block ×3, first 2 shown]
	v_fma_f32 v3, -v4, v5, 1.0
	v_fmac_f32_e32 v5, v3, v5
	v_div_scale_f32 v3, vcc, v2, v12, v2
	v_mul_f32_e32 v8, v3, v5
	v_fma_f32 v9, -v4, v8, v3
	v_fmac_f32_e32 v8, v9, v5
	v_fma_f32 v3, -v4, v8, v3
	v_div_fmas_f32 v3, v3, v5, v8
	v_div_fixup_f32 v2, v3, v12, v2
	ds_write_b32 v7, v2
	s_cbranch_scc1 .LBB40_42
; %bb.41:                               ;   in Loop: Header=BB40_38 Depth=1
	s_mov_b32 s15, s17
	s_branch .LBB40_38
.LBB40_42:
	s_cmp_lt_i32 s17, 0
	s_cbranch_scc1 .LBB40_55
; %bb.43:
	s_bitcmp1_b32 s17, 0
	s_cselect_b64 s[14:15], -1, 0
	s_and_b64 vcc, exec, s[14:15]
	s_mov_b32 s14, s17
	s_cbranch_vccnz .LBB40_48
; %bb.44:
	s_lshl_b32 s14, s17, 7
	v_add_u32_e32 v2, s14, v1
	ds_read_b32 v3, v2
	s_cmp_le_i32 s7, s17
	s_cbranch_scc1 .LBB40_47
; %bb.45:
	s_lshl_b32 s18, s26, 7
	s_lshl_b32 s15, s17, 2
	s_add_i32 s15, s18, s15
	v_lshl_or_b32 v4, v0, 2, s18
	s_addk_i32 s15, 0xff80
	v_add_u32_e32 v4, 0xf80, v4
	s_mov_b32 s18, s7
.LBB40_46:                              ; =>This Inner Loop Header: Depth=1
	v_mov_b32_e32 v6, s15
	ds_read_b32 v5, v4
	ds_read_b32 v6, v6
	s_add_i32 s18, s18, -1
	s_addk_i32 s15, 0xff80
	v_add_u32_e32 v4, 0xffffff80, v4
	s_cmp_gt_u32 s18, s17
	s_waitcnt lgkmcnt(0)
	v_fma_f32 v3, -v5, v6, v3
	s_cbranch_scc1 .LBB40_46
.LBB40_47:
	s_lshl_b32 s15, s17, 2
	s_add_i32 s14, s15, s14
	v_mov_b32_e32 v4, s14
	ds_read_b32 v4, v4
	s_waitcnt lgkmcnt(0)
	v_div_scale_f32 v5, s[14:15], v4, v4, v3
	v_rcp_f32_e32 v6, v5
	v_div_scale_f32 v7, vcc, v3, v4, v3
	s_add_i32 s14, s17, -1
	v_fma_f32 v8, -v5, v6, 1.0
	v_fmac_f32_e32 v6, v8, v6
	v_mul_f32_e32 v8, v7, v6
	v_fma_f32 v9, -v5, v8, v7
	v_fmac_f32_e32 v8, v9, v6
	v_fma_f32 v5, -v5, v8, v7
	v_div_fmas_f32 v5, v5, v6, v8
	v_div_fixup_f32 v3, v5, v4, v3
	ds_write_b32 v2, v3
.LBB40_48:
	s_cmp_eq_u32 s17, 0
	s_cbranch_scc1 .LBB40_55
; %bb.49:
	s_lshl_b32 s17, s26, 7
	s_lshl_b32 s15, s14, 2
	s_add_i32 s18, s17, s15
	v_lshl_or_b32 v2, v0, 2, s17
	s_add_i32 s15, s18, 0xffffff80
	v_add_u32_e32 v2, 0xf80, v2
	s_add_i32 s17, s18, 0xffffff7c
	s_branch .LBB40_51
.LBB40_50:                              ;   in Loop: Header=BB40_51 Depth=1
	s_add_i32 s19, s19, s20
	s_add_i32 s19, s19, -4
	v_mov_b32_e32 v5, s19
	ds_read_b32 v5, v5
	s_add_i32 s14, s14, -2
	s_add_i32 s15, s15, -8
	;; [unrolled: 1-line block ×3, first 2 shown]
	s_cmp_eq_u32 s18, 0
	s_waitcnt lgkmcnt(0)
	v_div_scale_f32 v6, s[20:21], v5, v5, v4
	v_rcp_f32_e32 v7, v6
	v_div_scale_f32 v8, vcc, v4, v5, v4
	v_fma_f32 v9, -v6, v7, 1.0
	v_fmac_f32_e32 v7, v9, v7
	v_mul_f32_e32 v9, v8, v7
	v_fma_f32 v10, -v6, v9, v8
	v_fmac_f32_e32 v9, v10, v7
	v_fma_f32 v6, -v6, v9, v8
	v_div_fmas_f32 v6, v6, v7, v9
	v_div_fixup_f32 v4, v6, v5, v4
	ds_write_b32 v3, v4
	s_cbranch_scc1 .LBB40_55
.LBB40_51:                              ; =>This Loop Header: Depth=1
                                        ;     Child Loop BB40_52 Depth 2
                                        ;     Child Loop BB40_54 Depth 2
	s_lshl_b32 s18, s14, 7
	v_add_u32_e32 v5, s18, v1
	ds_read_b32 v6, v5
	s_cmp_le_i32 s7, s14
	v_mov_b32_e32 v3, v2
	s_mov_b32 s19, s15
	s_mov_b32 s20, s7
	s_cbranch_scc1 .LBB40_53
.LBB40_52:                              ;   Parent Loop BB40_51 Depth=1
                                        ; =>  This Inner Loop Header: Depth=2
	v_mov_b32_e32 v7, s19
	ds_read_b32 v4, v3
	ds_read_b32 v7, v7
	s_add_i32 s20, s20, -1
	s_addk_i32 s19, 0xff80
	v_add_u32_e32 v3, 0xffffff80, v3
	s_cmp_le_u32 s20, s14
	s_waitcnt lgkmcnt(0)
	v_fma_f32 v6, -v4, v7, v6
	s_cbranch_scc0 .LBB40_52
.LBB40_53:                              ;   in Loop: Header=BB40_51 Depth=1
	s_lshl_b32 s19, s14, 2
	s_add_i32 s18, s19, s18
	v_mov_b32_e32 v3, s18
	ds_read_b32 v7, v3
	s_add_i32 s18, s14, -1
	s_lshl_b32 s20, s18, 7
	v_add_u32_e32 v3, s20, v1
	ds_read_b32 v4, v3
	s_waitcnt lgkmcnt(1)
	v_div_scale_f32 v8, s[22:23], v7, v7, v6
	v_rcp_f32_e32 v9, v8
	v_div_scale_f32 v10, vcc, v6, v7, v6
	s_cmp_le_i32 s26, s14
	v_fma_f32 v11, -v8, v9, 1.0
	v_fmac_f32_e32 v9, v11, v9
	v_mul_f32_e32 v11, v10, v9
	v_fma_f32 v12, -v8, v11, v10
	v_fmac_f32_e32 v11, v12, v9
	v_fma_f32 v8, -v8, v11, v10
	v_div_fmas_f32 v8, v8, v9, v11
	v_div_fixup_f32 v6, v8, v7, v6
	ds_write_b32 v5, v6
	v_mov_b32_e32 v5, v2
	s_mov_b32 s21, s17
	s_mov_b32 s22, s7
	s_cbranch_scc1 .LBB40_50
.LBB40_54:                              ;   Parent Loop BB40_51 Depth=1
                                        ; =>  This Inner Loop Header: Depth=2
	v_mov_b32_e32 v7, s21
	ds_read_b32 v6, v5
	ds_read_b32 v7, v7
	s_add_i32 s22, s22, -1
	s_addk_i32 s21, 0xff80
	v_add_u32_e32 v5, 0xffffff80, v5
	s_cmp_gt_u32 s22, s18
	s_waitcnt lgkmcnt(0)
	v_fma_f32 v4, -v6, v7, v4
	s_cbranch_scc1 .LBB40_54
	s_branch .LBB40_50
.LBB40_55:
	s_mov_b64 s[20:21], 0
.LBB40_56:
	s_andn2_b64 vcc, exec, s[20:21]
	s_cbranch_vccnz .LBB40_76
; %bb.57:
	s_andn2_b64 vcc, exec, s[4:5]
	s_mov_b32 s14, s7
	s_cbranch_vccnz .LBB40_63
; %bb.58:
	v_lshlrev_b32_e32 v2, 2, v0
	v_lshl_or_b32 v2, s26, 7, v2
	s_mul_i32 s4, s26, 0x84
	v_add_u32_e32 v6, 0xf80, v2
	s_addk_i32 s4, 0xfdfc
	s_mov_b32 s5, s7
.LBB40_59:                              ; =>This Loop Header: Depth=1
                                        ;     Child Loop BB40_60 Depth 2
	v_lshl_add_u32 v8, s5, 7, v1
	s_add_i32 s17, s5, -1
	s_add_i32 s15, s5, -2
	;; [unrolled: 1-line block ×3, first 2 shown]
	v_lshl_add_u32 v9, s17, 7, v1
	v_lshl_add_u32 v10, s15, 7, v1
	v_lshl_add_u32 v7, s14, 7, v1
	ds_read_b32 v4, v8
	ds_read_b32 v5, v9
	;; [unrolled: 1-line block ×4, first 2 shown]
	s_cmp_le_i32 s7, s5
	s_mov_b32 s18, s4
	v_mov_b32_e32 v11, v6
	s_mov_b32 s19, s7
	s_cbranch_scc1 .LBB40_61
.LBB40_60:                              ;   Parent Loop BB40_59 Depth=1
                                        ; =>  This Inner Loop Header: Depth=2
	v_mov_b32_e32 v13, s18
	ds_read_b32 v12, v11
	ds_read2_b32 v[16:17], v13 offset0:64 offset1:96
	ds_read2_b32 v[18:19], v13 offset1:32
	s_add_i32 s19, s19, -1
	s_add_i32 s18, s18, -4
	v_add_u32_e32 v11, 0xffffff80, v11
	s_waitcnt lgkmcnt(1)
	v_mov_b32_e32 v14, v17
	v_mov_b32_e32 v15, v16
	s_waitcnt lgkmcnt(0)
	v_mov_b32_e32 v16, v19
	v_mov_b32_e32 v17, v18
	s_cmp_le_i32 s19, s5
	v_pk_fma_f32 v[4:5], v[12:13], v[14:15], v[4:5] op_sel_hi:[0,1,1] neg_lo:[1,0,0] neg_hi:[1,0,0]
	v_pk_fma_f32 v[2:3], v[12:13], v[16:17], v[2:3] op_sel_hi:[0,1,1] neg_lo:[1,0,0] neg_hi:[1,0,0]
	s_cbranch_scc0 .LBB40_60
.LBB40_61:                              ;   in Loop: Header=BB40_59 Depth=1
	s_lshl_b32 s20, s17, 5
	s_lshl_b32 s20, s20, 2
	;; [unrolled: 1-line block ×4, first 2 shown]
	s_add_i32 s17, s20, s17
	v_mov_b32_e32 v12, s17
	s_lshl_b32 s17, s19, 2
	s_lshl_b32 s19, s5, 2
	;; [unrolled: 1-line block ×3, first 2 shown]
	s_mul_i32 s21, s5, 0x84
	s_add_i32 s20, s17, s19
	s_add_i32 s15, s17, s15
	v_mov_b32_e32 v11, s21
	v_mov_b32_e32 v14, s20
	;; [unrolled: 1-line block ×3, first 2 shown]
	ds_read_b32 v11, v11
	ds_read2_b32 v[12:13], v12 offset1:1
	ds_read_b32 v16, v14
	ds_read2_b32 v[14:15], v15 offset1:1
	s_lshl_b32 s18, s14, 5
	s_waitcnt lgkmcnt(3)
	v_div_scale_f32 v17, s[20:21], v11, v11, v4
	v_rcp_f32_e32 v18, v17
	s_lshl_b32 s15, s18, 2
	s_add_i32 s17, s15, s19
	s_lshl_b32 s14, s14, 2
	v_fma_f32 v19, -v17, v18, 1.0
	v_fmac_f32_e32 v18, v19, v18
	v_div_scale_f32 v19, vcc, v4, v11, v4
	v_mul_f32_e32 v20, v19, v18
	v_fma_f32 v21, -v17, v20, v19
	v_fmac_f32_e32 v20, v21, v18
	v_fma_f32 v17, -v17, v20, v19
	v_div_fmas_f32 v17, v17, v18, v20
	v_div_fixup_f32 v11, v17, v11, v4
	s_waitcnt lgkmcnt(2)
	v_fma_f32 v4, -v11, v13, v5
	v_div_scale_f32 v5, s[20:21], v12, v12, v4
	v_rcp_f32_e32 v13, v5
	s_waitcnt lgkmcnt(1)
	v_fma_f32 v2, -v11, v16, v2
	s_add_i32 s17, s17, -4
	s_add_i32 s14, s15, s14
	v_fma_f32 v17, -v5, v13, 1.0
	v_fmac_f32_e32 v13, v17, v13
	v_div_scale_f32 v17, vcc, v4, v12, v4
	v_mul_f32_e32 v18, v17, v13
	v_fma_f32 v19, -v5, v18, v17
	v_fmac_f32_e32 v18, v19, v13
	v_fma_f32 v5, -v5, v18, v17
	v_div_fmas_f32 v5, v5, v13, v18
	v_div_fixup_f32 v17, v5, v12, v4
	s_waitcnt lgkmcnt(0)
	v_fma_f32 v2, -v17, v15, v2
	v_div_scale_f32 v4, s[20:21], v14, v14, v2
	v_rcp_f32_e32 v15, v4
	s_addk_i32 s4, 0xfe00
	v_fma_f32 v5, -v4, v15, 1.0
	v_fmac_f32_e32 v15, v5, v15
	v_div_scale_f32 v5, vcc, v2, v14, v2
	v_mul_f32_e32 v16, v5, v15
	v_fma_f32 v12, -v4, v16, v5
	v_fmac_f32_e32 v16, v12, v15
	v_fma_f32 v18, -v4, v16, v5
	v_mov_b32_e32 v4, s17
	v_mov_b32_e32 v12, s14
	ds_read2_b32 v[4:5], v4 offset1:1
	ds_read2_b32 v[12:13], v12 offset1:1
	v_div_fmas_f32 v15, v18, v15, v16
	v_div_fixup_f32 v2, v15, v14, v2
	ds_write_b32 v8, v11
	ds_write_b32 v9, v17
	;; [unrolled: 1-line block ×3, first 2 shown]
	s_waitcnt lgkmcnt(4)
	v_fma_f32 v3, -v11, v5, v3
	v_fma_f32 v3, -v17, v4, v3
	s_waitcnt lgkmcnt(3)
	v_fma_f32 v3, -v2, v13, v3
	v_div_scale_f32 v4, s[14:15], v12, v12, v3
	v_rcp_f32_e32 v5, v4
	s_add_i32 s14, s5, -4
	s_cmp_lt_i32 s5, 7
	v_fma_f32 v2, -v4, v5, 1.0
	v_fmac_f32_e32 v5, v2, v5
	v_div_scale_f32 v2, vcc, v3, v12, v3
	v_mul_f32_e32 v8, v2, v5
	v_fma_f32 v9, -v4, v8, v2
	v_fmac_f32_e32 v8, v9, v5
	v_fma_f32 v2, -v4, v8, v2
	v_div_fmas_f32 v2, v2, v5, v8
	v_div_fixup_f32 v2, v2, v12, v3
	ds_write_b32 v7, v2
	s_cbranch_scc1 .LBB40_63
; %bb.62:                               ;   in Loop: Header=BB40_59 Depth=1
	s_mov_b32 s5, s14
	s_branch .LBB40_59
.LBB40_63:
	s_cmp_lt_i32 s14, 0
	s_cbranch_scc1 .LBB40_76
; %bb.64:
	s_bitcmp1_b32 s14, 0
	s_cselect_b64 s[4:5], -1, 0
	s_and_b64 vcc, exec, s[4:5]
	s_mov_b32 s4, s14
	s_cbranch_vccnz .LBB40_69
; %bb.65:
	v_lshl_add_u32 v2, s14, 7, v1
	ds_read_b32 v3, v2
	s_cmp_le_i32 s7, s14
	s_cbranch_scc1 .LBB40_68
; %bb.66:
	s_lshl_b32 s4, s14, 7
	s_lshl_b32 s5, s26, 2
	v_lshlrev_b32_e32 v4, 2, v0
	s_add_i32 s4, s4, s5
	v_lshl_or_b32 v4, s26, 7, v4
	s_add_i32 s4, s4, -4
	v_add_u32_e32 v4, 0xf80, v4
	s_mov_b32 s5, s7
.LBB40_67:                              ; =>This Inner Loop Header: Depth=1
	v_mov_b32_e32 v6, s4
	ds_read_b32 v5, v4
	ds_read_b32 v6, v6
	s_add_i32 s5, s5, -1
	s_add_i32 s4, s4, -4
	v_add_u32_e32 v4, 0xffffff80, v4
	s_cmp_gt_u32 s5, s14
	s_waitcnt lgkmcnt(0)
	v_fma_f32 v3, -v5, v6, v3
	s_cbranch_scc1 .LBB40_67
.LBB40_68:
	s_mul_i32 s4, s14, 0x84
	v_mov_b32_e32 v4, s4
	ds_read_b32 v4, v4
	s_waitcnt lgkmcnt(0)
	v_div_scale_f32 v5, s[4:5], v4, v4, v3
	v_rcp_f32_e32 v6, v5
	v_div_scale_f32 v7, vcc, v3, v4, v3
	s_add_i32 s4, s14, -1
	v_fma_f32 v8, -v5, v6, 1.0
	v_fmac_f32_e32 v6, v8, v6
	v_mul_f32_e32 v8, v7, v6
	v_fma_f32 v9, -v5, v8, v7
	v_fmac_f32_e32 v8, v9, v6
	v_fma_f32 v5, -v5, v8, v7
	v_div_fmas_f32 v5, v5, v6, v8
	v_div_fixup_f32 v3, v5, v4, v3
	ds_write_b32 v2, v3
.LBB40_69:
	s_cmp_eq_u32 s14, 0
	s_cbranch_scc1 .LBB40_76
; %bb.70:
	v_lshlrev_b32_e32 v2, 2, v0
	s_lshl_b32 s5, s4, 7
	s_lshl_b32 s14, s26, 2
	v_lshl_or_b32 v2, s26, 7, v2
	s_add_i32 s14, s5, s14
	v_add_u32_e32 v2, 0xf80, v2
	s_add_i32 s5, s14, -4
	s_addk_i32 s14, 0xff7c
	s_branch .LBB40_72
.LBB40_71:                              ;   in Loop: Header=BB40_72 Depth=1
	s_addk_i32 s17, 0xff7c
	v_mov_b32_e32 v5, s17
	ds_read_b32 v5, v5
	s_add_i32 s4, s4, -2
	s_addk_i32 s5, 0xff00
	s_addk_i32 s14, 0xff00
	s_cmp_eq_u32 s15, 0
	s_waitcnt lgkmcnt(0)
	v_div_scale_f32 v6, s[18:19], v5, v5, v4
	v_rcp_f32_e32 v7, v6
	v_div_scale_f32 v8, vcc, v4, v5, v4
	v_fma_f32 v9, -v6, v7, 1.0
	v_fmac_f32_e32 v7, v9, v7
	v_mul_f32_e32 v9, v8, v7
	v_fma_f32 v10, -v6, v9, v8
	v_fmac_f32_e32 v9, v10, v7
	v_fma_f32 v6, -v6, v9, v8
	v_div_fmas_f32 v6, v6, v7, v9
	v_div_fixup_f32 v4, v6, v5, v4
	ds_write_b32 v3, v4
	s_cbranch_scc1 .LBB40_76
.LBB40_72:                              ; =>This Loop Header: Depth=1
                                        ;     Child Loop BB40_73 Depth 2
                                        ;     Child Loop BB40_75 Depth 2
	v_lshl_add_u32 v5, s4, 7, v1
	ds_read_b32 v6, v5
	s_cmp_le_i32 s7, s4
	s_mov_b32 s15, s5
	v_mov_b32_e32 v3, v2
	s_mov_b32 s17, s7
	s_cbranch_scc1 .LBB40_74
.LBB40_73:                              ;   Parent Loop BB40_72 Depth=1
                                        ; =>  This Inner Loop Header: Depth=2
	v_mov_b32_e32 v7, s15
	ds_read_b32 v4, v3
	ds_read_b32 v7, v7
	s_add_i32 s17, s17, -1
	s_add_i32 s15, s15, -4
	v_add_u32_e32 v3, 0xffffff80, v3
	s_cmp_le_u32 s17, s4
	s_waitcnt lgkmcnt(0)
	v_fma_f32 v6, -v4, v7, v6
	s_cbranch_scc0 .LBB40_73
.LBB40_74:                              ;   in Loop: Header=BB40_72 Depth=1
	s_mul_i32 s17, s4, 0x84
	v_mov_b32_e32 v3, s17
	ds_read_b32 v7, v3
	s_add_i32 s15, s4, -1
	v_lshl_add_u32 v3, s15, 7, v1
	ds_read_b32 v4, v3
	s_cmp_le_i32 s26, s4
	s_waitcnt lgkmcnt(1)
	v_div_scale_f32 v8, s[18:19], v7, v7, v6
	v_rcp_f32_e32 v9, v8
	v_div_scale_f32 v10, vcc, v6, v7, v6
	s_mov_b32 s18, s14
	v_fma_f32 v11, -v8, v9, 1.0
	v_fmac_f32_e32 v9, v11, v9
	v_mul_f32_e32 v11, v10, v9
	v_fma_f32 v12, -v8, v11, v10
	v_fmac_f32_e32 v11, v12, v9
	v_fma_f32 v8, -v8, v11, v10
	v_div_fmas_f32 v8, v8, v9, v11
	v_div_fixup_f32 v6, v8, v7, v6
	ds_write_b32 v5, v6
	v_mov_b32_e32 v5, v2
	s_mov_b32 s19, s7
	s_cbranch_scc1 .LBB40_71
.LBB40_75:                              ;   Parent Loop BB40_72 Depth=1
                                        ; =>  This Inner Loop Header: Depth=2
	v_mov_b32_e32 v7, s18
	ds_read_b32 v6, v5
	ds_read_b32 v7, v7
	s_add_i32 s19, s19, -1
	s_add_i32 s18, s18, -4
	v_add_u32_e32 v5, 0xffffff80, v5
	s_cmp_gt_u32 s19, s15
	s_waitcnt lgkmcnt(0)
	v_fma_f32 v4, -v6, v7, v4
	s_cbranch_scc1 .LBB40_75
	s_branch .LBB40_71
.LBB40_76:
	s_mov_b64 s[20:21], 0
.LBB40_77:
	s_andn2_b64 vcc, exec, s[20:21]
	s_cbranch_vccnz .LBB40_89
; %bb.78:
	v_mov_b32_e32 v1, 0x1000
	v_lshl_or_b32 v1, v0, 2, v1
	s_cmp_lt_i32 s16, 4
	s_mov_b32 s7, 0
	s_cbranch_scc1 .LBB40_84
; %bb.79:
	s_mov_b32 s4, 0
	s_mov_b32 s5, 0
.LBB40_80:                              ; =>This Loop Header: Depth=1
                                        ;     Child Loop BB40_81 Depth 2
	s_or_b32 s7, s5, 3
	v_lshl_add_u32 v7, s5, 7, v1
	s_or_b32 s14, s5, 1
	s_or_b32 s15, s5, 2
	v_lshl_add_u32 v8, s14, 7, v1
	v_lshl_add_u32 v9, s15, 7, v1
	;; [unrolled: 1-line block ×3, first 2 shown]
	ds_read_b32 v4, v7
	ds_read_b32 v5, v8
	;; [unrolled: 1-line block ×4, first 2 shown]
	s_cmp_eq_u32 s5, 0
	s_mov_b32 s17, s4
	v_mov_b32_e32 v10, v1
	s_mov_b32 s18, s5
	s_cbranch_scc1 .LBB40_82
.LBB40_81:                              ;   Parent Loop BB40_80 Depth=1
                                        ; =>  This Inner Loop Header: Depth=2
	v_mov_b32_e32 v11, s17
	ds_read_b32 v12, v10
	ds_read2_b32 v[14:15], v11 offset1:32
	ds_read2_b32 v[16:17], v11 offset0:64 offset1:96
	s_add_i32 s18, s18, -1
	s_add_i32 s17, s17, 4
	v_add_u32_e32 v10, 0x80, v10
	s_cmp_eq_u32 s18, 0
	s_waitcnt lgkmcnt(1)
	v_pk_fma_f32 v[4:5], v[12:13], v[14:15], v[4:5] op_sel_hi:[0,1,1] neg_lo:[1,0,0] neg_hi:[1,0,0]
	s_waitcnt lgkmcnt(0)
	v_pk_fma_f32 v[2:3], v[12:13], v[16:17], v[2:3] op_sel_hi:[0,1,1] neg_lo:[1,0,0] neg_hi:[1,0,0]
	s_cbranch_scc0 .LBB40_81
.LBB40_82:                              ;   in Loop: Header=BB40_80 Depth=1
	s_lshl_b32 s17, s14, 5
	s_lshl_b32 s14, s15, 5
	s_mul_i32 s15, s5, 0x84
	v_mov_b32_e32 v10, s15
	ds_read_b32 v15, v10
	s_lshl_b32 s15, s17, 2
	s_lshl_b32 s17, s5, 2
	;; [unrolled: 1-line block ×3, first 2 shown]
	s_add_i32 s15, s15, s17
	s_add_i32 s14, s14, s17
	v_mov_b32_e32 v10, s15
	v_mov_b32_e32 v12, s14
	s_waitcnt lgkmcnt(0)
	v_div_scale_f32 v16, s[14:15], v15, v15, v4
	v_rcp_f32_e32 v17, v16
	ds_read_b64 v[10:11], v10
	ds_read_b96 v[12:14], v12
	s_lshl_b32 s7, s7, 5
	s_lshl_b32 s7, s7, 2
	v_fma_f32 v18, -v16, v17, 1.0
	v_fmac_f32_e32 v17, v18, v17
	v_div_scale_f32 v18, vcc, v4, v15, v4
	v_mul_f32_e32 v19, v18, v17
	v_fma_f32 v20, -v16, v19, v18
	v_fmac_f32_e32 v19, v20, v17
	v_fma_f32 v16, -v16, v19, v18
	v_div_fmas_f32 v16, v16, v17, v19
	v_div_fixup_f32 v4, v16, v15, v4
	s_waitcnt lgkmcnt(1)
	v_fma_f32 v5, -v4, v10, v5
	v_div_scale_f32 v10, s[14:15], v11, v11, v5
	v_rcp_f32_e32 v15, v10
	s_waitcnt lgkmcnt(0)
	v_fma_f32 v2, -v4, v12, v2
	s_add_i32 s7, s7, s17
	s_addk_i32 s4, 0x200
	v_fma_f32 v16, -v10, v15, 1.0
	v_fmac_f32_e32 v15, v16, v15
	v_div_scale_f32 v16, vcc, v5, v11, v5
	v_mul_f32_e32 v17, v16, v15
	v_fma_f32 v18, -v10, v17, v16
	v_fmac_f32_e32 v17, v18, v15
	v_fma_f32 v10, -v10, v17, v16
	v_div_fmas_f32 v10, v10, v15, v17
	v_div_fixup_f32 v5, v10, v11, v5
	v_fma_f32 v2, -v5, v13, v2
	v_div_scale_f32 v15, s[14:15], v14, v14, v2
	v_rcp_f32_e32 v16, v15
	v_div_scale_f32 v17, vcc, v2, v14, v2
	v_fma_f32 v10, -v15, v16, 1.0
	v_fmac_f32_e32 v16, v10, v16
	v_mul_f32_e32 v18, v17, v16
	v_fma_f32 v10, -v15, v18, v17
	v_fmac_f32_e32 v18, v10, v16
	v_mov_b32_e32 v10, s7
	ds_read_b128 v[10:13], v10
	v_fma_f32 v15, -v15, v18, v17
	v_div_fmas_f32 v15, v15, v16, v18
	v_div_fixup_f32 v2, v15, v14, v2
	ds_write_b32 v7, v4
	ds_write_b32 v8, v5
	;; [unrolled: 1-line block ×3, first 2 shown]
	s_waitcnt lgkmcnt(3)
	v_fma_f32 v3, -v4, v10, v3
	v_fma_f32 v3, -v5, v11, v3
	;; [unrolled: 1-line block ×3, first 2 shown]
	v_div_scale_f32 v10, s[14:15], v13, v13, v3
	v_rcp_f32_e32 v11, v10
	s_add_i32 s7, s5, 4
	s_add_i32 s5, s5, 7
	s_cmp_ge_i32 s5, s26
	v_fma_f32 v2, -v10, v11, 1.0
	v_fmac_f32_e32 v11, v2, v11
	v_div_scale_f32 v2, vcc, v3, v13, v3
	v_mul_f32_e32 v4, v2, v11
	v_fma_f32 v5, -v10, v4, v2
	v_fmac_f32_e32 v4, v5, v11
	v_fma_f32 v2, -v10, v4, v2
	v_div_fmas_f32 v2, v2, v11, v4
	v_div_fixup_f32 v2, v2, v13, v3
	ds_write_b32 v6, v2
	s_cbranch_scc1 .LBB40_84
; %bb.83:                               ;   in Loop: Header=BB40_80 Depth=1
	s_mov_b32 s5, s7
	s_branch .LBB40_80
.LBB40_84:
	s_cmp_ge_i32 s7, s26
	s_cbranch_scc1 .LBB40_89
; %bb.85:
	v_mov_b32_e32 v2, 0x1000
	v_lshl_or_b32 v2, v0, 2, v2
	s_lshl_b32 s4, s7, 7
	s_branch .LBB40_87
.LBB40_86:                              ;   in Loop: Header=BB40_87 Depth=1
	s_mul_i32 s5, s7, 0x84
	v_mov_b32_e32 v5, s5
	ds_read_b32 v5, v5
	s_add_i32 s7, s7, 1
	s_addk_i32 s4, 0x80
	s_cmp_ge_i32 s7, s26
	s_waitcnt lgkmcnt(0)
	v_div_scale_f32 v6, s[14:15], v5, v5, v4
	v_rcp_f32_e32 v7, v6
	v_div_scale_f32 v8, vcc, v4, v5, v4
	v_fma_f32 v9, -v6, v7, 1.0
	v_fmac_f32_e32 v7, v9, v7
	v_mul_f32_e32 v9, v8, v7
	v_fma_f32 v10, -v6, v9, v8
	v_fmac_f32_e32 v9, v10, v7
	v_fma_f32 v6, -v6, v9, v8
	v_div_fmas_f32 v6, v6, v7, v9
	v_div_fixup_f32 v4, v6, v5, v4
	ds_write_b32 v3, v4
	s_cbranch_scc1 .LBB40_89
.LBB40_87:                              ; =>This Loop Header: Depth=1
                                        ;     Child Loop BB40_88 Depth 2
	v_lshl_add_u32 v3, s7, 7, v1
	ds_read_b32 v4, v3
	s_cmp_eq_u32 s7, 0
	s_mov_b32 s5, s4
	v_mov_b32_e32 v5, v2
	s_mov_b32 s14, s7
	s_cbranch_scc1 .LBB40_86
.LBB40_88:                              ;   Parent Loop BB40_87 Depth=1
                                        ; =>  This Inner Loop Header: Depth=2
	v_mov_b32_e32 v7, s5
	ds_read_b32 v6, v5
	ds_read_b32 v7, v7
	s_add_i32 s14, s14, -1
	s_add_i32 s5, s5, 4
	v_add_u32_e32 v5, 0x80, v5
	s_cmp_eq_u32 s14, 0
	s_waitcnt lgkmcnt(0)
	v_fma_f32 v4, -v6, v7, v4
	s_cbranch_scc0 .LBB40_88
	s_branch .LBB40_86
.LBB40_89:
	s_and_saveexec_b64 s[4:5], s[0:1]
	s_cbranch_execz .LBB40_98
; %bb.90:
	s_cmp_lt_i32 s16, 1
	s_cbranch_scc1 .LBB40_98
; %bb.91:
	s_cmp_eq_u32 s16, 1
	s_cselect_b64 s[0:1], -1, 0
	s_cmp_lg_u32 s6, 1
	s_cselect_b64 s[4:5], -1, 0
	s_or_b64 s[0:1], s[0:1], s[4:5]
	v_mov_b32_e32 v3, 0
	s_and_b64 vcc, exec, s[0:1]
	v_lshlrev_b32_e32 v2, 2, v0
	s_cbranch_vccnz .LBB40_95
; %bb.92:
	v_mov_b32_e32 v1, 0x1000
	s_and_b32 s4, s16, 0x7ffffffe
	v_lshl_add_u64 v[4:5], s[12:13], 0, v[2:3]
	v_lshl_or_b32 v0, v0, 2, v1
	s_mov_b32 s0, 1
	s_mov_b32 s1, 0
	;; [unrolled: 1-line block ×3, first 2 shown]
.LBB40_93:                              ; =>This Inner Loop Header: Depth=1
	v_lshl_add_u32 v1, s1, 7, v0
	v_lshl_add_u32 v3, s0, 7, v0
	ds_read_b32 v6, v1
	ds_read_b32 v7, v3
	s_add_i32 s1, s1, 2
	s_add_i32 s0, s0, 2
	s_add_i32 s5, s5, -2
	s_cmp_lg_u32 s5, 0
	s_waitcnt lgkmcnt(0)
	flat_store_dwordx2 v[4:5], v[6:7]
	v_lshl_add_u64 v[4:5], v[4:5], 0, 8
	s_cbranch_scc1 .LBB40_93
; %bb.94:
	s_cmp_lg_u32 s16, s4
	s_cselect_b64 s[0:1], -1, 0
	s_and_b64 vcc, exec, s[0:1]
	s_cbranch_vccnz .LBB40_96
	s_branch .LBB40_98
.LBB40_95:
	s_mov_b32 s4, 0
	s_cbranch_execz .LBB40_98
.LBB40_96:
	s_mul_hi_i32 s1, s6, s4
	s_mul_i32 s0, s6, s4
	s_ashr_i32 s7, s6, 31
	s_sub_i32 s5, s16, s4
	s_lshl_b64 s[0:1], s[0:1], 2
	s_add_u32 s0, s0, s2
	s_addc_u32 s1, s1, s3
	s_add_u32 s0, s0, s10
	s_addc_u32 s1, s1, s11
	s_add_u32 s0, s8, s0
	v_mov_b32_e32 v3, 0
	s_addc_u32 s1, s9, s1
	v_lshl_add_u64 v[0:1], s[0:1], 0, v[2:3]
	v_lshl_or_b32 v2, s4, 7, v2
	s_lshl_b64 s[0:1], s[6:7], 2
	v_add_u32_e32 v2, 0x1000, v2
.LBB40_97:                              ; =>This Inner Loop Header: Depth=1
	ds_read_b32 v3, v2
	s_add_i32 s5, s5, -1
	v_add_u32_e32 v2, 0x80, v2
	s_cmp_lg_u32 s5, 0
	s_waitcnt lgkmcnt(0)
	flat_store_dword v[0:1], v3
	v_lshl_add_u64 v[0:1], v[0:1], 0, s[0:1]
	s_cbranch_scc1 .LBB40_97
.LBB40_98:
	s_endpgm
	.section	.rodata,"a",@progbits
	.p2align	6, 0x0
	.amdhsa_kernel _ZL31rocblas_trsm_small_right_deviceIffPKPKfPKPfLi32EEv13rocblas_fill_18rocblas_operation_17rocblas_diagonal_iiT0_T1_lilT2_lili
		.amdhsa_group_segment_fixed_size 8192
		.amdhsa_private_segment_fixed_size 0
		.amdhsa_kernarg_size 352
		.amdhsa_user_sgpr_count 2
		.amdhsa_user_sgpr_dispatch_ptr 0
		.amdhsa_user_sgpr_queue_ptr 0
		.amdhsa_user_sgpr_kernarg_segment_ptr 1
		.amdhsa_user_sgpr_dispatch_id 0
		.amdhsa_user_sgpr_kernarg_preload_length 0
		.amdhsa_user_sgpr_kernarg_preload_offset 0
		.amdhsa_user_sgpr_private_segment_size 0
		.amdhsa_uses_dynamic_stack 0
		.amdhsa_enable_private_segment 0
		.amdhsa_system_sgpr_workgroup_id_x 1
		.amdhsa_system_sgpr_workgroup_id_y 0
		.amdhsa_system_sgpr_workgroup_id_z 1
		.amdhsa_system_sgpr_workgroup_info 0
		.amdhsa_system_vgpr_workitem_id 0
		.amdhsa_next_free_vgpr 81
		.amdhsa_next_free_sgpr 96
		.amdhsa_accum_offset 24
		.amdhsa_reserve_vcc 1
		.amdhsa_float_round_mode_32 0
		.amdhsa_float_round_mode_16_64 0
		.amdhsa_float_denorm_mode_32 3
		.amdhsa_float_denorm_mode_16_64 3
		.amdhsa_dx10_clamp 1
		.amdhsa_ieee_mode 1
		.amdhsa_fp16_overflow 0
		.amdhsa_tg_split 0
		.amdhsa_exception_fp_ieee_invalid_op 0
		.amdhsa_exception_fp_denorm_src 0
		.amdhsa_exception_fp_ieee_div_zero 0
		.amdhsa_exception_fp_ieee_overflow 0
		.amdhsa_exception_fp_ieee_underflow 0
		.amdhsa_exception_fp_ieee_inexact 0
		.amdhsa_exception_int_div_zero 0
	.end_amdhsa_kernel
	.section	.text._ZL31rocblas_trsm_small_right_deviceIffPKPKfPKPfLi32EEv13rocblas_fill_18rocblas_operation_17rocblas_diagonal_iiT0_T1_lilT2_lili,"axG",@progbits,_ZL31rocblas_trsm_small_right_deviceIffPKPKfPKPfLi32EEv13rocblas_fill_18rocblas_operation_17rocblas_diagonal_iiT0_T1_lilT2_lili,comdat
.Lfunc_end40:
	.size	_ZL31rocblas_trsm_small_right_deviceIffPKPKfPKPfLi32EEv13rocblas_fill_18rocblas_operation_17rocblas_diagonal_iiT0_T1_lilT2_lili, .Lfunc_end40-_ZL31rocblas_trsm_small_right_deviceIffPKPKfPKPfLi32EEv13rocblas_fill_18rocblas_operation_17rocblas_diagonal_iiT0_T1_lilT2_lili
                                        ; -- End function
	.set _ZL31rocblas_trsm_small_right_deviceIffPKPKfPKPfLi32EEv13rocblas_fill_18rocblas_operation_17rocblas_diagonal_iiT0_T1_lilT2_lili.num_vgpr, 23
	.set _ZL31rocblas_trsm_small_right_deviceIffPKPKfPKPfLi32EEv13rocblas_fill_18rocblas_operation_17rocblas_diagonal_iiT0_T1_lilT2_lili.num_agpr, 0
	.set _ZL31rocblas_trsm_small_right_deviceIffPKPKfPKPfLi32EEv13rocblas_fill_18rocblas_operation_17rocblas_diagonal_iiT0_T1_lilT2_lili.numbered_sgpr, 32
	.set _ZL31rocblas_trsm_small_right_deviceIffPKPKfPKPfLi32EEv13rocblas_fill_18rocblas_operation_17rocblas_diagonal_iiT0_T1_lilT2_lili.num_named_barrier, 0
	.set _ZL31rocblas_trsm_small_right_deviceIffPKPKfPKPfLi32EEv13rocblas_fill_18rocblas_operation_17rocblas_diagonal_iiT0_T1_lilT2_lili.private_seg_size, 0
	.set _ZL31rocblas_trsm_small_right_deviceIffPKPKfPKPfLi32EEv13rocblas_fill_18rocblas_operation_17rocblas_diagonal_iiT0_T1_lilT2_lili.uses_vcc, 1
	.set _ZL31rocblas_trsm_small_right_deviceIffPKPKfPKPfLi32EEv13rocblas_fill_18rocblas_operation_17rocblas_diagonal_iiT0_T1_lilT2_lili.uses_flat_scratch, 0
	.set _ZL31rocblas_trsm_small_right_deviceIffPKPKfPKPfLi32EEv13rocblas_fill_18rocblas_operation_17rocblas_diagonal_iiT0_T1_lilT2_lili.has_dyn_sized_stack, 0
	.set _ZL31rocblas_trsm_small_right_deviceIffPKPKfPKPfLi32EEv13rocblas_fill_18rocblas_operation_17rocblas_diagonal_iiT0_T1_lilT2_lili.has_recursion, 0
	.set _ZL31rocblas_trsm_small_right_deviceIffPKPKfPKPfLi32EEv13rocblas_fill_18rocblas_operation_17rocblas_diagonal_iiT0_T1_lilT2_lili.has_indirect_call, 0
	.section	.AMDGPU.csdata,"",@progbits
; Kernel info:
; codeLenInByte = 6236
; TotalNumSgprs: 38
; NumVgprs: 23
; NumAgprs: 0
; TotalNumVgprs: 23
; ScratchSize: 0
; MemoryBound: 0
; FloatMode: 240
; IeeeMode: 1
; LDSByteSize: 8192 bytes/workgroup (compile time only)
; SGPRBlocks: 12
; VGPRBlocks: 10
; NumSGPRsForWavesPerEU: 102
; NumVGPRsForWavesPerEU: 81
; AccumOffset: 24
; Occupancy: 5
; WaveLimiterHint : 0
; COMPUTE_PGM_RSRC2:SCRATCH_EN: 0
; COMPUTE_PGM_RSRC2:USER_SGPR: 2
; COMPUTE_PGM_RSRC2:TRAP_HANDLER: 0
; COMPUTE_PGM_RSRC2:TGID_X_EN: 1
; COMPUTE_PGM_RSRC2:TGID_Y_EN: 0
; COMPUTE_PGM_RSRC2:TGID_Z_EN: 1
; COMPUTE_PGM_RSRC2:TIDIG_COMP_CNT: 0
; COMPUTE_PGM_RSRC3_GFX90A:ACCUM_OFFSET: 5
; COMPUTE_PGM_RSRC3_GFX90A:TG_SPLIT: 0
	.section	.text._ZL38rocblas_trsm_small_left_device_sharedBILi64ELi32ELb0EffPKPKfPKPfEv13rocblas_fill_18rocblas_operation_17rocblas_diagonal_iiT3_T4_lilT5_lili,"axG",@progbits,_ZL38rocblas_trsm_small_left_device_sharedBILi64ELi32ELb0EffPKPKfPKPfEv13rocblas_fill_18rocblas_operation_17rocblas_diagonal_iiT3_T4_lilT5_lili,comdat
	.globl	_ZL38rocblas_trsm_small_left_device_sharedBILi64ELi32ELb0EffPKPKfPKPfEv13rocblas_fill_18rocblas_operation_17rocblas_diagonal_iiT3_T4_lilT5_lili ; -- Begin function _ZL38rocblas_trsm_small_left_device_sharedBILi64ELi32ELb0EffPKPKfPKPfEv13rocblas_fill_18rocblas_operation_17rocblas_diagonal_iiT3_T4_lilT5_lili
	.p2align	8
	.type	_ZL38rocblas_trsm_small_left_device_sharedBILi64ELi32ELb0EffPKPKfPKPfEv13rocblas_fill_18rocblas_operation_17rocblas_diagonal_iiT3_T4_lilT5_lili,@function
_ZL38rocblas_trsm_small_left_device_sharedBILi64ELi32ELb0EffPKPKfPKPfEv13rocblas_fill_18rocblas_operation_17rocblas_diagonal_iiT3_T4_lilT5_lili: ; @_ZL38rocblas_trsm_small_left_device_sharedBILi64ELi32ELb0EffPKPKfPKPfEv13rocblas_fill_18rocblas_operation_17rocblas_diagonal_iiT3_T4_lilT5_lili
; %bb.0:
	s_load_dwordx4 s[8:11], s[0:1], 0x38
	s_load_dwordx4 s[4:7], s[0:1], 0x4
	s_load_dword s16, s[0:1], 0x14
	s_mov_b32 s20, s3
	s_mov_b32 s21, 0
	s_lshl_b64 s[24:25], s[20:21], 3
	s_waitcnt lgkmcnt(0)
	s_add_u32 s8, s8, s24
	s_addc_u32 s9, s9, s25
	s_load_dwordx2 s[8:9], s[8:9], 0x0
	s_min_i32 s26, s6, 64
	v_cmp_gt_i32_e32 vcc, s26, v0
	s_and_saveexec_b64 s[18:19], vcc
	s_cbranch_execz .LBB41_11
; %bb.1:
	s_load_dwordx4 s[12:15], s[0:1], 0x18
	s_load_dword s22, s[0:1], 0x28
	v_lshlrev_b32_e32 v2, 2, v0
	v_mov_b32_e32 v3, 0
	s_mov_b32 s3, 1
	s_waitcnt lgkmcnt(0)
	s_add_u32 s12, s12, s24
	s_addc_u32 s13, s13, s25
	s_load_dwordx2 s[12:13], s[12:13], 0x0
	s_cmp_lt_u32 s26, 2
	s_cselect_b64 s[28:29], -1, 0
	s_cmp_lg_u32 s22, 1
	s_cselect_b64 s[30:31], -1, 0
	s_or_b64 s[28:29], s[28:29], s[30:31]
	s_mov_b64 s[24:25], -1
	s_and_b64 vcc, exec, s[28:29]
	s_cbranch_vccnz .LBB41_5
; %bb.2:
	s_lshl_b64 s[20:21], s[14:15], 2
	s_waitcnt lgkmcnt(0)
	s_add_u32 s20, s12, s20
	s_addc_u32 s21, s13, s21
	v_lshl_add_u64 v[4:5], s[20:21], 0, v[2:3]
	s_and_b32 s21, s26, -2
	s_mov_b32 s17, 0
	s_mov_b32 s20, s21
.LBB41_3:                               ; =>This Inner Loop Header: Depth=1
	flat_load_dwordx2 v[6:7], v[4:5]
	v_lshl_or_b32 v1, s17, 8, v2
	v_lshl_or_b32 v3, s3, 8, v2
	s_add_i32 s17, s17, 2
	s_add_i32 s3, s3, 2
	s_add_i32 s20, s20, -2
	v_lshl_add_u64 v[4:5], v[4:5], 0, 8
	s_cmp_lg_u32 s20, 0
	s_waitcnt vmcnt(0) lgkmcnt(0)
	ds_write_b32 v1, v6
	ds_write_b32 v3, v7
	s_cbranch_scc1 .LBB41_3
; %bb.4:
	s_cmp_lg_u32 s26, s21
	s_cselect_b64 s[24:25], -1, 0
.LBB41_5:
	s_and_b64 vcc, exec, s[24:25]
	s_cbranch_vccz .LBB41_8
; %bb.6:
	s_ashr_i32 s23, s22, 31
	s_mul_hi_u32 s3, s22, s21
	s_mul_i32 s17, s23, s21
	s_add_i32 s25, s3, s17
	s_mul_i32 s24, s22, s21
	s_lshl_b64 s[24:25], s[24:25], 2
	s_lshl_b64 s[14:15], s[14:15], 2
	s_add_u32 s3, s24, s14
	s_addc_u32 s14, s25, s15
	s_waitcnt lgkmcnt(0)
	s_add_u32 s12, s12, s3
	v_mov_b32_e32 v3, 0
	s_addc_u32 s13, s13, s14
	v_lshl_add_u64 v[4:5], s[12:13], 0, v[2:3]
	s_lshl_b64 s[12:13], s[22:23], 2
	s_sub_i32 s3, s26, s21
	v_lshl_or_b32 v1, s21, 8, v2
.LBB41_7:                               ; =>This Inner Loop Header: Depth=1
	flat_load_dword v3, v[4:5]
	s_add_i32 s3, s3, -1
	v_lshl_add_u64 v[4:5], v[4:5], 0, s[12:13]
	s_cmp_eq_u32 s3, 0
	s_waitcnt vmcnt(0) lgkmcnt(0)
	ds_write_b32 v1, v3
	v_add_u32_e32 v1, 0x100, v1
	s_cbranch_scc0 .LBB41_7
.LBB41_8:
	v_lshlrev_b32_e32 v1, 8, v0
	s_cmpk_lg_i32 s5, 0x84
	v_mov_b32_e32 v3, 1.0
	v_add_u32_e32 v1, v2, v1
	s_cbranch_scc0 .LBB41_10
; %bb.9:
	ds_read_b32 v2, v1
	s_waitcnt lgkmcnt(0)
	v_div_scale_f32 v3, s[12:13], v2, v2, 1.0
	v_rcp_f32_e32 v4, v3
	v_div_scale_f32 v5, vcc, 1.0, v2, 1.0
	v_fma_f32 v6, -v3, v4, 1.0
	v_fmac_f32_e32 v4, v6, v4
	v_mul_f32_e32 v6, v5, v4
	v_fma_f32 v7, -v3, v6, v5
	v_fmac_f32_e32 v6, v7, v4
	v_fma_f32 v3, -v3, v6, v5
	v_div_fmas_f32 v3, v3, v4, v6
	v_div_fixup_f32 v3, v3, v2, 1.0
.LBB41_10:
	ds_write_b32 v1, v3
.LBB41_11:
	s_or_b64 exec, exec, s[18:19]
	s_load_dword s3, s[0:1], 0x60
	s_load_dword s22, s[0:1], 0x48
	s_lshl_b64 s[10:11], s[10:11], 2
	s_waitcnt lgkmcnt(0)
	s_ashr_i32 s23, s22, 31
	s_add_u32 s5, s8, s10
	s_addc_u32 s14, s9, s11
	s_lshl_b32 s12, s2, 6
	s_add_i32 s3, s3, -1
	s_sub_i32 s0, s7, s12
	s_cmp_ge_u32 s2, s3
	s_cselect_b32 s7, s0, 64
	s_mul_hi_i32 s1, s22, s12
	s_mul_i32 s0, s22, s12
	s_ashr_i32 s13, s12, 31
	s_lshl_b64 s[0:1], s[0:1], 2
	s_add_u32 s2, s5, s0
	s_addc_u32 s3, s14, s1
	s_cmp_gt_i32 s6, 0
	v_cmp_gt_i32_e64 s[0:1], s7, v0
	s_cselect_b64 s[14:15], -1, 0
	s_mov_b32 s5, 0
	s_and_b64 s[20:21], s[0:1], s[14:15]
	s_and_saveexec_b64 s[18:19], s[20:21]
	s_cbranch_execz .LBB41_19
; %bb.12:
	s_cmp_lt_i32 s6, 2
	s_mov_b64 s[20:21], -1
	s_cbranch_scc1 .LBB41_16
; %bb.13:
	v_mad_i64_i32 v[2:3], s[20:21], s22, v0, 0
	v_mov_b32_e32 v1, 0x4000
	s_and_b32 s5, s26, 0x7e
	v_lshl_add_u64 v[2:3], v[2:3], 2, s[2:3]
	v_lshl_or_b32 v1, v0, 2, v1
	s_mov_b32 s17, s16
	s_mov_b32 s7, 1
	;; [unrolled: 1-line block ×4, first 2 shown]
.LBB41_14:                              ; =>This Inner Loop Header: Depth=1
	flat_load_dwordx2 v[4:5], v[2:3]
	v_lshl_add_u32 v6, s20, 8, v1
	v_lshl_add_u32 v7, s7, 8, v1
	s_add_i32 s20, s20, 2
	s_add_i32 s7, s7, 2
	s_add_i32 s21, s21, -2
	v_lshl_add_u64 v[2:3], v[2:3], 0, 8
	s_cmp_lg_u32 s21, 0
	s_waitcnt vmcnt(0) lgkmcnt(0)
	v_pk_mul_f32 v[4:5], s[16:17], v[4:5]
	ds_write_b32 v6, v4
	ds_write_b32 v7, v5
	s_cbranch_scc1 .LBB41_14
; %bb.15:
	s_cmp_lg_u32 s26, s5
	s_cselect_b64 s[20:21], -1, 0
.LBB41_16:
	s_and_b64 vcc, exec, s[20:21]
	s_cbranch_vccz .LBB41_19
; %bb.17:
	s_sub_i32 s7, s26, s5
	s_lshl_b32 s17, s5, 2
	s_add_u32 s17, s8, s17
	s_addc_u32 s21, s9, 0
	s_add_u32 s20, s17, s10
	v_lshlrev_b32_e32 v4, 2, v0
	v_mov_b32_e32 v5, 0
	s_addc_u32 s21, s21, s11
	v_lshl_add_u64 v[6:7], s[12:13], 2, v[4:5]
	v_mov_b64_e32 v[2:3], s[20:21]
	v_mad_u64_u32 v[2:3], s[20:21], v6, s22, v[2:3]
	v_mul_lo_u32 v1, v6, s23
	v_mul_lo_u32 v5, v7, s22
	v_add3_u32 v3, v5, v3, v1
	v_lshl_or_b32 v1, s5, 8, v4
	v_add_u32_e32 v1, 0x4000, v1
.LBB41_18:                              ; =>This Inner Loop Header: Depth=1
	flat_load_dword v4, v[2:3]
	s_add_i32 s7, s7, -1
	v_lshl_add_u64 v[2:3], v[2:3], 0, 4
	s_cmp_lg_u32 s7, 0
	s_waitcnt vmcnt(0) lgkmcnt(0)
	v_mul_f32_e32 v4, s16, v4
	ds_write_b32 v1, v4
	v_add_u32_e32 v1, 0x100, v1
	s_cbranch_scc1 .LBB41_18
.LBB41_19:
	s_or_b64 exec, exec, s[18:19]
	v_mov_b32_e32 v1, 0x4000
	s_cmpk_eq_i32 s4, 0x6f
	v_lshl_or_b32 v1, v0, 2, v1
	s_mov_b64 s[4:5], -1
	s_waitcnt lgkmcnt(0)
	; wave barrier
	s_cbranch_scc1 .LBB41_55
; %bb.20:
	s_cmp_lt_i32 s6, 32
	s_cbranch_scc1 .LBB41_35
; %bb.21:
	v_mov_b32_e32 v2, 0x4000
	v_lshl_or_b32 v34, v0, 2, v2
	s_mov_b32 s7, 0
	s_mov_b32 s20, 0
	;; [unrolled: 1-line block ×3, first 2 shown]
.LBB41_22:                              ; =>This Loop Header: Depth=1
                                        ;     Child Loop BB41_24 Depth 2
                                        ;     Child Loop BB41_26 Depth 2
                                        ;       Child Loop BB41_28 Depth 3
                                        ;       Child Loop BB41_31 Depth 3
	s_lshl_b32 s24, s21, 8
	v_add_u32_e32 v32, s24, v1
	ds_read2st64_b32 v[2:3], v32 offset1:1
	ds_read2st64_b32 v[4:5], v32 offset0:2 offset1:3
	ds_read2st64_b32 v[6:7], v32 offset0:4 offset1:5
	ds_read2st64_b32 v[8:9], v32 offset0:6 offset1:7
	ds_read2st64_b32 v[10:11], v32 offset0:8 offset1:9
	ds_read2st64_b32 v[12:13], v32 offset0:10 offset1:11
	ds_read2st64_b32 v[14:15], v32 offset0:12 offset1:13
	ds_read2st64_b32 v[16:17], v32 offset0:14 offset1:15
	ds_read2st64_b32 v[18:19], v32 offset0:16 offset1:17
	ds_read2st64_b32 v[20:21], v32 offset0:18 offset1:19
	ds_read2st64_b32 v[22:23], v32 offset0:20 offset1:21
	ds_read2st64_b32 v[24:25], v32 offset0:22 offset1:23
	ds_read2st64_b32 v[26:27], v32 offset0:24 offset1:25
	ds_read2st64_b32 v[28:29], v32 offset0:26 offset1:27
	ds_read2st64_b32 v[30:31], v32 offset0:28 offset1:29
	ds_read2st64_b32 v[32:33], v32 offset0:30 offset1:31
	s_cmp_eq_u32 s21, 0
	s_cbranch_scc1 .LBB41_25
; %bb.23:                               ;   in Loop: Header=BB41_22 Depth=1
	v_mov_b32_e32 v35, v34
	s_mov_b32 s4, s21
	s_mov_b32 s5, s20
.LBB41_24:                              ;   Parent Loop BB41_22 Depth=1
                                        ; =>  This Inner Loop Header: Depth=2
	v_mov_b32_e32 v37, s5
	ds_read_b32 v36, v35
	ds_read2st64_b32 v[38:39], v37 offset1:1
	ds_read2st64_b32 v[40:41], v37 offset0:2 offset1:3
	ds_read2st64_b32 v[42:43], v37 offset0:4 offset1:5
	;; [unrolled: 1-line block ×15, first 2 shown]
	s_add_i32 s5, s5, 4
	s_add_i32 s4, s4, -1
	v_add_u32_e32 v35, 0x100, v35
	s_cmp_eq_u32 s4, 0
	s_waitcnt lgkmcnt(4)
	v_pk_fma_f32 v[32:33], v[36:37], v[60:61], v[32:33] op_sel_hi:[0,1,1] neg_lo:[1,0,0] neg_hi:[1,0,0]
	v_pk_fma_f32 v[30:31], v[36:37], v[58:59], v[30:31] op_sel_hi:[0,1,1] neg_lo:[1,0,0] neg_hi:[1,0,0]
	;; [unrolled: 1-line block ×4, first 2 shown]
	s_waitcnt lgkmcnt(0)
	v_pk_fma_f32 v[24:25], v[36:37], v[68:69], v[24:25] op_sel_hi:[0,1,1] neg_lo:[1,0,0] neg_hi:[1,0,0]
	v_pk_fma_f32 v[22:23], v[36:37], v[66:67], v[22:23] op_sel_hi:[0,1,1] neg_lo:[1,0,0] neg_hi:[1,0,0]
	;; [unrolled: 1-line block ×12, first 2 shown]
	s_cbranch_scc0 .LBB41_24
.LBB41_25:                              ;   in Loop: Header=BB41_22 Depth=1
	s_mov_b64 s[4:5], 0
	s_mov_b32 s25, s7
.LBB41_26:                              ;   Parent Loop BB41_22 Depth=1
                                        ; =>  This Loop Header: Depth=2
                                        ;       Child Loop BB41_28 Depth 3
                                        ;       Child Loop BB41_31 Depth 3
	s_cmp_eq_u32 s4, 0
	s_cbranch_scc1 .LBB41_29
; %bb.27:                               ;   in Loop: Header=BB41_26 Depth=2
	s_add_i32 s28, s4, s21
	s_mov_b64 s[16:17], s[4:5]
	s_lshl_b32 s27, s28, 8
	s_mov_b64 s[18:19], 0
	s_mov_b32 s17, s25
.LBB41_28:                              ;   Parent Loop BB41_22 Depth=1
                                        ;     Parent Loop BB41_26 Depth=2
                                        ; =>    This Inner Loop Header: Depth=3
	v_mov_b32_e32 v36, s17
	s_waitcnt lgkmcnt(0)
	s_set_gpr_idx_on s18, gpr_idx(SRC0)
	v_mov_b32_e32 v35, v2
	s_set_gpr_idx_off
	ds_read_b32 v36, v36
	s_add_u32 s18, s18, 1
	s_addc_u32 s19, s19, 0
	s_add_i32 s17, s17, 4
	s_set_gpr_idx_on s4, gpr_idx(SRC0)
	v_mov_b32_e32 v37, v2
	s_set_gpr_idx_off
	s_cmp_eq_u32 s4, s18
	s_waitcnt lgkmcnt(0)
	v_fma_f32 v35, -v35, v36, v37
	s_set_gpr_idx_on s4, gpr_idx(DST)
	v_mov_b32_e32 v2, v35
	s_set_gpr_idx_off
	s_cbranch_scc0 .LBB41_28
	s_branch .LBB41_30
.LBB41_29:                              ;   in Loop: Header=BB41_26 Depth=2
	s_mov_b32 s28, s21
	s_mov_b64 s[16:17], 0
	s_mov_b32 s27, s24
.LBB41_30:                              ;   in Loop: Header=BB41_26 Depth=2
	s_mul_i32 s17, s28, 0x104
	v_mov_b32_e32 v35, s17
	ds_read_b32 v35, v35
	s_waitcnt lgkmcnt(1)
	s_set_gpr_idx_on s16, gpr_idx(SRC0)
	v_mov_b32_e32 v37, v2
	s_set_gpr_idx_off
	v_add_u32_e32 v36, s27, v1
	s_or_b32 s18, s4, 1
	s_add_u32 s19, s4, 1
	s_waitcnt lgkmcnt(0)
	v_mul_f32_e32 v35, v37, v35
	ds_write_b32 v36, v35
	s_set_gpr_idx_on s16, gpr_idx(DST)
	v_mov_b32_e32 v2, v35
	s_set_gpr_idx_off
	s_mov_b64 s[16:17], 0
	s_movk_i32 s27, 0x100
.LBB41_31:                              ;   Parent Loop BB41_22 Depth=1
                                        ;     Parent Loop BB41_26 Depth=2
                                        ; =>    This Inner Loop Header: Depth=3
	s_add_i32 s28, s25, s27
	v_mov_b32_e32 v36, s28
	s_set_gpr_idx_on s16, gpr_idx(SRC0)
	v_mov_b32_e32 v35, v2
	s_set_gpr_idx_off
	ds_read_b32 v36, v36
	s_add_u32 s16, s16, 1
	s_set_gpr_idx_on s18, gpr_idx(SRC0)
	v_mov_b32_e32 v37, v2
	s_set_gpr_idx_off
	s_addc_u32 s17, s17, 0
	s_add_i32 s27, s27, 4
	s_cmp_lg_u32 s19, s16
	s_waitcnt lgkmcnt(0)
	v_fma_f32 v35, -v35, v36, v37
	s_set_gpr_idx_on s18, gpr_idx(DST)
	v_mov_b32_e32 v2, v35
	s_set_gpr_idx_off
	s_cbranch_scc1 .LBB41_31
; %bb.32:                               ;   in Loop: Header=BB41_26 Depth=2
	s_add_i32 s16, s18, s21
	s_mul_i32 s17, s16, 0x104
	v_mov_b32_e32 v36, s17
	ds_read_b32 v36, v36
	s_add_u32 s4, s4, 2
	s_addc_u32 s5, s5, 0
	s_addk_i32 s25, 0x200
	v_lshl_add_u32 v37, s16, 8, v1
	s_waitcnt lgkmcnt(0)
	v_mul_f32_e32 v35, v35, v36
	s_cmp_eq_u32 s4, 32
	s_set_gpr_idx_on s18, gpr_idx(DST)
	v_mov_b32_e32 v2, v35
	s_set_gpr_idx_off
	ds_write_b32 v37, v35
	s_cbranch_scc0 .LBB41_26
; %bb.33:                               ;   in Loop: Header=BB41_22 Depth=1
	s_add_i32 s4, s21, 32
	s_add_i32 s5, s21, 63
	s_addk_i32 s20, 0x2000
	s_addk_i32 s7, 0x2080
	s_cmp_ge_i32 s5, s26
	s_cbranch_scc1 .LBB41_36
; %bb.34:                               ;   in Loop: Header=BB41_22 Depth=1
	s_mov_b32 s21, s4
	s_branch .LBB41_22
.LBB41_35:
	s_mov_b32 s4, 0
.LBB41_36:
	s_cmp_lt_i32 s4, s26
	s_cbranch_scc0 .LBB41_54
; %bb.37:
	s_add_i32 s5, s4, 3
	s_cmp_ge_i32 s5, s26
	s_cbranch_scc1 .LBB41_48
; %bb.38:
	v_mov_b32_e32 v2, 0x4000
	s_add_i32 s5, s4, -1
	s_lshl_b32 s7, s4, 8
	v_lshl_or_b32 v6, v0, 2, v2
	s_mov_b32 s16, 0
	s_mov_b32 s17, s4
.LBB41_39:                              ; =>This Loop Header: Depth=1
                                        ;     Child Loop BB41_42 Depth 2
                                        ;     Child Loop BB41_45 Depth 2
	s_lshl_b32 s18, s4, 8
	v_add_u32_e32 v7, s18, v1
	ds_read2st64_b32 v[4:5], v7 offset1:1
	ds_read2st64_b32 v[2:3], v7 offset0:2 offset1:3
	s_cmp_eq_u32 s4, 0
	s_cbranch_scc1 .LBB41_46
; %bb.40:                               ;   in Loop: Header=BB41_39 Depth=1
	s_lshl_b32 s19, s16, 2
	s_add_i32 s19, s5, s19
	s_cmp_lt_u32 s19, 7
	s_mov_b32 s19, 0
	s_cbranch_scc1 .LBB41_43
; %bb.41:                               ;   in Loop: Header=BB41_39 Depth=1
	s_and_b32 s19, s4, -8
	s_mov_b32 s20, 0
	v_mov_b32_e32 v8, v6
	s_mov_b32 s21, s7
.LBB41_42:                              ;   Parent Loop BB41_39 Depth=1
                                        ; =>  This Inner Loop Header: Depth=2
	v_mov_b32_e32 v9, s21
	ds_read2st64_b32 v[26:27], v8 offset1:1
	ds_read2st64_b32 v[28:29], v8 offset0:2 offset1:3
	ds_read2st64_b32 v[30:31], v8 offset0:4 offset1:5
	;; [unrolled: 1-line block ×3, first 2 shown]
	ds_read_b128 v[48:51], v9
	ds_read_b128 v[56:59], v9 offset:16
	ds_read_b128 v[10:13], v9 offset:256
	;; [unrolled: 1-line block ×7, first 2 shown]
	s_waitcnt lgkmcnt(7)
	v_mov_b32_e32 v42, v48
	s_waitcnt lgkmcnt(5)
	v_mov_b32_e32 v43, v10
	;; [unrolled: 2-line block ×4, first 2 shown]
	v_mov_b32_e32 v34, v27
	v_mov_b32_e32 v10, v49
	v_mov_b32_e32 v18, v53
	v_pk_fma_f32 v[4:5], v[26:27], v[42:43], v[4:5] op_sel_hi:[0,1,1] neg_lo:[1,0,0] neg_hi:[1,0,0]
	v_pk_fma_f32 v[2:3], v[26:27], v[44:45], v[2:3] op_sel_hi:[0,1,1] neg_lo:[1,0,0] neg_hi:[1,0,0]
	v_mov_b32_e32 v46, v50
	v_mov_b32_e32 v47, v12
	;; [unrolled: 1-line block ×4, first 2 shown]
	v_pk_fma_f32 v[4:5], v[34:35], v[10:11], v[4:5] op_sel_hi:[0,1,1] neg_lo:[1,0,0] neg_hi:[1,0,0]
	v_pk_fma_f32 v[2:3], v[34:35], v[18:19], v[2:3] op_sel_hi:[0,1,1] neg_lo:[1,0,0] neg_hi:[1,0,0]
	v_mov_b32_e32 v36, v29
	v_mov_b32_e32 v12, v51
	;; [unrolled: 1-line block ×3, first 2 shown]
	v_pk_fma_f32 v[4:5], v[28:29], v[46:47], v[4:5] op_sel_hi:[0,1,1] neg_lo:[1,0,0] neg_hi:[1,0,0]
	v_pk_fma_f32 v[2:3], v[28:29], v[48:49], v[2:3] op_sel_hi:[0,1,1] neg_lo:[1,0,0] neg_hi:[1,0,0]
	v_mov_b32_e32 v50, v56
	v_mov_b32_e32 v51, v14
	;; [unrolled: 1-line block ×3, first 2 shown]
	s_waitcnt lgkmcnt(0)
	v_mov_b32_e32 v53, v22
	v_pk_fma_f32 v[4:5], v[36:37], v[12:13], v[4:5] op_sel_hi:[0,1,1] neg_lo:[1,0,0] neg_hi:[1,0,0]
	v_pk_fma_f32 v[2:3], v[36:37], v[20:21], v[2:3] op_sel_hi:[0,1,1] neg_lo:[1,0,0] neg_hi:[1,0,0]
	v_mov_b32_e32 v38, v31
	v_mov_b32_e32 v14, v57
	v_mov_b32_e32 v22, v61
	v_pk_fma_f32 v[4:5], v[30:31], v[50:51], v[4:5] op_sel_hi:[0,1,1] neg_lo:[1,0,0] neg_hi:[1,0,0]
	v_pk_fma_f32 v[2:3], v[30:31], v[52:53], v[2:3] op_sel_hi:[0,1,1] neg_lo:[1,0,0] neg_hi:[1,0,0]
	v_mov_b32_e32 v54, v58
	v_mov_b32_e32 v55, v16
	;; [unrolled: 1-line block ×4, first 2 shown]
	v_pk_fma_f32 v[4:5], v[38:39], v[14:15], v[4:5] op_sel_hi:[0,1,1] neg_lo:[1,0,0] neg_hi:[1,0,0]
	v_pk_fma_f32 v[2:3], v[38:39], v[22:23], v[2:3] op_sel_hi:[0,1,1] neg_lo:[1,0,0] neg_hi:[1,0,0]
	s_add_i32 s20, s20, 8
	s_add_i32 s21, s21, 32
	v_mov_b32_e32 v40, v33
	v_mov_b32_e32 v16, v59
	v_mov_b32_e32 v24, v63
	v_pk_fma_f32 v[4:5], v[32:33], v[54:55], v[4:5] op_sel_hi:[0,1,1] neg_lo:[1,0,0] neg_hi:[1,0,0]
	v_pk_fma_f32 v[2:3], v[32:33], v[56:57], v[2:3] op_sel_hi:[0,1,1] neg_lo:[1,0,0] neg_hi:[1,0,0]
	v_add_u32_e32 v8, 0x800, v8
	s_cmp_lg_u32 s19, s20
	v_pk_fma_f32 v[4:5], v[40:41], v[16:17], v[4:5] op_sel_hi:[0,1,1] neg_lo:[1,0,0] neg_hi:[1,0,0]
	v_pk_fma_f32 v[2:3], v[40:41], v[24:25], v[2:3] op_sel_hi:[0,1,1] neg_lo:[1,0,0] neg_hi:[1,0,0]
	s_cbranch_scc1 .LBB41_42
.LBB41_43:                              ;   in Loop: Header=BB41_39 Depth=1
	s_and_b32 s20, s4, 7
	s_cmp_eq_u32 s20, 0
	s_cbranch_scc1 .LBB41_46
; %bb.44:                               ;   in Loop: Header=BB41_39 Depth=1
	s_and_b32 s20, s17, 7
	s_lshl_b32 s21, s19, 2
	v_lshl_add_u32 v8, s19, 8, v6
.LBB41_45:                              ;   Parent Loop BB41_39 Depth=1
                                        ; =>  This Inner Loop Header: Depth=2
	s_add_i32 s19, s7, s21
	v_mov_b32_e32 v9, s19
	ds_read_b32 v10, v8
	ds_read2st64_b32 v[12:13], v9 offset1:1
	ds_read2st64_b32 v[14:15], v9 offset0:2 offset1:3
	s_add_i32 s21, s21, 4
	s_add_i32 s20, s20, -1
	v_add_u32_e32 v8, 0x100, v8
	s_cmp_lg_u32 s20, 0
	s_waitcnt lgkmcnt(1)
	v_pk_fma_f32 v[4:5], v[10:11], v[12:13], v[4:5] op_sel_hi:[0,1,1] neg_lo:[1,0,0] neg_hi:[1,0,0]
	s_waitcnt lgkmcnt(0)
	v_pk_fma_f32 v[2:3], v[10:11], v[14:15], v[2:3] op_sel_hi:[0,1,1] neg_lo:[1,0,0] neg_hi:[1,0,0]
	s_cbranch_scc1 .LBB41_45
.LBB41_46:                              ;   in Loop: Header=BB41_39 Depth=1
	s_lshl_b32 s19, s4, 2
	s_add_i32 s20, s19, s18
	v_mov_b32_e32 v16, s20
	s_add_i32 s20, s18, 0x100
	ds_read2_b32 v[8:9], v16 offset1:130
	s_add_i32 s21, s19, s20
	v_mov_b32_e32 v10, s21
	ds_read2_b32 v[10:11], v10 offset1:1
	v_add_u32_e32 v17, s20, v1
	s_add_i32 s20, s18, 0x200
	s_addk_i32 s18, 0x300
	s_add_i32 s21, s19, s20
	s_add_i32 s19, s19, s18
	s_waitcnt lgkmcnt(1)
	v_mul_f32_e32 v4, v4, v8
	v_mov_b32_e32 v14, s19
	ds_write_b32 v7, v4
	v_mov_b32_e32 v7, s21
	ds_read2_b32 v[12:13], v7 offset1:1
	ds_read_b32 v7, v14
	ds_read2_b32 v[14:15], v14 offset0:1 offset1:2
	ds_read_b32 v8, v16 offset:780
	s_waitcnt lgkmcnt(5)
	v_fma_f32 v5, -v4, v10, v5
	v_mul_f32_e32 v5, v5, v11
	s_waitcnt lgkmcnt(3)
	v_pk_mul_f32 v[10:11], v[4:5], v[12:13]
	v_add_u32_e32 v18, s20, v1
	v_sub_f32_e32 v2, v2, v10
	v_sub_f32_e32 v2, v2, v11
	s_waitcnt lgkmcnt(2)
	v_fma_f32 v4, -v4, v7, v3
	v_mul_f32_e32 v3, v2, v9
	v_mov_b32_e32 v2, v5
	ds_write_b32 v18, v3
	s_waitcnt lgkmcnt(2)
	v_pk_mul_f32 v[2:3], v[2:3], v[14:15]
	s_add_i32 s16, s16, 1
	v_sub_f32_e32 v2, v4, v2
	v_sub_f32_e32 v2, v2, v3
	v_add_u32_e32 v3, s18, v1
	s_add_i32 s18, s4, 4
	s_add_i32 s4, s4, 7
	s_addk_i32 s7, 0x400
	s_add_i32 s17, s17, 4
	s_waitcnt lgkmcnt(1)
	v_mul_f32_e32 v2, v2, v8
	s_cmp_lt_i32 s4, s26
	ds_write_b32 v17, v5
	ds_write_b32 v3, v2
	s_cbranch_scc0 .LBB41_49
; %bb.47:                               ;   in Loop: Header=BB41_39 Depth=1
	s_mov_b32 s4, s18
	s_branch .LBB41_39
.LBB41_48:
	s_mov_b32 s18, s4
.LBB41_49:
	s_cmp_ge_i32 s18, s26
	s_cbranch_scc1 .LBB41_54
; %bb.50:
	v_mov_b32_e32 v2, 0x4000
	s_lshl_b32 s4, s18, 8
	v_lshl_or_b32 v3, v0, 2, v2
	s_branch .LBB41_52
.LBB41_51:                              ;   in Loop: Header=BB41_52 Depth=1
	s_mul_i32 s5, s18, 0x104
	v_mov_b32_e32 v5, s5
	ds_read_b32 v5, v5
	s_add_i32 s18, s18, 1
	s_addk_i32 s4, 0x100
	s_cmp_ge_i32 s18, s26
	s_waitcnt lgkmcnt(0)
	v_mul_f32_e32 v2, v2, v5
	ds_write_b32 v4, v2
	s_cbranch_scc1 .LBB41_54
.LBB41_52:                              ; =>This Loop Header: Depth=1
                                        ;     Child Loop BB41_53 Depth 2
	s_lshl_b32 s5, s18, 8
	v_add_u32_e32 v4, s5, v1
	ds_read_b32 v2, v4
	s_cmp_eq_u32 s18, 0
	v_mov_b32_e32 v5, v3
	s_mov_b32 s5, s18
	s_mov_b32 s7, s4
	s_cbranch_scc1 .LBB41_51
.LBB41_53:                              ;   Parent Loop BB41_52 Depth=1
                                        ; =>  This Inner Loop Header: Depth=2
	v_mov_b32_e32 v7, s7
	ds_read_b32 v6, v5
	ds_read_b32 v7, v7
	s_add_i32 s7, s7, 4
	s_add_i32 s5, s5, -1
	v_add_u32_e32 v5, 0x100, v5
	s_cmp_lg_u32 s5, 0
	s_waitcnt lgkmcnt(0)
	v_fma_f32 v2, -v6, v7, v2
	s_cbranch_scc1 .LBB41_53
	s_branch .LBB41_51
.LBB41_54:
	s_mov_b64 s[4:5], 0
.LBB41_55:
	s_and_b64 vcc, exec, s[4:5]
	s_cbranch_vccz .LBB41_97
; %bb.56:
	s_add_i32 s7, s26, -1
	s_cmp_lt_i32 s6, 32
	s_cbranch_scc1 .LBB41_72
; %bb.57:
	s_lshl_b32 s20, s26, 8
	v_lshl_or_b32 v2, v0, 2, s20
	v_add_u32_e32 v34, 0x3f00, v2
	s_addk_i32 s20, 0xfe84
	s_mov_b32 s4, s7
.LBB41_58:                              ; =>This Loop Header: Depth=1
                                        ;     Child Loop BB41_60 Depth 2
                                        ;     Child Loop BB41_62 Depth 2
                                        ;       Child Loop BB41_64 Depth 3
                                        ;       Child Loop BB41_68 Depth 3
	s_lshl_b32 s24, s4, 8
	v_add_u32_e32 v26, s24, v1
	v_add_u32_e32 v3, 0xffffff00, v26
	;; [unrolled: 1-line block ×31, first 2 shown]
	ds_read_b32 v2, v26
	ds_read_b32 v3, v3
	;; [unrolled: 1-line block ×24, first 2 shown]
	v_add_u32_e32 v35, 0xffffe100, v26
	ds_read_b32 v26, v27
	ds_read_b32 v27, v28
	;; [unrolled: 1-line block ×8, first 2 shown]
	s_mov_b32 s21, s4
	s_cmp_le_i32 s7, s4
	s_cbranch_scc1 .LBB41_61
; %bb.59:                               ;   in Loop: Header=BB41_58 Depth=1
	s_lshl_b32 s4, s21, 2
	s_add_i32 s4, s20, s4
	v_mov_b32_e32 v35, v34
	s_mov_b32 s5, s7
.LBB41_60:                              ;   Parent Loop BB41_58 Depth=1
                                        ; =>  This Inner Loop Header: Depth=2
	v_mov_b32_e32 v37, s4
	ds_read_b32 v36, v35
	ds_read2_b32 v[38:39], v37 offset0:30 offset1:31
	ds_read2_b32 v[40:41], v37 offset0:28 offset1:29
	;; [unrolled: 1-line block ×15, first 2 shown]
	ds_read2_b32 v[68:69], v37 offset1:1
	s_add_i32 s5, s5, -1
	s_addk_i32 s4, 0xff00
	v_add_u32_e32 v35, 0xffffff00, v35
	s_waitcnt lgkmcnt(14)
	v_pk_mul_f32 v[38:39], v[36:37], v[38:39] op_sel_hi:[0,1]
	v_pk_mul_f32 v[40:41], v[36:37], v[40:41] op_sel_hi:[0,1]
	s_waitcnt lgkmcnt(13)
	v_pk_mul_f32 v[42:43], v[36:37], v[42:43] op_sel_hi:[0,1]
	s_waitcnt lgkmcnt(12)
	;; [unrolled: 2-line block ×14, first 2 shown]
	v_pk_mul_f32 v[36:37], v[36:37], v[68:69] op_sel_hi:[0,1]
	s_cmp_gt_i32 s5, s21
	v_pk_add_f32 v[2:3], v[2:3], v[38:39] op_sel:[0,1] op_sel_hi:[1,0] neg_lo:[0,1] neg_hi:[0,1]
	v_pk_add_f32 v[4:5], v[4:5], v[40:41] op_sel:[0,1] op_sel_hi:[1,0] neg_lo:[0,1] neg_hi:[0,1]
	;; [unrolled: 1-line block ×16, first 2 shown]
	s_cbranch_scc1 .LBB41_60
.LBB41_61:                              ;   in Loop: Header=BB41_58 Depth=1
	s_mul_i32 s25, s21, 0x104
	s_mov_b64 s[4:5], 0
	s_mov_b32 s27, s25
.LBB41_62:                              ;   Parent Loop BB41_58 Depth=1
                                        ; =>  This Loop Header: Depth=2
                                        ;       Child Loop BB41_64 Depth 3
                                        ;       Child Loop BB41_68 Depth 3
	s_cmp_eq_u32 s4, 0
	s_cbranch_scc1 .LBB41_66
; %bb.63:                               ;   in Loop: Header=BB41_62 Depth=2
	s_mov_b64 s[16:17], s[4:5]
	s_mov_b64 s[18:19], 0
	s_mov_b32 s17, s27
.LBB41_64:                              ;   Parent Loop BB41_58 Depth=1
                                        ;     Parent Loop BB41_62 Depth=2
                                        ; =>    This Inner Loop Header: Depth=3
	v_mov_b32_e32 v36, s17
	s_waitcnt lgkmcnt(0)
	s_set_gpr_idx_on s18, gpr_idx(SRC0)
	v_mov_b32_e32 v35, v2
	s_set_gpr_idx_off
	ds_read_b32 v36, v36
	s_add_u32 s18, s18, 1
	s_addc_u32 s19, s19, 0
	s_addk_i32 s17, 0xff00
	s_set_gpr_idx_on s4, gpr_idx(SRC0)
	v_mov_b32_e32 v37, v2
	s_set_gpr_idx_off
	s_cmp_lg_u32 s4, s18
	s_waitcnt lgkmcnt(0)
	v_fma_f32 v35, -v35, v36, v37
	s_set_gpr_idx_on s4, gpr_idx(DST)
	v_mov_b32_e32 v2, v35
	s_set_gpr_idx_off
	s_cbranch_scc1 .LBB41_64
; %bb.65:                               ;   in Loop: Header=BB41_62 Depth=2
	s_sub_i32 s18, s21, s4
	s_lshl_b32 s17, s18, 8
	s_mulk_i32 s18, 0x104
	s_branch .LBB41_67
.LBB41_66:                              ;   in Loop: Header=BB41_62 Depth=2
	s_mov_b64 s[16:17], 0
	s_mov_b32 s17, s24
	s_mov_b32 s18, s25
.LBB41_67:                              ;   in Loop: Header=BB41_62 Depth=2
	v_mov_b32_e32 v35, s18
	ds_read_b32 v35, v35
	s_waitcnt lgkmcnt(1)
	s_set_gpr_idx_on s16, gpr_idx(SRC0)
	v_mov_b32_e32 v37, v2
	s_set_gpr_idx_off
	v_add_u32_e32 v36, s17, v1
	s_or_b32 s18, s4, 1
	s_add_u32 s19, s4, 1
	s_waitcnt lgkmcnt(0)
	v_mul_f32_e32 v35, v37, v35
	ds_write_b32 v36, v35
	s_set_gpr_idx_on s16, gpr_idx(DST)
	v_mov_b32_e32 v2, v35
	s_set_gpr_idx_off
	s_mov_b64 s[16:17], 0
	s_mov_b32 s28, -4
.LBB41_68:                              ;   Parent Loop BB41_58 Depth=1
                                        ;     Parent Loop BB41_62 Depth=2
                                        ; =>    This Inner Loop Header: Depth=3
	s_add_i32 s29, s27, s28
	v_mov_b32_e32 v36, s29
	s_set_gpr_idx_on s16, gpr_idx(SRC0)
	v_mov_b32_e32 v35, v2
	s_set_gpr_idx_off
	ds_read_b32 v36, v36
	s_add_u32 s16, s16, 1
	s_set_gpr_idx_on s18, gpr_idx(SRC0)
	v_mov_b32_e32 v37, v2
	s_set_gpr_idx_off
	s_addc_u32 s17, s17, 0
	s_addk_i32 s28, 0xff00
	s_cmp_lg_u32 s19, s16
	s_waitcnt lgkmcnt(0)
	v_fma_f32 v35, -v35, v36, v37
	s_set_gpr_idx_on s18, gpr_idx(DST)
	v_mov_b32_e32 v2, v35
	s_set_gpr_idx_off
	s_cbranch_scc1 .LBB41_68
; %bb.69:                               ;   in Loop: Header=BB41_62 Depth=2
	s_sub_i32 s16, s21, s18
	s_lshl_b32 s17, s16, 2
	s_lshl_b32 s16, s16, 8
	s_add_i32 s17, s17, s16
	v_mov_b32_e32 v36, s17
	ds_read_b32 v36, v36
	s_add_u32 s4, s4, 2
	s_addc_u32 s5, s5, 0
	s_add_i32 s27, s27, -8
	v_add_u32_e32 v37, s16, v1
	s_waitcnt lgkmcnt(0)
	v_mul_f32_e32 v35, v35, v36
	s_cmp_eq_u32 s4, 32
	s_set_gpr_idx_on s18, gpr_idx(DST)
	v_mov_b32_e32 v2, v35
	s_set_gpr_idx_off
	ds_write_b32 v37, v35
	s_cbranch_scc0 .LBB41_62
; %bb.70:                               ;   in Loop: Header=BB41_58 Depth=1
	s_cmp_lt_i32 s21, 63
	s_mov_b32 s4, 31
	s_cbranch_scc0 .LBB41_58
; %bb.71:
	s_sub_i32 s4, s21, 32
	s_cmp_gt_i32 s4, -1
	s_cbranch_scc1 .LBB41_73
	s_branch .LBB41_97
.LBB41_72:
	s_mov_b32 s4, s7
	s_cmp_gt_i32 s4, -1
	s_cbranch_scc0 .LBB41_97
.LBB41_73:
	s_cmp_lt_u32 s4, 3
	s_cbranch_scc1 .LBB41_79
; %bb.74:
	s_lshl_b32 s5, s26, 8
	s_lshl_b32 s16, s4, 2
	v_lshl_or_b32 v2, v0, 2, s5
	s_add_i32 s5, s5, s16
	v_add_u32_e32 v6, 0x3f00, v2
	s_addk_i32 s5, 0xfef4
.LBB41_75:                              ; =>This Loop Header: Depth=1
                                        ;     Child Loop BB41_76 Depth 2
	s_lshl_b32 s16, s4, 8
	v_add_u32_e32 v7, s16, v1
	v_add_u32_e32 v2, 0xffffff00, v7
	v_add_u32_e32 v3, 0xfffffe00, v7
	v_add_u32_e32 v8, 0xfffffd00, v7
	ds_read_b32 v4, v7
	ds_read_b32 v5, v2
	;; [unrolled: 1-line block ×4, first 2 shown]
	s_cmp_le_i32 s7, s4
	s_mov_b32 s17, s5
	v_mov_b32_e32 v8, v6
	s_mov_b32 s18, s7
	s_cbranch_scc1 .LBB41_77
.LBB41_76:                              ;   Parent Loop BB41_75 Depth=1
                                        ; =>  This Inner Loop Header: Depth=2
	v_mov_b32_e32 v9, s17
	ds_read_b32 v10, v8
	ds_read2_b32 v[12:13], v9 offset0:2 offset1:3
	ds_read2_b32 v[14:15], v9 offset1:1
	s_add_i32 s18, s18, -1
	s_addk_i32 s17, 0xff00
	v_add_u32_e32 v8, 0xffffff00, v8
	s_waitcnt lgkmcnt(1)
	v_pk_mul_f32 v[12:13], v[10:11], v[12:13] op_sel_hi:[0,1]
	s_waitcnt lgkmcnt(0)
	v_pk_mul_f32 v[10:11], v[10:11], v[14:15] op_sel_hi:[0,1]
	s_cmp_gt_i32 s18, s4
	v_pk_add_f32 v[4:5], v[4:5], v[12:13] op_sel:[0,1] op_sel_hi:[1,0] neg_lo:[0,1] neg_hi:[0,1]
	v_pk_add_f32 v[2:3], v[2:3], v[10:11] op_sel:[0,1] op_sel_hi:[1,0] neg_lo:[0,1] neg_hi:[0,1]
	s_cbranch_scc1 .LBB41_76
.LBB41_77:                              ;   in Loop: Header=BB41_75 Depth=1
	s_add_i32 s17, s4, -1
	s_lshl_b32 s18, s17, 2
	s_lshl_b32 s17, s17, 8
	s_add_i32 s19, s18, s16
	s_add_i32 s18, s18, s17
	v_mov_b32_e32 v10, s18
	s_add_i32 s18, s4, -3
	v_mov_b32_e32 v8, s19
	s_lshl_b32 s19, s18, 2
	v_add_u32_e32 v16, s17, v1
	s_add_i32 s20, s19, s16
	s_add_i32 s17, s19, s17
	v_mov_b32_e32 v11, s20
	v_mov_b32_e32 v12, s17
	ds_read2_b32 v[8:9], v8 offset1:1
	ds_read_b32 v17, v10
	ds_read2_b32 v[10:11], v11 offset1:1
	ds_read2_b32 v[12:13], v12 offset1:1
	s_addk_i32 s16, 0xfe00
	s_add_i32 s17, s19, s16
	v_mov_b32_e32 v14, s17
	s_waitcnt lgkmcnt(3)
	v_mul_f32_e32 v4, v4, v9
	ds_read2_b32 v[14:15], v14 offset1:1
	v_fma_f32 v5, -v4, v8, v5
	v_add_u32_e32 v18, s16, v1
	s_waitcnt lgkmcnt(3)
	v_mul_f32_e32 v5, v5, v17
	s_waitcnt lgkmcnt(2)
	v_mov_b32_e32 v8, v11
	s_waitcnt lgkmcnt(1)
	v_mov_b32_e32 v9, v13
	s_lshl_b32 s16, s18, 8
	v_pk_mul_f32 v[8:9], v[4:5], v[8:9]
	s_add_i32 s17, s19, s16
	ds_write_b32 v7, v4
	v_sub_f32_e32 v2, v2, v8
	v_fma_f32 v4, -v4, v10, v3
	v_mov_b32_e32 v3, s17
	v_sub_f32_e32 v2, v2, v9
	ds_read_b32 v7, v3
	s_waitcnt lgkmcnt(2)
	v_mul_f32_e32 v3, v2, v15
	v_mov_b32_e32 v2, v5
	v_mov_b32_e32 v13, v14
	ds_write_b32 v18, v3
	v_pk_mul_f32 v[2:3], v[2:3], v[12:13]
	s_add_i32 s5, s5, -16
	v_sub_f32_e32 v2, v4, v2
	v_sub_f32_e32 v2, v2, v3
	v_add_u32_e32 v3, s16, v1
	s_add_i32 s16, s4, -4
	s_waitcnt lgkmcnt(1)
	v_mul_f32_e32 v2, v2, v7
	s_cmp_gt_i32 s4, 6
	ds_write_b32 v16, v5
	ds_write_b32 v3, v2
	s_cbranch_scc0 .LBB41_80
; %bb.78:                               ;   in Loop: Header=BB41_75 Depth=1
	s_mov_b32 s4, s16
	s_branch .LBB41_75
.LBB41_79:
	s_mov_b32 s16, s4
.LBB41_80:
	s_cmp_lt_i32 s16, 0
	s_cbranch_scc1 .LBB41_97
; %bb.81:
	s_and_b32 s4, s16, 3
	s_cmp_eq_u32 s4, 3
	s_mov_b32 s4, s16
	s_cbranch_scc1 .LBB41_86
; %bb.82:
	s_add_i32 s4, s16, 1
	s_and_b32 s5, s4, 3
	s_lshl_b32 s4, s26, 8
	s_lshl_b32 s17, s16, 2
	s_add_i32 s17, s4, s17
	v_lshl_or_b32 v2, v0, 2, s4
	s_addk_i32 s17, 0xff00
	v_add_u32_e32 v3, 0x3f00, v2
	s_mov_b32 s18, 0
	s_mov_b32 s4, s16
	s_branch .LBB41_84
.LBB41_83:                              ;   in Loop: Header=BB41_84 Depth=1
	s_mul_i32 s19, s4, 0x104
	v_mov_b32_e32 v5, s19
	ds_read_b32 v5, v5
	s_add_i32 s4, s4, -1
	s_add_i32 s18, s18, 1
	s_add_i32 s17, s17, -4
	s_cmp_lg_u32 s18, s5
	s_waitcnt lgkmcnt(0)
	v_mul_f32_e32 v2, v2, v5
	ds_write_b32 v4, v2
	s_cbranch_scc0 .LBB41_86
.LBB41_84:                              ; =>This Loop Header: Depth=1
                                        ;     Child Loop BB41_85 Depth 2
	s_lshl_b32 s19, s4, 8
	v_add_u32_e32 v4, s19, v1
	ds_read_b32 v2, v4
	s_cmp_le_i32 s7, s4
	v_mov_b32_e32 v5, v3
	s_mov_b32 s19, s17
	s_mov_b32 s20, s7
	s_cbranch_scc1 .LBB41_83
.LBB41_85:                              ;   Parent Loop BB41_84 Depth=1
                                        ; =>  This Inner Loop Header: Depth=2
	v_mov_b32_e32 v7, s19
	ds_read_b32 v6, v5
	ds_read_b32 v7, v7
	s_add_i32 s20, s20, -1
	s_addk_i32 s19, 0xff00
	v_add_u32_e32 v5, 0xffffff00, v5
	s_cmp_gt_i32 s20, s4
	s_waitcnt lgkmcnt(0)
	v_fma_f32 v2, -v6, v7, v2
	s_cbranch_scc1 .LBB41_85
	s_branch .LBB41_83
.LBB41_86:
	s_cmp_lt_u32 s16, 3
	s_cbranch_scc1 .LBB41_97
; %bb.87:
	s_lshl_b32 s16, s26, 8
	s_lshl_b32 s5, s4, 2
	s_add_i32 s18, s16, s5
	v_lshl_or_b32 v2, v0, 2, s16
	s_add_i32 s5, s18, 0xffffff00
	v_add_u32_e32 v3, 0x3f00, v2
	s_add_i32 s16, s18, 0xfffffefc
	s_add_i32 s17, s18, 0xfffffef8
	s_addk_i32 s18, 0xfef4
	s_branch .LBB41_89
.LBB41_88:                              ;   in Loop: Header=BB41_89 Depth=1
	s_addk_i32 s19, 0xfefc
	v_mov_b32_e32 v2, s19
	ds_read_b32 v2, v2
	s_add_i32 s19, s4, -4
	s_add_i32 s5, s5, -16
	;; [unrolled: 1-line block ×5, first 2 shown]
	s_waitcnt lgkmcnt(0)
	v_mul_f32_e32 v2, v4, v2
	s_cmp_lt_i32 s4, 4
	s_mov_b32 s4, s19
	ds_write_b32 v5, v2
	s_cbranch_scc1 .LBB41_97
.LBB41_89:                              ; =>This Loop Header: Depth=1
                                        ;     Child Loop BB41_90 Depth 2
                                        ;     Child Loop BB41_92 Depth 2
	;; [unrolled: 1-line block ×4, first 2 shown]
	s_lshl_b32 s20, s4, 8
	v_add_u32_e32 v6, s20, v1
	ds_read_b32 v2, v6
	s_cmp_le_i32 s7, s4
	v_mov_b32_e32 v4, v3
	s_mov_b32 s19, s5
	s_mov_b32 s21, s7
	s_cbranch_scc1 .LBB41_91
.LBB41_90:                              ;   Parent Loop BB41_89 Depth=1
                                        ; =>  This Inner Loop Header: Depth=2
	v_mov_b32_e32 v7, s19
	ds_read_b32 v5, v4
	ds_read_b32 v7, v7
	s_add_i32 s21, s21, -1
	s_addk_i32 s19, 0xff00
	v_add_u32_e32 v4, 0xffffff00, v4
	s_cmp_gt_i32 s21, s4
	s_waitcnt lgkmcnt(0)
	v_fma_f32 v2, -v5, v7, v2
	s_cbranch_scc1 .LBB41_90
.LBB41_91:                              ;   in Loop: Header=BB41_89 Depth=1
	s_mul_i32 s19, s4, 0x104
	v_mov_b32_e32 v4, s19
	ds_read_b32 v7, v4
	s_addk_i32 s20, 0xff00
	v_add_u32_e32 v5, s20, v1
	ds_read_b32 v4, v5
	s_cmp_le_i32 s26, s4
	s_waitcnt lgkmcnt(1)
	v_mul_f32_e32 v2, v2, v7
	ds_write_b32 v6, v2
	v_mov_b32_e32 v2, v3
	s_mov_b32 s20, s16
	s_mov_b32 s21, s26
	s_cbranch_scc1 .LBB41_93
.LBB41_92:                              ;   Parent Loop BB41_89 Depth=1
                                        ; =>  This Inner Loop Header: Depth=2
	v_mov_b32_e32 v7, s20
	ds_read_b32 v6, v2
	ds_read_b32 v7, v7
	s_add_i32 s21, s21, -1
	s_addk_i32 s20, 0xff00
	v_add_u32_e32 v2, 0xffffff00, v2
	s_cmp_gt_i32 s21, s4
	s_waitcnt lgkmcnt(0)
	v_fma_f32 v4, -v6, v7, v4
	s_cbranch_scc1 .LBB41_92
.LBB41_93:                              ;   in Loop: Header=BB41_89 Depth=1
	s_addk_i32 s19, 0xfefc
	v_mov_b32_e32 v2, s19
	s_add_i32 s20, s4, -2
	ds_read_b32 v7, v2
	s_lshl_b32 s21, s20, 8
	v_add_u32_e32 v6, s21, v1
	ds_read_b32 v2, v6
	s_cmp_le_i32 s7, s20
	s_waitcnt lgkmcnt(1)
	v_mul_f32_e32 v4, v4, v7
	ds_write_b32 v5, v4
	v_mov_b32_e32 v4, v3
	s_mov_b32 s21, s17
	s_mov_b32 s24, s7
	s_cbranch_scc1 .LBB41_95
.LBB41_94:                              ;   Parent Loop BB41_89 Depth=1
                                        ; =>  This Inner Loop Header: Depth=2
	v_mov_b32_e32 v7, s21
	ds_read_b32 v5, v4
	ds_read_b32 v7, v7
	s_add_i32 s24, s24, -1
	s_addk_i32 s21, 0xff00
	v_add_u32_e32 v4, 0xffffff00, v4
	s_cmp_gt_i32 s24, s20
	s_waitcnt lgkmcnt(0)
	v_fma_f32 v2, -v5, v7, v2
	s_cbranch_scc1 .LBB41_94
.LBB41_95:                              ;   in Loop: Header=BB41_89 Depth=1
	s_addk_i32 s19, 0xfefc
	v_mov_b32_e32 v4, s19
	s_add_i32 s20, s4, -3
	ds_read_b32 v7, v4
	s_lshl_b32 s21, s20, 8
	v_add_u32_e32 v5, s21, v1
	ds_read_b32 v4, v5
	s_cmp_le_i32 s7, s20
	s_waitcnt lgkmcnt(1)
	v_mul_f32_e32 v2, v2, v7
	ds_write_b32 v6, v2
	v_mov_b32_e32 v2, v3
	s_mov_b32 s21, s18
	s_mov_b32 s24, s7
	s_cbranch_scc1 .LBB41_88
.LBB41_96:                              ;   Parent Loop BB41_89 Depth=1
                                        ; =>  This Inner Loop Header: Depth=2
	v_mov_b32_e32 v7, s21
	ds_read_b32 v6, v2
	ds_read_b32 v7, v7
	s_add_i32 s24, s24, -1
	s_addk_i32 s21, 0xff00
	v_add_u32_e32 v2, 0xffffff00, v2
	s_cmp_gt_i32 s24, s20
	s_waitcnt lgkmcnt(0)
	v_fma_f32 v4, -v6, v7, v4
	s_cbranch_scc1 .LBB41_96
	s_branch .LBB41_88
.LBB41_97:
	s_waitcnt lgkmcnt(0)
	; wave barrier
	s_and_saveexec_b64 s[4:5], s[0:1]
	s_cbranch_execz .LBB41_106
; %bb.98:
	s_andn2_b64 vcc, exec, s[14:15]
	s_cbranch_vccnz .LBB41_106
; %bb.99:
	s_cmp_eq_u32 s6, 1
	s_cbranch_scc1 .LBB41_103
; %bb.100:
	v_mad_i64_i32 v[2:3], s[0:1], s22, v0, 0
	v_lshl_add_u64 v[2:3], v[2:3], 2, s[2:3]
	s_and_b32 s2, s26, 0x7e
	s_mov_b32 s0, 1
	s_mov_b32 s1, 0
	;; [unrolled: 1-line block ×3, first 2 shown]
.LBB41_101:                             ; =>This Inner Loop Header: Depth=1
	v_lshl_add_u32 v4, s1, 8, v1
	v_lshl_add_u32 v5, s0, 8, v1
	ds_read_b32 v4, v4
	ds_read_b32 v5, v5
	s_add_i32 s1, s1, 2
	s_add_i32 s0, s0, 2
	s_add_i32 s3, s3, -2
	s_cmp_lg_u32 s3, 0
	s_waitcnt lgkmcnt(0)
	flat_store_dwordx2 v[2:3], v[4:5]
	v_lshl_add_u64 v[2:3], v[2:3], 0, 8
	s_cbranch_scc1 .LBB41_101
; %bb.102:
	s_cmp_lg_u32 s26, s2
	s_cselect_b64 s[0:1], -1, 0
	s_and_b64 vcc, exec, s[0:1]
	s_cbranch_vccnz .LBB41_104
	s_branch .LBB41_106
.LBB41_103:
	s_mov_b32 s2, 0
	s_cbranch_execz .LBB41_106
.LBB41_104:
	s_sub_i32 s0, s26, s2
	s_lshl_b32 s1, s2, 2
	s_add_u32 s1, s8, s1
	s_addc_u32 s3, s9, 0
	s_add_u32 s4, s1, s10
	v_lshlrev_b32_e32 v2, 2, v0
	v_mov_b32_e32 v3, 0
	s_addc_u32 s5, s3, s11
	v_lshl_add_u64 v[4:5], s[12:13], 2, v[2:3]
	v_mov_b64_e32 v[0:1], s[4:5]
	v_mad_u64_u32 v[0:1], s[4:5], v4, s22, v[0:1]
	v_mul_lo_u32 v3, v4, s23
	v_mul_lo_u32 v4, v5, s22
	v_lshl_or_b32 v2, s2, 8, v2
	v_add3_u32 v1, v4, v1, v3
	v_add_u32_e32 v2, 0x4000, v2
.LBB41_105:                             ; =>This Inner Loop Header: Depth=1
	ds_read_b32 v3, v2
	s_add_i32 s0, s0, -1
	v_add_u32_e32 v2, 0x100, v2
	s_cmp_lg_u32 s0, 0
	s_waitcnt lgkmcnt(0)
	flat_store_dword v[0:1], v3
	v_lshl_add_u64 v[0:1], v[0:1], 0, 4
	s_cbranch_scc1 .LBB41_105
.LBB41_106:
	s_endpgm
	.section	.rodata,"a",@progbits
	.p2align	6, 0x0
	.amdhsa_kernel _ZL38rocblas_trsm_small_left_device_sharedBILi64ELi32ELb0EffPKPKfPKPfEv13rocblas_fill_18rocblas_operation_17rocblas_diagonal_iiT3_T4_lilT5_lili
		.amdhsa_group_segment_fixed_size 32768
		.amdhsa_private_segment_fixed_size 0
		.amdhsa_kernarg_size 352
		.amdhsa_user_sgpr_count 2
		.amdhsa_user_sgpr_dispatch_ptr 0
		.amdhsa_user_sgpr_queue_ptr 0
		.amdhsa_user_sgpr_kernarg_segment_ptr 1
		.amdhsa_user_sgpr_dispatch_id 0
		.amdhsa_user_sgpr_kernarg_preload_length 0
		.amdhsa_user_sgpr_kernarg_preload_offset 0
		.amdhsa_user_sgpr_private_segment_size 0
		.amdhsa_uses_dynamic_stack 0
		.amdhsa_enable_private_segment 0
		.amdhsa_system_sgpr_workgroup_id_x 1
		.amdhsa_system_sgpr_workgroup_id_y 0
		.amdhsa_system_sgpr_workgroup_id_z 1
		.amdhsa_system_sgpr_workgroup_info 0
		.amdhsa_system_vgpr_workitem_id 0
		.amdhsa_next_free_vgpr 169
		.amdhsa_next_free_sgpr 96
		.amdhsa_accum_offset 72
		.amdhsa_reserve_vcc 1
		.amdhsa_float_round_mode_32 0
		.amdhsa_float_round_mode_16_64 0
		.amdhsa_float_denorm_mode_32 3
		.amdhsa_float_denorm_mode_16_64 3
		.amdhsa_dx10_clamp 1
		.amdhsa_ieee_mode 1
		.amdhsa_fp16_overflow 0
		.amdhsa_tg_split 0
		.amdhsa_exception_fp_ieee_invalid_op 0
		.amdhsa_exception_fp_denorm_src 0
		.amdhsa_exception_fp_ieee_div_zero 0
		.amdhsa_exception_fp_ieee_overflow 0
		.amdhsa_exception_fp_ieee_underflow 0
		.amdhsa_exception_fp_ieee_inexact 0
		.amdhsa_exception_int_div_zero 0
	.end_amdhsa_kernel
	.section	.text._ZL38rocblas_trsm_small_left_device_sharedBILi64ELi32ELb0EffPKPKfPKPfEv13rocblas_fill_18rocblas_operation_17rocblas_diagonal_iiT3_T4_lilT5_lili,"axG",@progbits,_ZL38rocblas_trsm_small_left_device_sharedBILi64ELi32ELb0EffPKPKfPKPfEv13rocblas_fill_18rocblas_operation_17rocblas_diagonal_iiT3_T4_lilT5_lili,comdat
.Lfunc_end41:
	.size	_ZL38rocblas_trsm_small_left_device_sharedBILi64ELi32ELb0EffPKPKfPKPfEv13rocblas_fill_18rocblas_operation_17rocblas_diagonal_iiT3_T4_lilT5_lili, .Lfunc_end41-_ZL38rocblas_trsm_small_left_device_sharedBILi64ELi32ELb0EffPKPKfPKPfEv13rocblas_fill_18rocblas_operation_17rocblas_diagonal_iiT3_T4_lilT5_lili
                                        ; -- End function
	.set _ZL38rocblas_trsm_small_left_device_sharedBILi64ELi32ELb0EffPKPKfPKPfEv13rocblas_fill_18rocblas_operation_17rocblas_diagonal_iiT3_T4_lilT5_lili.num_vgpr, 70
	.set _ZL38rocblas_trsm_small_left_device_sharedBILi64ELi32ELb0EffPKPKfPKPfEv13rocblas_fill_18rocblas_operation_17rocblas_diagonal_iiT3_T4_lilT5_lili.num_agpr, 0
	.set _ZL38rocblas_trsm_small_left_device_sharedBILi64ELi32ELb0EffPKPKfPKPfEv13rocblas_fill_18rocblas_operation_17rocblas_diagonal_iiT3_T4_lilT5_lili.numbered_sgpr, 32
	.set _ZL38rocblas_trsm_small_left_device_sharedBILi64ELi32ELb0EffPKPKfPKPfEv13rocblas_fill_18rocblas_operation_17rocblas_diagonal_iiT3_T4_lilT5_lili.num_named_barrier, 0
	.set _ZL38rocblas_trsm_small_left_device_sharedBILi64ELi32ELb0EffPKPKfPKPfEv13rocblas_fill_18rocblas_operation_17rocblas_diagonal_iiT3_T4_lilT5_lili.private_seg_size, 0
	.set _ZL38rocblas_trsm_small_left_device_sharedBILi64ELi32ELb0EffPKPKfPKPfEv13rocblas_fill_18rocblas_operation_17rocblas_diagonal_iiT3_T4_lilT5_lili.uses_vcc, 1
	.set _ZL38rocblas_trsm_small_left_device_sharedBILi64ELi32ELb0EffPKPKfPKPfEv13rocblas_fill_18rocblas_operation_17rocblas_diagonal_iiT3_T4_lilT5_lili.uses_flat_scratch, 0
	.set _ZL38rocblas_trsm_small_left_device_sharedBILi64ELi32ELb0EffPKPKfPKPfEv13rocblas_fill_18rocblas_operation_17rocblas_diagonal_iiT3_T4_lilT5_lili.has_dyn_sized_stack, 0
	.set _ZL38rocblas_trsm_small_left_device_sharedBILi64ELi32ELb0EffPKPKfPKPfEv13rocblas_fill_18rocblas_operation_17rocblas_diagonal_iiT3_T4_lilT5_lili.has_recursion, 0
	.set _ZL38rocblas_trsm_small_left_device_sharedBILi64ELi32ELb0EffPKPKfPKPfEv13rocblas_fill_18rocblas_operation_17rocblas_diagonal_iiT3_T4_lilT5_lili.has_indirect_call, 0
	.section	.AMDGPU.csdata,"",@progbits
; Kernel info:
; codeLenInByte = 6120
; TotalNumSgprs: 38
; NumVgprs: 70
; NumAgprs: 0
; TotalNumVgprs: 70
; ScratchSize: 0
; MemoryBound: 0
; FloatMode: 240
; IeeeMode: 1
; LDSByteSize: 32768 bytes/workgroup (compile time only)
; SGPRBlocks: 12
; VGPRBlocks: 21
; NumSGPRsForWavesPerEU: 102
; NumVGPRsForWavesPerEU: 169
; AccumOffset: 72
; Occupancy: 2
; WaveLimiterHint : 0
; COMPUTE_PGM_RSRC2:SCRATCH_EN: 0
; COMPUTE_PGM_RSRC2:USER_SGPR: 2
; COMPUTE_PGM_RSRC2:TRAP_HANDLER: 0
; COMPUTE_PGM_RSRC2:TGID_X_EN: 1
; COMPUTE_PGM_RSRC2:TGID_Y_EN: 0
; COMPUTE_PGM_RSRC2:TGID_Z_EN: 1
; COMPUTE_PGM_RSRC2:TIDIG_COMP_CNT: 0
; COMPUTE_PGM_RSRC3_GFX90A:ACCUM_OFFSET: 17
; COMPUTE_PGM_RSRC3_GFX90A:TG_SPLIT: 0
	.section	.text._ZL30rocblas_trsm_small_left_deviceILi64ELi32ELb0EffPKPKfPKPfEv13rocblas_fill_18rocblas_operation_17rocblas_diagonal_iiT3_T4_lilT5_lili,"axG",@progbits,_ZL30rocblas_trsm_small_left_deviceILi64ELi32ELb0EffPKPKfPKPfEv13rocblas_fill_18rocblas_operation_17rocblas_diagonal_iiT3_T4_lilT5_lili,comdat
	.globl	_ZL30rocblas_trsm_small_left_deviceILi64ELi32ELb0EffPKPKfPKPfEv13rocblas_fill_18rocblas_operation_17rocblas_diagonal_iiT3_T4_lilT5_lili ; -- Begin function _ZL30rocblas_trsm_small_left_deviceILi64ELi32ELb0EffPKPKfPKPfEv13rocblas_fill_18rocblas_operation_17rocblas_diagonal_iiT3_T4_lilT5_lili
	.p2align	8
	.type	_ZL30rocblas_trsm_small_left_deviceILi64ELi32ELb0EffPKPKfPKPfEv13rocblas_fill_18rocblas_operation_17rocblas_diagonal_iiT3_T4_lilT5_lili,@function
_ZL30rocblas_trsm_small_left_deviceILi64ELi32ELb0EffPKPKfPKPfEv13rocblas_fill_18rocblas_operation_17rocblas_diagonal_iiT3_T4_lilT5_lili: ; @_ZL30rocblas_trsm_small_left_deviceILi64ELi32ELb0EffPKPKfPKPfEv13rocblas_fill_18rocblas_operation_17rocblas_diagonal_iiT3_T4_lilT5_lili
; %bb.0:
	s_load_dwordx4 s[8:11], s[0:1], 0x38
	s_load_dwordx4 s[4:7], s[0:1], 0x4
	s_load_dword s16, s[0:1], 0x14
	s_mov_b32 s20, s3
	s_mov_b32 s21, 0
	s_lshl_b64 s[24:25], s[20:21], 3
	s_waitcnt lgkmcnt(0)
	s_add_u32 s8, s8, s24
	s_addc_u32 s9, s9, s25
	s_load_dwordx2 s[8:9], s[8:9], 0x0
	s_min_i32 s33, s6, 64
	v_cmp_gt_i32_e32 vcc, s33, v0
	s_and_saveexec_b64 s[18:19], vcc
	s_cbranch_execz .LBB42_11
; %bb.1:
	s_load_dwordx4 s[12:15], s[0:1], 0x18
	s_load_dword s22, s[0:1], 0x28
	v_lshlrev_b32_e32 v2, 2, v0
	v_mov_b32_e32 v3, 0
	s_mov_b32 s3, 1
	s_waitcnt lgkmcnt(0)
	s_add_u32 s12, s12, s24
	s_addc_u32 s13, s13, s25
	s_load_dwordx2 s[12:13], s[12:13], 0x0
	s_cmp_lt_u32 s33, 2
	s_cselect_b64 s[26:27], -1, 0
	s_cmp_lg_u32 s22, 1
	s_cselect_b64 s[28:29], -1, 0
	s_or_b64 s[26:27], s[26:27], s[28:29]
	s_mov_b64 s[24:25], -1
	s_and_b64 vcc, exec, s[26:27]
	s_cbranch_vccnz .LBB42_5
; %bb.2:
	s_lshl_b64 s[20:21], s[14:15], 2
	s_waitcnt lgkmcnt(0)
	s_add_u32 s20, s12, s20
	s_addc_u32 s21, s13, s21
	v_lshl_add_u64 v[4:5], s[20:21], 0, v[2:3]
	s_and_b32 s21, s33, -2
	s_mov_b32 s17, 0
	s_mov_b32 s20, s21
.LBB42_3:                               ; =>This Inner Loop Header: Depth=1
	flat_load_dwordx2 v[6:7], v[4:5]
	v_lshl_or_b32 v1, s17, 8, v2
	v_lshl_or_b32 v3, s3, 8, v2
	s_add_i32 s17, s17, 2
	s_add_i32 s3, s3, 2
	s_add_i32 s20, s20, -2
	v_lshl_add_u64 v[4:5], v[4:5], 0, 8
	s_cmp_lg_u32 s20, 0
	s_waitcnt vmcnt(0) lgkmcnt(0)
	ds_write_b32 v1, v6
	ds_write_b32 v3, v7
	s_cbranch_scc1 .LBB42_3
; %bb.4:
	s_cmp_lg_u32 s33, s21
	s_cselect_b64 s[24:25], -1, 0
.LBB42_5:
	s_and_b64 vcc, exec, s[24:25]
	s_cbranch_vccz .LBB42_8
; %bb.6:
	s_ashr_i32 s23, s22, 31
	s_mul_hi_u32 s3, s22, s21
	s_mul_i32 s17, s23, s21
	s_add_i32 s25, s3, s17
	s_mul_i32 s24, s22, s21
	s_lshl_b64 s[24:25], s[24:25], 2
	s_lshl_b64 s[14:15], s[14:15], 2
	s_add_u32 s3, s24, s14
	s_addc_u32 s14, s25, s15
	s_waitcnt lgkmcnt(0)
	s_add_u32 s12, s12, s3
	v_mov_b32_e32 v3, 0
	s_addc_u32 s13, s13, s14
	v_lshl_add_u64 v[4:5], s[12:13], 0, v[2:3]
	s_lshl_b64 s[12:13], s[22:23], 2
	s_sub_i32 s3, s33, s21
	v_lshl_or_b32 v1, s21, 8, v2
.LBB42_7:                               ; =>This Inner Loop Header: Depth=1
	flat_load_dword v3, v[4:5]
	s_add_i32 s3, s3, -1
	v_lshl_add_u64 v[4:5], v[4:5], 0, s[12:13]
	s_cmp_eq_u32 s3, 0
	s_waitcnt vmcnt(0) lgkmcnt(0)
	ds_write_b32 v1, v3
	v_add_u32_e32 v1, 0x100, v1
	s_cbranch_scc0 .LBB42_7
.LBB42_8:
	v_lshlrev_b32_e32 v1, 8, v0
	s_cmpk_lg_i32 s5, 0x84
	v_mov_b32_e32 v3, 1.0
	v_add_u32_e32 v1, v2, v1
	s_cbranch_scc0 .LBB42_10
; %bb.9:
	ds_read_b32 v2, v1
	s_waitcnt lgkmcnt(0)
	v_div_scale_f32 v3, s[12:13], v2, v2, 1.0
	v_rcp_f32_e32 v4, v3
	v_div_scale_f32 v5, vcc, 1.0, v2, 1.0
	v_fma_f32 v6, -v3, v4, 1.0
	v_fmac_f32_e32 v4, v6, v4
	v_mul_f32_e32 v6, v5, v4
	v_fma_f32 v7, -v3, v6, v5
	v_fmac_f32_e32 v6, v7, v4
	v_fma_f32 v3, -v3, v6, v5
	v_div_fmas_f32 v3, v3, v4, v6
	v_div_fixup_f32 v3, v3, v2, 1.0
.LBB42_10:
	ds_write_b32 v1, v3
.LBB42_11:
	s_or_b64 exec, exec, s[18:19]
	s_load_dword s3, s[0:1], 0x60
	s_waitcnt lgkmcnt(0)
	; wave barrier
	s_add_i32 s5, s3, -1
	s_lshl_b32 s3, s2, 6
	s_sub_i32 s7, s7, s3
	s_cmp_ge_u32 s2, s5
	s_cselect_b32 s2, s7, 64
	v_cmp_gt_i32_e32 vcc, s2, v0
	s_and_saveexec_b64 s[12:13], vcc
	s_cbranch_execz .LBB42_93
; %bb.12:
	s_load_dword s2, s[0:1], 0x48
	s_lshl_b64 s[0:1], s[10:11], 2
	s_add_u32 s10, s8, s0
	v_add_u32_e32 v0, s3, v0
	s_addc_u32 s11, s9, s1
	s_waitcnt lgkmcnt(0)
	v_mad_i64_i32 v[34:35], s[2:3], s2, v0, 0
	v_lshl_add_u64 v[32:33], v[34:35], 2, s[10:11]
	s_cmpk_eq_i32 s4, 0x6f
	s_mov_b64 s[2:3], -1
	s_cbranch_scc1 .LBB42_50
; %bb.13:
	s_cmp_lt_i32 s6, 32
	s_cbranch_scc1 .LBB42_27
; %bb.14:
	s_mov_b32 s41, 0
	s_mov_b32 s17, s16
	;; [unrolled: 1-line block ×35, first 2 shown]
.LBB42_15:                              ; =>This Loop Header: Depth=1
                                        ;     Child Loop BB42_16 Depth 2
                                        ;     Child Loop BB42_18 Depth 2
                                        ;       Child Loop BB42_20 Depth 3
                                        ;       Child Loop BB42_23 Depth 3
	v_lshl_add_u64 v[36:37], s[40:41], 2, v[32:33]
	flat_load_dwordx4 v[0:3], v[36:37] offset:112
	flat_load_dwordx4 v[4:7], v[36:37] offset:96
	;; [unrolled: 1-line block ×7, first 2 shown]
	flat_load_dwordx4 v[52:55], v[36:37]
	s_cmp_eq_u32 s40, 0
	v_mov_b64_e32 v[38:39], v[32:33]
	s_mov_b32 s42, s40
	s_mov_b32 s43, s50
	s_waitcnt vmcnt(0) lgkmcnt(0)
	v_pk_mul_f32 v[28:29], s[36:37], v[0:1]
	v_pk_mul_f32 v[24:25], s[30:31], v[4:5]
	;; [unrolled: 1-line block ×16, first 2 shown]
	s_cbranch_scc1 .LBB42_17
.LBB42_16:                              ;   Parent Loop BB42_15 Depth=1
                                        ; =>  This Inner Loop Header: Depth=2
	flat_load_dword v40, v[38:39]
	v_mov_b32_e32 v41, s43
	ds_read2st64_b32 v[42:43], v41 offset1:1
	ds_read2st64_b32 v[44:45], v41 offset0:2 offset1:3
	ds_read2st64_b32 v[46:47], v41 offset0:4 offset1:5
	ds_read2st64_b32 v[48:49], v41 offset0:6 offset1:7
	ds_read2st64_b32 v[50:51], v41 offset0:8 offset1:9
	ds_read2st64_b32 v[52:53], v41 offset0:10 offset1:11
	ds_read2st64_b32 v[54:55], v41 offset0:12 offset1:13
	ds_read2st64_b32 v[56:57], v41 offset0:14 offset1:15
	ds_read2st64_b32 v[58:59], v41 offset0:24 offset1:25
	ds_read2st64_b32 v[60:61], v41 offset0:26 offset1:27
	ds_read2st64_b32 v[62:63], v41 offset0:28 offset1:29
	ds_read2st64_b32 v[64:65], v41 offset0:30 offset1:31
	ds_read2st64_b32 v[66:67], v41 offset0:16 offset1:17
	ds_read2st64_b32 v[68:69], v41 offset0:18 offset1:19
	ds_read2st64_b32 v[70:71], v41 offset0:20 offset1:21
	ds_read2st64_b32 v[72:73], v41 offset0:22 offset1:23
	s_add_i32 s43, s43, 4
	s_add_i32 s42, s42, -1
	v_lshl_add_u64 v[38:39], v[38:39], 0, 4
	s_cmp_eq_u32 s42, 0
	s_waitcnt vmcnt(0) lgkmcnt(0)
	v_pk_fma_f32 v[30:31], v[40:41], v[64:65], v[30:31] op_sel_hi:[0,1,1] neg_lo:[1,0,0] neg_hi:[1,0,0]
	v_pk_fma_f32 v[28:29], v[40:41], v[62:63], v[28:29] op_sel_hi:[0,1,1] neg_lo:[1,0,0] neg_hi:[1,0,0]
	;; [unrolled: 1-line block ×16, first 2 shown]
	s_cbranch_scc0 .LBB42_16
.LBB42_17:                              ;   in Loop: Header=BB42_15 Depth=1
	s_mov_b64 s[42:43], 0
	s_mov_b32 s51, s7
.LBB42_18:                              ;   Parent Loop BB42_15 Depth=1
                                        ; =>  This Loop Header: Depth=2
                                        ;       Child Loop BB42_20 Depth 3
                                        ;       Child Loop BB42_23 Depth 3
	s_cmp_eq_u32 s42, 0
	s_cbranch_scc1 .LBB42_21
; %bb.19:                               ;   in Loop: Header=BB42_18 Depth=2
	s_mov_b64 s[44:45], s[42:43]
	s_add_i32 s46, s42, s40
	s_mov_b64 s[48:49], 0
	s_mov_b32 s45, s51
.LBB42_20:                              ;   Parent Loop BB42_15 Depth=1
                                        ;     Parent Loop BB42_18 Depth=2
                                        ; =>    This Inner Loop Header: Depth=3
	v_mov_b32_e32 v39, s45
	s_set_gpr_idx_on s48, gpr_idx(SRC0)
	v_mov_b32_e32 v38, v0
	s_set_gpr_idx_off
	ds_read_b32 v39, v39
	s_add_u32 s48, s48, 1
	s_addc_u32 s49, s49, 0
	s_add_i32 s45, s45, 4
	s_set_gpr_idx_on s42, gpr_idx(SRC0)
	v_mov_b32_e32 v40, v0
	s_set_gpr_idx_off
	s_cmp_eq_u32 s42, s48
	s_waitcnt lgkmcnt(0)
	v_fma_f32 v38, -v38, v39, v40
	s_set_gpr_idx_on s42, gpr_idx(DST)
	v_mov_b32_e32 v0, v38
	s_set_gpr_idx_off
	s_cbranch_scc0 .LBB42_20
	s_branch .LBB42_22
.LBB42_21:                              ;   in Loop: Header=BB42_18 Depth=2
	s_mov_b32 s46, s40
	s_mov_b64 s[44:45], 0
.LBB42_22:                              ;   in Loop: Header=BB42_18 Depth=2
	s_mul_i32 s45, s46, 0x104
	v_mov_b32_e32 v38, s45
	ds_read_b32 v40, v38
	s_ashr_i32 s47, s46, 31
	s_set_gpr_idx_on s44, gpr_idx(SRC0)
	v_mov_b32_e32 v41, v0
	s_set_gpr_idx_off
	v_lshl_add_u64 v[38:39], s[46:47], 2, v[32:33]
	s_or_b32 s48, s42, 1
	s_waitcnt lgkmcnt(0)
	v_mul_f32_e32 v40, v41, v40
	flat_store_dword v[38:39], v40
	s_set_gpr_idx_on s44, gpr_idx(DST)
	v_mov_b32_e32 v0, v40
	s_set_gpr_idx_off
	s_add_u32 s46, s42, 1
	s_mov_b64 s[44:45], 0
	s_movk_i32 s47, 0x100
.LBB42_23:                              ;   Parent Loop BB42_15 Depth=1
                                        ;     Parent Loop BB42_18 Depth=2
                                        ; =>    This Inner Loop Header: Depth=3
	s_add_i32 s49, s51, s47
	v_mov_b32_e32 v39, s49
	s_set_gpr_idx_on s44, gpr_idx(SRC0)
	v_mov_b32_e32 v38, v0
	s_set_gpr_idx_off
	ds_read_b32 v39, v39
	s_add_u32 s44, s44, 1
	s_set_gpr_idx_on s48, gpr_idx(SRC0)
	v_mov_b32_e32 v40, v0
	s_set_gpr_idx_off
	s_addc_u32 s45, s45, 0
	s_add_i32 s47, s47, 4
	s_cmp_lg_u32 s46, s44
	s_waitcnt lgkmcnt(0)
	v_fma_f32 v38, -v38, v39, v40
	s_set_gpr_idx_on s48, gpr_idx(DST)
	v_mov_b32_e32 v0, v38
	s_set_gpr_idx_off
	s_cbranch_scc1 .LBB42_23
; %bb.24:                               ;   in Loop: Header=BB42_18 Depth=2
	s_add_i32 s44, s48, s40
	s_mulk_i32 s44, 0x104
	v_mov_b32_e32 v39, s44
	ds_read_b32 v39, v39
	s_ashr_i32 s45, s42, 31
	s_mov_b32 s44, s42
	s_add_u32 s42, s42, 2
	s_addc_u32 s43, s43, 0
	s_addk_i32 s51, 0x200
	v_lshl_add_u64 v[40:41], s[44:45], 2, v[36:37]
	s_waitcnt lgkmcnt(0)
	v_mul_f32_e32 v38, v38, v39
	s_cmp_eq_u32 s42, 32
	s_set_gpr_idx_on s48, gpr_idx(DST)
	v_mov_b32_e32 v0, v38
	s_set_gpr_idx_off
	flat_store_dword v[40:41], v38 offset:4
	s_cbranch_scc0 .LBB42_18
; %bb.25:                               ;   in Loop: Header=BB42_15 Depth=1
	s_add_i32 s42, s40, 32
	s_add_i32 s40, s40, 63
	s_addk_i32 s50, 0x2000
	s_addk_i32 s7, 0x2080
	s_cmp_ge_i32 s40, s33
	s_cbranch_scc1 .LBB42_28
; %bb.26:                               ;   in Loop: Header=BB42_15 Depth=1
	s_mov_b32 s40, s42
	s_branch .LBB42_15
.LBB42_27:
	s_mov_b32 s42, 0
.LBB42_28:
	s_cmp_lt_i32 s42, s33
	s_cbranch_scc0 .LBB42_49
; %bb.29:
	s_add_i32 s2, s42, 3
	s_cmp_ge_i32 s2, s33
	s_cbranch_scc1 .LBB42_43
; %bb.30:
	s_add_i32 s4, s42, -1
	s_lshl_b32 s5, s42, 8
	s_add_u32 s0, s8, s0
	s_addc_u32 s1, s9, s1
	s_mov_b32 s17, s16
	v_lshl_add_u64 v[0:1], v[34:35], 2, s[0:1]
	s_mov_b32 s1, 0
	s_mov_b32 s7, s42
	;; [unrolled: 1-line block ×3, first 2 shown]
.LBB42_31:                              ; =>This Loop Header: Depth=1
                                        ;     Child Loop BB42_34 Depth 2
                                        ;     Child Loop BB42_37 Depth 2
	s_ashr_i32 s43, s42, 31
	v_lshl_add_u64 v[2:3], s[42:43], 2, v[32:33]
	flat_load_dwordx4 v[6:9], v[2:3]
	s_cmp_lg_u32 s42, 0
	s_waitcnt vmcnt(0) lgkmcnt(0)
	v_pk_mul_f32 v[6:7], s[16:17], v[6:7]
	v_pk_mul_f32 v[4:5], s[16:17], v[8:9]
	s_cbranch_scc0 .LBB42_42
; %bb.32:                               ;   in Loop: Header=BB42_31 Depth=1
	s_lshl_b32 s0, s8, 2
	s_add_i32 s0, s4, s0
	s_cmp_lt_u32 s0, 7
	s_mov_b32 s0, 0
	s_cbranch_scc1 .LBB42_35
; %bb.33:                               ;   in Loop: Header=BB42_31 Depth=1
	s_and_b32 s0, s42, -8
	s_mov_b32 s2, 0
	v_mov_b64_e32 v[8:9], v[32:33]
	s_mov_b32 s3, s5
.LBB42_34:                              ;   Parent Loop BB42_31 Depth=1
                                        ; =>  This Inner Loop Header: Depth=2
	flat_load_dwordx4 v[10:13], v[8:9]
	flat_load_dwordx4 v[14:17], v[8:9] offset:16
	v_mov_b32_e32 v30, s3
	ds_read_b128 v[42:45], v30
	ds_read_b128 v[50:53], v30 offset:16
	ds_read_b128 v[18:21], v30 offset:256
	;; [unrolled: 1-line block ×7, first 2 shown]
	s_waitcnt lgkmcnt(0)
	v_mov_b32_e32 v30, v42
	v_mov_b32_e32 v31, v18
	;; [unrolled: 1-line block ×22, first 2 shown]
	s_add_i32 s2, s2, 8
	s_add_i32 s3, s3, 32
	v_mov_b32_e32 v24, v53
	v_mov_b32_e32 v36, v57
	v_lshl_add_u64 v[8:9], v[8:9], 0, 32
	s_cmp_lg_u32 s0, s2
	s_waitcnt vmcnt(0)
	v_pk_fma_f32 v[6:7], v[10:11], v[30:31], v[6:7] op_sel_hi:[0,1,1] neg_lo:[1,0,0] neg_hi:[1,0,0]
	v_pk_fma_f32 v[4:5], v[10:11], v[38:39], v[4:5] op_sel_hi:[0,1,1] neg_lo:[1,0,0] neg_hi:[1,0,0]
	v_pk_fma_f32 v[6:7], v[10:11], v[18:19], v[6:7] op_sel:[1,0,0] neg_lo:[1,0,0] neg_hi:[1,0,0]
	v_pk_fma_f32 v[4:5], v[10:11], v[26:27], v[4:5] op_sel:[1,0,0] neg_lo:[1,0,0] neg_hi:[1,0,0]
	v_mov_b32_e32 v30, v13
	v_pk_fma_f32 v[6:7], v[12:13], v[40:41], v[6:7] op_sel_hi:[0,1,1] neg_lo:[1,0,0] neg_hi:[1,0,0]
	v_pk_fma_f32 v[4:5], v[12:13], v[42:43], v[4:5] op_sel_hi:[0,1,1] neg_lo:[1,0,0] neg_hi:[1,0,0]
	;; [unrolled: 1-line block ×6, first 2 shown]
	v_pk_fma_f32 v[6:7], v[14:15], v[22:23], v[6:7] op_sel:[1,0,0] neg_lo:[1,0,0] neg_hi:[1,0,0]
	v_pk_fma_f32 v[4:5], v[14:15], v[34:35], v[4:5] op_sel:[1,0,0] neg_lo:[1,0,0] neg_hi:[1,0,0]
	v_mov_b32_e32 v38, v17
	v_pk_fma_f32 v[6:7], v[16:17], v[48:49], v[6:7] op_sel_hi:[0,1,1] neg_lo:[1,0,0] neg_hi:[1,0,0]
	v_pk_fma_f32 v[4:5], v[16:17], v[50:51], v[4:5] op_sel_hi:[0,1,1] neg_lo:[1,0,0] neg_hi:[1,0,0]
	;; [unrolled: 1-line block ×4, first 2 shown]
	s_cbranch_scc1 .LBB42_34
.LBB42_35:                              ;   in Loop: Header=BB42_31 Depth=1
	s_and_b32 s2, s42, 7
	s_cmp_eq_u32 s2, 0
	s_cbranch_scc1 .LBB42_38
; %bb.36:                               ;   in Loop: Header=BB42_31 Depth=1
	s_and_b32 s2, s7, 7
	s_lshl_b32 s3, s0, 2
	v_lshl_add_u64 v[8:9], s[0:1], 2, v[0:1]
.LBB42_37:                              ;   Parent Loop BB42_31 Depth=1
                                        ; =>  This Inner Loop Header: Depth=2
	flat_load_dword v10, v[8:9]
	s_add_i32 s0, s5, s3
	v_mov_b32_e32 v11, s0
	ds_read2st64_b32 v[12:13], v11 offset1:1
	ds_read2st64_b32 v[14:15], v11 offset0:2 offset1:3
	s_add_i32 s3, s3, 4
	s_add_i32 s2, s2, -1
	v_lshl_add_u64 v[8:9], v[8:9], 0, 4
	s_cmp_lg_u32 s2, 0
	s_waitcnt vmcnt(0) lgkmcnt(0)
	v_pk_fma_f32 v[6:7], v[10:11], v[12:13], v[6:7] op_sel_hi:[0,1,1] neg_lo:[1,0,0] neg_hi:[1,0,0]
	v_pk_fma_f32 v[4:5], v[10:11], v[14:15], v[4:5] op_sel_hi:[0,1,1] neg_lo:[1,0,0] neg_hi:[1,0,0]
	s_cbranch_scc1 .LBB42_37
.LBB42_38:                              ;   in Loop: Header=BB42_31 Depth=1
	s_lshl_b32 s0, s42, 8
	s_branch .LBB42_40
.LBB42_39:                              ;   in Loop: Header=BB42_31 Depth=1
	s_mov_b32 s0, 0
.LBB42_40:                              ;   in Loop: Header=BB42_31 Depth=1
	s_lshl_b32 s2, s42, 2
	s_add_i32 s0, s2, s0
	v_mov_b32_e32 v14, s0
	ds_read2_b32 v[8:9], v14 offset1:65
	s_lshl_b32 s0, s42, 8
	s_add_i32 s0, s0, s2
	v_mov_b32_e32 v15, s0
	ds_read2st64_b32 v[10:11], v15 offset0:1 offset1:3
	ds_read2_b32 v[12:13], v15 offset0:128 offset1:129
	ds_read_b32 v16, v14 offset:520
	s_waitcnt lgkmcnt(3)
	v_mul_f32_e32 v6, v6, v8
	s_add_i32 s0, s42, 4
	s_waitcnt lgkmcnt(2)
	v_fma_f32 v7, -v6, v10, v7
	v_mul_f32_e32 v7, v7, v9
	s_waitcnt lgkmcnt(1)
	v_pk_mul_f32 v[8:9], v[6:7], v[12:13]
	flat_store_dwordx2 v[2:3], v[6:7]
	v_sub_f32_e32 v8, v4, v8
	v_fma_f32 v10, -v6, v11, v5
	ds_read2_b32 v[4:5], v15 offset0:193 offset1:194
	ds_read_b32 v11, v14 offset:780
	v_sub_f32_e32 v6, v8, v9
	s_waitcnt lgkmcnt(0)
	v_mul_f32_e32 v9, v6, v16
	v_mov_b32_e32 v8, v7
	v_pk_mul_f32 v[4:5], v[8:9], v[4:5]
	s_add_i32 s2, s42, 7
	v_sub_f32_e32 v4, v10, v4
	v_sub_f32_e32 v4, v4, v5
	s_add_i32 s8, s8, 1
	s_addk_i32 s5, 0x400
	s_add_i32 s7, s7, 4
	v_mul_f32_e32 v5, v4, v11
	v_mov_b32_e32 v4, v9
	s_cmp_lt_i32 s2, s33
	flat_store_dwordx2 v[2:3], v[4:5] offset:8
	s_cbranch_scc0 .LBB42_44
; %bb.41:                               ;   in Loop: Header=BB42_31 Depth=1
	s_mov_b32 s42, s0
	s_branch .LBB42_31
.LBB42_42:                              ;   in Loop: Header=BB42_31 Depth=1
                                        ; implicit-def: $sgpr0
	s_cbranch_execnz .LBB42_39
	s_branch .LBB42_40
.LBB42_43:
	s_mov_b32 s0, s42
.LBB42_44:
	s_cmp_ge_i32 s0, s33
	s_cbranch_scc1 .LBB42_49
; %bb.45:
	s_lshl_b32 s2, s0, 8
	s_branch .LBB42_47
.LBB42_46:                              ;   in Loop: Header=BB42_47 Depth=1
	s_mul_i32 s1, s0, 0x104
	v_mov_b32_e32 v1, s1
	ds_read_b32 v1, v1
	s_add_i32 s0, s0, 1
	s_addk_i32 s2, 0x100
	s_cmp_ge_i32 s0, s33
	s_waitcnt lgkmcnt(0)
	v_mul_f32_e32 v0, v0, v1
	flat_store_dword v[2:3], v0
	s_cbranch_scc1 .LBB42_49
.LBB42_47:                              ; =>This Loop Header: Depth=1
                                        ;     Child Loop BB42_48 Depth 2
	s_ashr_i32 s1, s0, 31
	v_lshl_add_u64 v[2:3], s[0:1], 2, v[32:33]
	flat_load_dword v0, v[2:3]
	v_mov_b64_e32 v[4:5], v[32:33]
	s_mov_b32 s1, s0
	s_cmp_eq_u32 s0, 0
	s_mov_b32 s3, s2
	s_waitcnt vmcnt(0) lgkmcnt(0)
	v_mul_f32_e32 v0, s16, v0
	s_cbranch_scc1 .LBB42_46
.LBB42_48:                              ;   Parent Loop BB42_47 Depth=1
                                        ; =>  This Inner Loop Header: Depth=2
	flat_load_dword v1, v[4:5]
	v_mov_b32_e32 v6, s3
	ds_read_b32 v6, v6
	s_add_i32 s3, s3, 4
	s_add_i32 s1, s1, -1
	v_lshl_add_u64 v[4:5], v[4:5], 0, 4
	s_cmp_lg_u32 s1, 0
	s_waitcnt vmcnt(0) lgkmcnt(0)
	v_fma_f32 v0, -v1, v6, v0
	s_cbranch_scc1 .LBB42_48
	s_branch .LBB42_46
.LBB42_49:
	s_mov_b64 s[2:3], 0
.LBB42_50:
	s_and_b64 vcc, exec, s[2:3]
	s_cbranch_vccz .LBB42_93
; %bb.51:
	s_add_i32 s10, s33, -1
	s_cmp_lt_i32 s6, 32
	s_mov_b32 s1, 0
	s_cbranch_scc1 .LBB42_67
; %bb.52:
	s_lshl_b32 s11, s33, 8
	s_mov_b32 s17, s16
	s_addk_i32 s11, 0xfe84
	s_movk_i32 s12, 0xff94
	s_mov_b32 s0, s10
.LBB42_53:                              ; =>This Loop Header: Depth=1
                                        ;     Child Loop BB42_55 Depth 2
                                        ;     Child Loop BB42_57 Depth 2
                                        ;       Child Loop BB42_59 Depth 3
                                        ;       Child Loop BB42_63 Depth 3
	s_mov_b32 s2, s0
	s_mov_b32 s3, s1
	v_lshl_add_u64 v[24:25], s[2:3], 2, v[32:33]
	s_ashr_i32 s3, s0, 31
	v_lshl_add_u64 v[26:27], s[2:3], 2, v[32:33]
	v_add_co_u32_e32 v0, vcc, -12, v26
	s_cmp_le_i32 s10, s0
	s_nop 0
	v_addc_co_u32_e32 v1, vcc, -1, v27, vcc
	v_add_co_u32_e32 v34, vcc, s12, v26
	flat_load_dwordx3 v[28:30], v[0:1]
	s_nop 0
	v_addc_co_u32_e32 v35, vcc, -1, v27, vcc
	flat_load_dwordx4 v[0:3], v[34:35] offset:80
	flat_load_dwordx4 v[4:7], v[34:35] offset:64
	flat_load_dword v38, v[24:25]
	flat_load_dwordx4 v[8:11], v[34:35] offset:48
	flat_load_dwordx4 v[12:15], v[34:35] offset:32
	;; [unrolled: 1-line block ×3, first 2 shown]
	flat_load_dwordx4 v[20:23], v[34:35]
	v_add_co_u32_e32 v24, vcc, 0xffffff84, v26
	s_waitcnt vmcnt(0) lgkmcnt(0)
	v_pk_mul_f32 v[60:61], s[16:17], v[2:3]
	v_addc_co_u32_e32 v25, vcc, -1, v27, vcc
	flat_load_dwordx4 v[24:27], v[24:25]
	v_mov_b32_e32 v39, v30
	v_pk_mul_f32 v[62:63], s[16:17], v[28:29]
	v_pk_mul_f32 v[58:59], s[16:17], v[0:1]
	v_pk_mul_f32 v[56:57], s[16:17], v[6:7]
	v_pk_mul_f32 v[54:55], s[16:17], v[4:5]
	v_pk_mul_f32 v[52:53], s[16:17], v[10:11]
	v_pk_mul_f32 v[50:51], s[16:17], v[8:9]
	v_pk_mul_f32 v[48:49], s[16:17], v[14:15]
	v_pk_mul_f32 v[46:47], s[16:17], v[12:13]
	v_pk_mul_f32 v[44:45], s[16:17], v[18:19]
	v_pk_mul_f32 v[42:43], s[16:17], v[16:17]
	v_pk_mul_f32 v[40:41], s[16:17], v[22:23]
	v_pk_mul_f32 v[36:37], s[16:17], v[20:21]
	v_pk_mul_f32 v[0:1], s[16:17], v[38:39]
	v_mov_b32_e32 v2, v63
	v_mov_b32_e32 v3, v62
	;; [unrolled: 1-line block ×22, first 2 shown]
	s_waitcnt vmcnt(0) lgkmcnt(0)
	v_pk_mul_f32 v[38:39], s[16:17], v[26:27]
	v_pk_mul_f32 v[34:35], s[16:17], v[24:25]
	v_mov_b32_e32 v24, v41
	v_mov_b32_e32 v25, v40
	;; [unrolled: 1-line block ×8, first 2 shown]
	s_cbranch_scc1 .LBB42_56
; %bb.54:                               ;   in Loop: Header=BB42_53 Depth=1
	s_lshl_b32 s0, s2, 2
	s_add_i32 s4, s11, s0
	s_mov_b32 s0, s10
	v_mov_b32_e32 v2, v63
	v_mov_b32_e32 v3, v62
	;; [unrolled: 1-line block ×30, first 2 shown]
.LBB42_55:                              ;   Parent Loop BB42_53 Depth=1
                                        ; =>  This Inner Loop Header: Depth=2
	v_lshl_add_u64 v[34:35], s[0:1], 2, v[32:33]
	flat_load_dword v34, v[34:35]
	v_mov_b32_e32 v35, s4
	ds_read2_b32 v[36:37], v35 offset0:30 offset1:31
	ds_read2_b32 v[38:39], v35 offset0:28 offset1:29
	;; [unrolled: 1-line block ×15, first 2 shown]
	ds_read2_b32 v[66:67], v35 offset1:1
	s_add_i32 s0, s0, -1
	s_addk_i32 s4, 0xff00
	s_cmp_gt_i32 s0, s2
	s_waitcnt vmcnt(0) lgkmcnt(0)
	v_pk_mul_f32 v[36:37], v[34:35], v[36:37] op_sel_hi:[0,1]
	v_pk_mul_f32 v[38:39], v[34:35], v[38:39] op_sel_hi:[0,1]
	;; [unrolled: 1-line block ×16, first 2 shown]
	v_pk_add_f32 v[0:1], v[0:1], v[36:37] op_sel:[0,1] op_sel_hi:[1,0] neg_lo:[0,1] neg_hi:[0,1]
	v_pk_add_f32 v[2:3], v[2:3], v[38:39] op_sel:[0,1] op_sel_hi:[1,0] neg_lo:[0,1] neg_hi:[0,1]
	;; [unrolled: 1-line block ×16, first 2 shown]
	s_cbranch_scc1 .LBB42_55
.LBB42_56:                              ;   in Loop: Header=BB42_53 Depth=1
	s_mul_i32 s0, s2, 0x104
	s_mov_b64 s[4:5], 0
	s_mov_b32 s13, s0
.LBB42_57:                              ;   Parent Loop BB42_53 Depth=1
                                        ; =>  This Loop Header: Depth=2
                                        ;       Child Loop BB42_59 Depth 3
                                        ;       Child Loop BB42_63 Depth 3
	s_cmp_eq_u32 s4, 0
	s_cbranch_scc1 .LBB42_61
; %bb.58:                               ;   in Loop: Header=BB42_57 Depth=2
	s_mov_b64 s[6:7], s[4:5]
	s_mov_b64 s[8:9], 0
	s_mov_b32 s7, s13
.LBB42_59:                              ;   Parent Loop BB42_53 Depth=1
                                        ;     Parent Loop BB42_57 Depth=2
                                        ; =>    This Inner Loop Header: Depth=3
	v_mov_b32_e32 v35, s7
	s_set_gpr_idx_on s8, gpr_idx(SRC0)
	v_mov_b32_e32 v34, v0
	s_set_gpr_idx_off
	ds_read_b32 v35, v35
	s_add_u32 s8, s8, 1
	s_addc_u32 s9, s9, 0
	s_addk_i32 s7, 0xff00
	s_set_gpr_idx_on s4, gpr_idx(SRC0)
	v_mov_b32_e32 v36, v0
	s_set_gpr_idx_off
	s_cmp_lg_u32 s4, s8
	s_waitcnt lgkmcnt(0)
	v_fma_f32 v34, -v34, v35, v36
	s_set_gpr_idx_on s4, gpr_idx(DST)
	v_mov_b32_e32 v0, v34
	s_set_gpr_idx_off
	s_cbranch_scc1 .LBB42_59
; %bb.60:                               ;   in Loop: Header=BB42_57 Depth=2
	s_sub_i32 s8, s2, s4
	s_ashr_i32 s9, s8, 31
	s_mul_i32 s7, s8, 0x104
	s_branch .LBB42_62
.LBB42_61:                              ;   in Loop: Header=BB42_57 Depth=2
	s_mov_b64 s[6:7], 0
	s_mov_b64 s[8:9], s[2:3]
	s_mov_b32 s7, s0
.LBB42_62:                              ;   in Loop: Header=BB42_57 Depth=2
	v_mov_b32_e32 v34, s7
	ds_read_b32 v36, v34
	s_set_gpr_idx_on s6, gpr_idx(SRC0)
	v_mov_b32_e32 v37, v0
	s_set_gpr_idx_off
	v_lshl_add_u64 v[34:35], s[8:9], 2, v[32:33]
	s_or_b32 s8, s4, 1
	s_add_u32 s9, s4, 1
	s_waitcnt lgkmcnt(0)
	v_mul_f32_e32 v36, v37, v36
	flat_store_dword v[34:35], v36
	s_set_gpr_idx_on s6, gpr_idx(DST)
	v_mov_b32_e32 v0, v36
	s_set_gpr_idx_off
	s_mov_b64 s[6:7], 0
	s_mov_b32 s14, -4
.LBB42_63:                              ;   Parent Loop BB42_53 Depth=1
                                        ;     Parent Loop BB42_57 Depth=2
                                        ; =>    This Inner Loop Header: Depth=3
	s_add_i32 s15, s13, s14
	v_mov_b32_e32 v35, s15
	s_set_gpr_idx_on s6, gpr_idx(SRC0)
	v_mov_b32_e32 v34, v0
	s_set_gpr_idx_off
	ds_read_b32 v35, v35
	s_add_u32 s6, s6, 1
	s_set_gpr_idx_on s8, gpr_idx(SRC0)
	v_mov_b32_e32 v36, v0
	s_set_gpr_idx_off
	s_addc_u32 s7, s7, 0
	s_addk_i32 s14, 0xff00
	s_cmp_lg_u32 s9, s6
	s_waitcnt lgkmcnt(0)
	v_fma_f32 v34, -v34, v35, v36
	s_set_gpr_idx_on s8, gpr_idx(DST)
	v_mov_b32_e32 v0, v34
	s_set_gpr_idx_off
	s_cbranch_scc1 .LBB42_63
; %bb.64:                               ;   in Loop: Header=BB42_57 Depth=2
	s_sub_i32 s6, s2, s8
	s_lshl_b32 s7, s6, 2
	s_lshl_b32 s9, s6, 8
	s_add_i32 s7, s7, s9
	v_mov_b32_e32 v35, s7
	ds_read_b32 v35, v35
	s_ashr_i32 s7, s6, 31
	s_add_u32 s4, s4, 2
	s_addc_u32 s5, s5, 0
	s_add_i32 s13, s13, -8
	v_lshl_add_u64 v[36:37], s[6:7], 2, v[32:33]
	s_waitcnt lgkmcnt(0)
	v_mul_f32_e32 v34, v34, v35
	s_cmp_eq_u32 s4, 32
	s_set_gpr_idx_on s8, gpr_idx(DST)
	v_mov_b32_e32 v0, v34
	s_set_gpr_idx_off
	flat_store_dword v[36:37], v34
	s_cbranch_scc0 .LBB42_57
; %bb.65:                               ;   in Loop: Header=BB42_53 Depth=1
	s_cmp_lt_i32 s2, 63
	s_mov_b32 s0, 31
	s_cbranch_scc0 .LBB42_53
; %bb.66:
	s_sub_i32 s0, s2, 32
	s_cmp_gt_i32 s0, -1
	s_cbranch_scc1 .LBB42_68
	s_branch .LBB42_93
.LBB42_67:
	s_mov_b32 s0, s10
	s_cmp_gt_i32 s0, -1
	s_cbranch_scc0 .LBB42_93
.LBB42_68:
	s_cmp_lt_u32 s0, 3
	s_cbranch_scc1 .LBB42_75
; %bb.69:
	s_lshl_b32 s1, s33, 8
	s_lshl_b32 s2, s0, 2
	s_add_i32 s1, s1, s2
	s_mov_b32 s17, s16
	s_add_i32 s4, s1, 0xfffffef4
	s_mov_b32 s3, 0
.LBB42_70:                              ; =>This Loop Header: Depth=1
                                        ;     Child Loop BB42_71 Depth 2
	s_mov_b32 s1, s3
	v_lshl_add_u64 v[0:1], s[0:1], 2, v[32:33]
	v_add_co_u32_e32 v2, vcc, -12, v0
	s_cmp_le_i32 s10, s0
	s_nop 0
	v_addc_co_u32_e32 v3, vcc, -1, v1, vcc
	flat_load_dwordx4 v[2:5], v[2:3]
	s_mov_b32 s1, s4
	s_mov_b32 s2, s10
	s_waitcnt vmcnt(0) lgkmcnt(0)
	v_pk_mul_f32 v[6:7], s[16:17], v[4:5]
	v_pk_mul_f32 v[2:3], s[16:17], v[2:3]
	v_mov_b32_e32 v4, v7
	v_mov_b32_e32 v5, v6
	;; [unrolled: 1-line block ×4, first 2 shown]
	s_cbranch_scc1 .LBB42_73
.LBB42_71:                              ;   Parent Loop BB42_70 Depth=1
                                        ; =>  This Inner Loop Header: Depth=2
	v_lshl_add_u64 v[2:3], s[2:3], 2, v[32:33]
	flat_load_dword v2, v[2:3]
	v_mov_b32_e32 v3, s1
	ds_read2_b32 v[6:7], v3 offset0:2 offset1:3
	ds_read2_b32 v[10:11], v3 offset1:1
	s_add_i32 s2, s2, -1
	s_addk_i32 s1, 0xff00
	s_cmp_gt_i32 s2, s0
	s_waitcnt vmcnt(0) lgkmcnt(0)
	v_pk_mul_f32 v[6:7], v[2:3], v[6:7] op_sel_hi:[0,1]
	v_pk_mul_f32 v[2:3], v[2:3], v[10:11] op_sel_hi:[0,1]
	v_pk_add_f32 v[4:5], v[4:5], v[6:7] op_sel:[0,1] op_sel_hi:[1,0] neg_lo:[0,1] neg_hi:[0,1]
	v_pk_add_f32 v[8:9], v[8:9], v[2:3] op_sel:[0,1] op_sel_hi:[1,0] neg_lo:[0,1] neg_hi:[0,1]
	s_cbranch_scc1 .LBB42_71
; %bb.72:                               ;   in Loop: Header=BB42_70 Depth=1
	v_mov_b32_e32 v2, v9
	v_mov_b32_e32 v3, v8
	;; [unrolled: 1-line block ×4, first 2 shown]
.LBB42_73:                              ;   in Loop: Header=BB42_70 Depth=1
	s_add_i32 s2, s0, -1
	s_lshl_b32 s1, s2, 2
	s_lshl_b32 s5, s0, 8
	s_add_i32 s6, s1, s5
	s_lshl_b32 s7, s2, 8
	v_mov_b32_e32 v8, s6
	s_add_i32 s1, s1, s7
	s_add_i32 s6, s0, -3
	v_mov_b32_e32 v10, s1
	s_lshl_b32 s1, s6, 2
	s_add_i32 s5, s1, s5
	v_mov_b32_e32 v11, s5
	s_add_i32 s5, s1, s7
	v_mov_b32_e32 v12, s5
	v_lshl_add_u64 v[4:5], s[2:3], 2, v[32:33]
	s_add_i32 s2, s0, -2
	ds_read2_b32 v[8:9], v8 offset1:1
	ds_read_b32 v19, v10
	ds_read2_b32 v[10:11], v11 offset1:1
	ds_read2_b32 v[12:13], v12 offset1:1
	s_lshl_b32 s5, s2, 8
	s_add_i32 s5, s1, s5
	v_mov_b32_e32 v14, s5
	s_waitcnt lgkmcnt(3)
	v_mul_f32_e32 v18, v7, v9
	ds_read2_b32 v[14:15], v14 offset1:1
	flat_store_dword v[0:1], v18
	v_fma_f32 v0, -v18, v8, v6
	s_waitcnt lgkmcnt(0)
	v_mul_f32_e32 v19, v0, v19
	v_mov_b32_e32 v0, v11
	v_mov_b32_e32 v1, v13
	v_pk_mul_f32 v[0:1], v[18:19], v[0:1]
	v_lshl_add_u64 v[16:17], s[2:3], 2, v[32:33]
	v_sub_f32_e32 v0, v3, v0
	v_sub_f32_e32 v0, v0, v1
	s_lshl_b32 s2, s6, 8
	v_mul_f32_e32 v1, v0, v15
	s_add_i32 s1, s1, s2
	flat_store_dword v[4:5], v19
	flat_store_dword v[16:17], v1
	v_mov_b32_e32 v3, s1
	ds_read_b32 v3, v3
	v_mov_b32_e32 v0, v19
	v_mov_b32_e32 v13, v14
	v_fma_f32 v2, -v18, v10, v2
	v_pk_mul_f32 v[0:1], v[0:1], v[12:13]
	s_mov_b32 s7, s3
	v_sub_f32_e32 v0, v2, v0
	v_sub_f32_e32 v0, v0, v1
	s_add_i32 s5, s0, -4
	s_add_i32 s4, s4, -16
	s_waitcnt lgkmcnt(0)
	v_mul_f32_e32 v2, v0, v3
	v_lshl_add_u64 v[0:1], s[6:7], 2, v[32:33]
	s_cmp_gt_i32 s0, 6
	flat_store_dword v[0:1], v2
	s_cbranch_scc0 .LBB42_76
; %bb.74:                               ;   in Loop: Header=BB42_70 Depth=1
	s_mov_b32 s0, s5
	s_branch .LBB42_70
.LBB42_75:
	s_mov_b32 s5, s0
.LBB42_76:
	s_cmp_lt_i32 s5, 0
	s_cbranch_scc1 .LBB42_93
; %bb.77:
	s_and_b32 s0, s5, 3
	s_cmp_eq_u32 s0, 3
	s_mov_b32 s0, s5
	s_cbranch_scc1 .LBB42_82
; %bb.78:
	s_add_i32 s0, s5, 1
	s_and_b32 s4, s0, 3
	s_lshl_b32 s0, s33, 8
	s_lshl_b32 s1, s5, 2
	s_add_i32 s0, s0, s1
	s_add_i32 s6, s0, 0xffffff00
	s_mov_b32 s3, 0
	s_mov_b32 s0, s5
	;; [unrolled: 1-line block ×3, first 2 shown]
	s_branch .LBB42_80
.LBB42_79:                              ;   in Loop: Header=BB42_80 Depth=1
	s_mul_i32 s1, s0, 0x104
	v_mov_b32_e32 v1, s1
	ds_read_b32 v1, v1
	s_add_i32 s0, s0, -1
	s_add_i32 s7, s7, 1
	s_add_i32 s6, s6, -4
	s_cmp_lg_u32 s7, s4
	s_waitcnt lgkmcnt(0)
	v_mul_f32_e32 v0, v0, v1
	flat_store_dword v[2:3], v0
	s_cbranch_scc0 .LBB42_82
.LBB42_80:                              ; =>This Loop Header: Depth=1
                                        ;     Child Loop BB42_81 Depth 2
	s_mov_b32 s1, s3
	v_lshl_add_u64 v[2:3], s[0:1], 2, v[32:33]
	flat_load_dword v0, v[2:3]
	s_cmp_le_i32 s10, s0
	s_mov_b32 s1, s6
	s_mov_b32 s2, s10
	s_waitcnt vmcnt(0) lgkmcnt(0)
	v_mul_f32_e32 v0, s16, v0
	s_cbranch_scc1 .LBB42_79
.LBB42_81:                              ;   Parent Loop BB42_80 Depth=1
                                        ; =>  This Inner Loop Header: Depth=2
	v_lshl_add_u64 v[4:5], s[2:3], 2, v[32:33]
	flat_load_dword v1, v[4:5]
	v_mov_b32_e32 v4, s1
	ds_read_b32 v4, v4
	s_add_i32 s2, s2, -1
	s_addk_i32 s1, 0xff00
	s_cmp_gt_i32 s2, s0
	s_waitcnt vmcnt(0) lgkmcnt(0)
	v_fma_f32 v0, -v1, v4, v0
	s_cbranch_scc1 .LBB42_81
	s_branch .LBB42_79
.LBB42_82:
	s_cmp_lt_u32 s5, 3
	s_cbranch_scc1 .LBB42_93
; %bb.83:
	s_lshl_b32 s1, s33, 8
	s_lshl_b32 s2, s0, 2
	s_add_i32 s1, s1, s2
	s_add_i32 s6, s1, 0xffffff00
	;; [unrolled: 1-line block ×5, first 2 shown]
	s_mov_b32 s3, 0
	s_branch .LBB42_85
.LBB42_84:                              ;   in Loop: Header=BB42_85 Depth=1
	s_addk_i32 s1, 0xfefc
	v_mov_b32_e32 v1, s1
	ds_read_b32 v1, v1
	s_add_i32 s1, s0, -4
	s_add_i32 s6, s6, -16
	;; [unrolled: 1-line block ×5, first 2 shown]
	s_waitcnt lgkmcnt(0)
	v_mul_f32_e32 v0, v0, v1
	s_cmp_lt_i32 s0, 4
	s_mov_b32 s0, s1
	flat_store_dword v[2:3], v0
	s_cbranch_scc1 .LBB42_93
.LBB42_85:                              ; =>This Loop Header: Depth=1
                                        ;     Child Loop BB42_86 Depth 2
                                        ;     Child Loop BB42_88 Depth 2
	;; [unrolled: 1-line block ×4, first 2 shown]
	s_mov_b32 s1, s3
	v_lshl_add_u64 v[4:5], s[0:1], 2, v[32:33]
	flat_load_dword v0, v[4:5]
	s_cmp_le_i32 s10, s0
	s_mov_b32 s1, s6
	s_mov_b32 s2, s10
	s_waitcnt vmcnt(0) lgkmcnt(0)
	v_mul_f32_e32 v0, s16, v0
	s_cbranch_scc1 .LBB42_87
.LBB42_86:                              ;   Parent Loop BB42_85 Depth=1
                                        ; =>  This Inner Loop Header: Depth=2
	v_lshl_add_u64 v[2:3], s[2:3], 2, v[32:33]
	flat_load_dword v1, v[2:3]
	v_mov_b32_e32 v2, s1
	ds_read_b32 v2, v2
	s_add_i32 s2, s2, -1
	s_addk_i32 s1, 0xff00
	s_cmp_gt_i32 s2, s0
	s_waitcnt vmcnt(0) lgkmcnt(0)
	v_fma_f32 v0, -v1, v2, v0
	s_cbranch_scc1 .LBB42_86
.LBB42_87:                              ;   in Loop: Header=BB42_85 Depth=1
	s_add_i32 s2, s0, -1
	v_lshl_add_u64 v[2:3], s[2:3], 2, v[32:33]
	flat_load_dword v1, v[2:3]
	s_mul_i32 s1, s0, 0x104
	v_mov_b32_e32 v6, s1
	ds_read_b32 v6, v6
	s_mov_b32 s4, s7
	s_cmp_le_i32 s33, s0
	s_mov_b32 s2, s33
	s_waitcnt lgkmcnt(0)
	v_mul_f32_e32 v0, v0, v6
	flat_store_dword v[4:5], v0
	s_waitcnt vmcnt(0)
	v_mul_f32_e32 v0, s16, v1
	s_cbranch_scc1 .LBB42_89
.LBB42_88:                              ;   Parent Loop BB42_85 Depth=1
                                        ; =>  This Inner Loop Header: Depth=2
	s_add_i32 s2, s2, -1
	v_lshl_add_u64 v[4:5], s[2:3], 2, v[32:33]
	flat_load_dword v1, v[4:5]
	v_mov_b32_e32 v4, s4
	ds_read_b32 v4, v4
	s_addk_i32 s4, 0xff00
	s_cmp_gt_i32 s2, s0
	s_waitcnt vmcnt(0) lgkmcnt(0)
	v_fma_f32 v0, -v1, v4, v0
	s_cbranch_scc1 .LBB42_88
.LBB42_89:                              ;   in Loop: Header=BB42_85 Depth=1
	s_add_i32 s4, s0, -2
	s_mov_b32 s5, s3
	v_lshl_add_u64 v[4:5], s[4:5], 2, v[32:33]
	flat_load_dword v1, v[4:5]
	s_addk_i32 s1, 0xfefc
	v_mov_b32_e32 v6, s1
	ds_read_b32 v6, v6
	s_mov_b32 s5, s8
	s_cmp_le_i32 s10, s4
	s_mov_b32 s2, s10
	s_waitcnt lgkmcnt(0)
	v_mul_f32_e32 v0, v0, v6
	flat_store_dword v[2:3], v0
	s_waitcnt vmcnt(0)
	v_mul_f32_e32 v0, s16, v1
	s_cbranch_scc1 .LBB42_91
.LBB42_90:                              ;   Parent Loop BB42_85 Depth=1
                                        ; =>  This Inner Loop Header: Depth=2
	v_lshl_add_u64 v[2:3], s[2:3], 2, v[32:33]
	flat_load_dword v1, v[2:3]
	v_mov_b32_e32 v2, s5
	ds_read_b32 v2, v2
	s_add_i32 s2, s2, -1
	s_addk_i32 s5, 0xff00
	s_cmp_gt_i32 s2, s4
	s_waitcnt vmcnt(0) lgkmcnt(0)
	v_fma_f32 v0, -v1, v2, v0
	s_cbranch_scc1 .LBB42_90
.LBB42_91:                              ;   in Loop: Header=BB42_85 Depth=1
	s_add_i32 s4, s0, -3
	s_mov_b32 s5, s3
	v_lshl_add_u64 v[2:3], s[4:5], 2, v[32:33]
	flat_load_dword v1, v[2:3]
	s_addk_i32 s1, 0xfefc
	v_mov_b32_e32 v6, s1
	ds_read_b32 v6, v6
	s_mov_b32 s5, s9
	s_cmp_le_i32 s10, s4
	s_mov_b32 s2, s10
	s_waitcnt lgkmcnt(0)
	v_mul_f32_e32 v0, v0, v6
	flat_store_dword v[4:5], v0
	s_waitcnt vmcnt(0)
	v_mul_f32_e32 v0, s16, v1
	s_cbranch_scc1 .LBB42_84
.LBB42_92:                              ;   Parent Loop BB42_85 Depth=1
                                        ; =>  This Inner Loop Header: Depth=2
	v_lshl_add_u64 v[4:5], s[2:3], 2, v[32:33]
	flat_load_dword v1, v[4:5]
	v_mov_b32_e32 v4, s5
	ds_read_b32 v4, v4
	s_add_i32 s2, s2, -1
	s_addk_i32 s5, 0xff00
	s_cmp_gt_i32 s2, s4
	s_waitcnt vmcnt(0) lgkmcnt(0)
	v_fma_f32 v0, -v1, v4, v0
	s_cbranch_scc1 .LBB42_92
	s_branch .LBB42_84
.LBB42_93:
	s_endpgm
	.section	.rodata,"a",@progbits
	.p2align	6, 0x0
	.amdhsa_kernel _ZL30rocblas_trsm_small_left_deviceILi64ELi32ELb0EffPKPKfPKPfEv13rocblas_fill_18rocblas_operation_17rocblas_diagonal_iiT3_T4_lilT5_lili
		.amdhsa_group_segment_fixed_size 16384
		.amdhsa_private_segment_fixed_size 0
		.amdhsa_kernarg_size 352
		.amdhsa_user_sgpr_count 2
		.amdhsa_user_sgpr_dispatch_ptr 0
		.amdhsa_user_sgpr_queue_ptr 0
		.amdhsa_user_sgpr_kernarg_segment_ptr 1
		.amdhsa_user_sgpr_dispatch_id 0
		.amdhsa_user_sgpr_kernarg_preload_length 0
		.amdhsa_user_sgpr_kernarg_preload_offset 0
		.amdhsa_user_sgpr_private_segment_size 0
		.amdhsa_uses_dynamic_stack 0
		.amdhsa_enable_private_segment 0
		.amdhsa_system_sgpr_workgroup_id_x 1
		.amdhsa_system_sgpr_workgroup_id_y 0
		.amdhsa_system_sgpr_workgroup_id_z 1
		.amdhsa_system_sgpr_workgroup_info 0
		.amdhsa_system_vgpr_workitem_id 0
		.amdhsa_next_free_vgpr 129
		.amdhsa_next_free_sgpr 96
		.amdhsa_accum_offset 76
		.amdhsa_reserve_vcc 1
		.amdhsa_float_round_mode_32 0
		.amdhsa_float_round_mode_16_64 0
		.amdhsa_float_denorm_mode_32 3
		.amdhsa_float_denorm_mode_16_64 3
		.amdhsa_dx10_clamp 1
		.amdhsa_ieee_mode 1
		.amdhsa_fp16_overflow 0
		.amdhsa_tg_split 0
		.amdhsa_exception_fp_ieee_invalid_op 0
		.amdhsa_exception_fp_denorm_src 0
		.amdhsa_exception_fp_ieee_div_zero 0
		.amdhsa_exception_fp_ieee_overflow 0
		.amdhsa_exception_fp_ieee_underflow 0
		.amdhsa_exception_fp_ieee_inexact 0
		.amdhsa_exception_int_div_zero 0
	.end_amdhsa_kernel
	.section	.text._ZL30rocblas_trsm_small_left_deviceILi64ELi32ELb0EffPKPKfPKPfEv13rocblas_fill_18rocblas_operation_17rocblas_diagonal_iiT3_T4_lilT5_lili,"axG",@progbits,_ZL30rocblas_trsm_small_left_deviceILi64ELi32ELb0EffPKPKfPKPfEv13rocblas_fill_18rocblas_operation_17rocblas_diagonal_iiT3_T4_lilT5_lili,comdat
.Lfunc_end42:
	.size	_ZL30rocblas_trsm_small_left_deviceILi64ELi32ELb0EffPKPKfPKPfEv13rocblas_fill_18rocblas_operation_17rocblas_diagonal_iiT3_T4_lilT5_lili, .Lfunc_end42-_ZL30rocblas_trsm_small_left_deviceILi64ELi32ELb0EffPKPKfPKPfEv13rocblas_fill_18rocblas_operation_17rocblas_diagonal_iiT3_T4_lilT5_lili
                                        ; -- End function
	.set _ZL30rocblas_trsm_small_left_deviceILi64ELi32ELb0EffPKPKfPKPfEv13rocblas_fill_18rocblas_operation_17rocblas_diagonal_iiT3_T4_lilT5_lili.num_vgpr, 74
	.set _ZL30rocblas_trsm_small_left_deviceILi64ELi32ELb0EffPKPKfPKPfEv13rocblas_fill_18rocblas_operation_17rocblas_diagonal_iiT3_T4_lilT5_lili.num_agpr, 0
	.set _ZL30rocblas_trsm_small_left_deviceILi64ELi32ELb0EffPKPKfPKPfEv13rocblas_fill_18rocblas_operation_17rocblas_diagonal_iiT3_T4_lilT5_lili.numbered_sgpr, 52
	.set _ZL30rocblas_trsm_small_left_deviceILi64ELi32ELb0EffPKPKfPKPfEv13rocblas_fill_18rocblas_operation_17rocblas_diagonal_iiT3_T4_lilT5_lili.num_named_barrier, 0
	.set _ZL30rocblas_trsm_small_left_deviceILi64ELi32ELb0EffPKPKfPKPfEv13rocblas_fill_18rocblas_operation_17rocblas_diagonal_iiT3_T4_lilT5_lili.private_seg_size, 0
	.set _ZL30rocblas_trsm_small_left_deviceILi64ELi32ELb0EffPKPKfPKPfEv13rocblas_fill_18rocblas_operation_17rocblas_diagonal_iiT3_T4_lilT5_lili.uses_vcc, 1
	.set _ZL30rocblas_trsm_small_left_deviceILi64ELi32ELb0EffPKPKfPKPfEv13rocblas_fill_18rocblas_operation_17rocblas_diagonal_iiT3_T4_lilT5_lili.uses_flat_scratch, 0
	.set _ZL30rocblas_trsm_small_left_deviceILi64ELi32ELb0EffPKPKfPKPfEv13rocblas_fill_18rocblas_operation_17rocblas_diagonal_iiT3_T4_lilT5_lili.has_dyn_sized_stack, 0
	.set _ZL30rocblas_trsm_small_left_deviceILi64ELi32ELb0EffPKPKfPKPfEv13rocblas_fill_18rocblas_operation_17rocblas_diagonal_iiT3_T4_lilT5_lili.has_recursion, 0
	.set _ZL30rocblas_trsm_small_left_deviceILi64ELi32ELb0EffPKPKfPKPfEv13rocblas_fill_18rocblas_operation_17rocblas_diagonal_iiT3_T4_lilT5_lili.has_indirect_call, 0
	.section	.AMDGPU.csdata,"",@progbits
; Kernel info:
; codeLenInByte = 5556
; TotalNumSgprs: 58
; NumVgprs: 74
; NumAgprs: 0
; TotalNumVgprs: 74
; ScratchSize: 0
; MemoryBound: 1
; FloatMode: 240
; IeeeMode: 1
; LDSByteSize: 16384 bytes/workgroup (compile time only)
; SGPRBlocks: 12
; VGPRBlocks: 16
; NumSGPRsForWavesPerEU: 102
; NumVGPRsForWavesPerEU: 129
; AccumOffset: 76
; Occupancy: 3
; WaveLimiterHint : 1
; COMPUTE_PGM_RSRC2:SCRATCH_EN: 0
; COMPUTE_PGM_RSRC2:USER_SGPR: 2
; COMPUTE_PGM_RSRC2:TRAP_HANDLER: 0
; COMPUTE_PGM_RSRC2:TGID_X_EN: 1
; COMPUTE_PGM_RSRC2:TGID_Y_EN: 0
; COMPUTE_PGM_RSRC2:TGID_Z_EN: 1
; COMPUTE_PGM_RSRC2:TIDIG_COMP_CNT: 0
; COMPUTE_PGM_RSRC3_GFX90A:ACCUM_OFFSET: 18
; COMPUTE_PGM_RSRC3_GFX90A:TG_SPLIT: 0
	.section	.text._ZL38rocblas_trsm_small_left_device_sharedBILi64ELi32ELb1EffPKPKfPKPfEv13rocblas_fill_18rocblas_operation_17rocblas_diagonal_iiT3_T4_lilT5_lili,"axG",@progbits,_ZL38rocblas_trsm_small_left_device_sharedBILi64ELi32ELb1EffPKPKfPKPfEv13rocblas_fill_18rocblas_operation_17rocblas_diagonal_iiT3_T4_lilT5_lili,comdat
	.globl	_ZL38rocblas_trsm_small_left_device_sharedBILi64ELi32ELb1EffPKPKfPKPfEv13rocblas_fill_18rocblas_operation_17rocblas_diagonal_iiT3_T4_lilT5_lili ; -- Begin function _ZL38rocblas_trsm_small_left_device_sharedBILi64ELi32ELb1EffPKPKfPKPfEv13rocblas_fill_18rocblas_operation_17rocblas_diagonal_iiT3_T4_lilT5_lili
	.p2align	8
	.type	_ZL38rocblas_trsm_small_left_device_sharedBILi64ELi32ELb1EffPKPKfPKPfEv13rocblas_fill_18rocblas_operation_17rocblas_diagonal_iiT3_T4_lilT5_lili,@function
_ZL38rocblas_trsm_small_left_device_sharedBILi64ELi32ELb1EffPKPKfPKPfEv13rocblas_fill_18rocblas_operation_17rocblas_diagonal_iiT3_T4_lilT5_lili: ; @_ZL38rocblas_trsm_small_left_device_sharedBILi64ELi32ELb1EffPKPKfPKPfEv13rocblas_fill_18rocblas_operation_17rocblas_diagonal_iiT3_T4_lilT5_lili
; %bb.0:
	s_load_dwordx4 s[8:11], s[0:1], 0x38
	s_load_dwordx4 s[4:7], s[0:1], 0x4
	s_load_dword s16, s[0:1], 0x14
	s_mov_b32 s20, s3
	s_mov_b32 s21, 0
	s_lshl_b64 s[24:25], s[20:21], 3
	s_waitcnt lgkmcnt(0)
	s_add_u32 s8, s8, s24
	s_addc_u32 s9, s9, s25
	s_load_dwordx2 s[8:9], s[8:9], 0x0
	s_min_i32 s26, s6, 64
	v_cmp_gt_i32_e32 vcc, s26, v0
	s_and_saveexec_b64 s[18:19], vcc
	s_cbranch_execz .LBB43_11
; %bb.1:
	s_load_dwordx4 s[12:15], s[0:1], 0x18
	s_load_dword s22, s[0:1], 0x28
	v_lshlrev_b32_e32 v2, 2, v0
	v_mov_b32_e32 v3, 0
	s_mov_b32 s3, 1
	s_waitcnt lgkmcnt(0)
	s_add_u32 s12, s12, s24
	s_addc_u32 s13, s13, s25
	s_load_dwordx2 s[12:13], s[12:13], 0x0
	s_cmp_lt_u32 s26, 2
	s_cselect_b64 s[28:29], -1, 0
	s_cmp_lg_u32 s22, 1
	s_cselect_b64 s[30:31], -1, 0
	s_or_b64 s[28:29], s[28:29], s[30:31]
	s_mov_b64 s[24:25], -1
	s_and_b64 vcc, exec, s[28:29]
	s_cbranch_vccnz .LBB43_5
; %bb.2:
	s_lshl_b64 s[20:21], s[14:15], 2
	s_waitcnt lgkmcnt(0)
	s_add_u32 s20, s12, s20
	s_addc_u32 s21, s13, s21
	v_lshl_add_u64 v[4:5], s[20:21], 0, v[2:3]
	s_and_b32 s21, s26, -2
	s_mov_b32 s17, 0
	s_mov_b32 s20, s21
.LBB43_3:                               ; =>This Inner Loop Header: Depth=1
	flat_load_dwordx2 v[6:7], v[4:5]
	v_lshl_or_b32 v1, s17, 8, v2
	v_lshl_or_b32 v3, s3, 8, v2
	s_add_i32 s17, s17, 2
	s_add_i32 s3, s3, 2
	s_add_i32 s20, s20, -2
	v_lshl_add_u64 v[4:5], v[4:5], 0, 8
	s_cmp_lg_u32 s20, 0
	s_waitcnt vmcnt(0) lgkmcnt(0)
	ds_write_b32 v1, v6
	ds_write_b32 v3, v7
	s_cbranch_scc1 .LBB43_3
; %bb.4:
	s_cmp_lg_u32 s26, s21
	s_cselect_b64 s[24:25], -1, 0
.LBB43_5:
	s_and_b64 vcc, exec, s[24:25]
	s_cbranch_vccz .LBB43_8
; %bb.6:
	s_ashr_i32 s23, s22, 31
	s_mul_hi_u32 s3, s22, s21
	s_mul_i32 s17, s23, s21
	s_add_i32 s25, s3, s17
	s_mul_i32 s24, s22, s21
	s_lshl_b64 s[24:25], s[24:25], 2
	s_lshl_b64 s[14:15], s[14:15], 2
	s_add_u32 s3, s24, s14
	s_addc_u32 s14, s25, s15
	s_waitcnt lgkmcnt(0)
	s_add_u32 s12, s12, s3
	v_mov_b32_e32 v3, 0
	s_addc_u32 s13, s13, s14
	v_lshl_add_u64 v[4:5], s[12:13], 0, v[2:3]
	s_lshl_b64 s[12:13], s[22:23], 2
	s_sub_i32 s3, s26, s21
	v_lshl_or_b32 v1, s21, 8, v2
.LBB43_7:                               ; =>This Inner Loop Header: Depth=1
	flat_load_dword v3, v[4:5]
	s_add_i32 s3, s3, -1
	v_lshl_add_u64 v[4:5], v[4:5], 0, s[12:13]
	s_cmp_eq_u32 s3, 0
	s_waitcnt vmcnt(0) lgkmcnt(0)
	ds_write_b32 v1, v3
	v_add_u32_e32 v1, 0x100, v1
	s_cbranch_scc0 .LBB43_7
.LBB43_8:
	v_lshlrev_b32_e32 v1, 8, v0
	s_cmpk_lg_i32 s5, 0x84
	v_mov_b32_e32 v3, 1.0
	v_add_u32_e32 v1, v2, v1
	s_cbranch_scc0 .LBB43_10
; %bb.9:
	ds_read_b32 v2, v1
	s_waitcnt lgkmcnt(0)
	v_div_scale_f32 v3, s[12:13], v2, v2, 1.0
	v_rcp_f32_e32 v4, v3
	v_div_scale_f32 v5, vcc, 1.0, v2, 1.0
	v_fma_f32 v6, -v3, v4, 1.0
	v_fmac_f32_e32 v4, v6, v4
	v_mul_f32_e32 v6, v5, v4
	v_fma_f32 v7, -v3, v6, v5
	v_fmac_f32_e32 v6, v7, v4
	v_fma_f32 v3, -v3, v6, v5
	v_div_fmas_f32 v3, v3, v4, v6
	v_div_fixup_f32 v3, v3, v2, 1.0
.LBB43_10:
	ds_write_b32 v1, v3
.LBB43_11:
	s_or_b64 exec, exec, s[18:19]
	s_load_dword s3, s[0:1], 0x60
	s_load_dword s22, s[0:1], 0x48
	s_lshl_b64 s[10:11], s[10:11], 2
	s_waitcnt lgkmcnt(0)
	s_ashr_i32 s23, s22, 31
	s_add_u32 s5, s8, s10
	s_addc_u32 s14, s9, s11
	s_lshl_b32 s12, s2, 6
	s_add_i32 s3, s3, -1
	s_sub_i32 s0, s7, s12
	s_cmp_ge_u32 s2, s3
	s_cselect_b32 s7, s0, 64
	s_mul_hi_i32 s1, s22, s12
	s_mul_i32 s0, s22, s12
	s_ashr_i32 s13, s12, 31
	s_lshl_b64 s[0:1], s[0:1], 2
	s_add_u32 s2, s5, s0
	s_addc_u32 s3, s14, s1
	s_cmp_gt_i32 s6, 0
	v_cmp_gt_i32_e64 s[0:1], s7, v0
	s_cselect_b64 s[14:15], -1, 0
	s_mov_b32 s5, 0
	s_and_b64 s[20:21], s[0:1], s[14:15]
	s_and_saveexec_b64 s[18:19], s[20:21]
	s_cbranch_execz .LBB43_19
; %bb.12:
	s_cmp_lt_i32 s6, 2
	s_mov_b64 s[20:21], -1
	s_cbranch_scc1 .LBB43_16
; %bb.13:
	v_mad_i64_i32 v[2:3], s[20:21], s22, v0, 0
	v_mov_b32_e32 v1, 0x4000
	s_and_b32 s5, s26, 0x7e
	v_lshl_add_u64 v[2:3], v[2:3], 2, s[2:3]
	v_lshl_or_b32 v1, v0, 2, v1
	s_mov_b32 s17, s16
	s_mov_b32 s7, 1
	;; [unrolled: 1-line block ×4, first 2 shown]
.LBB43_14:                              ; =>This Inner Loop Header: Depth=1
	flat_load_dwordx2 v[4:5], v[2:3]
	v_lshl_add_u32 v6, s20, 8, v1
	v_lshl_add_u32 v7, s7, 8, v1
	s_add_i32 s20, s20, 2
	s_add_i32 s7, s7, 2
	s_add_i32 s21, s21, -2
	v_lshl_add_u64 v[2:3], v[2:3], 0, 8
	s_cmp_lg_u32 s21, 0
	s_waitcnt vmcnt(0) lgkmcnt(0)
	v_pk_mul_f32 v[4:5], s[16:17], v[4:5]
	ds_write_b32 v6, v4
	ds_write_b32 v7, v5
	s_cbranch_scc1 .LBB43_14
; %bb.15:
	s_cmp_lg_u32 s26, s5
	s_cselect_b64 s[20:21], -1, 0
.LBB43_16:
	s_and_b64 vcc, exec, s[20:21]
	s_cbranch_vccz .LBB43_19
; %bb.17:
	s_sub_i32 s7, s26, s5
	s_lshl_b32 s17, s5, 2
	s_add_u32 s17, s8, s17
	s_addc_u32 s21, s9, 0
	s_add_u32 s20, s17, s10
	v_lshlrev_b32_e32 v4, 2, v0
	v_mov_b32_e32 v5, 0
	s_addc_u32 s21, s21, s11
	v_lshl_add_u64 v[6:7], s[12:13], 2, v[4:5]
	v_mov_b64_e32 v[2:3], s[20:21]
	v_mad_u64_u32 v[2:3], s[20:21], v6, s22, v[2:3]
	v_mul_lo_u32 v1, v6, s23
	v_mul_lo_u32 v5, v7, s22
	v_add3_u32 v3, v5, v3, v1
	v_lshl_or_b32 v1, s5, 8, v4
	v_add_u32_e32 v1, 0x4000, v1
.LBB43_18:                              ; =>This Inner Loop Header: Depth=1
	flat_load_dword v4, v[2:3]
	s_add_i32 s7, s7, -1
	v_lshl_add_u64 v[2:3], v[2:3], 0, 4
	s_cmp_lg_u32 s7, 0
	s_waitcnt vmcnt(0) lgkmcnt(0)
	v_mul_f32_e32 v4, s16, v4
	ds_write_b32 v1, v4
	v_add_u32_e32 v1, 0x100, v1
	s_cbranch_scc1 .LBB43_18
.LBB43_19:
	s_or_b64 exec, exec, s[18:19]
	v_mov_b32_e32 v1, 0x4000
	s_cmpk_eq_i32 s4, 0x6f
	v_lshl_or_b32 v1, v0, 2, v1
	s_mov_b64 s[4:5], -1
	s_waitcnt lgkmcnt(0)
	; wave barrier
	s_cbranch_scc1 .LBB43_62
; %bb.20:
	s_add_i32 s7, s26, -1
	s_cmp_lt_i32 s6, 32
	s_cbranch_scc1 .LBB43_36
; %bb.21:
	v_lshlrev_b32_e32 v2, 2, v0
	v_lshl_or_b32 v2, s26, 8, v2
	s_lshl_b32 s20, s26, 2
	v_add_u32_e32 v34, 0x3f00, v2
	s_addk_i32 s20, 0xe0fc
	s_mov_b32 s4, s7
.LBB43_22:                              ; =>This Loop Header: Depth=1
                                        ;     Child Loop BB43_24 Depth 2
                                        ;     Child Loop BB43_26 Depth 2
                                        ;       Child Loop BB43_28 Depth 3
                                        ;       Child Loop BB43_32 Depth 3
	s_lshl_b32 s24, s4, 8
	v_add_u32_e32 v26, s24, v1
	v_add_u32_e32 v3, 0xffffff00, v26
	;; [unrolled: 1-line block ×31, first 2 shown]
	ds_read_b32 v2, v26
	ds_read_b32 v3, v3
	;; [unrolled: 1-line block ×24, first 2 shown]
	v_add_u32_e32 v35, 0xffffe100, v26
	ds_read_b32 v26, v27
	ds_read_b32 v27, v28
	;; [unrolled: 1-line block ×8, first 2 shown]
	s_mov_b32 s21, s4
	s_cmp_le_i32 s7, s4
	s_cbranch_scc1 .LBB43_25
; %bb.23:                               ;   in Loop: Header=BB43_22 Depth=1
	s_add_i32 s4, s20, s24
	v_mov_b32_e32 v35, v34
	s_mov_b32 s5, s7
.LBB43_24:                              ;   Parent Loop BB43_22 Depth=1
                                        ; =>  This Inner Loop Header: Depth=2
	v_mov_b32_e32 v37, s4
	ds_read_b32 v36, v35
	ds_read2st64_b32 v[70:71], v37 offset0:30 offset1:31
	ds_read2st64_b32 v[68:69], v37 offset0:28 offset1:29
	;; [unrolled: 1-line block ×11, first 2 shown]
	ds_read2st64_b32 v[40:41], v37 offset1:1
	ds_read2st64_b32 v[54:55], v37 offset0:14 offset1:15
	ds_read2st64_b32 v[52:53], v37 offset0:12 offset1:13
	ds_read2st64_b32 v[50:51], v37 offset0:10 offset1:11
	ds_read2st64_b32 v[48:49], v37 offset0:8 offset1:9
	s_add_i32 s5, s5, -1
	s_add_i32 s4, s4, -4
	s_waitcnt lgkmcnt(4)
	v_mov_b32_e32 v38, v41
	v_mov_b32_e32 v39, v40
	;; [unrolled: 1-line block ×8, first 2 shown]
	s_waitcnt lgkmcnt(0)
	v_mov_b32_e32 v46, v49
	v_mov_b32_e32 v47, v48
	;; [unrolled: 1-line block ×24, first 2 shown]
	v_add_u32_e32 v35, 0xffffff00, v35
	s_cmp_le_i32 s5, s21
	v_pk_fma_f32 v[32:33], v[36:37], v[38:39], v[32:33] op_sel_hi:[0,1,1] neg_lo:[1,0,0] neg_hi:[1,0,0]
	v_pk_fma_f32 v[30:31], v[36:37], v[40:41], v[30:31] op_sel_hi:[0,1,1] neg_lo:[1,0,0] neg_hi:[1,0,0]
	;; [unrolled: 1-line block ×16, first 2 shown]
	s_cbranch_scc0 .LBB43_24
.LBB43_25:                              ;   in Loop: Header=BB43_22 Depth=1
	s_mul_i32 s25, s21, 0x104
	s_mov_b64 s[4:5], 0
	s_mov_b32 s27, s25
.LBB43_26:                              ;   Parent Loop BB43_22 Depth=1
                                        ; =>  This Loop Header: Depth=2
                                        ;       Child Loop BB43_28 Depth 3
                                        ;       Child Loop BB43_32 Depth 3
	s_cmp_eq_u32 s4, 0
	s_cbranch_scc1 .LBB43_30
; %bb.27:                               ;   in Loop: Header=BB43_26 Depth=2
	s_mov_b64 s[16:17], s[4:5]
	s_mov_b64 s[18:19], 0
	s_mov_b32 s17, s27
.LBB43_28:                              ;   Parent Loop BB43_22 Depth=1
                                        ;     Parent Loop BB43_26 Depth=2
                                        ; =>    This Inner Loop Header: Depth=3
	v_mov_b32_e32 v36, s17
	s_waitcnt lgkmcnt(0)
	s_set_gpr_idx_on s18, gpr_idx(SRC0)
	v_mov_b32_e32 v35, v2
	s_set_gpr_idx_off
	ds_read_b32 v36, v36
	s_add_u32 s18, s18, 1
	s_addc_u32 s19, s19, 0
	s_add_i32 s17, s17, -4
	s_set_gpr_idx_on s4, gpr_idx(SRC0)
	v_mov_b32_e32 v37, v2
	s_set_gpr_idx_off
	s_cmp_eq_u32 s4, s18
	s_waitcnt lgkmcnt(0)
	v_fma_f32 v35, -v35, v36, v37
	s_set_gpr_idx_on s4, gpr_idx(DST)
	v_mov_b32_e32 v2, v35
	s_set_gpr_idx_off
	s_cbranch_scc0 .LBB43_28
; %bb.29:                               ;   in Loop: Header=BB43_26 Depth=2
	s_sub_i32 s18, s21, s4
	s_lshl_b32 s17, s18, 8
	s_mulk_i32 s18, 0x104
	s_branch .LBB43_31
.LBB43_30:                              ;   in Loop: Header=BB43_26 Depth=2
	s_mov_b64 s[16:17], 0
	s_mov_b32 s17, s24
	s_mov_b32 s18, s25
.LBB43_31:                              ;   in Loop: Header=BB43_26 Depth=2
	v_mov_b32_e32 v35, s18
	ds_read_b32 v35, v35
	s_waitcnt lgkmcnt(1)
	s_set_gpr_idx_on s16, gpr_idx(SRC0)
	v_mov_b32_e32 v37, v2
	s_set_gpr_idx_off
	v_add_u32_e32 v36, s17, v1
	s_or_b32 s18, s4, 1
	s_add_u32 s19, s4, 1
	s_waitcnt lgkmcnt(0)
	v_mul_f32_e32 v35, v37, v35
	ds_write_b32 v36, v35
	s_set_gpr_idx_on s16, gpr_idx(DST)
	v_mov_b32_e32 v2, v35
	s_set_gpr_idx_off
	s_mov_b64 s[16:17], 0
	s_movk_i32 s28, 0xff00
.LBB43_32:                              ;   Parent Loop BB43_22 Depth=1
                                        ;     Parent Loop BB43_26 Depth=2
                                        ; =>    This Inner Loop Header: Depth=3
	s_add_i32 s29, s27, s28
	v_mov_b32_e32 v36, s29
	s_set_gpr_idx_on s16, gpr_idx(SRC0)
	v_mov_b32_e32 v35, v2
	s_set_gpr_idx_off
	ds_read_b32 v36, v36
	s_add_u32 s16, s16, 1
	s_set_gpr_idx_on s18, gpr_idx(SRC0)
	v_mov_b32_e32 v37, v2
	s_set_gpr_idx_off
	s_addc_u32 s17, s17, 0
	s_add_i32 s28, s28, -4
	s_cmp_lg_u32 s19, s16
	s_waitcnt lgkmcnt(0)
	v_fma_f32 v35, -v35, v36, v37
	s_set_gpr_idx_on s18, gpr_idx(DST)
	v_mov_b32_e32 v2, v35
	s_set_gpr_idx_off
	s_cbranch_scc1 .LBB43_32
; %bb.33:                               ;   in Loop: Header=BB43_26 Depth=2
	s_sub_i32 s16, s21, s18
	s_mul_i32 s17, s16, 0x104
	v_mov_b32_e32 v36, s17
	ds_read_b32 v36, v36
	s_add_u32 s4, s4, 2
	s_addc_u32 s5, s5, 0
	s_addk_i32 s27, 0xfe00
	v_lshl_add_u32 v37, s16, 8, v1
	s_waitcnt lgkmcnt(0)
	v_mul_f32_e32 v35, v35, v36
	s_cmp_eq_u32 s4, 32
	s_set_gpr_idx_on s18, gpr_idx(DST)
	v_mov_b32_e32 v2, v35
	s_set_gpr_idx_off
	ds_write_b32 v37, v35
	s_cbranch_scc0 .LBB43_26
; %bb.34:                               ;   in Loop: Header=BB43_22 Depth=1
	s_cmp_lt_i32 s21, 63
	s_mov_b32 s4, 31
	s_cbranch_scc0 .LBB43_22
; %bb.35:
	s_sub_i32 s4, s21, 32
	s_cmp_gt_i32 s4, -1
	s_cbranch_scc1 .LBB43_37
	s_branch .LBB43_61
.LBB43_36:
	s_mov_b32 s4, s7
	s_cmp_gt_i32 s4, -1
	s_cbranch_scc0 .LBB43_61
.LBB43_37:
	s_cmp_lt_u32 s4, 3
	s_cbranch_scc1 .LBB43_43
; %bb.38:
	v_lshlrev_b32_e32 v2, 2, v0
	s_lshl_b32 s5, s4, 8
	s_lshl_b32 s16, s26, 2
	v_lshl_or_b32 v2, s26, 8, v2
	s_add_i32 s5, s5, s16
	v_add_u32_e32 v6, 0x3f00, v2
	s_addk_i32 s5, 0xfcfc
.LBB43_39:                              ; =>This Loop Header: Depth=1
                                        ;     Child Loop BB43_40 Depth 2
	v_lshl_add_u32 v7, s4, 8, v1
	v_add_u32_e32 v2, 0xffffff00, v7
	v_add_u32_e32 v3, 0xfffffe00, v7
	;; [unrolled: 1-line block ×3, first 2 shown]
	ds_read_b32 v4, v7
	ds_read_b32 v5, v2
	;; [unrolled: 1-line block ×4, first 2 shown]
	s_cmp_le_i32 s7, s4
	s_mov_b32 s16, s5
	v_mov_b32_e32 v8, v6
	s_mov_b32 s17, s7
	s_cbranch_scc1 .LBB43_41
.LBB43_40:                              ;   Parent Loop BB43_39 Depth=1
                                        ; =>  This Inner Loop Header: Depth=2
	v_mov_b32_e32 v9, s16
	ds_read_b32 v10, v8
	ds_read2st64_b32 v[14:15], v9 offset0:2 offset1:3
	ds_read2st64_b32 v[16:17], v9 offset1:1
	s_add_i32 s17, s17, -1
	s_add_i32 s16, s16, -4
	v_add_u32_e32 v8, 0xffffff00, v8
	s_waitcnt lgkmcnt(1)
	v_mov_b32_e32 v12, v15
	v_mov_b32_e32 v13, v14
	s_waitcnt lgkmcnt(0)
	v_mov_b32_e32 v14, v17
	v_mov_b32_e32 v15, v16
	s_cmp_gt_i32 s17, s4
	v_pk_fma_f32 v[4:5], v[10:11], v[12:13], v[4:5] op_sel_hi:[0,1,1] neg_lo:[1,0,0] neg_hi:[1,0,0]
	v_pk_fma_f32 v[2:3], v[10:11], v[14:15], v[2:3] op_sel_hi:[0,1,1] neg_lo:[1,0,0] neg_hi:[1,0,0]
	s_cbranch_scc1 .LBB43_40
.LBB43_41:                              ;   in Loop: Header=BB43_39 Depth=1
	s_mul_i32 s16, s4, 0x104
	v_mov_b32_e32 v8, s16
	s_add_i32 s16, s4, -1
	s_lshl_b32 s17, s16, 8
	s_lshl_b32 s16, s16, 2
	s_add_i32 s18, s17, s16
	v_add_u32_e32 v12, s17, v1
	s_add_i32 s17, s4, -2
	v_mov_b32_e32 v9, s18
	s_lshl_b32 s18, s17, 8
	s_lshl_b32 s17, s17, 2
	s_add_i32 s17, s18, s17
	v_mov_b32_e32 v10, s17
	s_add_i32 s17, s4, -3
	s_add_i32 s16, s18, s16
	v_add_u32_e32 v13, s18, v1
	s_lshl_b32 s18, s17, 8
	s_lshl_b32 s19, s4, 2
	s_add_i32 s19, s18, s19
	v_mov_b32_e32 v11, s19
	ds_read_b32 v14, v8
	ds_read2_b32 v[8:9], v9 offset1:1
	ds_read_b32 v15, v10
	ds_read_b32 v16, v11
	s_add_i32 s19, s19, -8
	s_waitcnt lgkmcnt(3)
	v_mul_f32_e32 v11, v4, v14
	v_mov_b32_e32 v4, s16
	ds_write_b32 v7, v11
	s_waitcnt lgkmcnt(3)
	v_fma_f32 v7, -v11, v9, v5
	ds_read2_b32 v[4:5], v4 offset1:1
	s_lshl_b32 s16, s17, 2
	v_mul_f32_e32 v10, v7, v8
	v_mov_b32_e32 v7, s19
	s_add_i32 s16, s18, s16
	v_mov_b32_e32 v14, s16
	ds_read2_b32 v[8:9], v7 offset1:1
	ds_read_b32 v7, v14
	s_waitcnt lgkmcnt(2)
	v_pk_mul_f32 v[4:5], v[10:11], v[4:5]
	s_add_i32 s16, s4, -4
	v_sub_f32_e32 v2, v2, v5
	v_sub_f32_e32 v2, v2, v4
	v_fma_f32 v5, -v11, v16, v3
	v_mul_f32_e32 v2, v2, v15
	v_mov_b32_e32 v3, v10
	ds_write_b32 v13, v2
	s_waitcnt lgkmcnt(2)
	v_pk_mul_f32 v[2:3], v[2:3], v[8:9]
	s_addk_i32 s5, 0xfc00
	v_sub_f32_e32 v3, v5, v3
	v_sub_f32_e32 v2, v3, v2
	s_waitcnt lgkmcnt(1)
	v_mul_f32_e32 v2, v2, v7
	v_add_u32_e32 v3, s18, v1
	s_cmp_gt_i32 s4, 6
	ds_write_b32 v12, v10
	ds_write_b32 v3, v2
	s_cbranch_scc0 .LBB43_44
; %bb.42:                               ;   in Loop: Header=BB43_39 Depth=1
	s_mov_b32 s4, s16
	s_branch .LBB43_39
.LBB43_43:
	s_mov_b32 s16, s4
.LBB43_44:
	s_cmp_lt_i32 s16, 0
	s_cbranch_scc1 .LBB43_61
; %bb.45:
	s_and_b32 s4, s16, 3
	s_cmp_eq_u32 s4, 3
	s_mov_b32 s4, s16
	s_cbranch_scc1 .LBB43_50
; %bb.46:
	s_add_i32 s4, s16, 1
	s_and_b32 s5, s4, 3
	s_lshl_b32 s4, s16, 8
	s_lshl_b32 s17, s26, 2
	v_lshlrev_b32_e32 v2, 2, v0
	s_add_i32 s4, s4, s17
	v_lshl_or_b32 v2, s26, 8, v2
	s_add_i32 s17, s4, -4
	v_add_u32_e32 v3, 0x3f00, v2
	s_mov_b32 s18, 0
	s_mov_b32 s4, s16
	s_branch .LBB43_48
.LBB43_47:                              ;   in Loop: Header=BB43_48 Depth=1
	s_mul_i32 s19, s4, 0x104
	v_mov_b32_e32 v5, s19
	ds_read_b32 v5, v5
	s_add_i32 s4, s4, -1
	s_add_i32 s18, s18, 1
	s_addk_i32 s17, 0xff00
	s_cmp_lg_u32 s18, s5
	s_waitcnt lgkmcnt(0)
	v_mul_f32_e32 v2, v2, v5
	ds_write_b32 v4, v2
	s_cbranch_scc0 .LBB43_50
.LBB43_48:                              ; =>This Loop Header: Depth=1
                                        ;     Child Loop BB43_49 Depth 2
	s_lshl_b32 s19, s4, 8
	v_add_u32_e32 v4, s19, v1
	ds_read_b32 v2, v4
	s_cmp_le_i32 s7, s4
	v_mov_b32_e32 v5, v3
	s_mov_b32 s19, s17
	s_mov_b32 s20, s7
	s_cbranch_scc1 .LBB43_47
.LBB43_49:                              ;   Parent Loop BB43_48 Depth=1
                                        ; =>  This Inner Loop Header: Depth=2
	v_mov_b32_e32 v7, s19
	ds_read_b32 v6, v5
	ds_read_b32 v7, v7
	s_add_i32 s20, s20, -1
	s_add_i32 s19, s19, -4
	v_add_u32_e32 v5, 0xffffff00, v5
	s_cmp_gt_i32 s20, s4
	s_waitcnt lgkmcnt(0)
	v_fma_f32 v2, -v6, v7, v2
	s_cbranch_scc1 .LBB43_49
	s_branch .LBB43_47
.LBB43_50:
	s_cmp_lt_u32 s16, 3
	s_cbranch_scc1 .LBB43_61
; %bb.51:
	s_lshl_b32 s5, s4, 8
	s_lshl_b32 s16, s26, 2
	v_lshlrev_b32_e32 v2, 2, v0
	s_add_i32 s18, s5, s16
	v_lshl_or_b32 v2, s26, 8, v2
	s_add_i32 s5, s18, -4
	v_add_u32_e32 v3, 0x3f00, v2
	s_add_i32 s16, s18, 0xfffffefc
	s_add_i32 s17, s18, 0xfffffdfc
	s_addk_i32 s18, 0xfcfc
	s_branch .LBB43_53
.LBB43_52:                              ;   in Loop: Header=BB43_53 Depth=1
	s_addk_i32 s19, 0xfefc
	v_mov_b32_e32 v2, s19
	ds_read_b32 v2, v2
	s_add_i32 s19, s4, -4
	s_addk_i32 s5, 0xfc00
	s_addk_i32 s16, 0xfc00
	;; [unrolled: 1-line block ×4, first 2 shown]
	s_waitcnt lgkmcnt(0)
	v_mul_f32_e32 v2, v4, v2
	s_cmp_lt_i32 s4, 4
	s_mov_b32 s4, s19
	ds_write_b32 v5, v2
	s_cbranch_scc1 .LBB43_61
.LBB43_53:                              ; =>This Loop Header: Depth=1
                                        ;     Child Loop BB43_54 Depth 2
                                        ;     Child Loop BB43_56 Depth 2
	;; [unrolled: 1-line block ×4, first 2 shown]
	s_lshl_b32 s20, s4, 8
	v_add_u32_e32 v6, s20, v1
	ds_read_b32 v2, v6
	s_cmp_le_i32 s7, s4
	v_mov_b32_e32 v4, v3
	s_mov_b32 s19, s5
	s_mov_b32 s21, s7
	s_cbranch_scc1 .LBB43_55
.LBB43_54:                              ;   Parent Loop BB43_53 Depth=1
                                        ; =>  This Inner Loop Header: Depth=2
	v_mov_b32_e32 v7, s19
	ds_read_b32 v5, v4
	ds_read_b32 v7, v7
	s_add_i32 s21, s21, -1
	s_add_i32 s19, s19, -4
	v_add_u32_e32 v4, 0xffffff00, v4
	s_cmp_gt_i32 s21, s4
	s_waitcnt lgkmcnt(0)
	v_fma_f32 v2, -v5, v7, v2
	s_cbranch_scc1 .LBB43_54
.LBB43_55:                              ;   in Loop: Header=BB43_53 Depth=1
	s_mul_i32 s19, s4, 0x104
	v_mov_b32_e32 v4, s19
	ds_read_b32 v7, v4
	s_addk_i32 s20, 0xff00
	v_add_u32_e32 v5, s20, v1
	ds_read_b32 v4, v5
	s_cmp_le_i32 s26, s4
	s_waitcnt lgkmcnt(1)
	v_mul_f32_e32 v2, v2, v7
	ds_write_b32 v6, v2
	v_mov_b32_e32 v2, v3
	s_mov_b32 s20, s16
	s_mov_b32 s21, s26
	s_cbranch_scc1 .LBB43_57
.LBB43_56:                              ;   Parent Loop BB43_53 Depth=1
                                        ; =>  This Inner Loop Header: Depth=2
	v_mov_b32_e32 v7, s20
	ds_read_b32 v6, v2
	ds_read_b32 v7, v7
	s_add_i32 s21, s21, -1
	s_add_i32 s20, s20, -4
	v_add_u32_e32 v2, 0xffffff00, v2
	s_cmp_gt_i32 s21, s4
	s_waitcnt lgkmcnt(0)
	v_fma_f32 v4, -v6, v7, v4
	s_cbranch_scc1 .LBB43_56
.LBB43_57:                              ;   in Loop: Header=BB43_53 Depth=1
	s_addk_i32 s19, 0xfefc
	v_mov_b32_e32 v2, s19
	s_add_i32 s20, s4, -2
	ds_read_b32 v7, v2
	s_lshl_b32 s21, s20, 8
	v_add_u32_e32 v6, s21, v1
	ds_read_b32 v2, v6
	s_cmp_le_i32 s7, s20
	s_waitcnt lgkmcnt(1)
	v_mul_f32_e32 v4, v4, v7
	ds_write_b32 v5, v4
	v_mov_b32_e32 v4, v3
	s_mov_b32 s21, s17
	s_mov_b32 s24, s7
	s_cbranch_scc1 .LBB43_59
.LBB43_58:                              ;   Parent Loop BB43_53 Depth=1
                                        ; =>  This Inner Loop Header: Depth=2
	v_mov_b32_e32 v7, s21
	ds_read_b32 v5, v4
	ds_read_b32 v7, v7
	s_add_i32 s24, s24, -1
	s_add_i32 s21, s21, -4
	v_add_u32_e32 v4, 0xffffff00, v4
	s_cmp_gt_i32 s24, s20
	s_waitcnt lgkmcnt(0)
	v_fma_f32 v2, -v5, v7, v2
	s_cbranch_scc1 .LBB43_58
.LBB43_59:                              ;   in Loop: Header=BB43_53 Depth=1
	s_addk_i32 s19, 0xfefc
	v_mov_b32_e32 v4, s19
	s_add_i32 s20, s4, -3
	ds_read_b32 v7, v4
	s_lshl_b32 s21, s20, 8
	v_add_u32_e32 v5, s21, v1
	ds_read_b32 v4, v5
	s_cmp_le_i32 s7, s20
	s_waitcnt lgkmcnt(1)
	v_mul_f32_e32 v2, v2, v7
	ds_write_b32 v6, v2
	v_mov_b32_e32 v2, v3
	s_mov_b32 s21, s18
	s_mov_b32 s24, s7
	s_cbranch_scc1 .LBB43_52
.LBB43_60:                              ;   Parent Loop BB43_53 Depth=1
                                        ; =>  This Inner Loop Header: Depth=2
	v_mov_b32_e32 v7, s21
	ds_read_b32 v6, v2
	ds_read_b32 v7, v7
	s_add_i32 s24, s24, -1
	s_add_i32 s21, s21, -4
	v_add_u32_e32 v2, 0xffffff00, v2
	s_cmp_gt_i32 s24, s20
	s_waitcnt lgkmcnt(0)
	v_fma_f32 v4, -v6, v7, v4
	s_cbranch_scc1 .LBB43_60
	s_branch .LBB43_52
.LBB43_61:
	s_mov_b64 s[4:5], 0
.LBB43_62:
	s_and_b64 vcc, exec, s[4:5]
	s_cbranch_vccz .LBB43_92
; %bb.63:
	s_cmp_lt_i32 s6, 32
	s_cbranch_scc1 .LBB43_78
; %bb.64:
	v_mov_b32_e32 v2, 0x4000
	v_lshl_or_b32 v34, v0, 2, v2
	s_mov_b32 s7, 0
	s_mov_b32 s20, 0
	;; [unrolled: 1-line block ×3, first 2 shown]
.LBB43_65:                              ; =>This Loop Header: Depth=1
                                        ;     Child Loop BB43_67 Depth 2
                                        ;     Child Loop BB43_69 Depth 2
                                        ;       Child Loop BB43_71 Depth 3
                                        ;       Child Loop BB43_74 Depth 3
	v_lshl_add_u32 v32, s21, 8, v1
	ds_read2st64_b32 v[2:3], v32 offset1:1
	ds_read2st64_b32 v[4:5], v32 offset0:2 offset1:3
	ds_read2st64_b32 v[6:7], v32 offset0:4 offset1:5
	;; [unrolled: 1-line block ×15, first 2 shown]
	s_cmp_eq_u32 s21, 0
	s_cbranch_scc1 .LBB43_68
; %bb.66:                               ;   in Loop: Header=BB43_65 Depth=1
	v_mov_b32_e32 v35, v34
	s_mov_b32 s4, s20
	s_mov_b32 s5, s21
.LBB43_67:                              ;   Parent Loop BB43_65 Depth=1
                                        ; =>  This Inner Loop Header: Depth=2
	v_mov_b32_e32 v64, s4
	ds_read_b32 v68, v35
	ds_read_b128 v[36:39], v64
	ds_read_b128 v[40:43], v64 offset:16
	ds_read_b128 v[44:47], v64 offset:96
	;; [unrolled: 1-line block ×7, first 2 shown]
	s_add_i32 s5, s5, -1
	s_addk_i32 s4, 0x100
	v_add_u32_e32 v35, 0x100, v35
	s_cmp_lg_u32 s5, 0
	s_waitcnt lgkmcnt(4)
	v_pk_fma_f32 v[32:33], v[68:69], v[50:51], v[32:33] op_sel_hi:[0,1,1] neg_lo:[1,0,0] neg_hi:[1,0,0]
	v_pk_fma_f32 v[28:29], v[68:69], v[46:47], v[28:29] op_sel_hi:[0,1,1] neg_lo:[1,0,0] neg_hi:[1,0,0]
	s_waitcnt lgkmcnt(2)
	v_pk_fma_f32 v[24:25], v[68:69], v[58:59], v[24:25] op_sel_hi:[0,1,1] neg_lo:[1,0,0] neg_hi:[1,0,0]
	v_pk_fma_f32 v[20:21], v[68:69], v[54:55], v[20:21] op_sel_hi:[0,1,1] neg_lo:[1,0,0] neg_hi:[1,0,0]
	;; [unrolled: 3-line block ×3, first 2 shown]
	v_pk_fma_f32 v[8:9], v[68:69], v[42:43], v[8:9] op_sel_hi:[0,1,1] neg_lo:[1,0,0] neg_hi:[1,0,0]
	v_pk_fma_f32 v[4:5], v[68:69], v[38:39], v[4:5] op_sel_hi:[0,1,1] neg_lo:[1,0,0] neg_hi:[1,0,0]
	;; [unrolled: 1-line block ×10, first 2 shown]
	s_cbranch_scc1 .LBB43_67
.LBB43_68:                              ;   in Loop: Header=BB43_65 Depth=1
	s_mov_b64 s[4:5], 0
	s_mov_b32 s24, s7
.LBB43_69:                              ;   Parent Loop BB43_65 Depth=1
                                        ; =>  This Loop Header: Depth=2
                                        ;       Child Loop BB43_71 Depth 3
                                        ;       Child Loop BB43_74 Depth 3
	s_cmp_eq_u32 s4, 0
	s_cbranch_scc1 .LBB43_72
; %bb.70:                               ;   in Loop: Header=BB43_69 Depth=2
	s_mov_b64 s[16:17], s[4:5]
	s_mov_b64 s[18:19], 0
	s_mov_b32 s17, s24
.LBB43_71:                              ;   Parent Loop BB43_65 Depth=1
                                        ;     Parent Loop BB43_69 Depth=2
                                        ; =>    This Inner Loop Header: Depth=3
	v_mov_b32_e32 v36, s17
	s_waitcnt lgkmcnt(0)
	s_set_gpr_idx_on s18, gpr_idx(SRC0)
	v_mov_b32_e32 v35, v2
	s_set_gpr_idx_off
	ds_read_b32 v36, v36
	s_add_u32 s18, s18, 1
	s_addc_u32 s19, s19, 0
	s_addk_i32 s17, 0x100
	s_set_gpr_idx_on s4, gpr_idx(SRC0)
	v_mov_b32_e32 v37, v2
	s_set_gpr_idx_off
	s_cmp_eq_u32 s4, s18
	s_waitcnt lgkmcnt(0)
	v_fma_f32 v35, -v35, v36, v37
	s_set_gpr_idx_on s4, gpr_idx(DST)
	v_mov_b32_e32 v2, v35
	s_set_gpr_idx_off
	s_cbranch_scc0 .LBB43_71
	s_branch .LBB43_73
.LBB43_72:                              ;   in Loop: Header=BB43_69 Depth=2
	s_mov_b64 s[16:17], 0
.LBB43_73:                              ;   in Loop: Header=BB43_69 Depth=2
	s_add_i32 s17, s4, s21
	s_mul_i32 s18, s17, 0x104
	v_mov_b32_e32 v35, s18
	ds_read_b32 v35, v35
	s_waitcnt lgkmcnt(1)
	s_set_gpr_idx_on s16, gpr_idx(SRC0)
	v_mov_b32_e32 v37, v2
	s_set_gpr_idx_off
	v_lshl_add_u32 v36, s17, 8, v1
	s_or_b32 s18, s4, 1
	s_add_u32 s19, s4, 1
	s_waitcnt lgkmcnt(0)
	v_mul_f32_e32 v35, v37, v35
	ds_write_b32 v36, v35
	s_set_gpr_idx_on s16, gpr_idx(DST)
	v_mov_b32_e32 v2, v35
	s_set_gpr_idx_off
	s_mov_b64 s[16:17], 0
	s_mov_b32 s25, 4
.LBB43_74:                              ;   Parent Loop BB43_65 Depth=1
                                        ;     Parent Loop BB43_69 Depth=2
                                        ; =>    This Inner Loop Header: Depth=3
	s_add_i32 s27, s24, s25
	v_mov_b32_e32 v36, s27
	s_set_gpr_idx_on s16, gpr_idx(SRC0)
	v_mov_b32_e32 v35, v2
	s_set_gpr_idx_off
	ds_read_b32 v36, v36
	s_add_u32 s16, s16, 1
	s_set_gpr_idx_on s18, gpr_idx(SRC0)
	v_mov_b32_e32 v37, v2
	s_set_gpr_idx_off
	s_addc_u32 s17, s17, 0
	s_addk_i32 s25, 0x100
	s_cmp_lg_u32 s19, s16
	s_waitcnt lgkmcnt(0)
	v_fma_f32 v35, -v35, v36, v37
	s_set_gpr_idx_on s18, gpr_idx(DST)
	v_mov_b32_e32 v2, v35
	s_set_gpr_idx_off
	s_cbranch_scc1 .LBB43_74
; %bb.75:                               ;   in Loop: Header=BB43_69 Depth=2
	s_add_i32 s16, s18, s21
	s_mul_i32 s17, s16, 0x104
	v_mov_b32_e32 v36, s17
	ds_read_b32 v36, v36
	s_add_u32 s4, s4, 2
	s_addc_u32 s5, s5, 0
	s_add_i32 s24, s24, 8
	v_lshl_add_u32 v37, s16, 8, v1
	s_waitcnt lgkmcnt(0)
	v_mul_f32_e32 v35, v35, v36
	s_cmp_eq_u32 s4, 32
	s_set_gpr_idx_on s18, gpr_idx(DST)
	v_mov_b32_e32 v2, v35
	s_set_gpr_idx_off
	ds_write_b32 v37, v35
	s_cbranch_scc0 .LBB43_69
; %bb.76:                               ;   in Loop: Header=BB43_65 Depth=1
	s_add_i32 s4, s21, 32
	s_add_i32 s5, s21, 63
	s_addk_i32 s20, 0x80
	s_addk_i32 s7, 0x2080
	s_cmp_ge_i32 s5, s26
	s_cbranch_scc1 .LBB43_79
; %bb.77:                               ;   in Loop: Header=BB43_65 Depth=1
	s_mov_b32 s21, s4
	s_branch .LBB43_65
.LBB43_78:
	s_mov_b32 s4, 0
.LBB43_79:
	s_cmp_lt_i32 s4, s26
	s_cbranch_scc0 .LBB43_92
; %bb.80:
	s_add_i32 s5, s4, 3
	s_cmp_ge_i32 s5, s26
	s_cbranch_scc1 .LBB43_86
; %bb.81:
	v_mov_b32_e32 v2, 0x4000
	s_lshl_b32 s5, s4, 2
	v_lshl_or_b32 v6, v0, 2, v2
.LBB43_82:                              ; =>This Loop Header: Depth=1
                                        ;     Child Loop BB43_83 Depth 2
	s_lshl_b32 s7, s4, 8
	v_add_u32_e32 v7, s7, v1
	ds_read2st64_b32 v[4:5], v7 offset1:1
	ds_read2st64_b32 v[2:3], v7 offset0:2 offset1:3
	s_cmp_eq_u32 s4, 0
	v_mov_b32_e32 v8, v6
	s_mov_b32 s16, s5
	s_mov_b32 s17, s4
	s_cbranch_scc1 .LBB43_84
.LBB43_83:                              ;   Parent Loop BB43_82 Depth=1
                                        ; =>  This Inner Loop Header: Depth=2
	v_mov_b32_e32 v9, s16
	ds_read_b32 v10, v8
	ds_read2_b32 v[12:13], v9 offset1:1
	ds_read2_b32 v[14:15], v9 offset0:2 offset1:3
	s_add_i32 s17, s17, -1
	s_addk_i32 s16, 0x100
	v_add_u32_e32 v8, 0x100, v8
	s_cmp_lg_u32 s17, 0
	s_waitcnt lgkmcnt(1)
	v_pk_fma_f32 v[4:5], v[10:11], v[12:13], v[4:5] op_sel_hi:[0,1,1] neg_lo:[1,0,0] neg_hi:[1,0,0]
	s_waitcnt lgkmcnt(0)
	v_pk_fma_f32 v[2:3], v[10:11], v[14:15], v[2:3] op_sel_hi:[0,1,1] neg_lo:[1,0,0] neg_hi:[1,0,0]
	s_cbranch_scc1 .LBB43_83
.LBB43_84:                              ;   in Loop: Header=BB43_82 Depth=1
	s_lshl_b32 s16, s4, 2
	s_add_i32 s17, s16, s7
	v_mov_b32_e32 v17, s17
	ds_read2_b32 v[8:9], v17 offset1:1
	ds_read2_b32 v[10:11], v17 offset0:65 offset1:66
	ds_read2_b32 v[12:13], v17 offset0:130 offset1:131
	;; [unrolled: 1-line block ×3, first 2 shown]
	s_addk_i32 s7, 0x100
	s_waitcnt lgkmcnt(3)
	v_mul_f32_e32 v4, v4, v8
	v_fma_f32 v5, -v4, v9, v5
	v_add_u32_e32 v18, s7, v1
	s_add_i32 s7, s16, s7
	s_waitcnt lgkmcnt(2)
	v_mul_f32_e32 v5, v5, v10
	s_waitcnt lgkmcnt(0)
	v_mov_b32_e32 v10, v14
	v_mov_b32_e32 v16, s7
	v_pk_mul_f32 v[8:9], v[4:5], v[10:11]
	ds_read_b32 v16, v16 offset:12
	v_sub_f32_e32 v2, v2, v8
	v_sub_f32_e32 v2, v2, v9
	v_fma_f32 v8, -v4, v15, v3
	v_mul_f32_e32 v3, v2, v12
	ds_write2st64_b32 v7, v4, v3 offset1:2
	ds_read_b32 v4, v17 offset:780
	v_mov_b32_e32 v2, v5
	v_mov_b32_e32 v17, v13
	s_waitcnt lgkmcnt(2)
	v_pk_mul_f32 v[2:3], v[2:3], v[16:17]
	s_add_i32 s7, s4, 4
	v_sub_f32_e32 v2, v8, v2
	v_sub_f32_e32 v2, v2, v3
	s_add_i32 s4, s4, 7
	s_add_i32 s5, s5, 16
	s_waitcnt lgkmcnt(0)
	v_mul_f32_e32 v2, v2, v4
	s_cmp_lt_i32 s4, s26
	ds_write_b32 v18, v5
	ds_write_b32 v7, v2 offset:768
	s_cbranch_scc0 .LBB43_87
; %bb.85:                               ;   in Loop: Header=BB43_82 Depth=1
	s_mov_b32 s4, s7
	s_branch .LBB43_82
.LBB43_86:
	s_mov_b32 s7, s4
.LBB43_87:
	s_cmp_ge_i32 s7, s26
	s_cbranch_scc1 .LBB43_92
; %bb.88:
	v_mov_b32_e32 v2, 0x4000
	s_lshl_b32 s4, s7, 2
	v_lshl_or_b32 v3, v0, 2, v2
	s_branch .LBB43_90
.LBB43_89:                              ;   in Loop: Header=BB43_90 Depth=1
	s_lshl_b32 s16, s7, 2
	s_add_i32 s5, s16, s5
	v_mov_b32_e32 v5, s5
	ds_read_b32 v5, v5
	s_add_i32 s7, s7, 1
	s_add_i32 s4, s4, 4
	s_cmp_ge_i32 s7, s26
	s_waitcnt lgkmcnt(0)
	v_mul_f32_e32 v2, v2, v5
	ds_write_b32 v4, v2
	s_cbranch_scc1 .LBB43_92
.LBB43_90:                              ; =>This Loop Header: Depth=1
                                        ;     Child Loop BB43_91 Depth 2
	s_lshl_b32 s5, s7, 8
	v_add_u32_e32 v4, s5, v1
	ds_read_b32 v2, v4
	s_cmp_eq_u32 s7, 0
	v_mov_b32_e32 v5, v3
	s_mov_b32 s16, s4
	s_mov_b32 s17, s7
	s_cbranch_scc1 .LBB43_89
.LBB43_91:                              ;   Parent Loop BB43_90 Depth=1
                                        ; =>  This Inner Loop Header: Depth=2
	v_mov_b32_e32 v7, s16
	ds_read_b32 v6, v5
	ds_read_b32 v7, v7
	s_add_i32 s17, s17, -1
	s_addk_i32 s16, 0x100
	v_add_u32_e32 v5, 0x100, v5
	s_cmp_lg_u32 s17, 0
	s_waitcnt lgkmcnt(0)
	v_fma_f32 v2, -v6, v7, v2
	s_cbranch_scc1 .LBB43_91
	s_branch .LBB43_89
.LBB43_92:
	s_waitcnt lgkmcnt(0)
	; wave barrier
	s_and_saveexec_b64 s[4:5], s[0:1]
	s_cbranch_execz .LBB43_101
; %bb.93:
	s_andn2_b64 vcc, exec, s[14:15]
	s_cbranch_vccnz .LBB43_101
; %bb.94:
	s_cmp_eq_u32 s6, 1
	s_cbranch_scc1 .LBB43_98
; %bb.95:
	v_mad_i64_i32 v[2:3], s[0:1], s22, v0, 0
	v_lshl_add_u64 v[2:3], v[2:3], 2, s[2:3]
	s_and_b32 s2, s26, 0x7e
	s_mov_b32 s0, 1
	s_mov_b32 s1, 0
	;; [unrolled: 1-line block ×3, first 2 shown]
.LBB43_96:                              ; =>This Inner Loop Header: Depth=1
	v_lshl_add_u32 v4, s1, 8, v1
	v_lshl_add_u32 v5, s0, 8, v1
	ds_read_b32 v4, v4
	ds_read_b32 v5, v5
	s_add_i32 s1, s1, 2
	s_add_i32 s0, s0, 2
	s_add_i32 s3, s3, -2
	s_cmp_lg_u32 s3, 0
	s_waitcnt lgkmcnt(0)
	flat_store_dwordx2 v[2:3], v[4:5]
	v_lshl_add_u64 v[2:3], v[2:3], 0, 8
	s_cbranch_scc1 .LBB43_96
; %bb.97:
	s_cmp_lg_u32 s26, s2
	s_cselect_b64 s[0:1], -1, 0
	s_and_b64 vcc, exec, s[0:1]
	s_cbranch_vccnz .LBB43_99
	s_branch .LBB43_101
.LBB43_98:
	s_mov_b32 s2, 0
	s_cbranch_execz .LBB43_101
.LBB43_99:
	s_sub_i32 s0, s26, s2
	s_lshl_b32 s1, s2, 2
	s_add_u32 s1, s8, s1
	s_addc_u32 s3, s9, 0
	s_add_u32 s4, s1, s10
	v_lshlrev_b32_e32 v2, 2, v0
	v_mov_b32_e32 v3, 0
	s_addc_u32 s5, s3, s11
	v_lshl_add_u64 v[4:5], s[12:13], 2, v[2:3]
	v_mov_b64_e32 v[0:1], s[4:5]
	v_mad_u64_u32 v[0:1], s[4:5], v4, s22, v[0:1]
	v_mul_lo_u32 v3, v4, s23
	v_mul_lo_u32 v4, v5, s22
	v_lshl_or_b32 v2, s2, 8, v2
	v_add3_u32 v1, v4, v1, v3
	v_add_u32_e32 v2, 0x4000, v2
.LBB43_100:                             ; =>This Inner Loop Header: Depth=1
	ds_read_b32 v3, v2
	s_add_i32 s0, s0, -1
	v_add_u32_e32 v2, 0x100, v2
	s_cmp_lg_u32 s0, 0
	s_waitcnt lgkmcnt(0)
	flat_store_dword v[0:1], v3
	v_lshl_add_u64 v[0:1], v[0:1], 0, 4
	s_cbranch_scc1 .LBB43_100
.LBB43_101:
	s_endpgm
	.section	.rodata,"a",@progbits
	.p2align	6, 0x0
	.amdhsa_kernel _ZL38rocblas_trsm_small_left_device_sharedBILi64ELi32ELb1EffPKPKfPKPfEv13rocblas_fill_18rocblas_operation_17rocblas_diagonal_iiT3_T4_lilT5_lili
		.amdhsa_group_segment_fixed_size 32768
		.amdhsa_private_segment_fixed_size 0
		.amdhsa_kernarg_size 352
		.amdhsa_user_sgpr_count 2
		.amdhsa_user_sgpr_dispatch_ptr 0
		.amdhsa_user_sgpr_queue_ptr 0
		.amdhsa_user_sgpr_kernarg_segment_ptr 1
		.amdhsa_user_sgpr_dispatch_id 0
		.amdhsa_user_sgpr_kernarg_preload_length 0
		.amdhsa_user_sgpr_kernarg_preload_offset 0
		.amdhsa_user_sgpr_private_segment_size 0
		.amdhsa_uses_dynamic_stack 0
		.amdhsa_enable_private_segment 0
		.amdhsa_system_sgpr_workgroup_id_x 1
		.amdhsa_system_sgpr_workgroup_id_y 0
		.amdhsa_system_sgpr_workgroup_id_z 1
		.amdhsa_system_sgpr_workgroup_info 0
		.amdhsa_system_vgpr_workitem_id 0
		.amdhsa_next_free_vgpr 169
		.amdhsa_next_free_sgpr 96
		.amdhsa_accum_offset 72
		.amdhsa_reserve_vcc 1
		.amdhsa_float_round_mode_32 0
		.amdhsa_float_round_mode_16_64 0
		.amdhsa_float_denorm_mode_32 3
		.amdhsa_float_denorm_mode_16_64 3
		.amdhsa_dx10_clamp 1
		.amdhsa_ieee_mode 1
		.amdhsa_fp16_overflow 0
		.amdhsa_tg_split 0
		.amdhsa_exception_fp_ieee_invalid_op 0
		.amdhsa_exception_fp_denorm_src 0
		.amdhsa_exception_fp_ieee_div_zero 0
		.amdhsa_exception_fp_ieee_overflow 0
		.amdhsa_exception_fp_ieee_underflow 0
		.amdhsa_exception_fp_ieee_inexact 0
		.amdhsa_exception_int_div_zero 0
	.end_amdhsa_kernel
	.section	.text._ZL38rocblas_trsm_small_left_device_sharedBILi64ELi32ELb1EffPKPKfPKPfEv13rocblas_fill_18rocblas_operation_17rocblas_diagonal_iiT3_T4_lilT5_lili,"axG",@progbits,_ZL38rocblas_trsm_small_left_device_sharedBILi64ELi32ELb1EffPKPKfPKPfEv13rocblas_fill_18rocblas_operation_17rocblas_diagonal_iiT3_T4_lilT5_lili,comdat
.Lfunc_end43:
	.size	_ZL38rocblas_trsm_small_left_device_sharedBILi64ELi32ELb1EffPKPKfPKPfEv13rocblas_fill_18rocblas_operation_17rocblas_diagonal_iiT3_T4_lilT5_lili, .Lfunc_end43-_ZL38rocblas_trsm_small_left_device_sharedBILi64ELi32ELb1EffPKPKfPKPfEv13rocblas_fill_18rocblas_operation_17rocblas_diagonal_iiT3_T4_lilT5_lili
                                        ; -- End function
	.set _ZL38rocblas_trsm_small_left_device_sharedBILi64ELi32ELb1EffPKPKfPKPfEv13rocblas_fill_18rocblas_operation_17rocblas_diagonal_iiT3_T4_lilT5_lili.num_vgpr, 72
	.set _ZL38rocblas_trsm_small_left_device_sharedBILi64ELi32ELb1EffPKPKfPKPfEv13rocblas_fill_18rocblas_operation_17rocblas_diagonal_iiT3_T4_lilT5_lili.num_agpr, 0
	.set _ZL38rocblas_trsm_small_left_device_sharedBILi64ELi32ELb1EffPKPKfPKPfEv13rocblas_fill_18rocblas_operation_17rocblas_diagonal_iiT3_T4_lilT5_lili.numbered_sgpr, 32
	.set _ZL38rocblas_trsm_small_left_device_sharedBILi64ELi32ELb1EffPKPKfPKPfEv13rocblas_fill_18rocblas_operation_17rocblas_diagonal_iiT3_T4_lilT5_lili.num_named_barrier, 0
	.set _ZL38rocblas_trsm_small_left_device_sharedBILi64ELi32ELb1EffPKPKfPKPfEv13rocblas_fill_18rocblas_operation_17rocblas_diagonal_iiT3_T4_lilT5_lili.private_seg_size, 0
	.set _ZL38rocblas_trsm_small_left_device_sharedBILi64ELi32ELb1EffPKPKfPKPfEv13rocblas_fill_18rocblas_operation_17rocblas_diagonal_iiT3_T4_lilT5_lili.uses_vcc, 1
	.set _ZL38rocblas_trsm_small_left_device_sharedBILi64ELi32ELb1EffPKPKfPKPfEv13rocblas_fill_18rocblas_operation_17rocblas_diagonal_iiT3_T4_lilT5_lili.uses_flat_scratch, 0
	.set _ZL38rocblas_trsm_small_left_device_sharedBILi64ELi32ELb1EffPKPKfPKPfEv13rocblas_fill_18rocblas_operation_17rocblas_diagonal_iiT3_T4_lilT5_lili.has_dyn_sized_stack, 0
	.set _ZL38rocblas_trsm_small_left_device_sharedBILi64ELi32ELb1EffPKPKfPKPfEv13rocblas_fill_18rocblas_operation_17rocblas_diagonal_iiT3_T4_lilT5_lili.has_recursion, 0
	.set _ZL38rocblas_trsm_small_left_device_sharedBILi64ELi32ELb1EffPKPKfPKPfEv13rocblas_fill_18rocblas_operation_17rocblas_diagonal_iiT3_T4_lilT5_lili.has_indirect_call, 0
	.section	.AMDGPU.csdata,"",@progbits
; Kernel info:
; codeLenInByte = 5520
; TotalNumSgprs: 38
; NumVgprs: 72
; NumAgprs: 0
; TotalNumVgprs: 72
; ScratchSize: 0
; MemoryBound: 0
; FloatMode: 240
; IeeeMode: 1
; LDSByteSize: 32768 bytes/workgroup (compile time only)
; SGPRBlocks: 12
; VGPRBlocks: 21
; NumSGPRsForWavesPerEU: 102
; NumVGPRsForWavesPerEU: 169
; AccumOffset: 72
; Occupancy: 2
; WaveLimiterHint : 0
; COMPUTE_PGM_RSRC2:SCRATCH_EN: 0
; COMPUTE_PGM_RSRC2:USER_SGPR: 2
; COMPUTE_PGM_RSRC2:TRAP_HANDLER: 0
; COMPUTE_PGM_RSRC2:TGID_X_EN: 1
; COMPUTE_PGM_RSRC2:TGID_Y_EN: 0
; COMPUTE_PGM_RSRC2:TGID_Z_EN: 1
; COMPUTE_PGM_RSRC2:TIDIG_COMP_CNT: 0
; COMPUTE_PGM_RSRC3_GFX90A:ACCUM_OFFSET: 17
; COMPUTE_PGM_RSRC3_GFX90A:TG_SPLIT: 0
	.section	.text._ZL30rocblas_trsm_small_left_deviceILi64ELi32ELb1EffPKPKfPKPfEv13rocblas_fill_18rocblas_operation_17rocblas_diagonal_iiT3_T4_lilT5_lili,"axG",@progbits,_ZL30rocblas_trsm_small_left_deviceILi64ELi32ELb1EffPKPKfPKPfEv13rocblas_fill_18rocblas_operation_17rocblas_diagonal_iiT3_T4_lilT5_lili,comdat
	.globl	_ZL30rocblas_trsm_small_left_deviceILi64ELi32ELb1EffPKPKfPKPfEv13rocblas_fill_18rocblas_operation_17rocblas_diagonal_iiT3_T4_lilT5_lili ; -- Begin function _ZL30rocblas_trsm_small_left_deviceILi64ELi32ELb1EffPKPKfPKPfEv13rocblas_fill_18rocblas_operation_17rocblas_diagonal_iiT3_T4_lilT5_lili
	.p2align	8
	.type	_ZL30rocblas_trsm_small_left_deviceILi64ELi32ELb1EffPKPKfPKPfEv13rocblas_fill_18rocblas_operation_17rocblas_diagonal_iiT3_T4_lilT5_lili,@function
_ZL30rocblas_trsm_small_left_deviceILi64ELi32ELb1EffPKPKfPKPfEv13rocblas_fill_18rocblas_operation_17rocblas_diagonal_iiT3_T4_lilT5_lili: ; @_ZL30rocblas_trsm_small_left_deviceILi64ELi32ELb1EffPKPKfPKPfEv13rocblas_fill_18rocblas_operation_17rocblas_diagonal_iiT3_T4_lilT5_lili
; %bb.0:
	s_load_dwordx4 s[8:11], s[0:1], 0x38
	s_load_dwordx4 s[4:7], s[0:1], 0x4
	s_load_dword s16, s[0:1], 0x14
	s_mov_b32 s20, s3
	s_mov_b32 s21, 0
	s_lshl_b64 s[24:25], s[20:21], 3
	s_waitcnt lgkmcnt(0)
	s_add_u32 s8, s8, s24
	s_addc_u32 s9, s9, s25
	s_load_dwordx2 s[8:9], s[8:9], 0x0
	s_min_i32 s33, s6, 64
	v_cmp_gt_i32_e32 vcc, s33, v0
	s_and_saveexec_b64 s[18:19], vcc
	s_cbranch_execz .LBB44_11
; %bb.1:
	s_load_dwordx4 s[12:15], s[0:1], 0x18
	s_load_dword s22, s[0:1], 0x28
	v_lshlrev_b32_e32 v2, 2, v0
	v_mov_b32_e32 v3, 0
	s_mov_b32 s3, 1
	s_waitcnt lgkmcnt(0)
	s_add_u32 s12, s12, s24
	s_addc_u32 s13, s13, s25
	s_load_dwordx2 s[12:13], s[12:13], 0x0
	s_cmp_lt_u32 s33, 2
	s_cselect_b64 s[26:27], -1, 0
	s_cmp_lg_u32 s22, 1
	s_cselect_b64 s[28:29], -1, 0
	s_or_b64 s[26:27], s[26:27], s[28:29]
	s_mov_b64 s[24:25], -1
	s_and_b64 vcc, exec, s[26:27]
	s_cbranch_vccnz .LBB44_5
; %bb.2:
	s_lshl_b64 s[20:21], s[14:15], 2
	s_waitcnt lgkmcnt(0)
	s_add_u32 s20, s12, s20
	s_addc_u32 s21, s13, s21
	v_lshl_add_u64 v[4:5], s[20:21], 0, v[2:3]
	s_and_b32 s21, s33, -2
	s_mov_b32 s17, 0
	s_mov_b32 s20, s21
.LBB44_3:                               ; =>This Inner Loop Header: Depth=1
	flat_load_dwordx2 v[6:7], v[4:5]
	v_lshl_or_b32 v1, s17, 8, v2
	v_lshl_or_b32 v3, s3, 8, v2
	s_add_i32 s17, s17, 2
	s_add_i32 s3, s3, 2
	s_add_i32 s20, s20, -2
	v_lshl_add_u64 v[4:5], v[4:5], 0, 8
	s_cmp_lg_u32 s20, 0
	s_waitcnt vmcnt(0) lgkmcnt(0)
	ds_write_b32 v1, v6
	ds_write_b32 v3, v7
	s_cbranch_scc1 .LBB44_3
; %bb.4:
	s_cmp_lg_u32 s33, s21
	s_cselect_b64 s[24:25], -1, 0
.LBB44_5:
	s_and_b64 vcc, exec, s[24:25]
	s_cbranch_vccz .LBB44_8
; %bb.6:
	s_ashr_i32 s23, s22, 31
	s_mul_hi_u32 s3, s22, s21
	s_mul_i32 s17, s23, s21
	s_add_i32 s25, s3, s17
	s_mul_i32 s24, s22, s21
	s_lshl_b64 s[24:25], s[24:25], 2
	s_lshl_b64 s[14:15], s[14:15], 2
	s_add_u32 s3, s24, s14
	s_addc_u32 s14, s25, s15
	s_waitcnt lgkmcnt(0)
	s_add_u32 s12, s12, s3
	v_mov_b32_e32 v3, 0
	s_addc_u32 s13, s13, s14
	v_lshl_add_u64 v[4:5], s[12:13], 0, v[2:3]
	s_lshl_b64 s[12:13], s[22:23], 2
	s_sub_i32 s3, s33, s21
	v_lshl_or_b32 v1, s21, 8, v2
.LBB44_7:                               ; =>This Inner Loop Header: Depth=1
	flat_load_dword v3, v[4:5]
	s_add_i32 s3, s3, -1
	v_lshl_add_u64 v[4:5], v[4:5], 0, s[12:13]
	s_cmp_eq_u32 s3, 0
	s_waitcnt vmcnt(0) lgkmcnt(0)
	ds_write_b32 v1, v3
	v_add_u32_e32 v1, 0x100, v1
	s_cbranch_scc0 .LBB44_7
.LBB44_8:
	v_lshlrev_b32_e32 v1, 8, v0
	s_cmpk_lg_i32 s5, 0x84
	v_mov_b32_e32 v3, 1.0
	v_add_u32_e32 v1, v2, v1
	s_cbranch_scc0 .LBB44_10
; %bb.9:
	ds_read_b32 v2, v1
	s_waitcnt lgkmcnt(0)
	v_div_scale_f32 v3, s[12:13], v2, v2, 1.0
	v_rcp_f32_e32 v4, v3
	v_div_scale_f32 v5, vcc, 1.0, v2, 1.0
	v_fma_f32 v6, -v3, v4, 1.0
	v_fmac_f32_e32 v4, v6, v4
	v_mul_f32_e32 v6, v5, v4
	v_fma_f32 v7, -v3, v6, v5
	v_fmac_f32_e32 v6, v7, v4
	v_fma_f32 v3, -v3, v6, v5
	v_div_fmas_f32 v3, v3, v4, v6
	v_div_fixup_f32 v3, v3, v2, 1.0
.LBB44_10:
	ds_write_b32 v1, v3
.LBB44_11:
	s_or_b64 exec, exec, s[18:19]
	s_load_dword s3, s[0:1], 0x60
	s_waitcnt lgkmcnt(0)
	; wave barrier
	s_add_i32 s5, s3, -1
	s_lshl_b32 s3, s2, 6
	s_sub_i32 s7, s7, s3
	s_cmp_ge_u32 s2, s5
	s_cselect_b32 s2, s7, 64
	v_cmp_gt_i32_e32 vcc, s2, v0
	s_and_saveexec_b64 s[12:13], vcc
	s_cbranch_execz .LBB44_86
; %bb.12:
	s_load_dword s2, s[0:1], 0x48
	s_lshl_b64 s[0:1], s[10:11], 2
	s_add_u32 s0, s8, s0
	v_add_u32_e32 v0, s3, v0
	s_addc_u32 s1, s9, s1
	s_waitcnt lgkmcnt(0)
	v_mad_i64_i32 v[0:1], s[2:3], s2, v0, 0
	v_lshl_add_u64 v[32:33], v[0:1], 2, s[0:1]
	s_cmpk_eq_i32 s4, 0x6f
	s_mov_b64 s[0:1], -1
	s_cbranch_scc1 .LBB44_56
; %bb.13:
	s_add_i32 s7, s33, -1
	s_cmp_lt_i32 s6, 32
	s_mov_b32 s1, 0
	s_cbranch_scc1 .LBB44_29
; %bb.14:
	s_lshl_b32 s12, s33, 2
	s_mov_b32 s17, s16
	s_addk_i32 s12, 0xe0fc
	s_movk_i32 s13, 0xff94
	s_mov_b32 s0, s7
.LBB44_15:                              ; =>This Loop Header: Depth=1
                                        ;     Child Loop BB44_17 Depth 2
                                        ;     Child Loop BB44_19 Depth 2
                                        ;       Child Loop BB44_21 Depth 3
                                        ;       Child Loop BB44_25 Depth 3
	s_mov_b32 s2, s0
	s_mov_b32 s3, s1
	v_lshl_add_u64 v[24:25], s[2:3], 2, v[32:33]
	s_ashr_i32 s3, s0, 31
	v_lshl_add_u64 v[26:27], s[2:3], 2, v[32:33]
	v_add_co_u32_e32 v0, vcc, -12, v26
	s_cmp_le_i32 s7, s0
	s_nop 0
	v_addc_co_u32_e32 v1, vcc, -1, v27, vcc
	v_add_co_u32_e32 v34, vcc, s13, v26
	flat_load_dwordx3 v[28:30], v[0:1]
	s_nop 0
	v_addc_co_u32_e32 v35, vcc, -1, v27, vcc
	flat_load_dwordx4 v[0:3], v[34:35] offset:80
	flat_load_dwordx4 v[4:7], v[34:35] offset:64
	flat_load_dword v38, v[24:25]
	flat_load_dwordx4 v[8:11], v[34:35] offset:48
	flat_load_dwordx4 v[12:15], v[34:35] offset:32
	;; [unrolled: 1-line block ×3, first 2 shown]
	flat_load_dwordx4 v[20:23], v[34:35]
	v_add_co_u32_e32 v24, vcc, 0xffffff84, v26
	s_waitcnt vmcnt(0) lgkmcnt(0)
	v_pk_mul_f32 v[60:61], s[16:17], v[2:3]
	v_addc_co_u32_e32 v25, vcc, -1, v27, vcc
	flat_load_dwordx4 v[24:27], v[24:25]
	v_mov_b32_e32 v39, v30
	v_pk_mul_f32 v[62:63], s[16:17], v[28:29]
	v_pk_mul_f32 v[58:59], s[16:17], v[0:1]
	;; [unrolled: 1-line block ×13, first 2 shown]
	v_mov_b32_e32 v2, v63
	v_mov_b32_e32 v3, v62
	;; [unrolled: 1-line block ×22, first 2 shown]
	s_waitcnt vmcnt(0) lgkmcnt(0)
	v_pk_mul_f32 v[38:39], s[16:17], v[26:27]
	v_pk_mul_f32 v[34:35], s[16:17], v[24:25]
	v_mov_b32_e32 v24, v41
	v_mov_b32_e32 v25, v40
	;; [unrolled: 1-line block ×8, first 2 shown]
	s_cbranch_scc1 .LBB44_18
; %bb.16:                               ;   in Loop: Header=BB44_15 Depth=1
	s_lshl_b32 s0, s2, 8
	s_add_i32 s4, s12, s0
	s_mov_b32 s0, s7
	v_mov_b32_e32 v2, v63
	v_mov_b32_e32 v3, v62
	;; [unrolled: 1-line block ×30, first 2 shown]
.LBB44_17:                              ;   Parent Loop BB44_15 Depth=1
                                        ; =>  This Inner Loop Header: Depth=2
	v_lshl_add_u64 v[34:35], s[0:1], 2, v[32:33]
	flat_load_dword v34, v[34:35]
	v_mov_b32_e32 v35, s4
	ds_read2st64_b32 v[68:69], v35 offset0:30 offset1:31
	ds_read2st64_b32 v[66:67], v35 offset0:28 offset1:29
	;; [unrolled: 1-line block ×11, first 2 shown]
	ds_read2st64_b32 v[38:39], v35 offset1:1
	ds_read2st64_b32 v[52:53], v35 offset0:14 offset1:15
	ds_read2st64_b32 v[50:51], v35 offset0:12 offset1:13
	;; [unrolled: 1-line block ×4, first 2 shown]
	s_add_i32 s0, s0, -1
	s_add_i32 s4, s4, -4
	s_waitcnt lgkmcnt(0)
	v_mov_b32_e32 v36, v39
	v_mov_b32_e32 v37, v38
	v_mov_b32_e32 v38, v41
	v_mov_b32_e32 v39, v40
	v_mov_b32_e32 v40, v43
	v_mov_b32_e32 v41, v42
	v_mov_b32_e32 v42, v45
	v_mov_b32_e32 v43, v44
	v_mov_b32_e32 v44, v47
	v_mov_b32_e32 v45, v46
	v_mov_b32_e32 v46, v49
	v_mov_b32_e32 v47, v48
	v_mov_b32_e32 v48, v51
	v_mov_b32_e32 v49, v50
	v_mov_b32_e32 v50, v53
	v_mov_b32_e32 v51, v52
	v_mov_b32_e32 v52, v55
	v_mov_b32_e32 v53, v54
	v_mov_b32_e32 v54, v57
	v_mov_b32_e32 v55, v56
	v_mov_b32_e32 v56, v59
	v_mov_b32_e32 v57, v58
	v_mov_b32_e32 v58, v61
	v_mov_b32_e32 v59, v60
	v_mov_b32_e32 v60, v63
	v_mov_b32_e32 v61, v62
	v_mov_b32_e32 v62, v65
	v_mov_b32_e32 v63, v64
	v_mov_b32_e32 v64, v67
	v_mov_b32_e32 v65, v66
	v_mov_b32_e32 v66, v69
	v_mov_b32_e32 v67, v68
	s_cmp_gt_i32 s0, s2
	s_waitcnt vmcnt(0)
	v_pk_fma_f32 v[30:31], v[34:35], v[36:37], v[30:31] op_sel_hi:[0,1,1] neg_lo:[1,0,0] neg_hi:[1,0,0]
	v_pk_fma_f32 v[28:29], v[34:35], v[38:39], v[28:29] op_sel_hi:[0,1,1] neg_lo:[1,0,0] neg_hi:[1,0,0]
	;; [unrolled: 1-line block ×16, first 2 shown]
	s_cbranch_scc1 .LBB44_17
.LBB44_18:                              ;   in Loop: Header=BB44_15 Depth=1
	s_mul_i32 s0, s2, 0x104
	s_mov_b64 s[4:5], 0
	s_mov_b32 s14, s0
.LBB44_19:                              ;   Parent Loop BB44_15 Depth=1
                                        ; =>  This Loop Header: Depth=2
                                        ;       Child Loop BB44_21 Depth 3
                                        ;       Child Loop BB44_25 Depth 3
	s_cmp_eq_u32 s4, 0
	s_cbranch_scc1 .LBB44_23
; %bb.20:                               ;   in Loop: Header=BB44_19 Depth=2
	s_mov_b64 s[8:9], s[4:5]
	s_mov_b64 s[10:11], 0
	s_mov_b32 s9, s14
.LBB44_21:                              ;   Parent Loop BB44_15 Depth=1
                                        ;     Parent Loop BB44_19 Depth=2
                                        ; =>    This Inner Loop Header: Depth=3
	v_mov_b32_e32 v35, s9
	s_set_gpr_idx_on s10, gpr_idx(SRC0)
	v_mov_b32_e32 v34, v0
	s_set_gpr_idx_off
	ds_read_b32 v35, v35
	s_add_u32 s10, s10, 1
	s_addc_u32 s11, s11, 0
	s_add_i32 s9, s9, -4
	s_set_gpr_idx_on s4, gpr_idx(SRC0)
	v_mov_b32_e32 v36, v0
	s_set_gpr_idx_off
	s_cmp_lg_u32 s4, s10
	s_waitcnt lgkmcnt(0)
	v_fma_f32 v34, -v34, v35, v36
	s_set_gpr_idx_on s4, gpr_idx(DST)
	v_mov_b32_e32 v0, v34
	s_set_gpr_idx_off
	s_cbranch_scc1 .LBB44_21
; %bb.22:                               ;   in Loop: Header=BB44_19 Depth=2
	s_sub_i32 s10, s2, s4
	s_ashr_i32 s11, s10, 31
	s_mul_i32 s9, s10, 0x104
	s_branch .LBB44_24
.LBB44_23:                              ;   in Loop: Header=BB44_19 Depth=2
	s_mov_b64 s[8:9], 0
	s_mov_b64 s[10:11], s[2:3]
	s_mov_b32 s9, s0
.LBB44_24:                              ;   in Loop: Header=BB44_19 Depth=2
	v_mov_b32_e32 v34, s9
	ds_read_b32 v36, v34
	s_set_gpr_idx_on s8, gpr_idx(SRC0)
	v_mov_b32_e32 v37, v0
	s_set_gpr_idx_off
	v_lshl_add_u64 v[34:35], s[10:11], 2, v[32:33]
	s_or_b32 s10, s4, 1
	s_add_u32 s11, s4, 1
	s_waitcnt lgkmcnt(0)
	v_mul_f32_e32 v36, v37, v36
	flat_store_dword v[34:35], v36
	s_set_gpr_idx_on s8, gpr_idx(DST)
	v_mov_b32_e32 v0, v36
	s_set_gpr_idx_off
	s_mov_b64 s[8:9], 0
	s_movk_i32 s15, 0xff00
.LBB44_25:                              ;   Parent Loop BB44_15 Depth=1
                                        ;     Parent Loop BB44_19 Depth=2
                                        ; =>    This Inner Loop Header: Depth=3
	s_add_i32 s18, s14, s15
	v_mov_b32_e32 v35, s18
	s_set_gpr_idx_on s8, gpr_idx(SRC0)
	v_mov_b32_e32 v34, v0
	s_set_gpr_idx_off
	ds_read_b32 v35, v35
	s_add_u32 s8, s8, 1
	s_set_gpr_idx_on s10, gpr_idx(SRC0)
	v_mov_b32_e32 v36, v0
	s_set_gpr_idx_off
	s_addc_u32 s9, s9, 0
	s_add_i32 s15, s15, -4
	s_cmp_lg_u32 s11, s8
	s_waitcnt lgkmcnt(0)
	v_fma_f32 v34, -v34, v35, v36
	s_set_gpr_idx_on s10, gpr_idx(DST)
	v_mov_b32_e32 v0, v34
	s_set_gpr_idx_off
	s_cbranch_scc1 .LBB44_25
; %bb.26:                               ;   in Loop: Header=BB44_19 Depth=2
	s_sub_i32 s8, s2, s10
	s_mul_i32 s9, s8, 0x104
	v_mov_b32_e32 v35, s9
	ds_read_b32 v35, v35
	s_ashr_i32 s9, s8, 31
	s_add_u32 s4, s4, 2
	s_addc_u32 s5, s5, 0
	s_addk_i32 s14, 0xfe00
	v_lshl_add_u64 v[36:37], s[8:9], 2, v[32:33]
	s_waitcnt lgkmcnt(0)
	v_mul_f32_e32 v34, v34, v35
	s_cmp_eq_u32 s4, 32
	s_set_gpr_idx_on s10, gpr_idx(DST)
	v_mov_b32_e32 v0, v34
	s_set_gpr_idx_off
	flat_store_dword v[36:37], v34
	s_cbranch_scc0 .LBB44_19
; %bb.27:                               ;   in Loop: Header=BB44_15 Depth=1
	s_cmp_lt_i32 s2, 63
	s_mov_b32 s0, 31
	s_cbranch_scc0 .LBB44_15
; %bb.28:
	s_sub_i32 s0, s2, 32
	s_cmp_gt_i32 s0, -1
	s_cbranch_scc1 .LBB44_30
	s_branch .LBB44_55
.LBB44_29:
	s_mov_b32 s0, s7
	s_cmp_gt_i32 s0, -1
	s_cbranch_scc0 .LBB44_55
.LBB44_30:
	s_cmp_lt_u32 s0, 3
	s_cbranch_scc1 .LBB44_37
; %bb.31:
	s_lshl_b32 s1, s0, 8
	s_lshl_b32 s2, s33, 2
	s_add_i32 s1, s1, s2
	s_mov_b32 s17, s16
	s_add_i32 s4, s1, 0xfffffcfc
	s_mov_b32 s3, 0
.LBB44_32:                              ; =>This Loop Header: Depth=1
                                        ;     Child Loop BB44_33 Depth 2
	s_mov_b32 s1, s3
	v_lshl_add_u64 v[0:1], s[0:1], 2, v[32:33]
	v_add_co_u32_e32 v2, vcc, -12, v0
	s_cmp_le_i32 s7, s0
	s_nop 0
	v_addc_co_u32_e32 v3, vcc, -1, v1, vcc
	flat_load_dwordx4 v[2:5], v[2:3]
	s_mov_b32 s1, s4
	s_mov_b32 s2, s7
	s_waitcnt vmcnt(0) lgkmcnt(0)
	v_pk_mul_f32 v[8:9], s[16:17], v[4:5]
	v_pk_mul_f32 v[4:5], s[16:17], v[2:3]
	v_mov_b32_e32 v2, v9
	v_mov_b32_e32 v3, v8
	;; [unrolled: 1-line block ×4, first 2 shown]
	s_cbranch_scc1 .LBB44_35
.LBB44_33:                              ;   Parent Loop BB44_32 Depth=1
                                        ; =>  This Inner Loop Header: Depth=2
	v_lshl_add_u64 v[4:5], s[2:3], 2, v[32:33]
	flat_load_dword v4, v[4:5]
	v_mov_b32_e32 v5, s1
	ds_read2st64_b32 v[10:11], v5 offset0:2 offset1:3
	ds_read2st64_b32 v[12:13], v5 offset1:1
	s_add_i32 s2, s2, -1
	s_add_i32 s1, s1, -4
	s_cmp_gt_i32 s2, s0
	s_waitcnt lgkmcnt(0)
	v_mov_b32_e32 v8, v11
	v_mov_b32_e32 v9, v10
	;; [unrolled: 1-line block ×4, first 2 shown]
	s_waitcnt vmcnt(0)
	v_pk_fma_f32 v[2:3], v[4:5], v[8:9], v[2:3] op_sel_hi:[0,1,1] neg_lo:[1,0,0] neg_hi:[1,0,0]
	v_pk_fma_f32 v[6:7], v[4:5], v[10:11], v[6:7] op_sel_hi:[0,1,1] neg_lo:[1,0,0] neg_hi:[1,0,0]
	s_cbranch_scc1 .LBB44_33
; %bb.34:                               ;   in Loop: Header=BB44_32 Depth=1
	v_mov_b32_e32 v4, v7
	v_mov_b32_e32 v5, v6
	;; [unrolled: 1-line block ×4, first 2 shown]
.LBB44_35:                              ;   in Loop: Header=BB44_32 Depth=1
	s_mul_i32 s1, s0, 0x104
	s_add_i32 s2, s0, -1
	v_mov_b32_e32 v2, s1
	s_lshl_b32 s1, s2, 8
	s_lshl_b32 s5, s2, 2
	ds_read_b32 v12, v2
	s_add_i32 s1, s1, s5
	v_lshl_add_u64 v[2:3], s[2:3], 2, v[32:33]
	s_add_i32 s2, s0, -2
	v_mov_b32_e32 v10, s1
	s_lshl_b32 s1, s2, 8
	s_lshl_b32 s8, s2, 2
	s_add_i32 s5, s1, s5
	s_add_i32 s1, s1, s8
	v_lshl_add_u64 v[6:7], s[2:3], 2, v[32:33]
	s_add_i32 s2, s0, -3
	v_mov_b32_e32 v13, s1
	s_lshl_b32 s1, s2, 8
	s_lshl_b32 s8, s0, 2
	s_add_i32 s8, s1, s8
	v_mov_b32_e32 v14, s8
	s_waitcnt lgkmcnt(0)
	v_mul_f32_e32 v9, v9, v12
	ds_read2_b32 v[10:11], v10 offset1:1
	ds_read_b32 v13, v13
	ds_read_b32 v14, v14
	flat_store_dword v[0:1], v9
	v_mov_b32_e32 v0, s5
	ds_read2_b32 v[0:1], v0 offset1:1
	s_waitcnt lgkmcnt(0)
	v_fma_f32 v8, -v9, v11, v8
	v_mul_f32_e32 v8, v8, v10
	s_add_i32 s5, s8, -8
	flat_store_dword v[2:3], v8
	v_pk_mul_f32 v[0:1], v[8:9], v[0:1]
	v_fma_f32 v4, -v9, v14, v4
	v_sub_f32_e32 v1, v5, v1
	v_sub_f32_e32 v0, v1, v0
	v_mul_f32_e32 v0, v0, v13
	flat_store_dword v[6:7], v0
	v_mov_b32_e32 v1, s5
	ds_read2_b32 v[2:3], v1 offset1:1
	s_lshl_b32 s5, s2, 2
	s_add_i32 s1, s1, s5
	v_mov_b32_e32 v1, s1
	ds_read_b32 v5, v1
	v_mov_b32_e32 v1, v8
	s_waitcnt lgkmcnt(0)
	v_pk_mul_f32 v[0:1], v[0:1], v[2:3]
	s_add_i32 s5, s0, -4
	v_sub_f32_e32 v1, v4, v1
	v_sub_f32_e32 v0, v1, v0
	s_addk_i32 s4, 0xfc00
	v_mul_f32_e32 v2, v0, v5
	v_lshl_add_u64 v[0:1], s[2:3], 2, v[32:33]
	s_cmp_gt_i32 s0, 6
	flat_store_dword v[0:1], v2
	s_cbranch_scc0 .LBB44_38
; %bb.36:                               ;   in Loop: Header=BB44_32 Depth=1
	s_mov_b32 s0, s5
	s_branch .LBB44_32
.LBB44_37:
	s_mov_b32 s5, s0
.LBB44_38:
	s_cmp_lt_i32 s5, 0
	s_cbranch_scc1 .LBB44_55
; %bb.39:
	s_and_b32 s0, s5, 3
	s_cmp_eq_u32 s0, 3
	s_mov_b32 s0, s5
	s_cbranch_scc1 .LBB44_44
; %bb.40:
	s_add_i32 s0, s5, 1
	s_and_b32 s4, s0, 3
	s_lshl_b32 s0, s5, 8
	s_lshl_b32 s1, s33, 2
	s_add_i32 s0, s0, s1
	s_add_i32 s8, s0, -4
	s_mov_b32 s3, 0
	s_mov_b32 s0, s5
	;; [unrolled: 1-line block ×3, first 2 shown]
	s_branch .LBB44_42
.LBB44_41:                              ;   in Loop: Header=BB44_42 Depth=1
	s_mul_i32 s1, s0, 0x104
	v_mov_b32_e32 v1, s1
	ds_read_b32 v1, v1
	s_add_i32 s0, s0, -1
	s_add_i32 s9, s9, 1
	s_addk_i32 s8, 0xff00
	s_cmp_lg_u32 s9, s4
	s_waitcnt lgkmcnt(0)
	v_mul_f32_e32 v0, v0, v1
	flat_store_dword v[2:3], v0
	s_cbranch_scc0 .LBB44_44
.LBB44_42:                              ; =>This Loop Header: Depth=1
                                        ;     Child Loop BB44_43 Depth 2
	s_mov_b32 s1, s3
	v_lshl_add_u64 v[2:3], s[0:1], 2, v[32:33]
	flat_load_dword v0, v[2:3]
	s_cmp_le_i32 s7, s0
	s_mov_b32 s1, s8
	s_mov_b32 s2, s7
	s_waitcnt vmcnt(0) lgkmcnt(0)
	v_mul_f32_e32 v0, s16, v0
	s_cbranch_scc1 .LBB44_41
.LBB44_43:                              ;   Parent Loop BB44_42 Depth=1
                                        ; =>  This Inner Loop Header: Depth=2
	v_lshl_add_u64 v[4:5], s[2:3], 2, v[32:33]
	flat_load_dword v1, v[4:5]
	v_mov_b32_e32 v4, s1
	ds_read_b32 v4, v4
	s_add_i32 s2, s2, -1
	s_add_i32 s1, s1, -4
	s_cmp_gt_i32 s2, s0
	s_waitcnt vmcnt(0) lgkmcnt(0)
	v_fma_f32 v0, -v1, v4, v0
	s_cbranch_scc1 .LBB44_43
	s_branch .LBB44_41
.LBB44_44:
	s_cmp_lt_u32 s5, 3
	s_cbranch_scc1 .LBB44_55
; %bb.45:
	s_lshl_b32 s1, s0, 8
	s_lshl_b32 s2, s33, 2
	s_add_i32 s1, s1, s2
	s_add_i32 s8, s1, -4
	s_add_i32 s9, s1, 0xfffffefc
	s_add_i32 s10, s1, 0xfffffdfc
	;; [unrolled: 1-line block ×3, first 2 shown]
	s_mov_b32 s3, 0
	s_branch .LBB44_47
.LBB44_46:                              ;   in Loop: Header=BB44_47 Depth=1
	s_addk_i32 s1, 0xfefc
	v_mov_b32_e32 v1, s1
	ds_read_b32 v1, v1
	s_add_i32 s1, s0, -4
	s_addk_i32 s8, 0xfc00
	s_addk_i32 s9, 0xfc00
	;; [unrolled: 1-line block ×4, first 2 shown]
	s_waitcnt lgkmcnt(0)
	v_mul_f32_e32 v0, v0, v1
	s_cmp_lt_i32 s0, 4
	s_mov_b32 s0, s1
	flat_store_dword v[2:3], v0
	s_cbranch_scc1 .LBB44_55
.LBB44_47:                              ; =>This Loop Header: Depth=1
                                        ;     Child Loop BB44_48 Depth 2
                                        ;     Child Loop BB44_50 Depth 2
	;; [unrolled: 1-line block ×4, first 2 shown]
	s_mov_b32 s1, s3
	v_lshl_add_u64 v[4:5], s[0:1], 2, v[32:33]
	flat_load_dword v0, v[4:5]
	s_cmp_le_i32 s7, s0
	s_mov_b32 s1, s8
	s_mov_b32 s2, s7
	s_waitcnt vmcnt(0) lgkmcnt(0)
	v_mul_f32_e32 v0, s16, v0
	s_cbranch_scc1 .LBB44_49
.LBB44_48:                              ;   Parent Loop BB44_47 Depth=1
                                        ; =>  This Inner Loop Header: Depth=2
	v_lshl_add_u64 v[2:3], s[2:3], 2, v[32:33]
	flat_load_dword v1, v[2:3]
	v_mov_b32_e32 v2, s1
	ds_read_b32 v2, v2
	s_add_i32 s2, s2, -1
	s_add_i32 s1, s1, -4
	s_cmp_gt_i32 s2, s0
	s_waitcnt vmcnt(0) lgkmcnt(0)
	v_fma_f32 v0, -v1, v2, v0
	s_cbranch_scc1 .LBB44_48
.LBB44_49:                              ;   in Loop: Header=BB44_47 Depth=1
	s_add_i32 s2, s0, -1
	v_lshl_add_u64 v[2:3], s[2:3], 2, v[32:33]
	flat_load_dword v1, v[2:3]
	s_mul_i32 s1, s0, 0x104
	v_mov_b32_e32 v6, s1
	ds_read_b32 v6, v6
	s_mov_b32 s4, s9
	s_cmp_le_i32 s33, s0
	s_mov_b32 s2, s33
	s_waitcnt lgkmcnt(0)
	v_mul_f32_e32 v0, v0, v6
	flat_store_dword v[4:5], v0
	s_waitcnt vmcnt(0)
	v_mul_f32_e32 v0, s16, v1
	s_cbranch_scc1 .LBB44_51
.LBB44_50:                              ;   Parent Loop BB44_47 Depth=1
                                        ; =>  This Inner Loop Header: Depth=2
	s_add_i32 s2, s2, -1
	v_lshl_add_u64 v[4:5], s[2:3], 2, v[32:33]
	flat_load_dword v1, v[4:5]
	v_mov_b32_e32 v4, s4
	ds_read_b32 v4, v4
	s_add_i32 s4, s4, -4
	s_cmp_gt_i32 s2, s0
	s_waitcnt vmcnt(0) lgkmcnt(0)
	v_fma_f32 v0, -v1, v4, v0
	s_cbranch_scc1 .LBB44_50
.LBB44_51:                              ;   in Loop: Header=BB44_47 Depth=1
	s_add_i32 s4, s0, -2
	s_mov_b32 s5, s3
	v_lshl_add_u64 v[4:5], s[4:5], 2, v[32:33]
	flat_load_dword v1, v[4:5]
	s_addk_i32 s1, 0xfefc
	v_mov_b32_e32 v6, s1
	ds_read_b32 v6, v6
	s_mov_b32 s5, s10
	s_cmp_le_i32 s7, s4
	s_mov_b32 s2, s7
	s_waitcnt lgkmcnt(0)
	v_mul_f32_e32 v0, v0, v6
	flat_store_dword v[2:3], v0
	s_waitcnt vmcnt(0)
	v_mul_f32_e32 v0, s16, v1
	s_cbranch_scc1 .LBB44_53
.LBB44_52:                              ;   Parent Loop BB44_47 Depth=1
                                        ; =>  This Inner Loop Header: Depth=2
	v_lshl_add_u64 v[2:3], s[2:3], 2, v[32:33]
	flat_load_dword v1, v[2:3]
	v_mov_b32_e32 v2, s5
	ds_read_b32 v2, v2
	s_add_i32 s2, s2, -1
	s_add_i32 s5, s5, -4
	s_cmp_gt_i32 s2, s4
	s_waitcnt vmcnt(0) lgkmcnt(0)
	v_fma_f32 v0, -v1, v2, v0
	s_cbranch_scc1 .LBB44_52
.LBB44_53:                              ;   in Loop: Header=BB44_47 Depth=1
	s_add_i32 s4, s0, -3
	s_mov_b32 s5, s3
	v_lshl_add_u64 v[2:3], s[4:5], 2, v[32:33]
	flat_load_dword v1, v[2:3]
	s_addk_i32 s1, 0xfefc
	v_mov_b32_e32 v6, s1
	ds_read_b32 v6, v6
	s_mov_b32 s5, s11
	s_cmp_le_i32 s7, s4
	s_mov_b32 s2, s7
	s_waitcnt lgkmcnt(0)
	v_mul_f32_e32 v0, v0, v6
	flat_store_dword v[4:5], v0
	s_waitcnt vmcnt(0)
	v_mul_f32_e32 v0, s16, v1
	s_cbranch_scc1 .LBB44_46
.LBB44_54:                              ;   Parent Loop BB44_47 Depth=1
                                        ; =>  This Inner Loop Header: Depth=2
	v_lshl_add_u64 v[4:5], s[2:3], 2, v[32:33]
	flat_load_dword v1, v[4:5]
	v_mov_b32_e32 v4, s5
	ds_read_b32 v4, v4
	s_add_i32 s2, s2, -1
	s_add_i32 s5, s5, -4
	s_cmp_gt_i32 s2, s4
	s_waitcnt vmcnt(0) lgkmcnt(0)
	v_fma_f32 v0, -v1, v4, v0
	s_cbranch_scc1 .LBB44_54
	s_branch .LBB44_46
.LBB44_55:
	s_mov_b64 s[0:1], 0
.LBB44_56:
	s_and_b64 vcc, exec, s[0:1]
	s_cbranch_vccz .LBB44_86
; %bb.57:
	s_cmp_lt_i32 s6, 32
	s_cbranch_scc1 .LBB44_71
; %bb.58:
	s_mov_b32 s35, 0
	s_mov_b32 s17, s16
	;; [unrolled: 1-line block ×35, first 2 shown]
.LBB44_59:                              ; =>This Loop Header: Depth=1
                                        ;     Child Loop BB44_60 Depth 2
                                        ;     Child Loop BB44_62 Depth 2
                                        ;       Child Loop BB44_64 Depth 3
                                        ;       Child Loop BB44_67 Depth 3
	s_mov_b32 s37, s35
	v_lshl_add_u64 v[34:35], s[36:37], 2, v[32:33]
	flat_load_dwordx4 v[0:3], v[34:35] offset:112
	flat_load_dwordx4 v[4:7], v[34:35] offset:96
	;; [unrolled: 1-line block ×7, first 2 shown]
	flat_load_dwordx4 v[50:53], v[34:35]
	s_cmp_eq_u32 s36, 0
	s_mov_b32 s34, s45
	v_mov_b64_e32 v[36:37], v[32:33]
	s_mov_b32 s37, s36
	s_waitcnt vmcnt(0) lgkmcnt(0)
	v_pk_mul_f32 v[28:29], s[28:29], v[0:1]
	v_pk_mul_f32 v[24:25], s[24:25], v[4:5]
	;; [unrolled: 1-line block ×16, first 2 shown]
	s_cbranch_scc1 .LBB44_61
.LBB44_60:                              ;   Parent Loop BB44_59 Depth=1
                                        ; =>  This Inner Loop Header: Depth=2
	flat_load_dword v70, v[36:37]
	v_mov_b32_e32 v66, s34
	ds_read_b128 v[38:41], v66
	ds_read_b128 v[42:45], v66 offset:16
	ds_read_b128 v[46:49], v66 offset:96
	ds_read_b128 v[50:53], v66 offset:112
	ds_read_b128 v[54:57], v66 offset:64
	ds_read_b128 v[58:61], v66 offset:80
	ds_read_b128 v[62:65], v66 offset:32
	ds_read_b128 v[66:69], v66 offset:48
	s_add_i32 s37, s37, -1
	s_addk_i32 s34, 0x100
	v_lshl_add_u64 v[36:37], v[36:37], 0, 4
	s_cmp_eq_u32 s37, 0
	s_waitcnt vmcnt(0) lgkmcnt(0)
	v_pk_fma_f32 v[30:31], v[70:71], v[52:53], v[30:31] op_sel_hi:[0,1,1] neg_lo:[1,0,0] neg_hi:[1,0,0]
	v_pk_fma_f32 v[26:27], v[70:71], v[48:49], v[26:27] op_sel_hi:[0,1,1] neg_lo:[1,0,0] neg_hi:[1,0,0]
	v_pk_fma_f32 v[22:23], v[70:71], v[60:61], v[22:23] op_sel_hi:[0,1,1] neg_lo:[1,0,0] neg_hi:[1,0,0]
	v_pk_fma_f32 v[18:19], v[70:71], v[56:57], v[18:19] op_sel_hi:[0,1,1] neg_lo:[1,0,0] neg_hi:[1,0,0]
	v_pk_fma_f32 v[14:15], v[70:71], v[68:69], v[14:15] op_sel_hi:[0,1,1] neg_lo:[1,0,0] neg_hi:[1,0,0]
	v_pk_fma_f32 v[10:11], v[70:71], v[64:65], v[10:11] op_sel_hi:[0,1,1] neg_lo:[1,0,0] neg_hi:[1,0,0]
	v_pk_fma_f32 v[6:7], v[70:71], v[44:45], v[6:7] op_sel_hi:[0,1,1] neg_lo:[1,0,0] neg_hi:[1,0,0]
	v_pk_fma_f32 v[2:3], v[70:71], v[40:41], v[2:3] op_sel_hi:[0,1,1] neg_lo:[1,0,0] neg_hi:[1,0,0]
	v_pk_fma_f32 v[28:29], v[70:71], v[50:51], v[28:29] op_sel_hi:[0,1,1] neg_lo:[1,0,0] neg_hi:[1,0,0]
	v_pk_fma_f32 v[24:25], v[70:71], v[46:47], v[24:25] op_sel_hi:[0,1,1] neg_lo:[1,0,0] neg_hi:[1,0,0]
	v_pk_fma_f32 v[20:21], v[70:71], v[58:59], v[20:21] op_sel_hi:[0,1,1] neg_lo:[1,0,0] neg_hi:[1,0,0]
	v_pk_fma_f32 v[16:17], v[70:71], v[54:55], v[16:17] op_sel_hi:[0,1,1] neg_lo:[1,0,0] neg_hi:[1,0,0]
	v_pk_fma_f32 v[12:13], v[70:71], v[66:67], v[12:13] op_sel_hi:[0,1,1] neg_lo:[1,0,0] neg_hi:[1,0,0]
	v_pk_fma_f32 v[8:9], v[70:71], v[62:63], v[8:9] op_sel_hi:[0,1,1] neg_lo:[1,0,0] neg_hi:[1,0,0]
	v_pk_fma_f32 v[4:5], v[70:71], v[42:43], v[4:5] op_sel_hi:[0,1,1] neg_lo:[1,0,0] neg_hi:[1,0,0]
	v_pk_fma_f32 v[0:1], v[70:71], v[38:39], v[0:1] op_sel_hi:[0,1,1] neg_lo:[1,0,0] neg_hi:[1,0,0]
	s_cbranch_scc0 .LBB44_60
.LBB44_61:                              ;   in Loop: Header=BB44_59 Depth=1
	s_mov_b64 s[38:39], 0
	s_mov_b32 s37, s44
.LBB44_62:                              ;   Parent Loop BB44_59 Depth=1
                                        ; =>  This Loop Header: Depth=2
                                        ;       Child Loop BB44_64 Depth 3
                                        ;       Child Loop BB44_67 Depth 3
	s_cmp_eq_u32 s38, 0
	s_cbranch_scc1 .LBB44_65
; %bb.63:                               ;   in Loop: Header=BB44_62 Depth=2
	s_mov_b64 s[42:43], 0
	s_mov_b64 s[40:41], s[38:39]
	s_mov_b32 s34, s37
.LBB44_64:                              ;   Parent Loop BB44_59 Depth=1
                                        ;     Parent Loop BB44_62 Depth=2
                                        ; =>    This Inner Loop Header: Depth=3
	v_mov_b32_e32 v37, s34
	s_set_gpr_idx_on s42, gpr_idx(SRC0)
	v_mov_b32_e32 v36, v0
	s_set_gpr_idx_off
	ds_read_b32 v37, v37
	s_add_u32 s42, s42, 1
	s_addc_u32 s43, s43, 0
	s_addk_i32 s34, 0x100
	s_set_gpr_idx_on s38, gpr_idx(SRC0)
	v_mov_b32_e32 v38, v0
	s_set_gpr_idx_off
	s_cmp_eq_u32 s38, s42
	s_waitcnt lgkmcnt(0)
	v_fma_f32 v36, -v36, v37, v38
	s_set_gpr_idx_on s38, gpr_idx(DST)
	v_mov_b32_e32 v0, v36
	s_set_gpr_idx_off
	s_cbranch_scc0 .LBB44_64
	s_branch .LBB44_66
.LBB44_65:                              ;   in Loop: Header=BB44_62 Depth=2
	s_mov_b64 s[40:41], 0
.LBB44_66:                              ;   in Loop: Header=BB44_62 Depth=2
	s_add_i32 s34, s38, s36
	s_mulk_i32 s34, 0x104
	v_mov_b32_e32 v36, s34
	ds_read_b32 v38, v36
	s_ashr_i32 s43, s38, 31
	s_mov_b32 s42, s38
	s_set_gpr_idx_on s40, gpr_idx(SRC0)
	v_mov_b32_e32 v39, v0
	s_set_gpr_idx_off
	v_lshl_add_u64 v[36:37], s[42:43], 2, v[34:35]
	s_waitcnt lgkmcnt(0)
	v_mul_f32_e32 v38, v39, v38
	flat_store_dword v[36:37], v38
	s_or_b32 s42, s38, 1
	s_set_gpr_idx_on s40, gpr_idx(DST)
	v_mov_b32_e32 v0, v38
	s_set_gpr_idx_off
	s_add_u32 s34, s38, 1
	s_mov_b64 s[40:41], 0
	s_mov_b32 s43, 4
.LBB44_67:                              ;   Parent Loop BB44_59 Depth=1
                                        ;     Parent Loop BB44_62 Depth=2
                                        ; =>    This Inner Loop Header: Depth=3
	s_add_i32 s46, s37, s43
	v_mov_b32_e32 v37, s46
	s_set_gpr_idx_on s40, gpr_idx(SRC0)
	v_mov_b32_e32 v36, v0
	s_set_gpr_idx_off
	ds_read_b32 v37, v37
	s_add_u32 s40, s40, 1
	s_set_gpr_idx_on s42, gpr_idx(SRC0)
	v_mov_b32_e32 v38, v0
	s_set_gpr_idx_off
	s_addc_u32 s41, s41, 0
	s_addk_i32 s43, 0x100
	s_cmp_lg_u32 s34, s40
	s_waitcnt lgkmcnt(0)
	v_fma_f32 v36, -v36, v37, v38
	s_set_gpr_idx_on s42, gpr_idx(DST)
	v_mov_b32_e32 v0, v36
	s_set_gpr_idx_off
	s_cbranch_scc1 .LBB44_67
; %bb.68:                               ;   in Loop: Header=BB44_62 Depth=2
	s_add_i32 s34, s42, s36
	s_mulk_i32 s34, 0x104
	v_mov_b32_e32 v37, s34
	ds_read_b32 v37, v37
	s_mov_b32 s34, s38
	s_add_u32 s38, s38, 2
	s_addc_u32 s39, s39, 0
	s_add_i32 s37, s37, 8
	v_lshl_add_u64 v[38:39], s[34:35], 2, v[34:35]
	s_waitcnt lgkmcnt(0)
	v_mul_f32_e32 v36, v36, v37
	s_cmp_eq_u32 s38, 32
	s_set_gpr_idx_on s42, gpr_idx(DST)
	v_mov_b32_e32 v0, v36
	s_set_gpr_idx_off
	flat_store_dword v[38:39], v36 offset:4
	s_cbranch_scc0 .LBB44_62
; %bb.69:                               ;   in Loop: Header=BB44_59 Depth=1
	s_add_i32 s34, s36, 32
	s_add_i32 s36, s36, 63
	s_addk_i32 s45, 0x80
	s_addk_i32 s44, 0x2080
	s_cmp_ge_i32 s36, s33
	s_cbranch_scc1 .LBB44_72
; %bb.70:                               ;   in Loop: Header=BB44_59 Depth=1
	s_mov_b32 s36, s34
	s_branch .LBB44_59
.LBB44_71:
	s_mov_b32 s34, 0
.LBB44_72:
	s_cmp_lt_i32 s34, s33
	s_cbranch_scc0 .LBB44_86
; %bb.73:
	s_add_i32 s0, s34, 3
	s_cmp_ge_i32 s0, s33
	s_cbranch_scc1 .LBB44_80
; %bb.74:
	s_mov_b32 s17, s16
	s_lshl_b32 s1, s34, 2
.LBB44_75:                              ; =>This Loop Header: Depth=1
                                        ;     Child Loop BB44_77 Depth 2
	s_ashr_i32 s35, s34, 31
	v_lshl_add_u64 v[0:1], s[34:35], 2, v[32:33]
	flat_load_dwordx4 v[4:7], v[0:1]
	s_cmp_eq_u32 s34, 0
	s_waitcnt vmcnt(0) lgkmcnt(0)
	v_pk_mul_f32 v[4:5], s[16:17], v[4:5]
	v_pk_mul_f32 v[2:3], s[16:17], v[6:7]
	s_cbranch_scc1 .LBB44_78
; %bb.76:                               ;   in Loop: Header=BB44_75 Depth=1
	v_mov_b64_e32 v[6:7], v[32:33]
	s_mov_b32 s0, s1
	s_mov_b32 s2, s34
.LBB44_77:                              ;   Parent Loop BB44_75 Depth=1
                                        ; =>  This Inner Loop Header: Depth=2
	flat_load_dword v8, v[6:7]
	v_mov_b32_e32 v9, s0
	ds_read2_b32 v[10:11], v9 offset1:1
	ds_read2_b32 v[12:13], v9 offset0:2 offset1:3
	s_add_i32 s2, s2, -1
	s_addk_i32 s0, 0x100
	v_lshl_add_u64 v[6:7], v[6:7], 0, 4
	s_cmp_lg_u32 s2, 0
	s_waitcnt vmcnt(0) lgkmcnt(0)
	v_pk_fma_f32 v[4:5], v[8:9], v[10:11], v[4:5] op_sel_hi:[0,1,1] neg_lo:[1,0,0] neg_hi:[1,0,0]
	v_pk_fma_f32 v[2:3], v[8:9], v[12:13], v[2:3] op_sel_hi:[0,1,1] neg_lo:[1,0,0] neg_hi:[1,0,0]
	s_cbranch_scc1 .LBB44_77
.LBB44_78:                              ;   in Loop: Header=BB44_75 Depth=1
	s_lshl_b32 s0, s34, 2
	s_lshl_b32 s2, s34, 8
	s_add_i32 s0, s0, s2
	v_mov_b32_e32 v7, s0
	ds_read_b32 v6, v7 offset:268
	ds_read2_b32 v[8:9], v7 offset0:2 offset1:3
	ds_read2_b32 v[10:11], v7 offset0:65 offset1:66
	ds_read2_b32 v[12:13], v7 offset1:1
	ds_read2_b32 v[14:15], v7 offset0:130 offset1:131
	s_mul_i32 s0, s34, 0x104
	s_waitcnt lgkmcnt(3)
	v_mov_b32_e32 v16, v8
	s_waitcnt lgkmcnt(2)
	v_mov_b32_e32 v17, v11
	s_waitcnt lgkmcnt(1)
	v_mul_f32_e32 v4, v4, v12
	v_fma_f32 v5, -v4, v13, v5
	v_mul_f32_e32 v5, v5, v10
	v_pk_mul_f32 v[10:11], v[4:5], v[16:17]
	v_fma_f32 v8, -v4, v9, v3
	v_sub_f32_e32 v2, v2, v10
	flat_store_dwordx2 v[0:1], v[4:5]
	v_mov_b32_e32 v3, s0
	v_sub_f32_e32 v2, v2, v11
	ds_read_b32 v9, v3 offset:780
	s_waitcnt lgkmcnt(0)
	v_mov_b32_e32 v7, v15
	v_mul_f32_e32 v3, v2, v14
	v_mov_b32_e32 v2, v5
	v_pk_mul_f32 v[4:5], v[2:3], v[6:7]
	s_add_i32 s0, s34, 4
	v_sub_f32_e32 v2, v8, v4
	v_sub_f32_e32 v2, v2, v5
	s_add_i32 s2, s34, 7
	s_add_i32 s1, s1, 16
	v_mul_f32_e32 v5, v2, v9
	v_mov_b32_e32 v4, v3
	s_cmp_lt_i32 s2, s33
	flat_store_dwordx2 v[0:1], v[4:5] offset:8
	s_cbranch_scc0 .LBB44_81
; %bb.79:                               ;   in Loop: Header=BB44_75 Depth=1
	s_mov_b32 s34, s0
	s_branch .LBB44_75
.LBB44_80:
	s_mov_b32 s0, s34
.LBB44_81:
	s_cmp_ge_i32 s0, s33
	s_cbranch_scc1 .LBB44_86
; %bb.82:
	s_lshl_b32 s2, s0, 2
	s_branch .LBB44_84
.LBB44_83:                              ;   in Loop: Header=BB44_84 Depth=1
	s_mul_i32 s1, s0, 0x104
	v_mov_b32_e32 v1, s1
	ds_read_b32 v1, v1
	s_add_i32 s0, s0, 1
	s_add_i32 s2, s2, 4
	s_cmp_ge_i32 s0, s33
	s_waitcnt lgkmcnt(0)
	v_mul_f32_e32 v0, v0, v1
	flat_store_dword v[2:3], v0
	s_cbranch_scc1 .LBB44_86
.LBB44_84:                              ; =>This Loop Header: Depth=1
                                        ;     Child Loop BB44_85 Depth 2
	s_ashr_i32 s1, s0, 31
	v_lshl_add_u64 v[2:3], s[0:1], 2, v[32:33]
	flat_load_dword v0, v[2:3]
	v_mov_b64_e32 v[4:5], v[32:33]
	s_mov_b32 s1, s2
	s_cmp_eq_u32 s0, 0
	s_mov_b32 s3, s0
	s_waitcnt vmcnt(0) lgkmcnt(0)
	v_mul_f32_e32 v0, s16, v0
	s_cbranch_scc1 .LBB44_83
.LBB44_85:                              ;   Parent Loop BB44_84 Depth=1
                                        ; =>  This Inner Loop Header: Depth=2
	flat_load_dword v1, v[4:5]
	v_mov_b32_e32 v6, s1
	ds_read_b32 v6, v6
	s_add_i32 s3, s3, -1
	s_addk_i32 s1, 0x100
	v_lshl_add_u64 v[4:5], v[4:5], 0, 4
	s_cmp_lg_u32 s3, 0
	s_waitcnt vmcnt(0) lgkmcnt(0)
	v_fma_f32 v0, -v1, v6, v0
	s_cbranch_scc1 .LBB44_85
	s_branch .LBB44_83
.LBB44_86:
	s_endpgm
	.section	.rodata,"a",@progbits
	.p2align	6, 0x0
	.amdhsa_kernel _ZL30rocblas_trsm_small_left_deviceILi64ELi32ELb1EffPKPKfPKPfEv13rocblas_fill_18rocblas_operation_17rocblas_diagonal_iiT3_T4_lilT5_lili
		.amdhsa_group_segment_fixed_size 16384
		.amdhsa_private_segment_fixed_size 0
		.amdhsa_kernarg_size 352
		.amdhsa_user_sgpr_count 2
		.amdhsa_user_sgpr_dispatch_ptr 0
		.amdhsa_user_sgpr_queue_ptr 0
		.amdhsa_user_sgpr_kernarg_segment_ptr 1
		.amdhsa_user_sgpr_dispatch_id 0
		.amdhsa_user_sgpr_kernarg_preload_length 0
		.amdhsa_user_sgpr_kernarg_preload_offset 0
		.amdhsa_user_sgpr_private_segment_size 0
		.amdhsa_uses_dynamic_stack 0
		.amdhsa_enable_private_segment 0
		.amdhsa_system_sgpr_workgroup_id_x 1
		.amdhsa_system_sgpr_workgroup_id_y 0
		.amdhsa_system_sgpr_workgroup_id_z 1
		.amdhsa_system_sgpr_workgroup_info 0
		.amdhsa_system_vgpr_workitem_id 0
		.amdhsa_next_free_vgpr 129
		.amdhsa_next_free_sgpr 96
		.amdhsa_accum_offset 72
		.amdhsa_reserve_vcc 1
		.amdhsa_float_round_mode_32 0
		.amdhsa_float_round_mode_16_64 0
		.amdhsa_float_denorm_mode_32 3
		.amdhsa_float_denorm_mode_16_64 3
		.amdhsa_dx10_clamp 1
		.amdhsa_ieee_mode 1
		.amdhsa_fp16_overflow 0
		.amdhsa_tg_split 0
		.amdhsa_exception_fp_ieee_invalid_op 0
		.amdhsa_exception_fp_denorm_src 0
		.amdhsa_exception_fp_ieee_div_zero 0
		.amdhsa_exception_fp_ieee_overflow 0
		.amdhsa_exception_fp_ieee_underflow 0
		.amdhsa_exception_fp_ieee_inexact 0
		.amdhsa_exception_int_div_zero 0
	.end_amdhsa_kernel
	.section	.text._ZL30rocblas_trsm_small_left_deviceILi64ELi32ELb1EffPKPKfPKPfEv13rocblas_fill_18rocblas_operation_17rocblas_diagonal_iiT3_T4_lilT5_lili,"axG",@progbits,_ZL30rocblas_trsm_small_left_deviceILi64ELi32ELb1EffPKPKfPKPfEv13rocblas_fill_18rocblas_operation_17rocblas_diagonal_iiT3_T4_lilT5_lili,comdat
.Lfunc_end44:
	.size	_ZL30rocblas_trsm_small_left_deviceILi64ELi32ELb1EffPKPKfPKPfEv13rocblas_fill_18rocblas_operation_17rocblas_diagonal_iiT3_T4_lilT5_lili, .Lfunc_end44-_ZL30rocblas_trsm_small_left_deviceILi64ELi32ELb1EffPKPKfPKPfEv13rocblas_fill_18rocblas_operation_17rocblas_diagonal_iiT3_T4_lilT5_lili
                                        ; -- End function
	.set _ZL30rocblas_trsm_small_left_deviceILi64ELi32ELb1EffPKPKfPKPfEv13rocblas_fill_18rocblas_operation_17rocblas_diagonal_iiT3_T4_lilT5_lili.num_vgpr, 72
	.set _ZL30rocblas_trsm_small_left_deviceILi64ELi32ELb1EffPKPKfPKPfEv13rocblas_fill_18rocblas_operation_17rocblas_diagonal_iiT3_T4_lilT5_lili.num_agpr, 0
	.set _ZL30rocblas_trsm_small_left_deviceILi64ELi32ELb1EffPKPKfPKPfEv13rocblas_fill_18rocblas_operation_17rocblas_diagonal_iiT3_T4_lilT5_lili.numbered_sgpr, 47
	.set _ZL30rocblas_trsm_small_left_deviceILi64ELi32ELb1EffPKPKfPKPfEv13rocblas_fill_18rocblas_operation_17rocblas_diagonal_iiT3_T4_lilT5_lili.num_named_barrier, 0
	.set _ZL30rocblas_trsm_small_left_deviceILi64ELi32ELb1EffPKPKfPKPfEv13rocblas_fill_18rocblas_operation_17rocblas_diagonal_iiT3_T4_lilT5_lili.private_seg_size, 0
	.set _ZL30rocblas_trsm_small_left_deviceILi64ELi32ELb1EffPKPKfPKPfEv13rocblas_fill_18rocblas_operation_17rocblas_diagonal_iiT3_T4_lilT5_lili.uses_vcc, 1
	.set _ZL30rocblas_trsm_small_left_deviceILi64ELi32ELb1EffPKPKfPKPfEv13rocblas_fill_18rocblas_operation_17rocblas_diagonal_iiT3_T4_lilT5_lili.uses_flat_scratch, 0
	.set _ZL30rocblas_trsm_small_left_deviceILi64ELi32ELb1EffPKPKfPKPfEv13rocblas_fill_18rocblas_operation_17rocblas_diagonal_iiT3_T4_lilT5_lili.has_dyn_sized_stack, 0
	.set _ZL30rocblas_trsm_small_left_deviceILi64ELi32ELb1EffPKPKfPKPfEv13rocblas_fill_18rocblas_operation_17rocblas_diagonal_iiT3_T4_lilT5_lili.has_recursion, 0
	.set _ZL30rocblas_trsm_small_left_deviceILi64ELi32ELb1EffPKPKfPKPfEv13rocblas_fill_18rocblas_operation_17rocblas_diagonal_iiT3_T4_lilT5_lili.has_indirect_call, 0
	.section	.AMDGPU.csdata,"",@progbits
; Kernel info:
; codeLenInByte = 5044
; TotalNumSgprs: 53
; NumVgprs: 72
; NumAgprs: 0
; TotalNumVgprs: 72
; ScratchSize: 0
; MemoryBound: 1
; FloatMode: 240
; IeeeMode: 1
; LDSByteSize: 16384 bytes/workgroup (compile time only)
; SGPRBlocks: 12
; VGPRBlocks: 16
; NumSGPRsForWavesPerEU: 102
; NumVGPRsForWavesPerEU: 129
; AccumOffset: 72
; Occupancy: 3
; WaveLimiterHint : 1
; COMPUTE_PGM_RSRC2:SCRATCH_EN: 0
; COMPUTE_PGM_RSRC2:USER_SGPR: 2
; COMPUTE_PGM_RSRC2:TRAP_HANDLER: 0
; COMPUTE_PGM_RSRC2:TGID_X_EN: 1
; COMPUTE_PGM_RSRC2:TGID_Y_EN: 0
; COMPUTE_PGM_RSRC2:TGID_Z_EN: 1
; COMPUTE_PGM_RSRC2:TIDIG_COMP_CNT: 0
; COMPUTE_PGM_RSRC3_GFX90A:ACCUM_OFFSET: 17
; COMPUTE_PGM_RSRC3_GFX90A:TG_SPLIT: 0
	.section	.text._ZL31rocblas_trsm_small_right_deviceIffPKPKfPKPfLi64EEv13rocblas_fill_18rocblas_operation_17rocblas_diagonal_iiT0_T1_lilT2_lili,"axG",@progbits,_ZL31rocblas_trsm_small_right_deviceIffPKPKfPKPfLi64EEv13rocblas_fill_18rocblas_operation_17rocblas_diagonal_iiT0_T1_lilT2_lili,comdat
	.globl	_ZL31rocblas_trsm_small_right_deviceIffPKPKfPKPfLi64EEv13rocblas_fill_18rocblas_operation_17rocblas_diagonal_iiT0_T1_lilT2_lili ; -- Begin function _ZL31rocblas_trsm_small_right_deviceIffPKPKfPKPfLi64EEv13rocblas_fill_18rocblas_operation_17rocblas_diagonal_iiT0_T1_lilT2_lili
	.p2align	8
	.type	_ZL31rocblas_trsm_small_right_deviceIffPKPKfPKPfLi64EEv13rocblas_fill_18rocblas_operation_17rocblas_diagonal_iiT0_T1_lilT2_lili,@function
_ZL31rocblas_trsm_small_right_deviceIffPKPKfPKPfLi64EEv13rocblas_fill_18rocblas_operation_17rocblas_diagonal_iiT0_T1_lilT2_lili: ; @_ZL31rocblas_trsm_small_right_deviceIffPKPKfPKPfLi64EEv13rocblas_fill_18rocblas_operation_17rocblas_diagonal_iiT0_T1_lilT2_lili
; %bb.0:
	s_load_dwordx4 s[8:11], s[0:1], 0x38
	s_load_dwordx4 s[4:7], s[0:1], 0x0
	s_load_dwordx2 s[16:17], s[0:1], 0x10
	s_mov_b32 s20, s3
	s_mov_b32 s21, 0
	s_lshl_b64 s[24:25], s[20:21], 3
	s_waitcnt lgkmcnt(0)
	s_add_u32 s8, s8, s24
	s_addc_u32 s9, s9, s25
	s_load_dwordx2 s[8:9], s[8:9], 0x0
	s_min_i32 s26, s16, 64
	v_cmp_gt_i32_e32 vcc, s26, v0
	s_and_saveexec_b64 s[18:19], vcc
	s_cbranch_execz .LBB45_10
; %bb.1:
	s_load_dwordx4 s[12:15], s[0:1], 0x18
	s_load_dword s22, s[0:1], 0x28
	v_lshlrev_b32_e32 v2, 2, v0
	v_mov_b32_e32 v3, 0
	s_mov_b32 s3, 1
	s_waitcnt lgkmcnt(0)
	s_add_u32 s12, s12, s24
	s_addc_u32 s13, s13, s25
	s_load_dwordx2 s[12:13], s[12:13], 0x0
	s_cmp_lt_u32 s26, 2
	s_cselect_b64 s[28:29], -1, 0
	s_cmp_lg_u32 s22, 1
	s_cselect_b64 s[30:31], -1, 0
	s_or_b64 s[28:29], s[28:29], s[30:31]
	s_mov_b64 s[24:25], -1
	s_and_b64 vcc, exec, s[28:29]
	s_cbranch_vccnz .LBB45_5
; %bb.2:
	s_lshl_b64 s[20:21], s[14:15], 2
	s_waitcnt lgkmcnt(0)
	s_add_u32 s20, s12, s20
	s_addc_u32 s21, s13, s21
	v_lshl_add_u64 v[4:5], s[20:21], 0, v[2:3]
	s_and_b32 s21, s26, -2
	s_mov_b32 s20, 0
	s_mov_b32 s23, s21
.LBB45_3:                               ; =>This Inner Loop Header: Depth=1
	flat_load_dwordx2 v[6:7], v[4:5]
	v_lshl_or_b32 v1, s20, 8, v2
	v_lshl_or_b32 v3, s3, 8, v2
	s_add_i32 s20, s20, 2
	s_add_i32 s3, s3, 2
	s_add_i32 s23, s23, -2
	v_lshl_add_u64 v[4:5], v[4:5], 0, 8
	s_cmp_lg_u32 s23, 0
	s_waitcnt vmcnt(0) lgkmcnt(0)
	ds_write_b32 v1, v6
	ds_write_b32 v3, v7
	s_cbranch_scc1 .LBB45_3
; %bb.4:
	s_cmp_lg_u32 s26, s21
	s_cselect_b64 s[24:25], -1, 0
.LBB45_5:
	s_and_b64 vcc, exec, s[24:25]
	s_cbranch_vccz .LBB45_8
; %bb.6:
	s_ashr_i32 s23, s22, 31
	s_mul_hi_u32 s3, s22, s21
	s_mul_i32 s20, s23, s21
	s_add_i32 s25, s3, s20
	s_mul_i32 s24, s22, s21
	s_lshl_b64 s[24:25], s[24:25], 2
	s_lshl_b64 s[14:15], s[14:15], 2
	s_add_u32 s3, s24, s14
	s_addc_u32 s14, s25, s15
	s_waitcnt lgkmcnt(0)
	s_add_u32 s12, s12, s3
	v_mov_b32_e32 v3, 0
	s_addc_u32 s13, s13, s14
	v_lshl_add_u64 v[4:5], s[12:13], 0, v[2:3]
	s_lshl_b64 s[12:13], s[22:23], 2
	s_sub_i32 s3, s26, s21
	v_lshl_or_b32 v1, s21, 8, v2
.LBB45_7:                               ; =>This Inner Loop Header: Depth=1
	flat_load_dword v3, v[4:5]
	s_add_i32 s3, s3, -1
	v_lshl_add_u64 v[4:5], v[4:5], 0, s[12:13]
	s_cmp_eq_u32 s3, 0
	s_waitcnt vmcnt(0) lgkmcnt(0)
	ds_write_b32 v1, v3
	v_add_u32_e32 v1, 0x100, v1
	s_cbranch_scc0 .LBB45_7
.LBB45_8:
	s_cmpk_eq_i32 s6, 0x84
	s_cbranch_scc0 .LBB45_10
; %bb.9:
	v_lshl_or_b32 v1, v0, 8, v2
	v_mov_b32_e32 v2, 1.0
	ds_write_b32 v1, v2
.LBB45_10:
	s_or_b64 exec, exec, s[18:19]
	s_load_dword s3, s[0:1], 0x60
	s_load_dword s6, s[0:1], 0x48
	s_lshl_b64 s[10:11], s[10:11], 2
	s_waitcnt lgkmcnt(0)
	s_add_u32 s0, s8, s10
	s_addc_u32 s1, s9, s11
	s_lshl_b32 s12, s2, 6
	s_add_i32 s3, s3, -1
	s_sub_i32 s7, s7, s12
	s_cmp_ge_u32 s2, s3
	s_cselect_b32 s7, s7, 64
	s_ashr_i32 s3, s2, 31
	s_lshl_b64 s[2:3], s[2:3], 8
	s_add_u32 s12, s0, s2
	s_addc_u32 s13, s1, s3
	v_cmp_gt_i32_e64 s[0:1], s7, v0
	s_and_saveexec_b64 s[14:15], s[0:1]
	s_cbranch_execz .LBB45_19
; %bb.11:
	s_cmp_lt_i32 s16, 1
	s_cbranch_scc1 .LBB45_19
; %bb.12:
	s_cmp_eq_u32 s16, 1
	s_cselect_b64 s[18:19], -1, 0
	s_cmp_lg_u32 s6, 1
	s_cselect_b64 s[20:21], -1, 0
	s_or_b64 s[18:19], s[18:19], s[20:21]
	v_mov_b32_e32 v3, 0
	s_and_b64 vcc, exec, s[18:19]
	s_cbranch_vccnz .LBB45_16
; %bb.13:
	v_lshlrev_b32_e32 v2, 2, v0
	v_mov_b32_e32 v1, 0x4000
	s_and_b32 s20, s16, 0x7ffffffe
	v_lshl_add_u64 v[2:3], s[12:13], 0, v[2:3]
	v_lshl_or_b32 v1, v0, 2, v1
	s_mov_b32 s18, s17
	s_mov_b32 s19, s17
	;; [unrolled: 1-line block ×5, first 2 shown]
.LBB45_14:                              ; =>This Inner Loop Header: Depth=1
	flat_load_dwordx2 v[4:5], v[2:3]
	v_lshl_add_u32 v6, s21, 8, v1
	v_lshl_add_u32 v7, s7, 8, v1
	s_add_i32 s21, s21, 2
	s_add_i32 s7, s7, 2
	s_add_i32 s22, s22, -2
	v_lshl_add_u64 v[2:3], v[2:3], 0, 8
	s_cmp_lg_u32 s22, 0
	s_waitcnt vmcnt(0) lgkmcnt(0)
	v_pk_mul_f32 v[4:5], s[18:19], v[4:5]
	ds_write_b32 v6, v4
	ds_write_b32 v7, v5
	s_cbranch_scc1 .LBB45_14
; %bb.15:
	s_cmp_lg_u32 s16, s20
	s_cselect_b64 s[18:19], -1, 0
	s_and_b64 vcc, exec, s[18:19]
	s_cbranch_vccnz .LBB45_17
	s_branch .LBB45_19
.LBB45_16:
	s_mov_b32 s20, 0
	s_cbranch_execz .LBB45_19
.LBB45_17:
	s_mul_hi_i32 s19, s6, s20
	s_mul_i32 s18, s6, s20
	s_ashr_i32 s7, s6, 31
	s_sub_i32 s21, s16, s20
	s_lshl_b64 s[18:19], s[18:19], 2
	s_add_u32 s18, s18, s2
	s_addc_u32 s19, s19, s3
	s_add_u32 s18, s18, s10
	s_addc_u32 s19, s19, s11
	v_lshlrev_b32_e32 v4, 2, v0
	s_add_u32 s18, s8, s18
	v_mov_b32_e32 v5, 0
	s_addc_u32 s19, s9, s19
	v_lshl_or_b32 v1, s20, 8, v4
	v_lshl_add_u64 v[2:3], s[18:19], 0, v[4:5]
	s_lshl_b64 s[18:19], s[6:7], 2
	v_add_u32_e32 v1, 0x4000, v1
.LBB45_18:                              ; =>This Inner Loop Header: Depth=1
	flat_load_dword v4, v[2:3]
	s_add_i32 s21, s21, -1
	v_lshl_add_u64 v[2:3], v[2:3], 0, s[18:19]
	s_cmp_lg_u32 s21, 0
	s_waitcnt vmcnt(0) lgkmcnt(0)
	v_mul_f32_e32 v4, s17, v4
	ds_write_b32 v1, v4
	v_add_u32_e32 v1, 0x100, v1
	s_cbranch_scc1 .LBB45_18
.LBB45_19:
	s_or_b64 exec, exec, s[14:15]
	s_cmpk_eq_i32 s5, 0x6f
	s_cselect_b64 s[18:19], -1, 0
	s_cmpk_lg_i32 s4, 0x79
	s_cselect_b64 s[14:15], -1, 0
	s_cmpk_eq_i32 s4, 0x79
	s_cselect_b64 s[20:21], -1, 0
	s_and_b64 s[20:21], s[20:21], s[18:19]
	s_andn2_b64 vcc, exec, s[20:21]
	s_mov_b64 s[20:21], -1
	s_waitcnt lgkmcnt(0)
	; wave barrier
	s_cbranch_vccz .LBB45_77
; %bb.20:
	s_cmpk_lg_i32 s4, 0x7a
	s_cselect_b64 s[4:5], -1, 0
	s_xor_b64 s[18:19], s[18:19], -1
	s_add_i32 s7, s26, -1
	s_or_b64 s[18:19], s[4:5], s[18:19]
	v_mov_b32_e32 v1, 0x4000
	s_cmp_gt_i32 s16, 3
	v_lshl_or_b32 v1, v0, 2, v1
	s_cselect_b64 s[4:5], -1, 0
	s_and_b64 vcc, exec, s[18:19]
	s_cbranch_vccz .LBB45_56
; %bb.21:
	s_andn2_b64 vcc, exec, s[14:15]
	s_mov_b64 s[14:15], -1
	s_cbranch_vccnz .LBB45_35
; %bb.22:
	s_andn2_b64 vcc, exec, s[4:5]
	s_mov_b32 s17, 0
	s_cbranch_vccnz .LBB45_29
; %bb.23:
	v_mov_b32_e32 v2, 0x4000
	v_lshl_or_b32 v8, v0, 2, v2
	s_mov_b32 s14, 0
	s_mov_b32 s15, 0
.LBB45_24:                              ; =>This Loop Header: Depth=1
                                        ;     Child Loop BB45_25 Depth 2
	s_lshl_b32 s18, s15, 8
	v_add_u32_e32 v10, s18, v1
	s_or_b32 s17, s15, 1
	ds_read2st64_b32 v[6:7], v10 offset1:2
	v_lshl_add_u32 v11, s17, 8, v1
	s_or_b32 s19, s18, 0x300
	v_add_u32_e32 v9, s19, v1
	ds_read_b32 v5, v11
	ds_read_b32 v3, v9
	s_cmp_eq_u32 s15, 0
	v_mov_b32_e32 v12, v8
	s_mov_b32 s19, s14
	s_mov_b32 s20, s15
	s_waitcnt lgkmcnt(2)
	v_mov_b32_e32 v4, v6
	v_mov_b32_e32 v2, v7
	s_cbranch_scc1 .LBB45_27
.LBB45_25:                              ;   Parent Loop BB45_24 Depth=1
                                        ; =>  This Inner Loop Header: Depth=2
	v_mov_b32_e32 v7, s19
	ds_read_b32 v6, v12
	ds_read_b128 v[14:17], v7
	s_add_i32 s20, s20, -1
	s_addk_i32 s19, 0x100
	v_add_u32_e32 v12, 0x100, v12
	s_cmp_eq_u32 s20, 0
	s_waitcnt lgkmcnt(0)
	v_pk_fma_f32 v[4:5], v[6:7], v[14:15], v[4:5] op_sel_hi:[0,1,1] neg_lo:[1,0,0] neg_hi:[1,0,0]
	v_pk_fma_f32 v[2:3], v[6:7], v[16:17], v[2:3] op_sel_hi:[0,1,1] neg_lo:[1,0,0] neg_hi:[1,0,0]
	s_cbranch_scc0 .LBB45_25
; %bb.26:                               ;   in Loop: Header=BB45_24 Depth=1
	v_mov_b32_e32 v7, v2
	v_mov_b32_e32 v6, v4
.LBB45_27:                              ;   in Loop: Header=BB45_24 Depth=1
	s_lshl_b32 s20, s15, 2
	s_add_i32 s21, s20, s18
	v_mov_b32_e32 v18, s21
	ds_read_b128 v[12:15], v18
	ds_read2_b32 v[16:17], v18 offset0:65 offset1:66
	s_addk_i32 s21, 0x104
	s_lshl_b32 s17, s17, 2
	s_sub_i32 s17, s21, s17
	s_waitcnt lgkmcnt(1)
	v_div_scale_f32 v4, s[18:19], v12, v12, v6
	v_rcp_f32_e32 v19, v4
	v_div_scale_f32 v20, vcc, v6, v12, v6
	s_add_i32 s17, s17, s20
	v_fma_f32 v21, -v4, v19, 1.0
	v_fmac_f32_e32 v19, v21, v19
	v_mul_f32_e32 v21, v20, v19
	v_fma_f32 v22, -v4, v21, v20
	v_fmac_f32_e32 v21, v22, v19
	v_fma_f32 v4, -v4, v21, v20
	v_div_fmas_f32 v4, v4, v19, v21
	v_div_fixup_f32 v6, v4, v12, v6
	v_fma_f32 v4, -v6, v13, v5
	s_waitcnt lgkmcnt(0)
	v_div_scale_f32 v5, s[18:19], v16, v16, v4
	v_rcp_f32_e32 v12, v5
	v_div_scale_f32 v13, vcc, v4, v16, v4
	v_fma_f32 v7, -v6, v14, v7
	v_fma_f32 v19, -v5, v12, 1.0
	v_fmac_f32_e32 v12, v19, v12
	v_mul_f32_e32 v19, v13, v12
	v_fma_f32 v20, -v5, v19, v13
	v_fmac_f32_e32 v19, v20, v12
	v_fma_f32 v5, -v5, v19, v13
	v_div_fmas_f32 v5, v5, v12, v19
	v_div_fixup_f32 v12, v5, v16, v4
	ds_read_b64 v[4:5], v18 offset:520
	ds_read_b32 v13, v18 offset:780
	v_fma_f32 v7, -v12, v17, v7
	v_mov_b32_e32 v17, s17
	ds_read_b32 v17, v17 offset:12
	s_waitcnt lgkmcnt(2)
	v_div_scale_f32 v14, s[18:19], v4, v4, v7
	v_rcp_f32_e32 v16, v14
	v_fma_f32 v3, -v6, v15, v3
	s_waitcnt lgkmcnt(0)
	v_fma_f32 v3, -v12, v17, v3
	v_add_u32_e32 v2, 0x200, v10
	v_fma_f32 v18, -v14, v16, 1.0
	v_fmac_f32_e32 v16, v18, v16
	v_div_scale_f32 v18, vcc, v7, v4, v7
	v_mul_f32_e32 v19, v18, v16
	v_fma_f32 v20, -v14, v19, v18
	v_fmac_f32_e32 v19, v20, v16
	v_fma_f32 v14, -v14, v19, v18
	v_div_fmas_f32 v14, v14, v16, v19
	v_div_fixup_f32 v4, v14, v4, v7
	v_fma_f32 v3, -v4, v5, v3
	v_div_scale_f32 v5, s[18:19], v13, v13, v3
	v_rcp_f32_e32 v7, v5
	ds_write_b32 v10, v6
	ds_write_b32 v11, v12
	;; [unrolled: 1-line block ×3, first 2 shown]
	s_add_i32 s17, s15, 4
	s_add_i32 s15, s15, 7
	v_fma_f32 v2, -v5, v7, 1.0
	v_fmac_f32_e32 v7, v2, v7
	v_div_scale_f32 v2, vcc, v3, v13, v3
	v_mul_f32_e32 v4, v2, v7
	v_fma_f32 v6, -v5, v4, v2
	v_fmac_f32_e32 v4, v6, v7
	v_fma_f32 v2, -v5, v4, v2
	v_div_fmas_f32 v2, v2, v7, v4
	s_add_i32 s14, s14, 16
	v_div_fixup_f32 v2, v2, v13, v3
	s_cmp_ge_i32 s15, s26
	ds_write_b32 v9, v2
	s_cbranch_scc1 .LBB45_29
; %bb.28:                               ;   in Loop: Header=BB45_24 Depth=1
	s_mov_b32 s15, s17
	s_branch .LBB45_24
.LBB45_29:
	s_cmp_ge_i32 s17, s26
	s_cbranch_scc1 .LBB45_34
; %bb.30:
	v_mov_b32_e32 v2, 0x4000
	s_lshl_b32 s14, s17, 2
	v_lshl_or_b32 v2, v0, 2, v2
	s_branch .LBB45_32
.LBB45_31:                              ;   in Loop: Header=BB45_32 Depth=1
	s_lshl_b32 s18, s17, 2
	s_add_i32 s15, s18, s15
	v_mov_b32_e32 v5, s15
	ds_read_b32 v5, v5
	s_add_i32 s17, s17, 1
	s_add_i32 s14, s14, 4
	s_cmp_ge_i32 s17, s26
	s_waitcnt lgkmcnt(0)
	v_div_scale_f32 v6, s[18:19], v5, v5, v4
	v_rcp_f32_e32 v7, v6
	v_div_scale_f32 v8, vcc, v4, v5, v4
	v_fma_f32 v9, -v6, v7, 1.0
	v_fmac_f32_e32 v7, v9, v7
	v_mul_f32_e32 v9, v8, v7
	v_fma_f32 v10, -v6, v9, v8
	v_fmac_f32_e32 v9, v10, v7
	v_fma_f32 v6, -v6, v9, v8
	v_div_fmas_f32 v6, v6, v7, v9
	v_div_fixup_f32 v4, v6, v5, v4
	ds_write_b32 v3, v4
	s_cbranch_scc1 .LBB45_34
.LBB45_32:                              ; =>This Loop Header: Depth=1
                                        ;     Child Loop BB45_33 Depth 2
	s_lshl_b32 s15, s17, 8
	v_add_u32_e32 v3, s15, v1
	ds_read_b32 v4, v3
	s_cmp_eq_u32 s17, 0
	v_mov_b32_e32 v5, v2
	s_mov_b32 s18, s14
	s_mov_b32 s19, s17
	s_cbranch_scc1 .LBB45_31
.LBB45_33:                              ;   Parent Loop BB45_32 Depth=1
                                        ; =>  This Inner Loop Header: Depth=2
	v_mov_b32_e32 v7, s18
	ds_read_b32 v6, v5
	ds_read_b32 v7, v7
	s_add_i32 s19, s19, -1
	s_addk_i32 s18, 0x100
	v_add_u32_e32 v5, 0x100, v5
	s_cmp_eq_u32 s19, 0
	s_waitcnt lgkmcnt(0)
	v_fma_f32 v4, -v6, v7, v4
	s_cbranch_scc0 .LBB45_33
	s_branch .LBB45_31
.LBB45_34:
	s_mov_b64 s[14:15], 0
.LBB45_35:
	s_and_b64 vcc, exec, s[14:15]
	s_cbranch_vccz .LBB45_55
; %bb.36:
	s_andn2_b64 vcc, exec, s[4:5]
	s_mov_b32 s17, s7
	s_cbranch_vccnz .LBB45_42
; %bb.37:
	v_lshlrev_b32_e32 v2, 2, v0
	s_mul_i32 s14, s26, 0x104
	v_lshl_or_b32 v2, s26, 8, v2
	s_addk_i32 s14, 0xfef0
	v_add_u32_e32 v6, 0x3f00, v2
	s_mov_b32 s15, s7
.LBB45_38:                              ; =>This Loop Header: Depth=1
                                        ;     Child Loop BB45_39 Depth 2
	s_add_i32 s20, s15, -3
	v_lshl_add_u32 v8, s15, 8, v1
	s_add_i32 s19, s15, -1
	s_add_i32 s18, s15, -2
	s_lshl_b32 s17, s20, 8
	v_lshl_add_u32 v9, s19, 8, v1
	v_lshl_add_u32 v10, s18, 8, v1
	v_add_u32_e32 v7, s17, v1
	ds_read_b32 v5, v8
	ds_read_b32 v4, v9
	;; [unrolled: 1-line block ×4, first 2 shown]
	s_cmp_le_i32 s7, s15
	v_mov_b32_e32 v11, v6
	s_mov_b32 s21, s14
	s_mov_b32 s22, s7
	s_cbranch_scc1 .LBB45_40
.LBB45_39:                              ;   Parent Loop BB45_38 Depth=1
                                        ; =>  This Inner Loop Header: Depth=2
	v_mov_b32_e32 v13, s21
	ds_read_b32 v12, v11
	ds_read2_b32 v[14:15], v13 offset0:2 offset1:3
	ds_read2_b32 v[16:17], v13 offset1:1
	s_add_i32 s22, s22, -1
	s_addk_i32 s21, 0xff00
	v_add_u32_e32 v11, 0xffffff00, v11
	s_cmp_le_i32 s22, s15
	s_waitcnt lgkmcnt(1)
	v_pk_fma_f32 v[4:5], v[12:13], v[14:15], v[4:5] op_sel_hi:[0,1,1] neg_lo:[1,0,0] neg_hi:[1,0,0]
	s_waitcnt lgkmcnt(0)
	v_pk_fma_f32 v[2:3], v[12:13], v[16:17], v[2:3] op_sel_hi:[0,1,1] neg_lo:[1,0,0] neg_hi:[1,0,0]
	s_cbranch_scc0 .LBB45_39
.LBB45_40:                              ;   in Loop: Header=BB45_38 Depth=1
	s_lshl_b32 s22, s20, 2
	s_mul_i32 s20, s15, 0x104
	s_lshl_b32 s21, s19, 2
	s_add_i32 s23, s20, -4
	s_lshl_b32 s19, s19, 8
	v_mov_b32_e32 v11, s23
	s_add_i32 s23, s21, s19
	s_add_i32 s20, s20, -12
	s_add_i32 s19, s22, s19
	v_mov_b32_e32 v14, s23
	v_mov_b32_e32 v15, s20
	;; [unrolled: 1-line block ×3, first 2 shown]
	ds_read2_b32 v[12:13], v11 offset1:1
	ds_read_b32 v11, v14
	ds_read2_b32 v[14:15], v15 offset1:1
	ds_read2_b32 v[16:17], v16 offset1:1
	s_lshl_b32 s18, s18, 2
	s_waitcnt lgkmcnt(3)
	v_div_scale_f32 v18, s[20:21], v13, v13, v5
	v_rcp_f32_e32 v19, v18
	s_sub_i32 s18, s23, s18
	s_add_i32 s18, s18, s22
	s_addk_i32 s18, 0xfefc
	v_fma_f32 v20, -v18, v19, 1.0
	v_fmac_f32_e32 v19, v20, v19
	v_div_scale_f32 v20, vcc, v5, v13, v5
	v_mul_f32_e32 v21, v20, v19
	v_fma_f32 v22, -v18, v21, v20
	v_fmac_f32_e32 v21, v22, v19
	v_fma_f32 v18, -v18, v21, v20
	v_div_fmas_f32 v18, v18, v19, v21
	v_div_fixup_f32 v13, v18, v13, v5
	v_fma_f32 v4, -v13, v12, v4
	s_waitcnt lgkmcnt(2)
	v_div_scale_f32 v5, s[20:21], v11, v11, v4
	v_rcp_f32_e32 v12, v5
	s_waitcnt lgkmcnt(1)
	v_fma_f32 v3, -v13, v15, v3
	s_add_i32 s17, s22, s17
	v_fma_f32 v2, -v13, v14, v2
	v_fma_f32 v18, -v5, v12, 1.0
	v_fmac_f32_e32 v12, v18, v12
	v_div_scale_f32 v18, vcc, v4, v11, v4
	v_mul_f32_e32 v19, v18, v12
	v_fma_f32 v20, -v5, v19, v18
	v_fmac_f32_e32 v19, v20, v12
	v_fma_f32 v5, -v5, v19, v18
	v_div_fmas_f32 v5, v5, v12, v19
	v_div_fixup_f32 v11, v5, v11, v4
	v_mov_b32_e32 v4, s18
	ds_read2_b32 v[4:5], v4 offset1:1
	s_waitcnt lgkmcnt(1)
	v_fma_f32 v3, -v11, v17, v3
	v_mov_b32_e32 v12, s17
	ds_read_b32 v12, v12
	v_fma_f32 v2, -v11, v16, v2
	s_waitcnt lgkmcnt(1)
	v_div_scale_f32 v15, s[18:19], v5, v5, v3
	v_rcp_f32_e32 v17, v15
	s_add_i32 s17, s15, -4
	s_add_i32 s14, s14, -16
	s_cmp_lt_i32 s15, 7
	v_fma_f32 v18, -v15, v17, 1.0
	v_fmac_f32_e32 v17, v18, v17
	v_div_scale_f32 v18, vcc, v3, v5, v3
	v_mul_f32_e32 v19, v18, v17
	v_fma_f32 v20, -v15, v19, v18
	v_fmac_f32_e32 v19, v20, v17
	v_fma_f32 v15, -v15, v19, v18
	v_div_fmas_f32 v15, v15, v17, v19
	v_div_fixup_f32 v3, v15, v5, v3
	v_fma_f32 v2, -v3, v4, v2
	s_waitcnt lgkmcnt(0)
	v_div_scale_f32 v4, s[18:19], v12, v12, v2
	v_rcp_f32_e32 v5, v4
	ds_write_b32 v8, v13
	ds_write_b32 v9, v11
	;; [unrolled: 1-line block ×3, first 2 shown]
	v_fma_f32 v3, -v4, v5, 1.0
	v_fmac_f32_e32 v5, v3, v5
	v_div_scale_f32 v3, vcc, v2, v12, v2
	v_mul_f32_e32 v8, v3, v5
	v_fma_f32 v9, -v4, v8, v3
	v_fmac_f32_e32 v8, v9, v5
	v_fma_f32 v3, -v4, v8, v3
	v_div_fmas_f32 v3, v3, v5, v8
	v_div_fixup_f32 v2, v3, v12, v2
	ds_write_b32 v7, v2
	s_cbranch_scc1 .LBB45_42
; %bb.41:                               ;   in Loop: Header=BB45_38 Depth=1
	s_mov_b32 s15, s17
	s_branch .LBB45_38
.LBB45_42:
	s_cmp_lt_i32 s17, 0
	s_cbranch_scc1 .LBB45_55
; %bb.43:
	s_bitcmp1_b32 s17, 0
	s_cselect_b64 s[14:15], -1, 0
	s_and_b64 vcc, exec, s[14:15]
	s_mov_b32 s14, s17
	s_cbranch_vccnz .LBB45_48
; %bb.44:
	s_lshl_b32 s14, s17, 8
	v_add_u32_e32 v2, s14, v1
	ds_read_b32 v3, v2
	s_cmp_le_i32 s7, s17
	s_cbranch_scc1 .LBB45_47
; %bb.45:
	s_lshl_b32 s18, s26, 8
	s_lshl_b32 s15, s17, 2
	s_add_i32 s15, s18, s15
	v_lshl_or_b32 v4, v0, 2, s18
	s_addk_i32 s15, 0xff00
	v_add_u32_e32 v4, 0x3f00, v4
	s_mov_b32 s18, s7
.LBB45_46:                              ; =>This Inner Loop Header: Depth=1
	v_mov_b32_e32 v6, s15
	ds_read_b32 v5, v4
	ds_read_b32 v6, v6
	s_add_i32 s18, s18, -1
	s_addk_i32 s15, 0xff00
	v_add_u32_e32 v4, 0xffffff00, v4
	s_cmp_gt_u32 s18, s17
	s_waitcnt lgkmcnt(0)
	v_fma_f32 v3, -v5, v6, v3
	s_cbranch_scc1 .LBB45_46
.LBB45_47:
	s_lshl_b32 s15, s17, 2
	s_add_i32 s14, s15, s14
	v_mov_b32_e32 v4, s14
	ds_read_b32 v4, v4
	s_waitcnt lgkmcnt(0)
	v_div_scale_f32 v5, s[14:15], v4, v4, v3
	v_rcp_f32_e32 v6, v5
	v_div_scale_f32 v7, vcc, v3, v4, v3
	s_add_i32 s14, s17, -1
	v_fma_f32 v8, -v5, v6, 1.0
	v_fmac_f32_e32 v6, v8, v6
	v_mul_f32_e32 v8, v7, v6
	v_fma_f32 v9, -v5, v8, v7
	v_fmac_f32_e32 v8, v9, v6
	v_fma_f32 v5, -v5, v8, v7
	v_div_fmas_f32 v5, v5, v6, v8
	v_div_fixup_f32 v3, v5, v4, v3
	ds_write_b32 v2, v3
.LBB45_48:
	s_cmp_eq_u32 s17, 0
	s_cbranch_scc1 .LBB45_55
; %bb.49:
	s_lshl_b32 s17, s26, 8
	s_lshl_b32 s15, s14, 2
	s_add_i32 s18, s17, s15
	v_lshl_or_b32 v2, v0, 2, s17
	s_add_i32 s15, s18, 0xffffff00
	v_add_u32_e32 v2, 0x3f00, v2
	s_add_i32 s17, s18, 0xfffffefc
	s_branch .LBB45_51
.LBB45_50:                              ;   in Loop: Header=BB45_51 Depth=1
	s_add_i32 s19, s19, s20
	s_add_i32 s19, s19, -4
	v_mov_b32_e32 v5, s19
	ds_read_b32 v5, v5
	s_add_i32 s14, s14, -2
	s_add_i32 s15, s15, -8
	;; [unrolled: 1-line block ×3, first 2 shown]
	s_cmp_eq_u32 s18, 0
	s_waitcnt lgkmcnt(0)
	v_div_scale_f32 v6, s[20:21], v5, v5, v4
	v_rcp_f32_e32 v7, v6
	v_div_scale_f32 v8, vcc, v4, v5, v4
	v_fma_f32 v9, -v6, v7, 1.0
	v_fmac_f32_e32 v7, v9, v7
	v_mul_f32_e32 v9, v8, v7
	v_fma_f32 v10, -v6, v9, v8
	v_fmac_f32_e32 v9, v10, v7
	v_fma_f32 v6, -v6, v9, v8
	v_div_fmas_f32 v6, v6, v7, v9
	v_div_fixup_f32 v4, v6, v5, v4
	ds_write_b32 v3, v4
	s_cbranch_scc1 .LBB45_55
.LBB45_51:                              ; =>This Loop Header: Depth=1
                                        ;     Child Loop BB45_52 Depth 2
                                        ;     Child Loop BB45_54 Depth 2
	s_lshl_b32 s18, s14, 8
	v_add_u32_e32 v5, s18, v1
	ds_read_b32 v6, v5
	s_cmp_le_i32 s7, s14
	v_mov_b32_e32 v3, v2
	s_mov_b32 s19, s15
	s_mov_b32 s20, s7
	s_cbranch_scc1 .LBB45_53
.LBB45_52:                              ;   Parent Loop BB45_51 Depth=1
                                        ; =>  This Inner Loop Header: Depth=2
	v_mov_b32_e32 v7, s19
	ds_read_b32 v4, v3
	ds_read_b32 v7, v7
	s_add_i32 s20, s20, -1
	s_addk_i32 s19, 0xff00
	v_add_u32_e32 v3, 0xffffff00, v3
	s_cmp_le_u32 s20, s14
	s_waitcnt lgkmcnt(0)
	v_fma_f32 v6, -v4, v7, v6
	s_cbranch_scc0 .LBB45_52
.LBB45_53:                              ;   in Loop: Header=BB45_51 Depth=1
	s_lshl_b32 s19, s14, 2
	s_add_i32 s18, s19, s18
	v_mov_b32_e32 v3, s18
	ds_read_b32 v7, v3
	s_add_i32 s18, s14, -1
	s_lshl_b32 s20, s18, 8
	v_add_u32_e32 v3, s20, v1
	ds_read_b32 v4, v3
	s_waitcnt lgkmcnt(1)
	v_div_scale_f32 v8, s[22:23], v7, v7, v6
	v_rcp_f32_e32 v9, v8
	v_div_scale_f32 v10, vcc, v6, v7, v6
	s_cmp_le_i32 s26, s14
	v_fma_f32 v11, -v8, v9, 1.0
	v_fmac_f32_e32 v9, v11, v9
	v_mul_f32_e32 v11, v10, v9
	v_fma_f32 v12, -v8, v11, v10
	v_fmac_f32_e32 v11, v12, v9
	v_fma_f32 v8, -v8, v11, v10
	v_div_fmas_f32 v8, v8, v9, v11
	v_div_fixup_f32 v6, v8, v7, v6
	ds_write_b32 v5, v6
	v_mov_b32_e32 v5, v2
	s_mov_b32 s21, s17
	s_mov_b32 s22, s7
	s_cbranch_scc1 .LBB45_50
.LBB45_54:                              ;   Parent Loop BB45_51 Depth=1
                                        ; =>  This Inner Loop Header: Depth=2
	v_mov_b32_e32 v7, s21
	ds_read_b32 v6, v5
	ds_read_b32 v7, v7
	s_add_i32 s22, s22, -1
	s_addk_i32 s21, 0xff00
	v_add_u32_e32 v5, 0xffffff00, v5
	s_cmp_gt_u32 s22, s18
	s_waitcnt lgkmcnt(0)
	v_fma_f32 v4, -v6, v7, v4
	s_cbranch_scc1 .LBB45_54
	s_branch .LBB45_50
.LBB45_55:
	s_mov_b64 s[20:21], 0
.LBB45_56:
	s_andn2_b64 vcc, exec, s[20:21]
	s_cbranch_vccnz .LBB45_76
; %bb.57:
	s_andn2_b64 vcc, exec, s[4:5]
	s_mov_b32 s14, s7
	s_cbranch_vccnz .LBB45_63
; %bb.58:
	v_lshlrev_b32_e32 v2, 2, v0
	v_lshl_or_b32 v2, s26, 8, v2
	s_mul_i32 s4, s26, 0x104
	v_add_u32_e32 v6, 0x3f00, v2
	s_addk_i32 s4, 0xfbfc
	s_mov_b32 s5, s7
.LBB45_59:                              ; =>This Loop Header: Depth=1
                                        ;     Child Loop BB45_60 Depth 2
	v_lshl_add_u32 v8, s5, 8, v1
	s_add_i32 s17, s5, -1
	s_add_i32 s15, s5, -2
	;; [unrolled: 1-line block ×3, first 2 shown]
	v_lshl_add_u32 v9, s17, 8, v1
	v_lshl_add_u32 v10, s15, 8, v1
	;; [unrolled: 1-line block ×3, first 2 shown]
	ds_read_b32 v4, v8
	ds_read_b32 v5, v9
	;; [unrolled: 1-line block ×4, first 2 shown]
	s_cmp_le_i32 s7, s5
	s_mov_b32 s18, s4
	v_mov_b32_e32 v11, v6
	s_mov_b32 s19, s7
	s_cbranch_scc1 .LBB45_61
.LBB45_60:                              ;   Parent Loop BB45_59 Depth=1
                                        ; =>  This Inner Loop Header: Depth=2
	v_mov_b32_e32 v13, s18
	ds_read_b32 v12, v11
	ds_read2st64_b32 v[16:17], v13 offset0:2 offset1:3
	ds_read2st64_b32 v[18:19], v13 offset1:1
	s_add_i32 s19, s19, -1
	s_add_i32 s18, s18, -4
	v_add_u32_e32 v11, 0xffffff00, v11
	s_waitcnt lgkmcnt(1)
	v_mov_b32_e32 v14, v17
	v_mov_b32_e32 v15, v16
	s_waitcnt lgkmcnt(0)
	v_mov_b32_e32 v16, v19
	v_mov_b32_e32 v17, v18
	s_cmp_le_i32 s19, s5
	v_pk_fma_f32 v[4:5], v[12:13], v[14:15], v[4:5] op_sel_hi:[0,1,1] neg_lo:[1,0,0] neg_hi:[1,0,0]
	v_pk_fma_f32 v[2:3], v[12:13], v[16:17], v[2:3] op_sel_hi:[0,1,1] neg_lo:[1,0,0] neg_hi:[1,0,0]
	s_cbranch_scc0 .LBB45_60
.LBB45_61:                              ;   in Loop: Header=BB45_59 Depth=1
	s_lshl_b32 s20, s17, 6
	s_lshl_b32 s20, s20, 2
	;; [unrolled: 1-line block ×4, first 2 shown]
	s_add_i32 s17, s20, s17
	v_mov_b32_e32 v12, s17
	s_lshl_b32 s17, s19, 2
	s_lshl_b32 s19, s5, 2
	s_lshl_b32 s15, s15, 2
	s_mul_i32 s21, s5, 0x104
	s_add_i32 s20, s17, s19
	s_add_i32 s15, s17, s15
	v_mov_b32_e32 v11, s21
	v_mov_b32_e32 v14, s20
	;; [unrolled: 1-line block ×3, first 2 shown]
	ds_read_b32 v11, v11
	ds_read2_b32 v[12:13], v12 offset1:1
	ds_read_b32 v16, v14
	ds_read2_b32 v[14:15], v15 offset1:1
	s_lshl_b32 s18, s14, 6
	s_waitcnt lgkmcnt(3)
	v_div_scale_f32 v17, s[20:21], v11, v11, v4
	v_rcp_f32_e32 v18, v17
	s_lshl_b32 s15, s18, 2
	s_add_i32 s17, s15, s19
	s_lshl_b32 s14, s14, 2
	v_fma_f32 v19, -v17, v18, 1.0
	v_fmac_f32_e32 v18, v19, v18
	v_div_scale_f32 v19, vcc, v4, v11, v4
	v_mul_f32_e32 v20, v19, v18
	v_fma_f32 v21, -v17, v20, v19
	v_fmac_f32_e32 v20, v21, v18
	v_fma_f32 v17, -v17, v20, v19
	v_div_fmas_f32 v17, v17, v18, v20
	v_div_fixup_f32 v11, v17, v11, v4
	s_waitcnt lgkmcnt(2)
	v_fma_f32 v4, -v11, v13, v5
	v_div_scale_f32 v5, s[20:21], v12, v12, v4
	v_rcp_f32_e32 v13, v5
	s_waitcnt lgkmcnt(1)
	v_fma_f32 v2, -v11, v16, v2
	s_add_i32 s17, s17, -4
	s_add_i32 s14, s15, s14
	v_fma_f32 v17, -v5, v13, 1.0
	v_fmac_f32_e32 v13, v17, v13
	v_div_scale_f32 v17, vcc, v4, v12, v4
	v_mul_f32_e32 v18, v17, v13
	v_fma_f32 v19, -v5, v18, v17
	v_fmac_f32_e32 v18, v19, v13
	v_fma_f32 v5, -v5, v18, v17
	v_div_fmas_f32 v5, v5, v13, v18
	v_div_fixup_f32 v17, v5, v12, v4
	s_waitcnt lgkmcnt(0)
	v_fma_f32 v2, -v17, v15, v2
	v_div_scale_f32 v4, s[20:21], v14, v14, v2
	v_rcp_f32_e32 v15, v4
	s_addk_i32 s4, 0xfc00
	v_fma_f32 v5, -v4, v15, 1.0
	v_fmac_f32_e32 v15, v5, v15
	v_div_scale_f32 v5, vcc, v2, v14, v2
	v_mul_f32_e32 v16, v5, v15
	v_fma_f32 v12, -v4, v16, v5
	v_fmac_f32_e32 v16, v12, v15
	v_fma_f32 v18, -v4, v16, v5
	v_mov_b32_e32 v4, s17
	v_mov_b32_e32 v12, s14
	ds_read2_b32 v[4:5], v4 offset1:1
	ds_read2_b32 v[12:13], v12 offset1:1
	v_div_fmas_f32 v15, v18, v15, v16
	v_div_fixup_f32 v2, v15, v14, v2
	ds_write_b32 v8, v11
	ds_write_b32 v9, v17
	;; [unrolled: 1-line block ×3, first 2 shown]
	s_waitcnt lgkmcnt(4)
	v_fma_f32 v3, -v11, v5, v3
	v_fma_f32 v3, -v17, v4, v3
	s_waitcnt lgkmcnt(3)
	v_fma_f32 v3, -v2, v13, v3
	v_div_scale_f32 v4, s[14:15], v12, v12, v3
	v_rcp_f32_e32 v5, v4
	s_add_i32 s14, s5, -4
	s_cmp_lt_i32 s5, 7
	v_fma_f32 v2, -v4, v5, 1.0
	v_fmac_f32_e32 v5, v2, v5
	v_div_scale_f32 v2, vcc, v3, v12, v3
	v_mul_f32_e32 v8, v2, v5
	v_fma_f32 v9, -v4, v8, v2
	v_fmac_f32_e32 v8, v9, v5
	v_fma_f32 v2, -v4, v8, v2
	v_div_fmas_f32 v2, v2, v5, v8
	v_div_fixup_f32 v2, v2, v12, v3
	ds_write_b32 v7, v2
	s_cbranch_scc1 .LBB45_63
; %bb.62:                               ;   in Loop: Header=BB45_59 Depth=1
	s_mov_b32 s5, s14
	s_branch .LBB45_59
.LBB45_63:
	s_cmp_lt_i32 s14, 0
	s_cbranch_scc1 .LBB45_76
; %bb.64:
	s_bitcmp1_b32 s14, 0
	s_cselect_b64 s[4:5], -1, 0
	s_and_b64 vcc, exec, s[4:5]
	s_mov_b32 s4, s14
	s_cbranch_vccnz .LBB45_69
; %bb.65:
	v_lshl_add_u32 v2, s14, 8, v1
	ds_read_b32 v3, v2
	s_cmp_le_i32 s7, s14
	s_cbranch_scc1 .LBB45_68
; %bb.66:
	s_lshl_b32 s4, s14, 8
	s_lshl_b32 s5, s26, 2
	v_lshlrev_b32_e32 v4, 2, v0
	s_add_i32 s4, s4, s5
	v_lshl_or_b32 v4, s26, 8, v4
	s_add_i32 s4, s4, -4
	v_add_u32_e32 v4, 0x3f00, v4
	s_mov_b32 s5, s7
.LBB45_67:                              ; =>This Inner Loop Header: Depth=1
	v_mov_b32_e32 v6, s4
	ds_read_b32 v5, v4
	ds_read_b32 v6, v6
	s_add_i32 s5, s5, -1
	s_add_i32 s4, s4, -4
	v_add_u32_e32 v4, 0xffffff00, v4
	s_cmp_gt_u32 s5, s14
	s_waitcnt lgkmcnt(0)
	v_fma_f32 v3, -v5, v6, v3
	s_cbranch_scc1 .LBB45_67
.LBB45_68:
	s_mul_i32 s4, s14, 0x104
	v_mov_b32_e32 v4, s4
	ds_read_b32 v4, v4
	s_waitcnt lgkmcnt(0)
	v_div_scale_f32 v5, s[4:5], v4, v4, v3
	v_rcp_f32_e32 v6, v5
	v_div_scale_f32 v7, vcc, v3, v4, v3
	s_add_i32 s4, s14, -1
	v_fma_f32 v8, -v5, v6, 1.0
	v_fmac_f32_e32 v6, v8, v6
	v_mul_f32_e32 v8, v7, v6
	v_fma_f32 v9, -v5, v8, v7
	v_fmac_f32_e32 v8, v9, v6
	v_fma_f32 v5, -v5, v8, v7
	v_div_fmas_f32 v5, v5, v6, v8
	v_div_fixup_f32 v3, v5, v4, v3
	ds_write_b32 v2, v3
.LBB45_69:
	s_cmp_eq_u32 s14, 0
	s_cbranch_scc1 .LBB45_76
; %bb.70:
	v_lshlrev_b32_e32 v2, 2, v0
	s_lshl_b32 s5, s4, 8
	s_lshl_b32 s14, s26, 2
	v_lshl_or_b32 v2, s26, 8, v2
	s_add_i32 s14, s5, s14
	v_add_u32_e32 v2, 0x3f00, v2
	s_add_i32 s5, s14, -4
	s_addk_i32 s14, 0xfefc
	s_branch .LBB45_72
.LBB45_71:                              ;   in Loop: Header=BB45_72 Depth=1
	s_addk_i32 s17, 0xfefc
	v_mov_b32_e32 v5, s17
	ds_read_b32 v5, v5
	s_add_i32 s4, s4, -2
	s_addk_i32 s5, 0xfe00
	s_addk_i32 s14, 0xfe00
	s_cmp_eq_u32 s15, 0
	s_waitcnt lgkmcnt(0)
	v_div_scale_f32 v6, s[18:19], v5, v5, v4
	v_rcp_f32_e32 v7, v6
	v_div_scale_f32 v8, vcc, v4, v5, v4
	v_fma_f32 v9, -v6, v7, 1.0
	v_fmac_f32_e32 v7, v9, v7
	v_mul_f32_e32 v9, v8, v7
	v_fma_f32 v10, -v6, v9, v8
	v_fmac_f32_e32 v9, v10, v7
	v_fma_f32 v6, -v6, v9, v8
	v_div_fmas_f32 v6, v6, v7, v9
	v_div_fixup_f32 v4, v6, v5, v4
	ds_write_b32 v3, v4
	s_cbranch_scc1 .LBB45_76
.LBB45_72:                              ; =>This Loop Header: Depth=1
                                        ;     Child Loop BB45_73 Depth 2
                                        ;     Child Loop BB45_75 Depth 2
	v_lshl_add_u32 v5, s4, 8, v1
	ds_read_b32 v6, v5
	s_cmp_le_i32 s7, s4
	s_mov_b32 s15, s5
	v_mov_b32_e32 v3, v2
	s_mov_b32 s17, s7
	s_cbranch_scc1 .LBB45_74
.LBB45_73:                              ;   Parent Loop BB45_72 Depth=1
                                        ; =>  This Inner Loop Header: Depth=2
	v_mov_b32_e32 v7, s15
	ds_read_b32 v4, v3
	ds_read_b32 v7, v7
	s_add_i32 s17, s17, -1
	s_add_i32 s15, s15, -4
	v_add_u32_e32 v3, 0xffffff00, v3
	s_cmp_le_u32 s17, s4
	s_waitcnt lgkmcnt(0)
	v_fma_f32 v6, -v4, v7, v6
	s_cbranch_scc0 .LBB45_73
.LBB45_74:                              ;   in Loop: Header=BB45_72 Depth=1
	s_mul_i32 s17, s4, 0x104
	v_mov_b32_e32 v3, s17
	ds_read_b32 v7, v3
	s_add_i32 s15, s4, -1
	v_lshl_add_u32 v3, s15, 8, v1
	ds_read_b32 v4, v3
	s_cmp_le_i32 s26, s4
	s_waitcnt lgkmcnt(1)
	v_div_scale_f32 v8, s[18:19], v7, v7, v6
	v_rcp_f32_e32 v9, v8
	v_div_scale_f32 v10, vcc, v6, v7, v6
	s_mov_b32 s18, s14
	v_fma_f32 v11, -v8, v9, 1.0
	v_fmac_f32_e32 v9, v11, v9
	v_mul_f32_e32 v11, v10, v9
	v_fma_f32 v12, -v8, v11, v10
	v_fmac_f32_e32 v11, v12, v9
	v_fma_f32 v8, -v8, v11, v10
	v_div_fmas_f32 v8, v8, v9, v11
	v_div_fixup_f32 v6, v8, v7, v6
	ds_write_b32 v5, v6
	v_mov_b32_e32 v5, v2
	s_mov_b32 s19, s7
	s_cbranch_scc1 .LBB45_71
.LBB45_75:                              ;   Parent Loop BB45_72 Depth=1
                                        ; =>  This Inner Loop Header: Depth=2
	v_mov_b32_e32 v7, s18
	ds_read_b32 v6, v5
	ds_read_b32 v7, v7
	s_add_i32 s19, s19, -1
	s_add_i32 s18, s18, -4
	v_add_u32_e32 v5, 0xffffff00, v5
	s_cmp_gt_u32 s19, s15
	s_waitcnt lgkmcnt(0)
	v_fma_f32 v4, -v6, v7, v4
	s_cbranch_scc1 .LBB45_75
	s_branch .LBB45_71
.LBB45_76:
	s_mov_b64 s[20:21], 0
.LBB45_77:
	s_andn2_b64 vcc, exec, s[20:21]
	s_cbranch_vccnz .LBB45_89
; %bb.78:
	v_mov_b32_e32 v1, 0x4000
	v_lshl_or_b32 v1, v0, 2, v1
	s_cmp_lt_i32 s16, 4
	s_mov_b32 s7, 0
	s_cbranch_scc1 .LBB45_84
; %bb.79:
	s_mov_b32 s4, 0
	s_mov_b32 s5, 0
.LBB45_80:                              ; =>This Loop Header: Depth=1
                                        ;     Child Loop BB45_81 Depth 2
	s_or_b32 s7, s5, 3
	v_lshl_add_u32 v7, s5, 8, v1
	s_or_b32 s14, s5, 1
	s_or_b32 s15, s5, 2
	v_lshl_add_u32 v8, s14, 8, v1
	v_lshl_add_u32 v9, s15, 8, v1
	;; [unrolled: 1-line block ×3, first 2 shown]
	ds_read_b32 v4, v7
	ds_read_b32 v5, v8
	;; [unrolled: 1-line block ×4, first 2 shown]
	s_cmp_eq_u32 s5, 0
	s_mov_b32 s17, s4
	v_mov_b32_e32 v10, v1
	s_mov_b32 s18, s5
	s_cbranch_scc1 .LBB45_82
.LBB45_81:                              ;   Parent Loop BB45_80 Depth=1
                                        ; =>  This Inner Loop Header: Depth=2
	v_mov_b32_e32 v11, s17
	ds_read_b32 v12, v10
	ds_read2st64_b32 v[14:15], v11 offset1:1
	ds_read2st64_b32 v[16:17], v11 offset0:2 offset1:3
	s_add_i32 s18, s18, -1
	s_add_i32 s17, s17, 4
	v_add_u32_e32 v10, 0x100, v10
	s_cmp_eq_u32 s18, 0
	s_waitcnt lgkmcnt(1)
	v_pk_fma_f32 v[4:5], v[12:13], v[14:15], v[4:5] op_sel_hi:[0,1,1] neg_lo:[1,0,0] neg_hi:[1,0,0]
	s_waitcnt lgkmcnt(0)
	v_pk_fma_f32 v[2:3], v[12:13], v[16:17], v[2:3] op_sel_hi:[0,1,1] neg_lo:[1,0,0] neg_hi:[1,0,0]
	s_cbranch_scc0 .LBB45_81
.LBB45_82:                              ;   in Loop: Header=BB45_80 Depth=1
	s_lshl_b32 s17, s14, 6
	s_lshl_b32 s14, s15, 6
	s_mul_i32 s15, s5, 0x104
	v_mov_b32_e32 v10, s15
	ds_read_b32 v15, v10
	s_lshl_b32 s15, s17, 2
	s_lshl_b32 s17, s5, 2
	;; [unrolled: 1-line block ×3, first 2 shown]
	s_add_i32 s15, s15, s17
	s_add_i32 s14, s14, s17
	v_mov_b32_e32 v10, s15
	v_mov_b32_e32 v12, s14
	s_waitcnt lgkmcnt(0)
	v_div_scale_f32 v16, s[14:15], v15, v15, v4
	v_rcp_f32_e32 v17, v16
	ds_read_b64 v[10:11], v10
	ds_read_b96 v[12:14], v12
	s_lshl_b32 s7, s7, 6
	s_lshl_b32 s7, s7, 2
	v_fma_f32 v18, -v16, v17, 1.0
	v_fmac_f32_e32 v17, v18, v17
	v_div_scale_f32 v18, vcc, v4, v15, v4
	v_mul_f32_e32 v19, v18, v17
	v_fma_f32 v20, -v16, v19, v18
	v_fmac_f32_e32 v19, v20, v17
	v_fma_f32 v16, -v16, v19, v18
	v_div_fmas_f32 v16, v16, v17, v19
	v_div_fixup_f32 v4, v16, v15, v4
	s_waitcnt lgkmcnt(1)
	v_fma_f32 v5, -v4, v10, v5
	v_div_scale_f32 v10, s[14:15], v11, v11, v5
	v_rcp_f32_e32 v15, v10
	s_waitcnt lgkmcnt(0)
	v_fma_f32 v2, -v4, v12, v2
	s_add_i32 s7, s7, s17
	s_addk_i32 s4, 0x400
	v_fma_f32 v16, -v10, v15, 1.0
	v_fmac_f32_e32 v15, v16, v15
	v_div_scale_f32 v16, vcc, v5, v11, v5
	v_mul_f32_e32 v17, v16, v15
	v_fma_f32 v18, -v10, v17, v16
	v_fmac_f32_e32 v17, v18, v15
	v_fma_f32 v10, -v10, v17, v16
	v_div_fmas_f32 v10, v10, v15, v17
	v_div_fixup_f32 v5, v10, v11, v5
	v_fma_f32 v2, -v5, v13, v2
	v_div_scale_f32 v15, s[14:15], v14, v14, v2
	v_rcp_f32_e32 v16, v15
	v_div_scale_f32 v17, vcc, v2, v14, v2
	v_fma_f32 v10, -v15, v16, 1.0
	v_fmac_f32_e32 v16, v10, v16
	v_mul_f32_e32 v18, v17, v16
	v_fma_f32 v10, -v15, v18, v17
	v_fmac_f32_e32 v18, v10, v16
	v_mov_b32_e32 v10, s7
	ds_read_b128 v[10:13], v10
	v_fma_f32 v15, -v15, v18, v17
	v_div_fmas_f32 v15, v15, v16, v18
	v_div_fixup_f32 v2, v15, v14, v2
	ds_write_b32 v7, v4
	ds_write_b32 v8, v5
	ds_write_b32 v9, v2
	s_waitcnt lgkmcnt(3)
	v_fma_f32 v3, -v4, v10, v3
	v_fma_f32 v3, -v5, v11, v3
	;; [unrolled: 1-line block ×3, first 2 shown]
	v_div_scale_f32 v10, s[14:15], v13, v13, v3
	v_rcp_f32_e32 v11, v10
	s_add_i32 s7, s5, 4
	s_add_i32 s5, s5, 7
	s_cmp_ge_i32 s5, s26
	v_fma_f32 v2, -v10, v11, 1.0
	v_fmac_f32_e32 v11, v2, v11
	v_div_scale_f32 v2, vcc, v3, v13, v3
	v_mul_f32_e32 v4, v2, v11
	v_fma_f32 v5, -v10, v4, v2
	v_fmac_f32_e32 v4, v5, v11
	v_fma_f32 v2, -v10, v4, v2
	v_div_fmas_f32 v2, v2, v11, v4
	v_div_fixup_f32 v2, v2, v13, v3
	ds_write_b32 v6, v2
	s_cbranch_scc1 .LBB45_84
; %bb.83:                               ;   in Loop: Header=BB45_80 Depth=1
	s_mov_b32 s5, s7
	s_branch .LBB45_80
.LBB45_84:
	s_cmp_ge_i32 s7, s26
	s_cbranch_scc1 .LBB45_89
; %bb.85:
	v_mov_b32_e32 v2, 0x4000
	v_lshl_or_b32 v2, v0, 2, v2
	s_lshl_b32 s4, s7, 8
	s_branch .LBB45_87
.LBB45_86:                              ;   in Loop: Header=BB45_87 Depth=1
	s_mul_i32 s5, s7, 0x104
	v_mov_b32_e32 v5, s5
	ds_read_b32 v5, v5
	s_add_i32 s7, s7, 1
	s_addk_i32 s4, 0x100
	s_cmp_ge_i32 s7, s26
	s_waitcnt lgkmcnt(0)
	v_div_scale_f32 v6, s[14:15], v5, v5, v4
	v_rcp_f32_e32 v7, v6
	v_div_scale_f32 v8, vcc, v4, v5, v4
	v_fma_f32 v9, -v6, v7, 1.0
	v_fmac_f32_e32 v7, v9, v7
	v_mul_f32_e32 v9, v8, v7
	v_fma_f32 v10, -v6, v9, v8
	v_fmac_f32_e32 v9, v10, v7
	v_fma_f32 v6, -v6, v9, v8
	v_div_fmas_f32 v6, v6, v7, v9
	v_div_fixup_f32 v4, v6, v5, v4
	ds_write_b32 v3, v4
	s_cbranch_scc1 .LBB45_89
.LBB45_87:                              ; =>This Loop Header: Depth=1
                                        ;     Child Loop BB45_88 Depth 2
	v_lshl_add_u32 v3, s7, 8, v1
	ds_read_b32 v4, v3
	s_cmp_eq_u32 s7, 0
	s_mov_b32 s5, s4
	v_mov_b32_e32 v5, v2
	s_mov_b32 s14, s7
	s_cbranch_scc1 .LBB45_86
.LBB45_88:                              ;   Parent Loop BB45_87 Depth=1
                                        ; =>  This Inner Loop Header: Depth=2
	v_mov_b32_e32 v7, s5
	ds_read_b32 v6, v5
	ds_read_b32 v7, v7
	s_add_i32 s14, s14, -1
	s_add_i32 s5, s5, 4
	v_add_u32_e32 v5, 0x100, v5
	s_cmp_eq_u32 s14, 0
	s_waitcnt lgkmcnt(0)
	v_fma_f32 v4, -v6, v7, v4
	s_cbranch_scc0 .LBB45_88
	s_branch .LBB45_86
.LBB45_89:
	s_and_saveexec_b64 s[4:5], s[0:1]
	s_cbranch_execz .LBB45_98
; %bb.90:
	s_cmp_lt_i32 s16, 1
	s_cbranch_scc1 .LBB45_98
; %bb.91:
	s_cmp_eq_u32 s16, 1
	s_cselect_b64 s[0:1], -1, 0
	s_cmp_lg_u32 s6, 1
	s_cselect_b64 s[4:5], -1, 0
	s_or_b64 s[0:1], s[0:1], s[4:5]
	v_mov_b32_e32 v3, 0
	s_and_b64 vcc, exec, s[0:1]
	v_lshlrev_b32_e32 v2, 2, v0
	s_cbranch_vccnz .LBB45_95
; %bb.92:
	v_mov_b32_e32 v1, 0x4000
	s_and_b32 s4, s16, 0x7ffffffe
	v_lshl_add_u64 v[4:5], s[12:13], 0, v[2:3]
	v_lshl_or_b32 v0, v0, 2, v1
	s_mov_b32 s0, 1
	s_mov_b32 s1, 0
	;; [unrolled: 1-line block ×3, first 2 shown]
.LBB45_93:                              ; =>This Inner Loop Header: Depth=1
	v_lshl_add_u32 v1, s1, 8, v0
	v_lshl_add_u32 v3, s0, 8, v0
	ds_read_b32 v6, v1
	ds_read_b32 v7, v3
	s_add_i32 s1, s1, 2
	s_add_i32 s0, s0, 2
	s_add_i32 s5, s5, -2
	s_cmp_lg_u32 s5, 0
	s_waitcnt lgkmcnt(0)
	flat_store_dwordx2 v[4:5], v[6:7]
	v_lshl_add_u64 v[4:5], v[4:5], 0, 8
	s_cbranch_scc1 .LBB45_93
; %bb.94:
	s_cmp_lg_u32 s16, s4
	s_cselect_b64 s[0:1], -1, 0
	s_and_b64 vcc, exec, s[0:1]
	s_cbranch_vccnz .LBB45_96
	s_branch .LBB45_98
.LBB45_95:
	s_mov_b32 s4, 0
	s_cbranch_execz .LBB45_98
.LBB45_96:
	s_mul_hi_i32 s1, s6, s4
	s_mul_i32 s0, s6, s4
	s_ashr_i32 s7, s6, 31
	s_sub_i32 s5, s16, s4
	s_lshl_b64 s[0:1], s[0:1], 2
	s_add_u32 s0, s0, s2
	s_addc_u32 s1, s1, s3
	s_add_u32 s0, s0, s10
	s_addc_u32 s1, s1, s11
	s_add_u32 s0, s8, s0
	v_mov_b32_e32 v3, 0
	s_addc_u32 s1, s9, s1
	v_lshl_add_u64 v[0:1], s[0:1], 0, v[2:3]
	v_lshl_or_b32 v2, s4, 8, v2
	s_lshl_b64 s[0:1], s[6:7], 2
	v_add_u32_e32 v2, 0x4000, v2
.LBB45_97:                              ; =>This Inner Loop Header: Depth=1
	ds_read_b32 v3, v2
	s_add_i32 s5, s5, -1
	v_add_u32_e32 v2, 0x100, v2
	s_cmp_lg_u32 s5, 0
	s_waitcnt lgkmcnt(0)
	flat_store_dword v[0:1], v3
	v_lshl_add_u64 v[0:1], v[0:1], 0, s[0:1]
	s_cbranch_scc1 .LBB45_97
.LBB45_98:
	s_endpgm
	.section	.rodata,"a",@progbits
	.p2align	6, 0x0
	.amdhsa_kernel _ZL31rocblas_trsm_small_right_deviceIffPKPKfPKPfLi64EEv13rocblas_fill_18rocblas_operation_17rocblas_diagonal_iiT0_T1_lilT2_lili
		.amdhsa_group_segment_fixed_size 32768
		.amdhsa_private_segment_fixed_size 0
		.amdhsa_kernarg_size 352
		.amdhsa_user_sgpr_count 2
		.amdhsa_user_sgpr_dispatch_ptr 0
		.amdhsa_user_sgpr_queue_ptr 0
		.amdhsa_user_sgpr_kernarg_segment_ptr 1
		.amdhsa_user_sgpr_dispatch_id 0
		.amdhsa_user_sgpr_kernarg_preload_length 0
		.amdhsa_user_sgpr_kernarg_preload_offset 0
		.amdhsa_user_sgpr_private_segment_size 0
		.amdhsa_uses_dynamic_stack 0
		.amdhsa_enable_private_segment 0
		.amdhsa_system_sgpr_workgroup_id_x 1
		.amdhsa_system_sgpr_workgroup_id_y 0
		.amdhsa_system_sgpr_workgroup_id_z 1
		.amdhsa_system_sgpr_workgroup_info 0
		.amdhsa_system_vgpr_workitem_id 0
		.amdhsa_next_free_vgpr 169
		.amdhsa_next_free_sgpr 96
		.amdhsa_accum_offset 24
		.amdhsa_reserve_vcc 1
		.amdhsa_float_round_mode_32 0
		.amdhsa_float_round_mode_16_64 0
		.amdhsa_float_denorm_mode_32 3
		.amdhsa_float_denorm_mode_16_64 3
		.amdhsa_dx10_clamp 1
		.amdhsa_ieee_mode 1
		.amdhsa_fp16_overflow 0
		.amdhsa_tg_split 0
		.amdhsa_exception_fp_ieee_invalid_op 0
		.amdhsa_exception_fp_denorm_src 0
		.amdhsa_exception_fp_ieee_div_zero 0
		.amdhsa_exception_fp_ieee_overflow 0
		.amdhsa_exception_fp_ieee_underflow 0
		.amdhsa_exception_fp_ieee_inexact 0
		.amdhsa_exception_int_div_zero 0
	.end_amdhsa_kernel
	.section	.text._ZL31rocblas_trsm_small_right_deviceIffPKPKfPKPfLi64EEv13rocblas_fill_18rocblas_operation_17rocblas_diagonal_iiT0_T1_lilT2_lili,"axG",@progbits,_ZL31rocblas_trsm_small_right_deviceIffPKPKfPKPfLi64EEv13rocblas_fill_18rocblas_operation_17rocblas_diagonal_iiT0_T1_lilT2_lili,comdat
.Lfunc_end45:
	.size	_ZL31rocblas_trsm_small_right_deviceIffPKPKfPKPfLi64EEv13rocblas_fill_18rocblas_operation_17rocblas_diagonal_iiT0_T1_lilT2_lili, .Lfunc_end45-_ZL31rocblas_trsm_small_right_deviceIffPKPKfPKPfLi64EEv13rocblas_fill_18rocblas_operation_17rocblas_diagonal_iiT0_T1_lilT2_lili
                                        ; -- End function
	.set _ZL31rocblas_trsm_small_right_deviceIffPKPKfPKPfLi64EEv13rocblas_fill_18rocblas_operation_17rocblas_diagonal_iiT0_T1_lilT2_lili.num_vgpr, 23
	.set _ZL31rocblas_trsm_small_right_deviceIffPKPKfPKPfLi64EEv13rocblas_fill_18rocblas_operation_17rocblas_diagonal_iiT0_T1_lilT2_lili.num_agpr, 0
	.set _ZL31rocblas_trsm_small_right_deviceIffPKPKfPKPfLi64EEv13rocblas_fill_18rocblas_operation_17rocblas_diagonal_iiT0_T1_lilT2_lili.numbered_sgpr, 32
	.set _ZL31rocblas_trsm_small_right_deviceIffPKPKfPKPfLi64EEv13rocblas_fill_18rocblas_operation_17rocblas_diagonal_iiT0_T1_lilT2_lili.num_named_barrier, 0
	.set _ZL31rocblas_trsm_small_right_deviceIffPKPKfPKPfLi64EEv13rocblas_fill_18rocblas_operation_17rocblas_diagonal_iiT0_T1_lilT2_lili.private_seg_size, 0
	.set _ZL31rocblas_trsm_small_right_deviceIffPKPKfPKPfLi64EEv13rocblas_fill_18rocblas_operation_17rocblas_diagonal_iiT0_T1_lilT2_lili.uses_vcc, 1
	.set _ZL31rocblas_trsm_small_right_deviceIffPKPKfPKPfLi64EEv13rocblas_fill_18rocblas_operation_17rocblas_diagonal_iiT0_T1_lilT2_lili.uses_flat_scratch, 0
	.set _ZL31rocblas_trsm_small_right_deviceIffPKPKfPKPfLi64EEv13rocblas_fill_18rocblas_operation_17rocblas_diagonal_iiT0_T1_lilT2_lili.has_dyn_sized_stack, 0
	.set _ZL31rocblas_trsm_small_right_deviceIffPKPKfPKPfLi64EEv13rocblas_fill_18rocblas_operation_17rocblas_diagonal_iiT0_T1_lilT2_lili.has_recursion, 0
	.set _ZL31rocblas_trsm_small_right_deviceIffPKPKfPKPfLi64EEv13rocblas_fill_18rocblas_operation_17rocblas_diagonal_iiT0_T1_lilT2_lili.has_indirect_call, 0
	.section	.AMDGPU.csdata,"",@progbits
; Kernel info:
; codeLenInByte = 6236
; TotalNumSgprs: 38
; NumVgprs: 23
; NumAgprs: 0
; TotalNumVgprs: 23
; ScratchSize: 0
; MemoryBound: 0
; FloatMode: 240
; IeeeMode: 1
; LDSByteSize: 32768 bytes/workgroup (compile time only)
; SGPRBlocks: 12
; VGPRBlocks: 21
; NumSGPRsForWavesPerEU: 102
; NumVGPRsForWavesPerEU: 169
; AccumOffset: 24
; Occupancy: 2
; WaveLimiterHint : 0
; COMPUTE_PGM_RSRC2:SCRATCH_EN: 0
; COMPUTE_PGM_RSRC2:USER_SGPR: 2
; COMPUTE_PGM_RSRC2:TRAP_HANDLER: 0
; COMPUTE_PGM_RSRC2:TGID_X_EN: 1
; COMPUTE_PGM_RSRC2:TGID_Y_EN: 0
; COMPUTE_PGM_RSRC2:TGID_Z_EN: 1
; COMPUTE_PGM_RSRC2:TIDIG_COMP_CNT: 0
; COMPUTE_PGM_RSRC3_GFX90A:ACCUM_OFFSET: 5
; COMPUTE_PGM_RSRC3_GFX90A:TG_SPLIT: 0
	.section	.text._ZL39rocblas_trsm_block_forward_substitutionIffPKPKfPKPfLb0ELb0ELb0EEv18rocblas_operation_llT0_T1_lllT2_lllib,"axG",@progbits,_ZL39rocblas_trsm_block_forward_substitutionIffPKPKfPKPfLb0ELb0ELb0EEv18rocblas_operation_llT0_T1_lllT2_lllib,comdat
	.globl	_ZL39rocblas_trsm_block_forward_substitutionIffPKPKfPKPfLb0ELb0ELb0EEv18rocblas_operation_llT0_T1_lllT2_lllib ; -- Begin function _ZL39rocblas_trsm_block_forward_substitutionIffPKPKfPKPfLb0ELb0ELb0EEv18rocblas_operation_llT0_T1_lllT2_lllib
	.p2align	8
	.type	_ZL39rocblas_trsm_block_forward_substitutionIffPKPKfPKPfLb0ELb0ELb0EEv18rocblas_operation_llT0_T1_lllT2_lllib,@function
_ZL39rocblas_trsm_block_forward_substitutionIffPKPKfPKPfLb0ELb0ELb0EEv18rocblas_operation_llT0_T1_lllT2_lllib: ; @_ZL39rocblas_trsm_block_forward_substitutionIffPKPKfPKPfLb0ELb0ELb0EEv18rocblas_operation_llT0_T1_lllT2_lllib
; %bb.0:
	s_load_dword s26, s[0:1], 0x64
	s_load_dwordx4 s[8:11], s[0:1], 0x8
	s_load_dwordx4 s[16:19], s[0:1], 0x20
	s_load_dword s2, s[0:1], 0x74
	s_mov_b32 s5, 0
	s_waitcnt lgkmcnt(0)
	s_bitcmp1_b32 s26, 0
	s_cselect_b64 s[6:7], -1, 0
	s_lshl_b64 s[20:21], s[4:5], 3
	s_add_u32 s22, s16, s20
	s_addc_u32 s23, s17, s21
	s_load_dwordx2 s[24:25], s[22:23], 0x0
	s_load_dwordx2 s[4:5], s[0:1], 0x30
	s_load_dwordx4 s[12:15], s[0:1], 0x40
	s_load_dwordx2 s[16:17], s[0:1], 0x50
	s_lshl_b64 s[18:19], s[18:19], 2
	s_waitcnt lgkmcnt(0)
	s_add_u32 s18, s24, s18
	s_addc_u32 s19, s25, s19
	s_add_u32 s12, s12, s20
	s_addc_u32 s13, s13, s21
	s_load_dwordx2 s[12:13], s[12:13], 0x0
	s_add_u32 s20, s0, 0x68
	s_addc_u32 s21, s1, 0
	s_lshr_b32 s2, s2, 16
	v_and_b32_e32 v2, 0x3ff, v0
	s_bitcmp0_b32 s26, 0
	v_bfe_u32 v8, v0, 10, 10
	s_cbranch_scc1 .LBB46_13
; %bb.1:
	s_lshl_b32 s22, s2, 2
	v_cmp_lt_i64_e64 s[24:25], s[8:9], 1
	s_add_i32 s22, s22, 0
	s_and_b64 vcc, exec, s[24:25]
	s_cbranch_vccnz .LBB46_12
; %bb.2:
	v_mov_b32_e32 v3, 0
	v_lshlrev_b32_e32 v0, 2, v2
	v_mov_b32_e32 v1, v3
	v_add_u32_e32 v6, s22, v0
	v_lshl_add_u64 v[0:1], s[18:19], 0, v[0:1]
	v_mad_u64_u32 v[4:5], s[18:19], s4, v2, 0
	v_mov_b32_e32 v10, v5
	v_mad_u64_u32 v[10:11], s[18:19], s5, v2, v[10:11]
	v_cmp_le_u64_e32 vcc, s[8:9], v[2:3]
	v_mov_b32_e32 v5, v10
	v_lshl_add_u64 v[4:5], v[4:5], 2, v[0:1]
	s_xor_b64 s[18:19], vcc, -1
	s_mov_b32 s23, s2
	v_mov_b32_e32 v3, v8
	s_branch .LBB46_4
.LBB46_3:                               ;   in Loop: Header=BB46_4 Depth=1
	s_or_b64 exec, exec, s[26:27]
	s_ashr_i32 s24, s23, 31
	v_mov_b32_e32 v10, s23
	v_mov_b32_e32 v11, s24
	v_cmp_le_i64_e32 vcc, s[8:9], v[10:11]
	v_add_u32_e32 v3, s2, v3
	s_add_i32 s23, s23, s2
	s_cbranch_vccnz .LBB46_12
.LBB46_4:                               ; =>This Inner Loop Header: Depth=1
	v_cmp_gt_i32_e32 vcc, v2, v3
	s_and_b64 s[26:27], s[18:19], vcc
	s_mov_b64 s[24:25], 0
                                        ; implicit-def: $vgpr7
	s_and_saveexec_b64 s[28:29], s[26:27]
	s_xor_b64 s[26:27], exec, s[28:29]
	s_cbranch_execnz .LBB46_7
; %bb.5:                                ;   in Loop: Header=BB46_4 Depth=1
	s_or_saveexec_b64 s[26:27], s[26:27]
	v_mov_b32_e32 v9, v3
	s_xor_b64 exec, exec, s[26:27]
	s_cbranch_execnz .LBB46_8
.LBB46_6:                               ;   in Loop: Header=BB46_4 Depth=1
	s_or_b64 exec, exec, s[26:27]
	s_and_saveexec_b64 s[26:27], s[24:25]
	s_cbranch_execz .LBB46_3
	s_branch .LBB46_11
.LBB46_7:                               ;   in Loop: Header=BB46_4 Depth=1
	s_waitcnt vmcnt(0) lgkmcnt(0)
	v_ashrrev_i32_e32 v7, 31, v3
	v_mul_lo_u32 v9, s5, v3
	v_mul_lo_u32 v7, s4, v7
	v_mad_u64_u32 v[10:11], s[28:29], s4, v3, 0
	v_add3_u32 v11, v11, v7, v9
	v_lshl_add_u64 v[10:11], v[10:11], 2, v[0:1]
	flat_load_dword v7, v[10:11]
	s_mov_b64 s[24:25], exec
	s_or_saveexec_b64 s[26:27], s[26:27]
	v_mov_b32_e32 v9, v3
	s_xor_b64 exec, exec, s[26:27]
	s_cbranch_execz .LBB46_6
.LBB46_8:                               ;   in Loop: Header=BB46_4 Depth=1
	v_cmp_eq_u32_e32 vcc, v2, v3
	s_and_b64 s[34:35], s[18:19], vcc
	s_mov_b64 s[30:31], s[24:25]
                                        ; implicit-def: $vgpr7
	s_and_saveexec_b64 s[28:29], s[34:35]
	s_cbranch_execz .LBB46_10
; %bb.9:                                ;   in Loop: Header=BB46_4 Depth=1
	s_waitcnt vmcnt(0) lgkmcnt(0)
	flat_load_dword v7, v[4:5]
	s_waitcnt vmcnt(0) lgkmcnt(0)
	v_div_scale_f32 v9, s[30:31], v7, v7, 1.0
	v_rcp_f32_e32 v10, v9
	v_div_scale_f32 v11, vcc, 1.0, v7, 1.0
	s_or_b64 s[30:31], s[24:25], exec
	v_fma_f32 v12, -v9, v10, 1.0
	v_fmac_f32_e32 v10, v12, v10
	v_mul_f32_e32 v12, v11, v10
	v_fma_f32 v13, -v9, v12, v11
	v_fmac_f32_e32 v12, v13, v10
	v_fma_f32 v9, -v9, v12, v11
	v_div_fmas_f32 v9, v9, v10, v12
	v_div_fixup_f32 v7, v9, v7, 1.0
.LBB46_10:                              ;   in Loop: Header=BB46_4 Depth=1
	s_or_b64 exec, exec, s[28:29]
	s_andn2_b64 s[24:25], s[24:25], exec
	s_and_b64 s[28:29], s[30:31], exec
	s_or_b64 s[24:25], s[24:25], s[28:29]
	v_mov_b32_e32 v9, v2
	s_or_b64 exec, exec, s[26:27]
	s_and_saveexec_b64 s[26:27], s[24:25]
	s_cbranch_execz .LBB46_3
.LBB46_11:                              ;   in Loop: Header=BB46_4 Depth=1
	s_load_dword s24, s[20:21], 0xc
	s_waitcnt lgkmcnt(0)
	s_and_b32 s24, s24, 0xffff
	v_mul_lo_u32 v9, v9, s24
	v_lshl_add_u32 v9, v9, 2, v6
	s_waitcnt vmcnt(0)
	ds_write_b32 v9, v7
	s_branch .LBB46_3
.LBB46_12:
	s_load_dword s4, s[20:21], 0xc
	s_mov_b64 s[18:19], src_shared_base
	s_mov_b32 s23, s19
	s_mov_b32 s5, 0
	s_mov_b64 s[18:19], s[22:23]
	s_waitcnt lgkmcnt(0)
	s_and_b32 s4, s4, 0xffff
.LBB46_13:
	s_mul_i32 s3, s3, s2
	v_add_u32_e32 v0, s3, v8
	v_mov_b32_e32 v1, 0
	v_cmp_gt_i64_e32 vcc, s[10:11], v[0:1]
	s_and_saveexec_b64 s[2:3], vcc
	s_cbranch_execz .LBB46_25
; %bb.14:
	v_mov_b32_e32 v3, v1
	v_cmp_gt_i64_e32 vcc, s[8:9], v[2:3]
	s_and_b64 exec, exec, vcc
	s_cbranch_execz .LBB46_25
; %bb.15:
	v_mad_u64_u32 v[4:5], s[10:11], s16, v0, 0
	s_lshl_b64 s[2:3], s[14:15], 2
	v_mov_b32_e32 v6, v5
	s_waitcnt lgkmcnt(0)
	s_add_u32 s2, s12, s2
	s_waitcnt vmcnt(0)
	v_mad_u64_u32 v[0:1], s[10:11], s17, v0, v[6:7]
	s_addc_u32 s3, s13, s3
	v_mov_b32_e32 v5, v0
	v_lshl_add_u64 v[0:1], v[4:5], 2, s[2:3]
	v_lshlrev_b32_e32 v4, 2, v2
	v_mov_b32_e32 v5, 0
	v_lshl_add_u64 v[0:1], v[0:1], 0, v[4:5]
	flat_load_dword v6, v[0:1]
	s_load_dword s10, s[0:1], 0x18
	v_cmp_lt_u64_e64 s[2:3], s[8:9], 2
	s_add_u32 s0, s8, -1
	s_addc_u32 s1, s9, -1
	s_and_b64 vcc, exec, s[2:3]
	s_waitcnt vmcnt(0) lgkmcnt(0)
	v_mul_f32_e32 v9, s10, v6
	s_cbranch_vccnz .LBB46_22
; %bb.16:
	v_mad_u64_u32 v[6:7], s[2:3], v2, s4, v[2:3]
	v_mov_b32_e32 v10, v7
	v_mad_u64_u32 v[10:11], s[2:3], v2, s5, v[10:11]
	v_mov_b32_e32 v7, v10
	v_lshl_add_u64 v[4:5], s[18:19], 0, v[4:5]
	v_lshl_add_u64 v[6:7], v[6:7], 2, s[18:19]
	v_lshl_add_u32 v8, v8, 2, 0
	s_lshl_b64 s[2:3], s[4:5], 2
	s_mov_b64 s[8:9], 0
	s_branch .LBB46_18
.LBB46_17:                              ;   in Loop: Header=BB46_18 Depth=1
	s_or_b64 exec, exec, s[10:11]
	s_add_u32 s8, s8, 1
	s_addc_u32 s9, s9, 0
	s_cmp_eq_u64 s[0:1], s[8:9]
	v_lshl_add_u64 v[4:5], v[4:5], 0, s[2:3]
	s_cbranch_scc1 .LBB46_22
.LBB46_18:                              ; =>This Inner Loop Header: Depth=1
	v_cmp_eq_u64_e32 vcc, s[8:9], v[2:3]
	s_barrier
	s_and_saveexec_b64 s[10:11], vcc
	s_cbranch_execz .LBB46_20
; %bb.19:                               ;   in Loop: Header=BB46_18 Depth=1
	flat_load_dword v10, v[6:7]
	s_waitcnt vmcnt(0) lgkmcnt(0)
	v_div_scale_f32 v11, s[12:13], v10, v10, 1.0
	v_rcp_f32_e32 v12, v11
	v_div_scale_f32 v13, vcc, 1.0, v10, 1.0
	v_fma_f32 v14, -v11, v12, 1.0
	v_fmac_f32_e32 v12, v14, v12
	v_mul_f32_e32 v14, v13, v12
	v_fma_f32 v15, -v11, v14, v13
	v_fmac_f32_e32 v14, v15, v12
	v_fma_f32 v11, -v11, v14, v13
	v_div_fmas_f32 v11, v11, v12, v14
	v_div_fixup_f32 v11, v11, v10, 1.0
	v_cndmask_b32_e64 v10, v11, v10, s[6:7]
	v_mul_f32_e32 v9, v9, v10
	ds_write_b32 v8, v9
.LBB46_20:                              ;   in Loop: Header=BB46_18 Depth=1
	s_or_b64 exec, exec, s[10:11]
	v_cmp_lt_u64_e32 vcc, s[8:9], v[2:3]
	s_waitcnt lgkmcnt(0)
	s_barrier
	s_and_saveexec_b64 s[10:11], vcc
	s_cbranch_execz .LBB46_17
; %bb.21:                               ;   in Loop: Header=BB46_18 Depth=1
	flat_load_dword v10, v[4:5]
	ds_read_b32 v11, v8
	s_waitcnt vmcnt(0) lgkmcnt(0)
	v_fma_f32 v9, -v10, v11, v9
	s_branch .LBB46_17
.LBB46_22:
	v_cmp_eq_u64_e32 vcc, s[0:1], v[2:3]
	s_and_saveexec_b64 s[0:1], vcc
	s_cbranch_execz .LBB46_24
; %bb.23:
	v_mad_u64_u32 v[4:5], s[2:3], v2, s4, v[2:3]
	v_mov_b32_e32 v6, v5
	v_mad_u64_u32 v[2:3], s[2:3], v2, s5, v[6:7]
	v_mov_b32_e32 v5, v2
	v_lshl_add_u64 v[2:3], v[4:5], 2, s[18:19]
	flat_load_dword v2, v[2:3]
	s_waitcnt vmcnt(0) lgkmcnt(0)
	v_div_scale_f32 v3, s[2:3], v2, v2, 1.0
	v_rcp_f32_e32 v4, v3
	v_div_scale_f32 v5, vcc, 1.0, v2, 1.0
	v_fma_f32 v6, -v3, v4, 1.0
	v_fmac_f32_e32 v4, v6, v4
	v_mul_f32_e32 v6, v5, v4
	v_fma_f32 v7, -v3, v6, v5
	v_fmac_f32_e32 v6, v7, v4
	v_fma_f32 v3, -v3, v6, v5
	v_div_fmas_f32 v3, v3, v4, v6
	v_div_fixup_f32 v3, v3, v2, 1.0
	v_cndmask_b32_e64 v2, v3, v2, s[6:7]
	v_mul_f32_e32 v9, v9, v2
.LBB46_24:
	s_or_b64 exec, exec, s[0:1]
	flat_store_dword v[0:1], v9
.LBB46_25:
	s_endpgm
	.section	.rodata,"a",@progbits
	.p2align	6, 0x0
	.amdhsa_kernel _ZL39rocblas_trsm_block_forward_substitutionIffPKPKfPKPfLb0ELb0ELb0EEv18rocblas_operation_llT0_T1_lllT2_lllib
		.amdhsa_group_segment_fixed_size 0
		.amdhsa_private_segment_fixed_size 0
		.amdhsa_kernarg_size 360
		.amdhsa_user_sgpr_count 2
		.amdhsa_user_sgpr_dispatch_ptr 0
		.amdhsa_user_sgpr_queue_ptr 0
		.amdhsa_user_sgpr_kernarg_segment_ptr 1
		.amdhsa_user_sgpr_dispatch_id 0
		.amdhsa_user_sgpr_kernarg_preload_length 0
		.amdhsa_user_sgpr_kernarg_preload_offset 0
		.amdhsa_user_sgpr_private_segment_size 0
		.amdhsa_uses_dynamic_stack 0
		.amdhsa_enable_private_segment 0
		.amdhsa_system_sgpr_workgroup_id_x 1
		.amdhsa_system_sgpr_workgroup_id_y 1
		.amdhsa_system_sgpr_workgroup_id_z 1
		.amdhsa_system_sgpr_workgroup_info 0
		.amdhsa_system_vgpr_workitem_id 1
		.amdhsa_next_free_vgpr 16
		.amdhsa_next_free_sgpr 36
		.amdhsa_accum_offset 16
		.amdhsa_reserve_vcc 1
		.amdhsa_float_round_mode_32 0
		.amdhsa_float_round_mode_16_64 0
		.amdhsa_float_denorm_mode_32 3
		.amdhsa_float_denorm_mode_16_64 3
		.amdhsa_dx10_clamp 1
		.amdhsa_ieee_mode 1
		.amdhsa_fp16_overflow 0
		.amdhsa_tg_split 0
		.amdhsa_exception_fp_ieee_invalid_op 0
		.amdhsa_exception_fp_denorm_src 0
		.amdhsa_exception_fp_ieee_div_zero 0
		.amdhsa_exception_fp_ieee_overflow 0
		.amdhsa_exception_fp_ieee_underflow 0
		.amdhsa_exception_fp_ieee_inexact 0
		.amdhsa_exception_int_div_zero 0
	.end_amdhsa_kernel
	.section	.text._ZL39rocblas_trsm_block_forward_substitutionIffPKPKfPKPfLb0ELb0ELb0EEv18rocblas_operation_llT0_T1_lllT2_lllib,"axG",@progbits,_ZL39rocblas_trsm_block_forward_substitutionIffPKPKfPKPfLb0ELb0ELb0EEv18rocblas_operation_llT0_T1_lllT2_lllib,comdat
.Lfunc_end46:
	.size	_ZL39rocblas_trsm_block_forward_substitutionIffPKPKfPKPfLb0ELb0ELb0EEv18rocblas_operation_llT0_T1_lllT2_lllib, .Lfunc_end46-_ZL39rocblas_trsm_block_forward_substitutionIffPKPKfPKPfLb0ELb0ELb0EEv18rocblas_operation_llT0_T1_lllT2_lllib
                                        ; -- End function
	.set _ZL39rocblas_trsm_block_forward_substitutionIffPKPKfPKPfLb0ELb0ELb0EEv18rocblas_operation_llT0_T1_lllT2_lllib.num_vgpr, 16
	.set _ZL39rocblas_trsm_block_forward_substitutionIffPKPKfPKPfLb0ELb0ELb0EEv18rocblas_operation_llT0_T1_lllT2_lllib.num_agpr, 0
	.set _ZL39rocblas_trsm_block_forward_substitutionIffPKPKfPKPfLb0ELb0ELb0EEv18rocblas_operation_llT0_T1_lllT2_lllib.numbered_sgpr, 36
	.set _ZL39rocblas_trsm_block_forward_substitutionIffPKPKfPKPfLb0ELb0ELb0EEv18rocblas_operation_llT0_T1_lllT2_lllib.num_named_barrier, 0
	.set _ZL39rocblas_trsm_block_forward_substitutionIffPKPKfPKPfLb0ELb0ELb0EEv18rocblas_operation_llT0_T1_lllT2_lllib.private_seg_size, 0
	.set _ZL39rocblas_trsm_block_forward_substitutionIffPKPKfPKPfLb0ELb0ELb0EEv18rocblas_operation_llT0_T1_lllT2_lllib.uses_vcc, 1
	.set _ZL39rocblas_trsm_block_forward_substitutionIffPKPKfPKPfLb0ELb0ELb0EEv18rocblas_operation_llT0_T1_lllT2_lllib.uses_flat_scratch, 0
	.set _ZL39rocblas_trsm_block_forward_substitutionIffPKPKfPKPfLb0ELb0ELb0EEv18rocblas_operation_llT0_T1_lllT2_lllib.has_dyn_sized_stack, 0
	.set _ZL39rocblas_trsm_block_forward_substitutionIffPKPKfPKPfLb0ELb0ELb0EEv18rocblas_operation_llT0_T1_lllT2_lllib.has_recursion, 0
	.set _ZL39rocblas_trsm_block_forward_substitutionIffPKPKfPKPfLb0ELb0ELb0EEv18rocblas_operation_llT0_T1_lllT2_lllib.has_indirect_call, 0
	.section	.AMDGPU.csdata,"",@progbits
; Kernel info:
; codeLenInByte = 1236
; TotalNumSgprs: 42
; NumVgprs: 16
; NumAgprs: 0
; TotalNumVgprs: 16
; ScratchSize: 0
; MemoryBound: 0
; FloatMode: 240
; IeeeMode: 1
; LDSByteSize: 0 bytes/workgroup (compile time only)
; SGPRBlocks: 5
; VGPRBlocks: 1
; NumSGPRsForWavesPerEU: 42
; NumVGPRsForWavesPerEU: 16
; AccumOffset: 16
; Occupancy: 8
; WaveLimiterHint : 1
; COMPUTE_PGM_RSRC2:SCRATCH_EN: 0
; COMPUTE_PGM_RSRC2:USER_SGPR: 2
; COMPUTE_PGM_RSRC2:TRAP_HANDLER: 0
; COMPUTE_PGM_RSRC2:TGID_X_EN: 1
; COMPUTE_PGM_RSRC2:TGID_Y_EN: 1
; COMPUTE_PGM_RSRC2:TGID_Z_EN: 1
; COMPUTE_PGM_RSRC2:TIDIG_COMP_CNT: 1
; COMPUTE_PGM_RSRC3_GFX90A:ACCUM_OFFSET: 3
; COMPUTE_PGM_RSRC3_GFX90A:TG_SPLIT: 0
	.section	.text._ZL40rocblas_trsm_block_backward_substitutionIffPKPKfPKPfLb0ELb0ELb0EEv18rocblas_operation_llT0_T1_lllT2_lllib,"axG",@progbits,_ZL40rocblas_trsm_block_backward_substitutionIffPKPKfPKPfLb0ELb0ELb0EEv18rocblas_operation_llT0_T1_lllT2_lllib,comdat
	.globl	_ZL40rocblas_trsm_block_backward_substitutionIffPKPKfPKPfLb0ELb0ELb0EEv18rocblas_operation_llT0_T1_lllT2_lllib ; -- Begin function _ZL40rocblas_trsm_block_backward_substitutionIffPKPKfPKPfLb0ELb0ELb0EEv18rocblas_operation_llT0_T1_lllT2_lllib
	.p2align	8
	.type	_ZL40rocblas_trsm_block_backward_substitutionIffPKPKfPKPfLb0ELb0ELb0EEv18rocblas_operation_llT0_T1_lllT2_lllib,@function
_ZL40rocblas_trsm_block_backward_substitutionIffPKPKfPKPfLb0ELb0ELb0EEv18rocblas_operation_llT0_T1_lllT2_lllib: ; @_ZL40rocblas_trsm_block_backward_substitutionIffPKPKfPKPfLb0ELb0ELb0EEv18rocblas_operation_llT0_T1_lllT2_lllib
; %bb.0:
	s_load_dword s26, s[0:1], 0x64
	s_load_dwordx4 s[12:15], s[0:1], 0x8
	s_load_dwordx4 s[20:23], s[0:1], 0x20
	s_load_dword s2, s[0:1], 0x74
	s_mov_b32 s5, 0
	s_waitcnt lgkmcnt(0)
	s_bitcmp1_b32 s26, 0
	s_cselect_b64 s[6:7], -1, 0
	s_lshl_b64 s[4:5], s[4:5], 3
	s_add_u32 s16, s20, s4
	s_addc_u32 s17, s21, s5
	s_load_dwordx2 s[20:21], s[16:17], 0x0
	s_load_dwordx2 s[30:31], s[0:1], 0x30
	s_load_dwordx4 s[8:11], s[0:1], 0x40
	s_load_dwordx2 s[18:19], s[0:1], 0x50
	s_lshl_b64 s[16:17], s[22:23], 2
	s_waitcnt lgkmcnt(0)
	s_add_u32 s20, s20, s16
	s_addc_u32 s21, s21, s17
	s_add_u32 s4, s8, s4
	s_addc_u32 s5, s9, s5
	s_load_dwordx2 s[22:23], s[4:5], 0x0
	s_add_u32 s24, s0, 0x68
	s_addc_u32 s25, s1, 0
	s_lshr_b32 s2, s2, 16
	v_and_b32_e32 v2, 0x3ff, v0
	v_bfe_u32 v8, v0, 10, 10
	s_bitcmp0_b32 s26, 0
	s_mov_b64 s[4:5], 1
	s_cbranch_scc1 .LBB47_14
; %bb.1:
	s_lshl_b32 s4, s2, 2
	s_add_i32 s26, s4, 0
	v_cmp_lt_i64_e64 s[4:5], s[12:13], 1
	s_mov_b64 s[16:17], 1
	s_and_b64 vcc, exec, s[4:5]
	s_cbranch_vccnz .LBB47_15
; %bb.2:
	v_mad_u64_u32 v[0:1], s[8:9], s30, v2, 0
	v_mov_b32_e32 v6, v1
	v_mad_u64_u32 v[6:7], s[8:9], s31, v2, v[6:7]
	v_mov_b32_e32 v3, 0
	v_mov_b32_e32 v1, v6
	v_lshlrev_b32_e32 v4, 2, v2
	v_cmp_le_u64_e64 s[28:29], s[12:13], v[2:3]
	v_lshl_add_u64 v[0:1], v[0:1], 2, s[20:21]
	v_mov_b32_e32 v5, v3
	v_add_u32_e32 v9, s26, v4
	v_cmp_gt_u64_e64 s[4:5], s[12:13], v[2:3]
	v_lshl_add_u64 v[4:5], v[0:1], 0, v[4:5]
	s_xor_b64 s[20:21], s[28:29], -1
	s_mov_b32 s27, s2
	v_mov_b32_e32 v6, v8
	s_branch .LBB47_4
.LBB47_3:                               ;   in Loop: Header=BB47_4 Depth=1
	s_or_b64 exec, exec, s[30:31]
	s_ashr_i32 s8, s27, 31
	v_mov_b32_e32 v10, s27
	v_mov_b32_e32 v11, s8
	v_cmp_le_i64_e32 vcc, s[12:13], v[10:11]
	v_add_u32_e32 v6, s2, v6
	s_add_i32 s27, s27, s2
	s_cbranch_vccnz .LBB47_15
.LBB47_4:                               ; =>This Inner Loop Header: Depth=1
	s_mov_b64 s[8:9], 0
	s_mov_b64 s[34:35], s[28:29]
                                        ; implicit-def: $vgpr3
	s_and_saveexec_b64 s[30:31], s[4:5]
	s_cbranch_execnz .LBB47_7
; %bb.5:                                ;   in Loop: Header=BB47_4 Depth=1
	s_or_b64 exec, exec, s[30:31]
	v_mov_b32_e32 v7, v6
	s_and_saveexec_b64 s[30:31], s[34:35]
	s_cbranch_execnz .LBB47_10
.LBB47_6:                               ;   in Loop: Header=BB47_4 Depth=1
	s_or_b64 exec, exec, s[30:31]
	s_and_saveexec_b64 s[30:31], s[8:9]
	s_cbranch_execz .LBB47_3
	s_branch .LBB47_13
.LBB47_7:                               ;   in Loop: Header=BB47_4 Depth=1
	v_ashrrev_i32_e32 v7, 31, v6
	v_cmp_gt_i64_e32 vcc, s[12:13], v[6:7]
	v_cmp_lt_i32_e64 s[8:9], v2, v6
	s_and_b64 s[38:39], s[8:9], vcc
	s_mov_b64 s[34:35], -1
	s_mov_b64 s[8:9], 0
                                        ; implicit-def: $vgpr3
	s_and_saveexec_b64 s[36:37], s[38:39]
	s_cbranch_execz .LBB47_9
; %bb.8:                                ;   in Loop: Header=BB47_4 Depth=1
	v_lshl_add_u64 v[10:11], v[6:7], 2, v[0:1]
	s_waitcnt vmcnt(0) lgkmcnt(0)
	flat_load_dword v3, v[10:11]
	s_mov_b64 s[8:9], exec
	s_xor_b64 s[34:35], exec, -1
.LBB47_9:                               ;   in Loop: Header=BB47_4 Depth=1
	s_or_b64 exec, exec, s[36:37]
	s_andn2_b64 s[36:37], s[28:29], exec
	s_and_b64 s[34:35], s[34:35], exec
	s_and_b64 s[8:9], s[8:9], exec
	s_or_b64 s[34:35], s[36:37], s[34:35]
	s_or_b64 exec, exec, s[30:31]
	v_mov_b32_e32 v7, v6
	s_and_saveexec_b64 s[30:31], s[34:35]
	s_cbranch_execz .LBB47_6
.LBB47_10:                              ;   in Loop: Header=BB47_4 Depth=1
	v_cmp_eq_u32_e32 vcc, v2, v6
	s_and_b64 s[38:39], s[20:21], vcc
	s_mov_b64 s[36:37], s[8:9]
                                        ; implicit-def: $vgpr3
	s_and_saveexec_b64 s[34:35], s[38:39]
	s_cbranch_execz .LBB47_12
; %bb.11:                               ;   in Loop: Header=BB47_4 Depth=1
	s_waitcnt vmcnt(0) lgkmcnt(0)
	flat_load_dword v3, v[4:5]
	s_waitcnt vmcnt(0) lgkmcnt(0)
	v_div_scale_f32 v7, s[36:37], v3, v3, 1.0
	v_rcp_f32_e32 v10, v7
	v_div_scale_f32 v11, vcc, 1.0, v3, 1.0
	s_or_b64 s[36:37], s[8:9], exec
	v_fma_f32 v12, -v7, v10, 1.0
	v_fmac_f32_e32 v10, v12, v10
	v_mul_f32_e32 v12, v11, v10
	v_fma_f32 v13, -v7, v12, v11
	v_fmac_f32_e32 v12, v13, v10
	v_fma_f32 v7, -v7, v12, v11
	v_div_fmas_f32 v7, v7, v10, v12
	v_div_fixup_f32 v3, v7, v3, 1.0
.LBB47_12:                              ;   in Loop: Header=BB47_4 Depth=1
	s_or_b64 exec, exec, s[34:35]
	s_andn2_b64 s[8:9], s[8:9], exec
	s_and_b64 s[34:35], s[36:37], exec
	s_or_b64 s[8:9], s[8:9], s[34:35]
	v_mov_b32_e32 v7, v2
	s_or_b64 exec, exec, s[30:31]
	s_and_saveexec_b64 s[30:31], s[8:9]
	s_cbranch_execz .LBB47_3
.LBB47_13:                              ;   in Loop: Header=BB47_4 Depth=1
	s_load_dword s8, s[24:25], 0xc
	s_waitcnt lgkmcnt(0)
	s_and_b32 s8, s8, 0xffff
	v_mul_lo_u32 v7, v7, s8
	v_lshl_add_u32 v7, v7, 2, v9
	s_waitcnt vmcnt(0)
	ds_write_b32 v7, v3
	s_branch .LBB47_3
.LBB47_14:
	s_mov_b64 s[16:17], s[30:31]
	s_branch .LBB47_16
.LBB47_15:
	s_load_dword s4, s[24:25], 0xc
	s_mov_b64 s[8:9], src_shared_base
	s_mov_b32 s27, s9
	s_mov_b32 s5, 0
	s_mov_b64 s[20:21], s[26:27]
	s_waitcnt lgkmcnt(0)
	s_and_b32 s4, s4, 0xffff
.LBB47_16:
	s_mul_i32 s3, s3, s2
	v_add_u32_e32 v0, s3, v8
	v_mov_b32_e32 v1, 0
	v_cmp_gt_i64_e32 vcc, s[14:15], v[0:1]
	s_and_saveexec_b64 s[2:3], vcc
	s_cbranch_execz .LBB47_29
; %bb.17:
	s_waitcnt vmcnt(0)
	v_mov_b32_e32 v3, v1
	v_cmp_gt_i64_e32 vcc, s[12:13], v[2:3]
	s_and_b64 exec, exec, vcc
	s_cbranch_execz .LBB47_29
; %bb.18:
	v_mad_u64_u32 v[4:5], s[8:9], s18, v2, 0
	s_lshl_b64 s[2:3], s[10:11], 2
	v_mov_b32_e32 v6, v5
	s_waitcnt lgkmcnt(0)
	s_add_u32 s2, s22, s2
	v_mad_u64_u32 v[6:7], s[8:9], s19, v2, v[6:7]
	s_addc_u32 s3, s23, s3
	v_mov_b32_e32 v5, v6
	v_lshl_add_u64 v[4:5], v[4:5], 2, s[2:3]
	v_lshl_add_u64 v[0:1], v[0:1], 2, v[4:5]
	flat_load_dword v4, v[0:1]
	s_load_dword s2, s[0:1], 0x18
	v_cmp_lt_u64_e64 s[0:1], s[12:13], 2
	s_and_b64 vcc, exec, s[0:1]
	s_waitcnt vmcnt(0) lgkmcnt(0)
	v_mul_f32_e32 v9, s2, v4
	s_cbranch_vccnz .LBB47_26
; %bb.19:
	s_add_u32 s0, s4, s16
	v_mad_u64_u32 v[4:5], s[0:1], s0, v2, 0
	s_addc_u32 s2, s5, s17
	v_mov_b32_e32 v6, v5
	v_mad_u64_u32 v[6:7], s[0:1], s2, v2, v[6:7]
	v_mov_b32_e32 v5, v6
	v_mad_u64_u32 v[6:7], s[0:1], s16, v2, 0
	;; [unrolled: 2-line block ×3, first 2 shown]
	s_add_u32 s0, s12, -1
	s_addc_u32 s1, s13, -1
	s_mul_i32 s2, s4, s1
	s_mul_hi_u32 s3, s4, s0
	s_add_i32 s3, s3, s2
	s_mul_i32 s2, s4, s0
	s_lshl_b64 s[2:3], s[2:3], 2
	s_add_u32 s2, s20, s2
	v_mov_b32_e32 v7, v10
	s_addc_u32 s3, s21, s3
	v_lshl_add_u64 v[6:7], v[6:7], 2, s[2:3]
	s_lshl_b32 s2, s4, 2
	s_sub_u32 s2, 0, s2
	v_lshl_add_u64 v[4:5], v[4:5], 2, s[20:21]
	v_lshl_add_u32 v8, v8, 2, 0
	s_subb_u32 s3, 0, 0
.LBB47_20:                              ; =>This Inner Loop Header: Depth=1
	v_cmp_eq_u64_e32 vcc, s[0:1], v[2:3]
	s_barrier
	s_and_saveexec_b64 s[8:9], vcc
	s_cbranch_execz .LBB47_22
; %bb.21:                               ;   in Loop: Header=BB47_20 Depth=1
	flat_load_dword v10, v[4:5]
	s_waitcnt vmcnt(0) lgkmcnt(0)
	v_div_scale_f32 v11, s[10:11], v10, v10, 1.0
	v_rcp_f32_e32 v12, v11
	v_div_scale_f32 v13, vcc, 1.0, v10, 1.0
	v_fma_f32 v14, -v11, v12, 1.0
	v_fmac_f32_e32 v12, v14, v12
	v_mul_f32_e32 v14, v13, v12
	v_fma_f32 v15, -v11, v14, v13
	v_fmac_f32_e32 v14, v15, v12
	v_fma_f32 v11, -v11, v14, v13
	v_div_fmas_f32 v11, v11, v12, v14
	v_div_fixup_f32 v11, v11, v10, 1.0
	v_cndmask_b32_e64 v10, v11, v10, s[6:7]
	v_mul_f32_e32 v9, v9, v10
	ds_write_b32 v8, v9
.LBB47_22:                              ;   in Loop: Header=BB47_20 Depth=1
	s_or_b64 exec, exec, s[8:9]
	v_cmp_gt_i64_e32 vcc, s[0:1], v[2:3]
	s_waitcnt lgkmcnt(0)
	s_barrier
	s_and_saveexec_b64 s[8:9], vcc
	s_cbranch_execz .LBB47_24
; %bb.23:                               ;   in Loop: Header=BB47_20 Depth=1
	flat_load_dword v10, v[6:7]
	ds_read_b32 v11, v8
	s_waitcnt vmcnt(0) lgkmcnt(0)
	v_fma_f32 v9, -v10, v11, v9
.LBB47_24:                              ;   in Loop: Header=BB47_20 Depth=1
	s_or_b64 exec, exec, s[8:9]
	s_add_u32 s8, s0, -1
	s_addc_u32 s9, s1, -1
	s_add_u32 s0, s0, 1
	s_addc_u32 s1, s1, 0
	v_cmp_lt_u64_e64 s[0:1], s[0:1], 3
	v_lshl_add_u64 v[6:7], v[6:7], 0, s[2:3]
	s_and_b64 vcc, exec, s[0:1]
	s_cbranch_vccnz .LBB47_26
; %bb.25:                               ;   in Loop: Header=BB47_20 Depth=1
	s_mov_b64 s[0:1], s[8:9]
	s_branch .LBB47_20
.LBB47_26:
	v_cmp_eq_u32_e32 vcc, 0, v2
	s_and_saveexec_b64 s[0:1], vcc
	s_cbranch_execz .LBB47_28
; %bb.27:
	s_add_u32 s2, s4, s16
	v_mad_u64_u32 v[4:5], s[2:3], s2, v2, 0
	s_addc_u32 s4, s5, s17
	v_mov_b32_e32 v6, v5
	v_mad_u64_u32 v[2:3], s[2:3], s4, v2, v[6:7]
	v_mov_b32_e32 v5, v2
	v_lshl_add_u64 v[2:3], v[4:5], 2, s[20:21]
	flat_load_dword v2, v[2:3]
	s_waitcnt vmcnt(0) lgkmcnt(0)
	v_div_scale_f32 v3, s[2:3], v2, v2, 1.0
	v_rcp_f32_e32 v4, v3
	v_div_scale_f32 v5, vcc, 1.0, v2, 1.0
	v_fma_f32 v6, -v3, v4, 1.0
	v_fmac_f32_e32 v4, v6, v4
	v_mul_f32_e32 v6, v5, v4
	v_fma_f32 v7, -v3, v6, v5
	v_fmac_f32_e32 v6, v7, v4
	v_fma_f32 v3, -v3, v6, v5
	v_div_fmas_f32 v3, v3, v4, v6
	v_div_fixup_f32 v3, v3, v2, 1.0
	v_cndmask_b32_e64 v2, v3, v2, s[6:7]
	v_mul_f32_e32 v9, v9, v2
.LBB47_28:
	s_or_b64 exec, exec, s[0:1]
	flat_store_dword v[0:1], v9
.LBB47_29:
	s_endpgm
	.section	.rodata,"a",@progbits
	.p2align	6, 0x0
	.amdhsa_kernel _ZL40rocblas_trsm_block_backward_substitutionIffPKPKfPKPfLb0ELb0ELb0EEv18rocblas_operation_llT0_T1_lllT2_lllib
		.amdhsa_group_segment_fixed_size 0
		.amdhsa_private_segment_fixed_size 0
		.amdhsa_kernarg_size 360
		.amdhsa_user_sgpr_count 2
		.amdhsa_user_sgpr_dispatch_ptr 0
		.amdhsa_user_sgpr_queue_ptr 0
		.amdhsa_user_sgpr_kernarg_segment_ptr 1
		.amdhsa_user_sgpr_dispatch_id 0
		.amdhsa_user_sgpr_kernarg_preload_length 0
		.amdhsa_user_sgpr_kernarg_preload_offset 0
		.amdhsa_user_sgpr_private_segment_size 0
		.amdhsa_uses_dynamic_stack 0
		.amdhsa_enable_private_segment 0
		.amdhsa_system_sgpr_workgroup_id_x 1
		.amdhsa_system_sgpr_workgroup_id_y 1
		.amdhsa_system_sgpr_workgroup_id_z 1
		.amdhsa_system_sgpr_workgroup_info 0
		.amdhsa_system_vgpr_workitem_id 1
		.amdhsa_next_free_vgpr 16
		.amdhsa_next_free_sgpr 40
		.amdhsa_accum_offset 16
		.amdhsa_reserve_vcc 1
		.amdhsa_float_round_mode_32 0
		.amdhsa_float_round_mode_16_64 0
		.amdhsa_float_denorm_mode_32 3
		.amdhsa_float_denorm_mode_16_64 3
		.amdhsa_dx10_clamp 1
		.amdhsa_ieee_mode 1
		.amdhsa_fp16_overflow 0
		.amdhsa_tg_split 0
		.amdhsa_exception_fp_ieee_invalid_op 0
		.amdhsa_exception_fp_denorm_src 0
		.amdhsa_exception_fp_ieee_div_zero 0
		.amdhsa_exception_fp_ieee_overflow 0
		.amdhsa_exception_fp_ieee_underflow 0
		.amdhsa_exception_fp_ieee_inexact 0
		.amdhsa_exception_int_div_zero 0
	.end_amdhsa_kernel
	.section	.text._ZL40rocblas_trsm_block_backward_substitutionIffPKPKfPKPfLb0ELb0ELb0EEv18rocblas_operation_llT0_T1_lllT2_lllib,"axG",@progbits,_ZL40rocblas_trsm_block_backward_substitutionIffPKPKfPKPfLb0ELb0ELb0EEv18rocblas_operation_llT0_T1_lllT2_lllib,comdat
.Lfunc_end47:
	.size	_ZL40rocblas_trsm_block_backward_substitutionIffPKPKfPKPfLb0ELb0ELb0EEv18rocblas_operation_llT0_T1_lllT2_lllib, .Lfunc_end47-_ZL40rocblas_trsm_block_backward_substitutionIffPKPKfPKPfLb0ELb0ELb0EEv18rocblas_operation_llT0_T1_lllT2_lllib
                                        ; -- End function
	.set _ZL40rocblas_trsm_block_backward_substitutionIffPKPKfPKPfLb0ELb0ELb0EEv18rocblas_operation_llT0_T1_lllT2_lllib.num_vgpr, 16
	.set _ZL40rocblas_trsm_block_backward_substitutionIffPKPKfPKPfLb0ELb0ELb0EEv18rocblas_operation_llT0_T1_lllT2_lllib.num_agpr, 0
	.set _ZL40rocblas_trsm_block_backward_substitutionIffPKPKfPKPfLb0ELb0ELb0EEv18rocblas_operation_llT0_T1_lllT2_lllib.numbered_sgpr, 40
	.set _ZL40rocblas_trsm_block_backward_substitutionIffPKPKfPKPfLb0ELb0ELb0EEv18rocblas_operation_llT0_T1_lllT2_lllib.num_named_barrier, 0
	.set _ZL40rocblas_trsm_block_backward_substitutionIffPKPKfPKPfLb0ELb0ELb0EEv18rocblas_operation_llT0_T1_lllT2_lllib.private_seg_size, 0
	.set _ZL40rocblas_trsm_block_backward_substitutionIffPKPKfPKPfLb0ELb0ELb0EEv18rocblas_operation_llT0_T1_lllT2_lllib.uses_vcc, 1
	.set _ZL40rocblas_trsm_block_backward_substitutionIffPKPKfPKPfLb0ELb0ELb0EEv18rocblas_operation_llT0_T1_lllT2_lllib.uses_flat_scratch, 0
	.set _ZL40rocblas_trsm_block_backward_substitutionIffPKPKfPKPfLb0ELb0ELb0EEv18rocblas_operation_llT0_T1_lllT2_lllib.has_dyn_sized_stack, 0
	.set _ZL40rocblas_trsm_block_backward_substitutionIffPKPKfPKPfLb0ELb0ELb0EEv18rocblas_operation_llT0_T1_lllT2_lllib.has_recursion, 0
	.set _ZL40rocblas_trsm_block_backward_substitutionIffPKPKfPKPfLb0ELb0ELb0EEv18rocblas_operation_llT0_T1_lllT2_lllib.has_indirect_call, 0
	.section	.AMDGPU.csdata,"",@progbits
; Kernel info:
; codeLenInByte = 1360
; TotalNumSgprs: 46
; NumVgprs: 16
; NumAgprs: 0
; TotalNumVgprs: 16
; ScratchSize: 0
; MemoryBound: 0
; FloatMode: 240
; IeeeMode: 1
; LDSByteSize: 0 bytes/workgroup (compile time only)
; SGPRBlocks: 5
; VGPRBlocks: 1
; NumSGPRsForWavesPerEU: 46
; NumVGPRsForWavesPerEU: 16
; AccumOffset: 16
; Occupancy: 8
; WaveLimiterHint : 1
; COMPUTE_PGM_RSRC2:SCRATCH_EN: 0
; COMPUTE_PGM_RSRC2:USER_SGPR: 2
; COMPUTE_PGM_RSRC2:TRAP_HANDLER: 0
; COMPUTE_PGM_RSRC2:TGID_X_EN: 1
; COMPUTE_PGM_RSRC2:TGID_Y_EN: 1
; COMPUTE_PGM_RSRC2:TGID_Z_EN: 1
; COMPUTE_PGM_RSRC2:TIDIG_COMP_CNT: 1
; COMPUTE_PGM_RSRC3_GFX90A:ACCUM_OFFSET: 3
; COMPUTE_PGM_RSRC3_GFX90A:TG_SPLIT: 0
	.section	.text._ZL39rocblas_trsm_block_forward_substitutionIffPKPKfPKPfLb0ELb0ELb1EEv18rocblas_operation_llT0_T1_lllT2_lllib,"axG",@progbits,_ZL39rocblas_trsm_block_forward_substitutionIffPKPKfPKPfLb0ELb0ELb1EEv18rocblas_operation_llT0_T1_lllT2_lllib,comdat
	.globl	_ZL39rocblas_trsm_block_forward_substitutionIffPKPKfPKPfLb0ELb0ELb1EEv18rocblas_operation_llT0_T1_lllT2_lllib ; -- Begin function _ZL39rocblas_trsm_block_forward_substitutionIffPKPKfPKPfLb0ELb0ELb1EEv18rocblas_operation_llT0_T1_lllT2_lllib
	.p2align	8
	.type	_ZL39rocblas_trsm_block_forward_substitutionIffPKPKfPKPfLb0ELb0ELb1EEv18rocblas_operation_llT0_T1_lllT2_lllib,@function
_ZL39rocblas_trsm_block_forward_substitutionIffPKPKfPKPfLb0ELb0ELb1EEv18rocblas_operation_llT0_T1_lllT2_lllib: ; @_ZL39rocblas_trsm_block_forward_substitutionIffPKPKfPKPfLb0ELb0ELb1EEv18rocblas_operation_llT0_T1_lllT2_lllib
; %bb.0:
	s_load_dwordx4 s[12:15], s[0:1], 0x20
	s_mov_b32 s5, 0
	s_lshl_b64 s[16:17], s[4:5], 3
	v_and_b32_e32 v2, 0x3ff, v0
	v_bfe_u32 v6, v0, 10, 10
	s_waitcnt lgkmcnt(0)
	s_add_u32 s18, s12, s16
	s_addc_u32 s19, s13, s17
	s_load_dwordx2 s[20:21], s[18:19], 0x0
	s_load_dwordx4 s[8:11], s[0:1], 0x8
	s_load_dwordx4 s[4:7], s[0:1], 0x40
	s_load_dwordx2 s[12:13], s[0:1], 0x30
	s_lshl_b64 s[14:15], s[14:15], 2
	s_waitcnt lgkmcnt(0)
	s_add_u32 s18, s20, s14
	s_addc_u32 s19, s21, s15
	s_add_u32 s4, s4, s16
	s_addc_u32 s5, s5, s17
	s_load_dwordx2 s[14:15], s[0:1], 0x50
	s_load_dword s22, s[0:1], 0x64
	s_load_dword s2, s[0:1], 0x74
	s_load_dwordx2 s[16:17], s[4:5], 0x0
	s_add_u32 s20, s0, 0x68
	s_addc_u32 s21, s1, 0
	s_waitcnt lgkmcnt(0)
	s_lshr_b32 s2, s2, 16
	s_bitcmp0_b32 s22, 0
	s_cbranch_scc1 .LBB48_7
; %bb.1:
	s_lshl_b32 s4, s2, 2
	s_add_i32 s22, s4, 0
	v_cmp_lt_i64_e64 s[4:5], s[8:9], 1
	s_and_b64 vcc, exec, s[4:5]
	s_cbranch_vccnz .LBB48_6
; %bb.2:
	v_mov_b32_e32 v3, 0
	v_lshlrev_b32_e32 v0, 2, v2
	v_mov_b32_e32 v1, v3
	v_add_u32_e32 v4, s22, v0
	v_cmp_gt_u64_e64 s[4:5], s[8:9], v[2:3]
	v_lshl_add_u64 v[0:1], s[18:19], 0, v[0:1]
	s_mov_b32 s23, 0
	s_branch .LBB48_4
.LBB48_3:                               ;   in Loop: Header=BB48_4 Depth=1
	s_or_b64 exec, exec, s[18:19]
	s_add_i32 s23, s23, s2
	s_ashr_i32 s18, s23, 31
	v_mov_b32_e32 v8, s23
	v_mov_b32_e32 v9, s18
	v_cmp_le_i64_e32 vcc, s[8:9], v[8:9]
	s_cbranch_vccnz .LBB48_6
.LBB48_4:                               ; =>This Inner Loop Header: Depth=1
	v_add_u32_e32 v3, s23, v6
	v_cmp_gt_i32_e32 vcc, v2, v3
	s_and_b64 s[24:25], s[4:5], vcc
	s_and_saveexec_b64 s[18:19], s[24:25]
	s_cbranch_execz .LBB48_3
; %bb.5:                                ;   in Loop: Header=BB48_4 Depth=1
	v_ashrrev_i32_e32 v5, 31, v3
	v_mul_lo_u32 v7, s13, v3
	v_mul_lo_u32 v5, s12, v5
	v_mad_u64_u32 v[8:9], s[24:25], s12, v3, 0
	v_add3_u32 v9, v9, v5, v7
	v_lshl_add_u64 v[8:9], v[8:9], 2, v[0:1]
	flat_load_dword v5, v[8:9]
	s_load_dword s24, s[20:21], 0xc
	s_waitcnt lgkmcnt(0)
	s_and_b32 s24, s24, 0xffff
	v_mul_lo_u32 v3, v3, s24
	v_lshl_add_u32 v3, v3, 2, v4
	s_waitcnt vmcnt(0)
	ds_write_b32 v3, v5
	s_branch .LBB48_3
.LBB48_6:
	s_mov_b64 s[4:5], src_shared_base
	s_load_dword s4, s[20:21], 0xc
	s_mov_b32 s23, s5
	s_mov_b32 s13, 0
	s_mov_b64 s[18:19], s[22:23]
	s_waitcnt lgkmcnt(0)
	s_and_b32 s12, s4, 0xffff
.LBB48_7:
	s_mul_i32 s3, s3, s2
	v_add_u32_e32 v0, s3, v6
	v_mov_b32_e32 v1, 0
	v_cmp_gt_i64_e32 vcc, s[10:11], v[0:1]
	s_and_saveexec_b64 s[2:3], vcc
	s_cbranch_execz .LBB48_17
; %bb.8:
	v_mov_b32_e32 v3, v1
	v_cmp_gt_i64_e32 vcc, s[8:9], v[2:3]
	s_and_b64 exec, exec, vcc
	s_cbranch_execz .LBB48_17
; %bb.9:
	v_mad_u64_u32 v[4:5], s[4:5], s14, v0, 0
	s_lshl_b64 s[2:3], s[6:7], 2
	v_mov_b32_e32 v8, v5
	s_add_u32 s2, s16, s2
	v_mad_u64_u32 v[0:1], s[4:5], s15, v0, v[8:9]
	s_addc_u32 s3, s17, s3
	v_mov_b32_e32 v5, v0
	v_lshl_add_u64 v[0:1], v[4:5], 2, s[2:3]
	v_lshlrev_b32_e32 v4, 2, v2
	v_mov_b32_e32 v5, 0
	v_lshl_add_u64 v[0:1], v[0:1], 0, v[4:5]
	flat_load_dword v7, v[0:1]
	s_load_dword s2, s[0:1], 0x18
	v_cmp_lt_u64_e64 s[0:1], s[8:9], 2
	s_and_b64 vcc, exec, s[0:1]
	s_waitcnt vmcnt(0) lgkmcnt(0)
	v_mul_f32_e32 v7, s2, v7
	s_cbranch_vccnz .LBB48_16
; %bb.10:
	s_add_u32 s0, s8, -1
	v_lshl_add_u64 v[4:5], s[18:19], 0, v[4:5]
	v_lshl_add_u32 v6, v6, 2, 0
	s_addc_u32 s1, s9, -1
	s_lshl_b64 s[2:3], s[12:13], 2
	s_mov_b64 s[4:5], 0
	s_branch .LBB48_12
.LBB48_11:                              ;   in Loop: Header=BB48_12 Depth=1
	s_or_b64 exec, exec, s[6:7]
	s_add_u32 s4, s4, 1
	s_addc_u32 s5, s5, 0
	s_cmp_eq_u64 s[0:1], s[4:5]
	v_lshl_add_u64 v[4:5], v[4:5], 0, s[2:3]
	s_cbranch_scc1 .LBB48_16
.LBB48_12:                              ; =>This Inner Loop Header: Depth=1
	v_cmp_eq_u64_e32 vcc, s[4:5], v[2:3]
	s_barrier
	s_and_saveexec_b64 s[6:7], vcc
; %bb.13:                               ;   in Loop: Header=BB48_12 Depth=1
	ds_write_b32 v6, v7
; %bb.14:                               ;   in Loop: Header=BB48_12 Depth=1
	s_or_b64 exec, exec, s[6:7]
	v_cmp_lt_u64_e32 vcc, s[4:5], v[2:3]
	s_waitcnt lgkmcnt(0)
	s_barrier
	s_and_saveexec_b64 s[6:7], vcc
	s_cbranch_execz .LBB48_11
; %bb.15:                               ;   in Loop: Header=BB48_12 Depth=1
	flat_load_dword v8, v[4:5]
	ds_read_b32 v9, v6
	s_waitcnt vmcnt(0) lgkmcnt(0)
	v_fma_f32 v7, -v8, v9, v7
	s_branch .LBB48_11
.LBB48_16:
	flat_store_dword v[0:1], v7
.LBB48_17:
	s_endpgm
	.section	.rodata,"a",@progbits
	.p2align	6, 0x0
	.amdhsa_kernel _ZL39rocblas_trsm_block_forward_substitutionIffPKPKfPKPfLb0ELb0ELb1EEv18rocblas_operation_llT0_T1_lllT2_lllib
		.amdhsa_group_segment_fixed_size 0
		.amdhsa_private_segment_fixed_size 0
		.amdhsa_kernarg_size 360
		.amdhsa_user_sgpr_count 2
		.amdhsa_user_sgpr_dispatch_ptr 0
		.amdhsa_user_sgpr_queue_ptr 0
		.amdhsa_user_sgpr_kernarg_segment_ptr 1
		.amdhsa_user_sgpr_dispatch_id 0
		.amdhsa_user_sgpr_kernarg_preload_length 0
		.amdhsa_user_sgpr_kernarg_preload_offset 0
		.amdhsa_user_sgpr_private_segment_size 0
		.amdhsa_uses_dynamic_stack 0
		.amdhsa_enable_private_segment 0
		.amdhsa_system_sgpr_workgroup_id_x 1
		.amdhsa_system_sgpr_workgroup_id_y 1
		.amdhsa_system_sgpr_workgroup_id_z 1
		.amdhsa_system_sgpr_workgroup_info 0
		.amdhsa_system_vgpr_workitem_id 1
		.amdhsa_next_free_vgpr 10
		.amdhsa_next_free_sgpr 26
		.amdhsa_accum_offset 12
		.amdhsa_reserve_vcc 1
		.amdhsa_float_round_mode_32 0
		.amdhsa_float_round_mode_16_64 0
		.amdhsa_float_denorm_mode_32 3
		.amdhsa_float_denorm_mode_16_64 3
		.amdhsa_dx10_clamp 1
		.amdhsa_ieee_mode 1
		.amdhsa_fp16_overflow 0
		.amdhsa_tg_split 0
		.amdhsa_exception_fp_ieee_invalid_op 0
		.amdhsa_exception_fp_denorm_src 0
		.amdhsa_exception_fp_ieee_div_zero 0
		.amdhsa_exception_fp_ieee_overflow 0
		.amdhsa_exception_fp_ieee_underflow 0
		.amdhsa_exception_fp_ieee_inexact 0
		.amdhsa_exception_int_div_zero 0
	.end_amdhsa_kernel
	.section	.text._ZL39rocblas_trsm_block_forward_substitutionIffPKPKfPKPfLb0ELb0ELb1EEv18rocblas_operation_llT0_T1_lllT2_lllib,"axG",@progbits,_ZL39rocblas_trsm_block_forward_substitutionIffPKPKfPKPfLb0ELb0ELb1EEv18rocblas_operation_llT0_T1_lllT2_lllib,comdat
.Lfunc_end48:
	.size	_ZL39rocblas_trsm_block_forward_substitutionIffPKPKfPKPfLb0ELb0ELb1EEv18rocblas_operation_llT0_T1_lllT2_lllib, .Lfunc_end48-_ZL39rocblas_trsm_block_forward_substitutionIffPKPKfPKPfLb0ELb0ELb1EEv18rocblas_operation_llT0_T1_lllT2_lllib
                                        ; -- End function
	.set _ZL39rocblas_trsm_block_forward_substitutionIffPKPKfPKPfLb0ELb0ELb1EEv18rocblas_operation_llT0_T1_lllT2_lllib.num_vgpr, 10
	.set _ZL39rocblas_trsm_block_forward_substitutionIffPKPKfPKPfLb0ELb0ELb1EEv18rocblas_operation_llT0_T1_lllT2_lllib.num_agpr, 0
	.set _ZL39rocblas_trsm_block_forward_substitutionIffPKPKfPKPfLb0ELb0ELb1EEv18rocblas_operation_llT0_T1_lllT2_lllib.numbered_sgpr, 26
	.set _ZL39rocblas_trsm_block_forward_substitutionIffPKPKfPKPfLb0ELb0ELb1EEv18rocblas_operation_llT0_T1_lllT2_lllib.num_named_barrier, 0
	.set _ZL39rocblas_trsm_block_forward_substitutionIffPKPKfPKPfLb0ELb0ELb1EEv18rocblas_operation_llT0_T1_lllT2_lllib.private_seg_size, 0
	.set _ZL39rocblas_trsm_block_forward_substitutionIffPKPKfPKPfLb0ELb0ELb1EEv18rocblas_operation_llT0_T1_lllT2_lllib.uses_vcc, 1
	.set _ZL39rocblas_trsm_block_forward_substitutionIffPKPKfPKPfLb0ELb0ELb1EEv18rocblas_operation_llT0_T1_lllT2_lllib.uses_flat_scratch, 0
	.set _ZL39rocblas_trsm_block_forward_substitutionIffPKPKfPKPfLb0ELb0ELb1EEv18rocblas_operation_llT0_T1_lllT2_lllib.has_dyn_sized_stack, 0
	.set _ZL39rocblas_trsm_block_forward_substitutionIffPKPKfPKPfLb0ELb0ELb1EEv18rocblas_operation_llT0_T1_lllT2_lllib.has_recursion, 0
	.set _ZL39rocblas_trsm_block_forward_substitutionIffPKPKfPKPfLb0ELb0ELb1EEv18rocblas_operation_llT0_T1_lllT2_lllib.has_indirect_call, 0
	.section	.AMDGPU.csdata,"",@progbits
; Kernel info:
; codeLenInByte = 704
; TotalNumSgprs: 32
; NumVgprs: 10
; NumAgprs: 0
; TotalNumVgprs: 10
; ScratchSize: 0
; MemoryBound: 0
; FloatMode: 240
; IeeeMode: 1
; LDSByteSize: 0 bytes/workgroup (compile time only)
; SGPRBlocks: 3
; VGPRBlocks: 1
; NumSGPRsForWavesPerEU: 32
; NumVGPRsForWavesPerEU: 10
; AccumOffset: 12
; Occupancy: 8
; WaveLimiterHint : 1
; COMPUTE_PGM_RSRC2:SCRATCH_EN: 0
; COMPUTE_PGM_RSRC2:USER_SGPR: 2
; COMPUTE_PGM_RSRC2:TRAP_HANDLER: 0
; COMPUTE_PGM_RSRC2:TGID_X_EN: 1
; COMPUTE_PGM_RSRC2:TGID_Y_EN: 1
; COMPUTE_PGM_RSRC2:TGID_Z_EN: 1
; COMPUTE_PGM_RSRC2:TIDIG_COMP_CNT: 1
; COMPUTE_PGM_RSRC3_GFX90A:ACCUM_OFFSET: 2
; COMPUTE_PGM_RSRC3_GFX90A:TG_SPLIT: 0
	.section	.text._ZL40rocblas_trsm_block_backward_substitutionIffPKPKfPKPfLb0ELb0ELb1EEv18rocblas_operation_llT0_T1_lllT2_lllib,"axG",@progbits,_ZL40rocblas_trsm_block_backward_substitutionIffPKPKfPKPfLb0ELb0ELb1EEv18rocblas_operation_llT0_T1_lllT2_lllib,comdat
	.globl	_ZL40rocblas_trsm_block_backward_substitutionIffPKPKfPKPfLb0ELb0ELb1EEv18rocblas_operation_llT0_T1_lllT2_lllib ; -- Begin function _ZL40rocblas_trsm_block_backward_substitutionIffPKPKfPKPfLb0ELb0ELb1EEv18rocblas_operation_llT0_T1_lllT2_lllib
	.p2align	8
	.type	_ZL40rocblas_trsm_block_backward_substitutionIffPKPKfPKPfLb0ELb0ELb1EEv18rocblas_operation_llT0_T1_lllT2_lllib,@function
_ZL40rocblas_trsm_block_backward_substitutionIffPKPKfPKPfLb0ELb0ELb1EEv18rocblas_operation_llT0_T1_lllT2_lllib: ; @_ZL40rocblas_trsm_block_backward_substitutionIffPKPKfPKPfLb0ELb0ELb1EEv18rocblas_operation_llT0_T1_lllT2_lllib
; %bb.0:
	s_load_dwordx4 s[16:19], s[0:1], 0x20
	s_mov_b32 s5, 0
	s_lshl_b64 s[4:5], s[4:5], 3
	v_and_b32_e32 v2, 0x3ff, v0
	v_bfe_u32 v6, v0, 10, 10
	s_waitcnt lgkmcnt(0)
	s_add_u32 s6, s16, s4
	s_addc_u32 s7, s17, s5
	s_load_dwordx2 s[16:17], s[6:7], 0x0
	s_load_dwordx4 s[8:11], s[0:1], 0x8
	s_load_dwordx4 s[12:15], s[0:1], 0x40
	s_load_dwordx2 s[24:25], s[0:1], 0x30
	s_lshl_b64 s[6:7], s[18:19], 2
	s_waitcnt lgkmcnt(0)
	s_add_u32 s6, s16, s6
	s_addc_u32 s7, s17, s7
	s_add_u32 s4, s12, s4
	s_addc_u32 s5, s13, s5
	s_load_dwordx2 s[16:17], s[4:5], 0x0
	s_load_dwordx2 s[12:13], s[0:1], 0x50
	s_load_dword s18, s[0:1], 0x64
	s_load_dword s2, s[0:1], 0x74
	s_add_u32 s20, s0, 0x68
	s_addc_u32 s21, s1, 0
	s_mov_b64 s[4:5], 1
	s_waitcnt lgkmcnt(0)
	s_lshr_b32 s2, s2, 16
	s_bitcmp0_b32 s18, 0
	s_cbranch_scc1 .LBB49_6
; %bb.1:
	s_lshl_b32 s4, s2, 2
	s_add_i32 s22, s4, 0
	v_cmp_lt_i64_e64 s[4:5], s[8:9], 1
	s_mov_b64 s[18:19], 1
	s_and_b64 vcc, exec, s[4:5]
	s_cbranch_vccnz .LBB49_7
; %bb.2:
	v_mad_u64_u32 v[0:1], s[26:27], s24, v2, 0
	v_mov_b32_e32 v4, v1
	v_mad_u64_u32 v[4:5], s[24:25], s25, v2, v[4:5]
	v_mov_b32_e32 v3, 0
	v_mov_b32_e32 v1, v4
	v_lshl_add_u32 v7, v2, 2, s22
	v_cmp_gt_u64_e64 s[4:5], s[8:9], v[2:3]
	v_lshl_add_u64 v[0:1], v[0:1], 2, s[6:7]
	s_mov_b32 s23, 0
	s_branch .LBB49_4
.LBB49_3:                               ;   in Loop: Header=BB49_4 Depth=1
	s_or_b64 exec, exec, s[6:7]
	s_add_i32 s23, s23, s2
	s_ashr_i32 s6, s23, 31
	v_mov_b32_e32 v4, s23
	v_mov_b32_e32 v5, s6
	v_cmp_le_i64_e32 vcc, s[8:9], v[4:5]
	s_cbranch_vccnz .LBB49_7
.LBB49_4:                               ; =>This Inner Loop Header: Depth=1
	v_add_u32_e32 v4, s23, v6
	v_ashrrev_i32_e32 v5, 31, v4
	v_cmp_gt_i64_e32 vcc, s[8:9], v[4:5]
	v_cmp_lt_i32_e64 s[6:7], v2, v4
	s_and_b64 s[6:7], s[6:7], vcc
	s_and_b64 s[24:25], s[4:5], s[6:7]
	s_and_saveexec_b64 s[6:7], s[24:25]
	s_cbranch_execz .LBB49_3
; %bb.5:                                ;   in Loop: Header=BB49_4 Depth=1
	v_lshl_add_u64 v[8:9], v[4:5], 2, v[0:1]
	flat_load_dword v3, v[8:9]
	s_load_dword s24, s[20:21], 0xc
	s_waitcnt lgkmcnt(0)
	s_and_b32 s24, s24, 0xffff
	v_mul_lo_u32 v4, v4, s24
	v_lshl_add_u32 v4, v4, 2, v7
	s_waitcnt vmcnt(0)
	ds_write_b32 v4, v3
	s_branch .LBB49_3
.LBB49_6:
	s_mov_b64 s[18:19], s[24:25]
	s_branch .LBB49_8
.LBB49_7:
	s_mov_b64 s[4:5], src_shared_base
	s_load_dword s4, s[20:21], 0xc
	s_mov_b32 s23, s5
	s_mov_b64 s[6:7], s[22:23]
	s_waitcnt lgkmcnt(0)
	s_and_b32 s4, s4, 0xffff
.LBB49_8:
	s_mul_i32 s3, s3, s2
	v_add_u32_e32 v0, s3, v6
	v_mov_b32_e32 v1, 0
	v_cmp_gt_i64_e32 vcc, s[10:11], v[0:1]
	s_and_saveexec_b64 s[2:3], vcc
	s_cbranch_execz .LBB49_19
; %bb.9:
	v_mov_b32_e32 v3, v1
	v_cmp_gt_i64_e32 vcc, s[8:9], v[2:3]
	s_and_b64 exec, exec, vcc
	s_cbranch_execz .LBB49_19
; %bb.10:
	v_mad_u64_u32 v[4:5], s[10:11], s12, v2, 0
	s_lshl_b64 s[2:3], s[14:15], 2
	v_mov_b32_e32 v8, v5
	s_add_u32 s2, s16, s2
	v_mad_u64_u32 v[8:9], s[10:11], s13, v2, v[8:9]
	s_addc_u32 s3, s17, s3
	v_mov_b32_e32 v5, v8
	v_lshl_add_u64 v[4:5], v[4:5], 2, s[2:3]
	v_lshl_add_u64 v[0:1], v[0:1], 2, v[4:5]
	flat_load_dword v4, v[0:1]
	s_load_dword s2, s[0:1], 0x18
	v_cmp_lt_u64_e64 s[0:1], s[8:9], 2
	s_and_b64 vcc, exec, s[0:1]
	s_waitcnt vmcnt(0) lgkmcnt(0)
	v_mul_f32_e32 v7, s2, v4
	s_cbranch_vccnz .LBB49_18
; %bb.11:
	v_mad_u64_u32 v[4:5], s[0:1], s18, v2, 0
	v_mov_b32_e32 v8, v5
	v_mad_u64_u32 v[8:9], s[0:1], s19, v2, v[8:9]
	s_add_u32 s0, s8, -1
	s_addc_u32 s1, s9, -1
	s_mul_i32 s2, s4, s1
	s_mul_hi_u32 s3, s4, s0
	s_add_i32 s3, s3, s2
	s_mul_i32 s2, s4, s0
	s_lshl_b64 s[2:3], s[2:3], 2
	s_add_u32 s2, s6, s2
	v_mov_b32_e32 v5, v8
	s_addc_u32 s3, s7, s3
	v_lshl_add_u64 v[4:5], v[4:5], 2, s[2:3]
	s_lshl_b32 s2, s4, 2
	s_sub_u32 s2, 0, s2
	v_lshl_add_u32 v6, v6, 2, 0
	s_subb_u32 s3, 0, 0
.LBB49_12:                              ; =>This Inner Loop Header: Depth=1
	v_cmp_eq_u64_e32 vcc, s[0:1], v[2:3]
	s_barrier
	s_and_saveexec_b64 s[4:5], vcc
; %bb.13:                               ;   in Loop: Header=BB49_12 Depth=1
	ds_write_b32 v6, v7
; %bb.14:                               ;   in Loop: Header=BB49_12 Depth=1
	s_or_b64 exec, exec, s[4:5]
	v_cmp_gt_i64_e32 vcc, s[0:1], v[2:3]
	s_waitcnt lgkmcnt(0)
	s_barrier
	s_and_saveexec_b64 s[4:5], vcc
	s_cbranch_execz .LBB49_16
; %bb.15:                               ;   in Loop: Header=BB49_12 Depth=1
	flat_load_dword v8, v[4:5]
	ds_read_b32 v9, v6
	s_waitcnt vmcnt(0) lgkmcnt(0)
	v_fma_f32 v7, -v8, v9, v7
.LBB49_16:                              ;   in Loop: Header=BB49_12 Depth=1
	s_or_b64 exec, exec, s[4:5]
	s_add_u32 s4, s0, -1
	s_addc_u32 s5, s1, -1
	s_add_u32 s0, s0, 1
	s_addc_u32 s1, s1, 0
	v_cmp_lt_u64_e64 s[0:1], s[0:1], 3
	v_lshl_add_u64 v[4:5], v[4:5], 0, s[2:3]
	s_and_b64 vcc, exec, s[0:1]
	s_cbranch_vccnz .LBB49_18
; %bb.17:                               ;   in Loop: Header=BB49_12 Depth=1
	s_mov_b64 s[0:1], s[4:5]
	s_branch .LBB49_12
.LBB49_18:
	flat_store_dword v[0:1], v7
.LBB49_19:
	s_endpgm
	.section	.rodata,"a",@progbits
	.p2align	6, 0x0
	.amdhsa_kernel _ZL40rocblas_trsm_block_backward_substitutionIffPKPKfPKPfLb0ELb0ELb1EEv18rocblas_operation_llT0_T1_lllT2_lllib
		.amdhsa_group_segment_fixed_size 0
		.amdhsa_private_segment_fixed_size 0
		.amdhsa_kernarg_size 360
		.amdhsa_user_sgpr_count 2
		.amdhsa_user_sgpr_dispatch_ptr 0
		.amdhsa_user_sgpr_queue_ptr 0
		.amdhsa_user_sgpr_kernarg_segment_ptr 1
		.amdhsa_user_sgpr_dispatch_id 0
		.amdhsa_user_sgpr_kernarg_preload_length 0
		.amdhsa_user_sgpr_kernarg_preload_offset 0
		.amdhsa_user_sgpr_private_segment_size 0
		.amdhsa_uses_dynamic_stack 0
		.amdhsa_enable_private_segment 0
		.amdhsa_system_sgpr_workgroup_id_x 1
		.amdhsa_system_sgpr_workgroup_id_y 1
		.amdhsa_system_sgpr_workgroup_id_z 1
		.amdhsa_system_sgpr_workgroup_info 0
		.amdhsa_system_vgpr_workitem_id 1
		.amdhsa_next_free_vgpr 10
		.amdhsa_next_free_sgpr 28
		.amdhsa_accum_offset 12
		.amdhsa_reserve_vcc 1
		.amdhsa_float_round_mode_32 0
		.amdhsa_float_round_mode_16_64 0
		.amdhsa_float_denorm_mode_32 3
		.amdhsa_float_denorm_mode_16_64 3
		.amdhsa_dx10_clamp 1
		.amdhsa_ieee_mode 1
		.amdhsa_fp16_overflow 0
		.amdhsa_tg_split 0
		.amdhsa_exception_fp_ieee_invalid_op 0
		.amdhsa_exception_fp_denorm_src 0
		.amdhsa_exception_fp_ieee_div_zero 0
		.amdhsa_exception_fp_ieee_overflow 0
		.amdhsa_exception_fp_ieee_underflow 0
		.amdhsa_exception_fp_ieee_inexact 0
		.amdhsa_exception_int_div_zero 0
	.end_amdhsa_kernel
	.section	.text._ZL40rocblas_trsm_block_backward_substitutionIffPKPKfPKPfLb0ELb0ELb1EEv18rocblas_operation_llT0_T1_lllT2_lllib,"axG",@progbits,_ZL40rocblas_trsm_block_backward_substitutionIffPKPKfPKPfLb0ELb0ELb1EEv18rocblas_operation_llT0_T1_lllT2_lllib,comdat
.Lfunc_end49:
	.size	_ZL40rocblas_trsm_block_backward_substitutionIffPKPKfPKPfLb0ELb0ELb1EEv18rocblas_operation_llT0_T1_lllT2_lllib, .Lfunc_end49-_ZL40rocblas_trsm_block_backward_substitutionIffPKPKfPKPfLb0ELb0ELb1EEv18rocblas_operation_llT0_T1_lllT2_lllib
                                        ; -- End function
	.set _ZL40rocblas_trsm_block_backward_substitutionIffPKPKfPKPfLb0ELb0ELb1EEv18rocblas_operation_llT0_T1_lllT2_lllib.num_vgpr, 10
	.set _ZL40rocblas_trsm_block_backward_substitutionIffPKPKfPKPfLb0ELb0ELb1EEv18rocblas_operation_llT0_T1_lllT2_lllib.num_agpr, 0
	.set _ZL40rocblas_trsm_block_backward_substitutionIffPKPKfPKPfLb0ELb0ELb1EEv18rocblas_operation_llT0_T1_lllT2_lllib.numbered_sgpr, 28
	.set _ZL40rocblas_trsm_block_backward_substitutionIffPKPKfPKPfLb0ELb0ELb1EEv18rocblas_operation_llT0_T1_lllT2_lllib.num_named_barrier, 0
	.set _ZL40rocblas_trsm_block_backward_substitutionIffPKPKfPKPfLb0ELb0ELb1EEv18rocblas_operation_llT0_T1_lllT2_lllib.private_seg_size, 0
	.set _ZL40rocblas_trsm_block_backward_substitutionIffPKPKfPKPfLb0ELb0ELb1EEv18rocblas_operation_llT0_T1_lllT2_lllib.uses_vcc, 1
	.set _ZL40rocblas_trsm_block_backward_substitutionIffPKPKfPKPfLb0ELb0ELb1EEv18rocblas_operation_llT0_T1_lllT2_lllib.uses_flat_scratch, 0
	.set _ZL40rocblas_trsm_block_backward_substitutionIffPKPKfPKPfLb0ELb0ELb1EEv18rocblas_operation_llT0_T1_lllT2_lllib.has_dyn_sized_stack, 0
	.set _ZL40rocblas_trsm_block_backward_substitutionIffPKPKfPKPfLb0ELb0ELb1EEv18rocblas_operation_llT0_T1_lllT2_lllib.has_recursion, 0
	.set _ZL40rocblas_trsm_block_backward_substitutionIffPKPKfPKPfLb0ELb0ELb1EEv18rocblas_operation_llT0_T1_lllT2_lllib.has_indirect_call, 0
	.section	.AMDGPU.csdata,"",@progbits
; Kernel info:
; codeLenInByte = 780
; TotalNumSgprs: 34
; NumVgprs: 10
; NumAgprs: 0
; TotalNumVgprs: 10
; ScratchSize: 0
; MemoryBound: 0
; FloatMode: 240
; IeeeMode: 1
; LDSByteSize: 0 bytes/workgroup (compile time only)
; SGPRBlocks: 4
; VGPRBlocks: 1
; NumSGPRsForWavesPerEU: 34
; NumVGPRsForWavesPerEU: 10
; AccumOffset: 12
; Occupancy: 8
; WaveLimiterHint : 1
; COMPUTE_PGM_RSRC2:SCRATCH_EN: 0
; COMPUTE_PGM_RSRC2:USER_SGPR: 2
; COMPUTE_PGM_RSRC2:TRAP_HANDLER: 0
; COMPUTE_PGM_RSRC2:TGID_X_EN: 1
; COMPUTE_PGM_RSRC2:TGID_Y_EN: 1
; COMPUTE_PGM_RSRC2:TGID_Z_EN: 1
; COMPUTE_PGM_RSRC2:TIDIG_COMP_CNT: 1
; COMPUTE_PGM_RSRC3_GFX90A:ACCUM_OFFSET: 2
; COMPUTE_PGM_RSRC3_GFX90A:TG_SPLIT: 0
	.section	.text._ZL39rocblas_trsm_block_forward_substitutionIffPKPKfPKPfLb0ELb1ELb0EEv18rocblas_operation_llT0_T1_lllT2_lllib,"axG",@progbits,_ZL39rocblas_trsm_block_forward_substitutionIffPKPKfPKPfLb0ELb1ELb0EEv18rocblas_operation_llT0_T1_lllT2_lllib,comdat
	.globl	_ZL39rocblas_trsm_block_forward_substitutionIffPKPKfPKPfLb0ELb1ELb0EEv18rocblas_operation_llT0_T1_lllT2_lllib ; -- Begin function _ZL39rocblas_trsm_block_forward_substitutionIffPKPKfPKPfLb0ELb1ELb0EEv18rocblas_operation_llT0_T1_lllT2_lllib
	.p2align	8
	.type	_ZL39rocblas_trsm_block_forward_substitutionIffPKPKfPKPfLb0ELb1ELb0EEv18rocblas_operation_llT0_T1_lllT2_lllib,@function
_ZL39rocblas_trsm_block_forward_substitutionIffPKPKfPKPfLb0ELb1ELb0EEv18rocblas_operation_llT0_T1_lllT2_lllib: ; @_ZL39rocblas_trsm_block_forward_substitutionIffPKPKfPKPfLb0ELb1ELb0EEv18rocblas_operation_llT0_T1_lllT2_lllib
; %bb.0:
	s_load_dword s26, s[0:1], 0x64
	s_load_dwordx4 s[8:11], s[0:1], 0x8
	s_load_dwordx4 s[16:19], s[0:1], 0x20
	s_load_dword s2, s[0:1], 0x74
	s_mov_b32 s5, 0
	s_waitcnt lgkmcnt(0)
	s_bitcmp1_b32 s26, 0
	s_cselect_b64 s[6:7], -1, 0
	s_lshl_b64 s[20:21], s[4:5], 3
	s_add_u32 s22, s16, s20
	s_addc_u32 s23, s17, s21
	s_load_dwordx2 s[24:25], s[22:23], 0x0
	s_load_dwordx2 s[4:5], s[0:1], 0x30
	s_load_dwordx4 s[12:15], s[0:1], 0x40
	s_load_dwordx2 s[16:17], s[0:1], 0x50
	s_lshl_b64 s[18:19], s[18:19], 2
	s_waitcnt lgkmcnt(0)
	s_add_u32 s18, s24, s18
	s_addc_u32 s19, s25, s19
	s_add_u32 s12, s12, s20
	s_addc_u32 s13, s13, s21
	s_load_dwordx2 s[12:13], s[12:13], 0x0
	s_add_u32 s20, s0, 0x68
	s_addc_u32 s21, s1, 0
	s_lshr_b32 s2, s2, 16
	v_and_b32_e32 v2, 0x3ff, v0
	s_bitcmp0_b32 s26, 0
	v_bfe_u32 v8, v0, 10, 10
	s_cbranch_scc1 .LBB50_13
; %bb.1:
	s_lshl_b32 s22, s2, 2
	v_cmp_lt_i64_e64 s[24:25], s[8:9], 1
	s_add_i32 s22, s22, 0
	s_and_b64 vcc, exec, s[24:25]
	s_cbranch_vccnz .LBB50_12
; %bb.2:
	v_mov_b32_e32 v3, 0
	v_lshlrev_b32_e32 v0, 2, v2
	v_mov_b32_e32 v1, v3
	v_add_u32_e32 v6, s22, v0
	v_lshl_add_u64 v[0:1], s[18:19], 0, v[0:1]
	v_mad_u64_u32 v[4:5], s[18:19], s4, v2, 0
	v_mov_b32_e32 v10, v5
	v_mad_u64_u32 v[10:11], s[18:19], s5, v2, v[10:11]
	v_cmp_le_u64_e32 vcc, s[8:9], v[2:3]
	v_mov_b32_e32 v5, v10
	v_lshl_add_u64 v[4:5], v[4:5], 2, v[0:1]
	s_xor_b64 s[18:19], vcc, -1
	s_mov_b32 s23, s2
	v_mov_b32_e32 v3, v8
	s_branch .LBB50_4
.LBB50_3:                               ;   in Loop: Header=BB50_4 Depth=1
	s_or_b64 exec, exec, s[26:27]
	s_ashr_i32 s24, s23, 31
	v_mov_b32_e32 v10, s23
	v_mov_b32_e32 v11, s24
	v_cmp_le_i64_e32 vcc, s[8:9], v[10:11]
	v_add_u32_e32 v3, s2, v3
	s_add_i32 s23, s23, s2
	s_cbranch_vccnz .LBB50_12
.LBB50_4:                               ; =>This Inner Loop Header: Depth=1
	v_cmp_gt_i32_e32 vcc, v2, v3
	s_and_b64 s[26:27], s[18:19], vcc
	s_mov_b64 s[24:25], 0
                                        ; implicit-def: $vgpr7
	s_and_saveexec_b64 s[28:29], s[26:27]
	s_xor_b64 s[26:27], exec, s[28:29]
	s_cbranch_execnz .LBB50_7
; %bb.5:                                ;   in Loop: Header=BB50_4 Depth=1
	s_or_saveexec_b64 s[26:27], s[26:27]
	v_mov_b32_e32 v9, v3
	s_xor_b64 exec, exec, s[26:27]
	s_cbranch_execnz .LBB50_8
.LBB50_6:                               ;   in Loop: Header=BB50_4 Depth=1
	s_or_b64 exec, exec, s[26:27]
	s_and_saveexec_b64 s[26:27], s[24:25]
	s_cbranch_execz .LBB50_3
	s_branch .LBB50_11
.LBB50_7:                               ;   in Loop: Header=BB50_4 Depth=1
	s_waitcnt vmcnt(0) lgkmcnt(0)
	v_ashrrev_i32_e32 v7, 31, v3
	v_mul_lo_u32 v9, s5, v3
	v_mul_lo_u32 v7, s4, v7
	v_mad_u64_u32 v[10:11], s[28:29], s4, v3, 0
	v_add3_u32 v11, v11, v7, v9
	v_lshl_add_u64 v[10:11], v[10:11], 2, v[0:1]
	flat_load_dword v7, v[10:11]
	s_mov_b64 s[24:25], exec
	s_or_saveexec_b64 s[26:27], s[26:27]
	v_mov_b32_e32 v9, v3
	s_xor_b64 exec, exec, s[26:27]
	s_cbranch_execz .LBB50_6
.LBB50_8:                               ;   in Loop: Header=BB50_4 Depth=1
	v_cmp_eq_u32_e32 vcc, v2, v3
	s_and_b64 s[34:35], s[18:19], vcc
	s_mov_b64 s[30:31], s[24:25]
                                        ; implicit-def: $vgpr7
	s_and_saveexec_b64 s[28:29], s[34:35]
	s_cbranch_execz .LBB50_10
; %bb.9:                                ;   in Loop: Header=BB50_4 Depth=1
	s_waitcnt vmcnt(0) lgkmcnt(0)
	flat_load_dword v7, v[4:5]
	s_waitcnt vmcnt(0) lgkmcnt(0)
	v_div_scale_f32 v9, s[30:31], v7, v7, 1.0
	v_rcp_f32_e32 v10, v9
	v_div_scale_f32 v11, vcc, 1.0, v7, 1.0
	s_or_b64 s[30:31], s[24:25], exec
	v_fma_f32 v12, -v9, v10, 1.0
	v_fmac_f32_e32 v10, v12, v10
	v_mul_f32_e32 v12, v11, v10
	v_fma_f32 v13, -v9, v12, v11
	v_fmac_f32_e32 v12, v13, v10
	v_fma_f32 v9, -v9, v12, v11
	v_div_fmas_f32 v9, v9, v10, v12
	v_div_fixup_f32 v7, v9, v7, 1.0
.LBB50_10:                              ;   in Loop: Header=BB50_4 Depth=1
	s_or_b64 exec, exec, s[28:29]
	s_andn2_b64 s[24:25], s[24:25], exec
	s_and_b64 s[28:29], s[30:31], exec
	s_or_b64 s[24:25], s[24:25], s[28:29]
	v_mov_b32_e32 v9, v2
	s_or_b64 exec, exec, s[26:27]
	s_and_saveexec_b64 s[26:27], s[24:25]
	s_cbranch_execz .LBB50_3
.LBB50_11:                              ;   in Loop: Header=BB50_4 Depth=1
	s_load_dword s24, s[20:21], 0xc
	s_waitcnt lgkmcnt(0)
	s_and_b32 s24, s24, 0xffff
	v_mul_lo_u32 v9, v9, s24
	v_lshl_add_u32 v9, v9, 2, v6
	s_waitcnt vmcnt(0)
	ds_write_b32 v9, v7
	s_branch .LBB50_3
.LBB50_12:
	s_load_dword s4, s[20:21], 0xc
	s_mov_b64 s[18:19], src_shared_base
	s_mov_b32 s23, s19
	s_mov_b32 s5, 0
	s_mov_b64 s[18:19], s[22:23]
	s_waitcnt lgkmcnt(0)
	s_and_b32 s4, s4, 0xffff
.LBB50_13:
	s_mul_i32 s3, s3, s2
	v_add_u32_e32 v0, s3, v8
	v_mov_b32_e32 v1, 0
	v_cmp_gt_i64_e32 vcc, s[10:11], v[0:1]
	s_and_saveexec_b64 s[2:3], vcc
	s_cbranch_execz .LBB50_25
; %bb.14:
	v_mov_b32_e32 v3, v1
	v_cmp_gt_i64_e32 vcc, s[8:9], v[2:3]
	s_and_b64 exec, exec, vcc
	s_cbranch_execz .LBB50_25
; %bb.15:
	v_mad_u64_u32 v[4:5], s[10:11], s16, v2, 0
	s_lshl_b64 s[2:3], s[14:15], 2
	v_mov_b32_e32 v6, v5
	s_waitcnt lgkmcnt(0)
	s_add_u32 s2, s12, s2
	s_waitcnt vmcnt(0)
	v_mad_u64_u32 v[6:7], s[10:11], s17, v2, v[6:7]
	s_addc_u32 s3, s13, s3
	v_mov_b32_e32 v5, v6
	v_lshl_add_u64 v[4:5], v[4:5], 2, s[2:3]
	v_lshl_add_u64 v[0:1], v[0:1], 2, v[4:5]
	flat_load_dword v4, v[0:1]
	s_load_dword s10, s[0:1], 0x18
	v_cmp_lt_u64_e64 s[2:3], s[8:9], 2
	s_add_u32 s0, s8, -1
	s_addc_u32 s1, s9, -1
	s_and_b64 vcc, exec, s[2:3]
	s_waitcnt vmcnt(0) lgkmcnt(0)
	v_mul_f32_e32 v9, s10, v4
	s_cbranch_vccnz .LBB50_22
; %bb.16:
	v_mad_u64_u32 v[6:7], s[2:3], v2, s4, v[2:3]
	v_mov_b32_e32 v10, v7
	v_mad_u64_u32 v[10:11], s[2:3], v2, s5, v[10:11]
	v_lshlrev_b32_e32 v4, 2, v2
	v_mov_b32_e32 v5, 0
	v_mov_b32_e32 v7, v10
	v_lshl_add_u64 v[4:5], s[18:19], 0, v[4:5]
	v_lshl_add_u64 v[6:7], v[6:7], 2, s[18:19]
	v_lshl_add_u32 v8, v8, 2, 0
	s_lshl_b64 s[2:3], s[4:5], 2
	s_mov_b64 s[8:9], 0
	s_branch .LBB50_18
.LBB50_17:                              ;   in Loop: Header=BB50_18 Depth=1
	s_or_b64 exec, exec, s[10:11]
	s_add_u32 s8, s8, 1
	s_addc_u32 s9, s9, 0
	s_cmp_eq_u64 s[0:1], s[8:9]
	v_lshl_add_u64 v[4:5], v[4:5], 0, s[2:3]
	s_cbranch_scc1 .LBB50_22
.LBB50_18:                              ; =>This Inner Loop Header: Depth=1
	v_cmp_eq_u64_e32 vcc, s[8:9], v[2:3]
	s_barrier
	s_and_saveexec_b64 s[10:11], vcc
	s_cbranch_execz .LBB50_20
; %bb.19:                               ;   in Loop: Header=BB50_18 Depth=1
	flat_load_dword v10, v[6:7]
	s_waitcnt vmcnt(0) lgkmcnt(0)
	v_div_scale_f32 v11, s[12:13], v10, v10, 1.0
	v_rcp_f32_e32 v12, v11
	v_div_scale_f32 v13, vcc, 1.0, v10, 1.0
	v_fma_f32 v14, -v11, v12, 1.0
	v_fmac_f32_e32 v12, v14, v12
	v_mul_f32_e32 v14, v13, v12
	v_fma_f32 v15, -v11, v14, v13
	v_fmac_f32_e32 v14, v15, v12
	v_fma_f32 v11, -v11, v14, v13
	v_div_fmas_f32 v11, v11, v12, v14
	v_div_fixup_f32 v11, v11, v10, 1.0
	v_cndmask_b32_e64 v10, v11, v10, s[6:7]
	v_mul_f32_e32 v9, v9, v10
	ds_write_b32 v8, v9
.LBB50_20:                              ;   in Loop: Header=BB50_18 Depth=1
	s_or_b64 exec, exec, s[10:11]
	v_cmp_lt_u64_e32 vcc, s[8:9], v[2:3]
	s_waitcnt lgkmcnt(0)
	s_barrier
	s_and_saveexec_b64 s[10:11], vcc
	s_cbranch_execz .LBB50_17
; %bb.21:                               ;   in Loop: Header=BB50_18 Depth=1
	flat_load_dword v10, v[4:5]
	ds_read_b32 v11, v8
	s_waitcnt vmcnt(0) lgkmcnt(0)
	v_fma_f32 v9, -v10, v11, v9
	s_branch .LBB50_17
.LBB50_22:
	v_cmp_eq_u64_e32 vcc, s[0:1], v[2:3]
	s_and_saveexec_b64 s[0:1], vcc
	s_cbranch_execz .LBB50_24
; %bb.23:
	v_mad_u64_u32 v[4:5], s[2:3], v2, s4, v[2:3]
	v_mov_b32_e32 v6, v5
	v_mad_u64_u32 v[2:3], s[2:3], v2, s5, v[6:7]
	v_mov_b32_e32 v5, v2
	v_lshl_add_u64 v[2:3], v[4:5], 2, s[18:19]
	flat_load_dword v2, v[2:3]
	s_waitcnt vmcnt(0) lgkmcnt(0)
	v_div_scale_f32 v3, s[2:3], v2, v2, 1.0
	v_rcp_f32_e32 v4, v3
	v_div_scale_f32 v5, vcc, 1.0, v2, 1.0
	v_fma_f32 v6, -v3, v4, 1.0
	v_fmac_f32_e32 v4, v6, v4
	v_mul_f32_e32 v6, v5, v4
	v_fma_f32 v7, -v3, v6, v5
	v_fmac_f32_e32 v6, v7, v4
	v_fma_f32 v3, -v3, v6, v5
	v_div_fmas_f32 v3, v3, v4, v6
	v_div_fixup_f32 v3, v3, v2, 1.0
	v_cndmask_b32_e64 v2, v3, v2, s[6:7]
	v_mul_f32_e32 v9, v9, v2
.LBB50_24:
	s_or_b64 exec, exec, s[0:1]
	flat_store_dword v[0:1], v9
.LBB50_25:
	s_endpgm
	.section	.rodata,"a",@progbits
	.p2align	6, 0x0
	.amdhsa_kernel _ZL39rocblas_trsm_block_forward_substitutionIffPKPKfPKPfLb0ELb1ELb0EEv18rocblas_operation_llT0_T1_lllT2_lllib
		.amdhsa_group_segment_fixed_size 0
		.amdhsa_private_segment_fixed_size 0
		.amdhsa_kernarg_size 360
		.amdhsa_user_sgpr_count 2
		.amdhsa_user_sgpr_dispatch_ptr 0
		.amdhsa_user_sgpr_queue_ptr 0
		.amdhsa_user_sgpr_kernarg_segment_ptr 1
		.amdhsa_user_sgpr_dispatch_id 0
		.amdhsa_user_sgpr_kernarg_preload_length 0
		.amdhsa_user_sgpr_kernarg_preload_offset 0
		.amdhsa_user_sgpr_private_segment_size 0
		.amdhsa_uses_dynamic_stack 0
		.amdhsa_enable_private_segment 0
		.amdhsa_system_sgpr_workgroup_id_x 1
		.amdhsa_system_sgpr_workgroup_id_y 1
		.amdhsa_system_sgpr_workgroup_id_z 1
		.amdhsa_system_sgpr_workgroup_info 0
		.amdhsa_system_vgpr_workitem_id 1
		.amdhsa_next_free_vgpr 16
		.amdhsa_next_free_sgpr 36
		.amdhsa_accum_offset 16
		.amdhsa_reserve_vcc 1
		.amdhsa_float_round_mode_32 0
		.amdhsa_float_round_mode_16_64 0
		.amdhsa_float_denorm_mode_32 3
		.amdhsa_float_denorm_mode_16_64 3
		.amdhsa_dx10_clamp 1
		.amdhsa_ieee_mode 1
		.amdhsa_fp16_overflow 0
		.amdhsa_tg_split 0
		.amdhsa_exception_fp_ieee_invalid_op 0
		.amdhsa_exception_fp_denorm_src 0
		.amdhsa_exception_fp_ieee_div_zero 0
		.amdhsa_exception_fp_ieee_overflow 0
		.amdhsa_exception_fp_ieee_underflow 0
		.amdhsa_exception_fp_ieee_inexact 0
		.amdhsa_exception_int_div_zero 0
	.end_amdhsa_kernel
	.section	.text._ZL39rocblas_trsm_block_forward_substitutionIffPKPKfPKPfLb0ELb1ELb0EEv18rocblas_operation_llT0_T1_lllT2_lllib,"axG",@progbits,_ZL39rocblas_trsm_block_forward_substitutionIffPKPKfPKPfLb0ELb1ELb0EEv18rocblas_operation_llT0_T1_lllT2_lllib,comdat
.Lfunc_end50:
	.size	_ZL39rocblas_trsm_block_forward_substitutionIffPKPKfPKPfLb0ELb1ELb0EEv18rocblas_operation_llT0_T1_lllT2_lllib, .Lfunc_end50-_ZL39rocblas_trsm_block_forward_substitutionIffPKPKfPKPfLb0ELb1ELb0EEv18rocblas_operation_llT0_T1_lllT2_lllib
                                        ; -- End function
	.set _ZL39rocblas_trsm_block_forward_substitutionIffPKPKfPKPfLb0ELb1ELb0EEv18rocblas_operation_llT0_T1_lllT2_lllib.num_vgpr, 16
	.set _ZL39rocblas_trsm_block_forward_substitutionIffPKPKfPKPfLb0ELb1ELb0EEv18rocblas_operation_llT0_T1_lllT2_lllib.num_agpr, 0
	.set _ZL39rocblas_trsm_block_forward_substitutionIffPKPKfPKPfLb0ELb1ELb0EEv18rocblas_operation_llT0_T1_lllT2_lllib.numbered_sgpr, 36
	.set _ZL39rocblas_trsm_block_forward_substitutionIffPKPKfPKPfLb0ELb1ELb0EEv18rocblas_operation_llT0_T1_lllT2_lllib.num_named_barrier, 0
	.set _ZL39rocblas_trsm_block_forward_substitutionIffPKPKfPKPfLb0ELb1ELb0EEv18rocblas_operation_llT0_T1_lllT2_lllib.private_seg_size, 0
	.set _ZL39rocblas_trsm_block_forward_substitutionIffPKPKfPKPfLb0ELb1ELb0EEv18rocblas_operation_llT0_T1_lllT2_lllib.uses_vcc, 1
	.set _ZL39rocblas_trsm_block_forward_substitutionIffPKPKfPKPfLb0ELb1ELb0EEv18rocblas_operation_llT0_T1_lllT2_lllib.uses_flat_scratch, 0
	.set _ZL39rocblas_trsm_block_forward_substitutionIffPKPKfPKPfLb0ELb1ELb0EEv18rocblas_operation_llT0_T1_lllT2_lllib.has_dyn_sized_stack, 0
	.set _ZL39rocblas_trsm_block_forward_substitutionIffPKPKfPKPfLb0ELb1ELb0EEv18rocblas_operation_llT0_T1_lllT2_lllib.has_recursion, 0
	.set _ZL39rocblas_trsm_block_forward_substitutionIffPKPKfPKPfLb0ELb1ELb0EEv18rocblas_operation_llT0_T1_lllT2_lllib.has_indirect_call, 0
	.section	.AMDGPU.csdata,"",@progbits
; Kernel info:
; codeLenInByte = 1236
; TotalNumSgprs: 42
; NumVgprs: 16
; NumAgprs: 0
; TotalNumVgprs: 16
; ScratchSize: 0
; MemoryBound: 0
; FloatMode: 240
; IeeeMode: 1
; LDSByteSize: 0 bytes/workgroup (compile time only)
; SGPRBlocks: 5
; VGPRBlocks: 1
; NumSGPRsForWavesPerEU: 42
; NumVGPRsForWavesPerEU: 16
; AccumOffset: 16
; Occupancy: 8
; WaveLimiterHint : 1
; COMPUTE_PGM_RSRC2:SCRATCH_EN: 0
; COMPUTE_PGM_RSRC2:USER_SGPR: 2
; COMPUTE_PGM_RSRC2:TRAP_HANDLER: 0
; COMPUTE_PGM_RSRC2:TGID_X_EN: 1
; COMPUTE_PGM_RSRC2:TGID_Y_EN: 1
; COMPUTE_PGM_RSRC2:TGID_Z_EN: 1
; COMPUTE_PGM_RSRC2:TIDIG_COMP_CNT: 1
; COMPUTE_PGM_RSRC3_GFX90A:ACCUM_OFFSET: 3
; COMPUTE_PGM_RSRC3_GFX90A:TG_SPLIT: 0
	.section	.text._ZL40rocblas_trsm_block_backward_substitutionIffPKPKfPKPfLb0ELb1ELb0EEv18rocblas_operation_llT0_T1_lllT2_lllib,"axG",@progbits,_ZL40rocblas_trsm_block_backward_substitutionIffPKPKfPKPfLb0ELb1ELb0EEv18rocblas_operation_llT0_T1_lllT2_lllib,comdat
	.globl	_ZL40rocblas_trsm_block_backward_substitutionIffPKPKfPKPfLb0ELb1ELb0EEv18rocblas_operation_llT0_T1_lllT2_lllib ; -- Begin function _ZL40rocblas_trsm_block_backward_substitutionIffPKPKfPKPfLb0ELb1ELb0EEv18rocblas_operation_llT0_T1_lllT2_lllib
	.p2align	8
	.type	_ZL40rocblas_trsm_block_backward_substitutionIffPKPKfPKPfLb0ELb1ELb0EEv18rocblas_operation_llT0_T1_lllT2_lllib,@function
_ZL40rocblas_trsm_block_backward_substitutionIffPKPKfPKPfLb0ELb1ELb0EEv18rocblas_operation_llT0_T1_lllT2_lllib: ; @_ZL40rocblas_trsm_block_backward_substitutionIffPKPKfPKPfLb0ELb1ELb0EEv18rocblas_operation_llT0_T1_lllT2_lllib
; %bb.0:
	s_load_dword s26, s[0:1], 0x64
	s_load_dwordx4 s[12:15], s[0:1], 0x8
	s_load_dwordx4 s[20:23], s[0:1], 0x20
	s_load_dword s2, s[0:1], 0x74
	s_mov_b32 s5, 0
	s_waitcnt lgkmcnt(0)
	s_bitcmp1_b32 s26, 0
	s_cselect_b64 s[6:7], -1, 0
	s_lshl_b64 s[4:5], s[4:5], 3
	s_add_u32 s16, s20, s4
	s_addc_u32 s17, s21, s5
	s_load_dwordx2 s[20:21], s[16:17], 0x0
	s_load_dwordx2 s[30:31], s[0:1], 0x30
	s_load_dwordx4 s[8:11], s[0:1], 0x40
	s_load_dwordx2 s[18:19], s[0:1], 0x50
	s_lshl_b64 s[16:17], s[22:23], 2
	s_waitcnt lgkmcnt(0)
	s_add_u32 s20, s20, s16
	s_addc_u32 s21, s21, s17
	s_add_u32 s4, s8, s4
	s_addc_u32 s5, s9, s5
	s_load_dwordx2 s[22:23], s[4:5], 0x0
	s_add_u32 s24, s0, 0x68
	s_addc_u32 s25, s1, 0
	s_lshr_b32 s2, s2, 16
	v_and_b32_e32 v2, 0x3ff, v0
	v_bfe_u32 v8, v0, 10, 10
	s_bitcmp0_b32 s26, 0
	s_mov_b64 s[4:5], 1
	s_cbranch_scc1 .LBB51_14
; %bb.1:
	s_lshl_b32 s4, s2, 2
	s_add_i32 s26, s4, 0
	v_cmp_lt_i64_e64 s[4:5], s[12:13], 1
	s_mov_b64 s[16:17], 1
	s_and_b64 vcc, exec, s[4:5]
	s_cbranch_vccnz .LBB51_15
; %bb.2:
	v_mad_u64_u32 v[0:1], s[8:9], s30, v2, 0
	v_mov_b32_e32 v6, v1
	v_mad_u64_u32 v[6:7], s[8:9], s31, v2, v[6:7]
	v_mov_b32_e32 v3, 0
	v_mov_b32_e32 v1, v6
	v_lshlrev_b32_e32 v4, 2, v2
	v_cmp_le_u64_e64 s[28:29], s[12:13], v[2:3]
	v_lshl_add_u64 v[0:1], v[0:1], 2, s[20:21]
	v_mov_b32_e32 v5, v3
	v_add_u32_e32 v9, s26, v4
	v_cmp_gt_u64_e64 s[4:5], s[12:13], v[2:3]
	v_lshl_add_u64 v[4:5], v[0:1], 0, v[4:5]
	s_xor_b64 s[20:21], s[28:29], -1
	s_mov_b32 s27, s2
	v_mov_b32_e32 v6, v8
	s_branch .LBB51_4
.LBB51_3:                               ;   in Loop: Header=BB51_4 Depth=1
	s_or_b64 exec, exec, s[30:31]
	s_ashr_i32 s8, s27, 31
	v_mov_b32_e32 v10, s27
	v_mov_b32_e32 v11, s8
	v_cmp_le_i64_e32 vcc, s[12:13], v[10:11]
	v_add_u32_e32 v6, s2, v6
	s_add_i32 s27, s27, s2
	s_cbranch_vccnz .LBB51_15
.LBB51_4:                               ; =>This Inner Loop Header: Depth=1
	s_mov_b64 s[8:9], 0
	s_mov_b64 s[34:35], s[28:29]
                                        ; implicit-def: $vgpr3
	s_and_saveexec_b64 s[30:31], s[4:5]
	s_cbranch_execnz .LBB51_7
; %bb.5:                                ;   in Loop: Header=BB51_4 Depth=1
	s_or_b64 exec, exec, s[30:31]
	v_mov_b32_e32 v7, v6
	s_and_saveexec_b64 s[30:31], s[34:35]
	s_cbranch_execnz .LBB51_10
.LBB51_6:                               ;   in Loop: Header=BB51_4 Depth=1
	s_or_b64 exec, exec, s[30:31]
	s_and_saveexec_b64 s[30:31], s[8:9]
	s_cbranch_execz .LBB51_3
	s_branch .LBB51_13
.LBB51_7:                               ;   in Loop: Header=BB51_4 Depth=1
	v_ashrrev_i32_e32 v7, 31, v6
	v_cmp_gt_i64_e32 vcc, s[12:13], v[6:7]
	v_cmp_lt_i32_e64 s[8:9], v2, v6
	s_and_b64 s[38:39], s[8:9], vcc
	s_mov_b64 s[34:35], -1
	s_mov_b64 s[8:9], 0
                                        ; implicit-def: $vgpr3
	s_and_saveexec_b64 s[36:37], s[38:39]
	s_cbranch_execz .LBB51_9
; %bb.8:                                ;   in Loop: Header=BB51_4 Depth=1
	v_lshl_add_u64 v[10:11], v[6:7], 2, v[0:1]
	s_waitcnt vmcnt(0) lgkmcnt(0)
	flat_load_dword v3, v[10:11]
	s_mov_b64 s[8:9], exec
	s_xor_b64 s[34:35], exec, -1
.LBB51_9:                               ;   in Loop: Header=BB51_4 Depth=1
	s_or_b64 exec, exec, s[36:37]
	s_andn2_b64 s[36:37], s[28:29], exec
	s_and_b64 s[34:35], s[34:35], exec
	s_and_b64 s[8:9], s[8:9], exec
	s_or_b64 s[34:35], s[36:37], s[34:35]
	s_or_b64 exec, exec, s[30:31]
	v_mov_b32_e32 v7, v6
	s_and_saveexec_b64 s[30:31], s[34:35]
	s_cbranch_execz .LBB51_6
.LBB51_10:                              ;   in Loop: Header=BB51_4 Depth=1
	v_cmp_eq_u32_e32 vcc, v2, v6
	s_and_b64 s[38:39], s[20:21], vcc
	s_mov_b64 s[36:37], s[8:9]
                                        ; implicit-def: $vgpr3
	s_and_saveexec_b64 s[34:35], s[38:39]
	s_cbranch_execz .LBB51_12
; %bb.11:                               ;   in Loop: Header=BB51_4 Depth=1
	s_waitcnt vmcnt(0) lgkmcnt(0)
	flat_load_dword v3, v[4:5]
	s_waitcnt vmcnt(0) lgkmcnt(0)
	v_div_scale_f32 v7, s[36:37], v3, v3, 1.0
	v_rcp_f32_e32 v10, v7
	v_div_scale_f32 v11, vcc, 1.0, v3, 1.0
	s_or_b64 s[36:37], s[8:9], exec
	v_fma_f32 v12, -v7, v10, 1.0
	v_fmac_f32_e32 v10, v12, v10
	v_mul_f32_e32 v12, v11, v10
	v_fma_f32 v13, -v7, v12, v11
	v_fmac_f32_e32 v12, v13, v10
	v_fma_f32 v7, -v7, v12, v11
	v_div_fmas_f32 v7, v7, v10, v12
	v_div_fixup_f32 v3, v7, v3, 1.0
.LBB51_12:                              ;   in Loop: Header=BB51_4 Depth=1
	s_or_b64 exec, exec, s[34:35]
	s_andn2_b64 s[8:9], s[8:9], exec
	s_and_b64 s[34:35], s[36:37], exec
	s_or_b64 s[8:9], s[8:9], s[34:35]
	v_mov_b32_e32 v7, v2
	s_or_b64 exec, exec, s[30:31]
	s_and_saveexec_b64 s[30:31], s[8:9]
	s_cbranch_execz .LBB51_3
.LBB51_13:                              ;   in Loop: Header=BB51_4 Depth=1
	s_load_dword s8, s[24:25], 0xc
	s_waitcnt lgkmcnt(0)
	s_and_b32 s8, s8, 0xffff
	v_mul_lo_u32 v7, v7, s8
	v_lshl_add_u32 v7, v7, 2, v9
	s_waitcnt vmcnt(0)
	ds_write_b32 v7, v3
	s_branch .LBB51_3
.LBB51_14:
	s_mov_b64 s[16:17], s[30:31]
	s_branch .LBB51_16
.LBB51_15:
	s_load_dword s4, s[24:25], 0xc
	s_mov_b64 s[8:9], src_shared_base
	s_mov_b32 s27, s9
	s_mov_b32 s5, 0
	s_mov_b64 s[20:21], s[26:27]
	s_waitcnt lgkmcnt(0)
	s_and_b32 s4, s4, 0xffff
.LBB51_16:
	s_mul_i32 s3, s3, s2
	v_add_u32_e32 v0, s3, v8
	v_mov_b32_e32 v1, 0
	v_cmp_gt_i64_e32 vcc, s[14:15], v[0:1]
	s_and_saveexec_b64 s[2:3], vcc
	s_cbranch_execz .LBB51_29
; %bb.17:
	s_waitcnt vmcnt(0)
	v_mov_b32_e32 v3, v1
	v_cmp_gt_i64_e32 vcc, s[12:13], v[2:3]
	s_and_b64 exec, exec, vcc
	s_cbranch_execz .LBB51_29
; %bb.18:
	v_mad_u64_u32 v[4:5], s[8:9], s18, v0, 0
	s_lshl_b64 s[2:3], s[10:11], 2
	v_mov_b32_e32 v6, v5
	s_waitcnt lgkmcnt(0)
	s_add_u32 s2, s22, s2
	v_mad_u64_u32 v[0:1], s[8:9], s19, v0, v[6:7]
	s_addc_u32 s3, s23, s3
	v_mov_b32_e32 v5, v0
	v_lshl_add_u64 v[0:1], v[4:5], 2, s[2:3]
	v_lshlrev_b32_e32 v4, 2, v2
	v_mov_b32_e32 v5, 0
	v_lshl_add_u64 v[0:1], v[0:1], 0, v[4:5]
	flat_load_dword v4, v[0:1]
	s_load_dword s2, s[0:1], 0x18
	v_cmp_lt_u64_e64 s[0:1], s[12:13], 2
	s_and_b64 vcc, exec, s[0:1]
	s_waitcnt vmcnt(0) lgkmcnt(0)
	v_mul_f32_e32 v9, s2, v4
	s_cbranch_vccnz .LBB51_26
; %bb.19:
	s_add_u32 s0, s4, s16
	v_mad_u64_u32 v[4:5], s[0:1], s0, v2, 0
	s_addc_u32 s2, s5, s17
	v_mov_b32_e32 v6, v5
	v_mad_u64_u32 v[6:7], s[0:1], s2, v2, v[6:7]
	v_mov_b32_e32 v5, v6
	v_mad_u64_u32 v[6:7], s[0:1], s16, v2, 0
	;; [unrolled: 2-line block ×3, first 2 shown]
	s_add_u32 s0, s12, -1
	s_addc_u32 s1, s13, -1
	s_mul_i32 s2, s4, s1
	s_mul_hi_u32 s3, s4, s0
	s_add_i32 s3, s3, s2
	s_mul_i32 s2, s4, s0
	s_lshl_b64 s[2:3], s[2:3], 2
	s_add_u32 s2, s20, s2
	v_mov_b32_e32 v7, v10
	s_addc_u32 s3, s21, s3
	v_lshl_add_u64 v[6:7], v[6:7], 2, s[2:3]
	s_lshl_b32 s2, s4, 2
	s_sub_u32 s2, 0, s2
	v_lshl_add_u64 v[4:5], v[4:5], 2, s[20:21]
	v_lshl_add_u32 v8, v8, 2, 0
	s_subb_u32 s3, 0, 0
.LBB51_20:                              ; =>This Inner Loop Header: Depth=1
	v_cmp_eq_u64_e32 vcc, s[0:1], v[2:3]
	s_barrier
	s_and_saveexec_b64 s[8:9], vcc
	s_cbranch_execz .LBB51_22
; %bb.21:                               ;   in Loop: Header=BB51_20 Depth=1
	flat_load_dword v10, v[4:5]
	s_waitcnt vmcnt(0) lgkmcnt(0)
	v_div_scale_f32 v11, s[10:11], v10, v10, 1.0
	v_rcp_f32_e32 v12, v11
	v_div_scale_f32 v13, vcc, 1.0, v10, 1.0
	v_fma_f32 v14, -v11, v12, 1.0
	v_fmac_f32_e32 v12, v14, v12
	v_mul_f32_e32 v14, v13, v12
	v_fma_f32 v15, -v11, v14, v13
	v_fmac_f32_e32 v14, v15, v12
	v_fma_f32 v11, -v11, v14, v13
	v_div_fmas_f32 v11, v11, v12, v14
	v_div_fixup_f32 v11, v11, v10, 1.0
	v_cndmask_b32_e64 v10, v11, v10, s[6:7]
	v_mul_f32_e32 v9, v9, v10
	ds_write_b32 v8, v9
.LBB51_22:                              ;   in Loop: Header=BB51_20 Depth=1
	s_or_b64 exec, exec, s[8:9]
	v_cmp_gt_i64_e32 vcc, s[0:1], v[2:3]
	s_waitcnt lgkmcnt(0)
	s_barrier
	s_and_saveexec_b64 s[8:9], vcc
	s_cbranch_execz .LBB51_24
; %bb.23:                               ;   in Loop: Header=BB51_20 Depth=1
	flat_load_dword v10, v[6:7]
	ds_read_b32 v11, v8
	s_waitcnt vmcnt(0) lgkmcnt(0)
	v_fma_f32 v9, -v10, v11, v9
.LBB51_24:                              ;   in Loop: Header=BB51_20 Depth=1
	s_or_b64 exec, exec, s[8:9]
	s_add_u32 s8, s0, -1
	s_addc_u32 s9, s1, -1
	s_add_u32 s0, s0, 1
	s_addc_u32 s1, s1, 0
	v_cmp_lt_u64_e64 s[0:1], s[0:1], 3
	v_lshl_add_u64 v[6:7], v[6:7], 0, s[2:3]
	s_and_b64 vcc, exec, s[0:1]
	s_cbranch_vccnz .LBB51_26
; %bb.25:                               ;   in Loop: Header=BB51_20 Depth=1
	s_mov_b64 s[0:1], s[8:9]
	s_branch .LBB51_20
.LBB51_26:
	v_cmp_eq_u32_e32 vcc, 0, v2
	s_and_saveexec_b64 s[0:1], vcc
	s_cbranch_execz .LBB51_28
; %bb.27:
	s_add_u32 s2, s4, s16
	v_mad_u64_u32 v[4:5], s[2:3], s2, v2, 0
	s_addc_u32 s4, s5, s17
	v_mov_b32_e32 v6, v5
	v_mad_u64_u32 v[2:3], s[2:3], s4, v2, v[6:7]
	v_mov_b32_e32 v5, v2
	v_lshl_add_u64 v[2:3], v[4:5], 2, s[20:21]
	flat_load_dword v2, v[2:3]
	s_waitcnt vmcnt(0) lgkmcnt(0)
	v_div_scale_f32 v3, s[2:3], v2, v2, 1.0
	v_rcp_f32_e32 v4, v3
	v_div_scale_f32 v5, vcc, 1.0, v2, 1.0
	v_fma_f32 v6, -v3, v4, 1.0
	v_fmac_f32_e32 v4, v6, v4
	v_mul_f32_e32 v6, v5, v4
	v_fma_f32 v7, -v3, v6, v5
	v_fmac_f32_e32 v6, v7, v4
	v_fma_f32 v3, -v3, v6, v5
	v_div_fmas_f32 v3, v3, v4, v6
	v_div_fixup_f32 v3, v3, v2, 1.0
	v_cndmask_b32_e64 v2, v3, v2, s[6:7]
	v_mul_f32_e32 v9, v9, v2
.LBB51_28:
	s_or_b64 exec, exec, s[0:1]
	flat_store_dword v[0:1], v9
.LBB51_29:
	s_endpgm
	.section	.rodata,"a",@progbits
	.p2align	6, 0x0
	.amdhsa_kernel _ZL40rocblas_trsm_block_backward_substitutionIffPKPKfPKPfLb0ELb1ELb0EEv18rocblas_operation_llT0_T1_lllT2_lllib
		.amdhsa_group_segment_fixed_size 0
		.amdhsa_private_segment_fixed_size 0
		.amdhsa_kernarg_size 360
		.amdhsa_user_sgpr_count 2
		.amdhsa_user_sgpr_dispatch_ptr 0
		.amdhsa_user_sgpr_queue_ptr 0
		.amdhsa_user_sgpr_kernarg_segment_ptr 1
		.amdhsa_user_sgpr_dispatch_id 0
		.amdhsa_user_sgpr_kernarg_preload_length 0
		.amdhsa_user_sgpr_kernarg_preload_offset 0
		.amdhsa_user_sgpr_private_segment_size 0
		.amdhsa_uses_dynamic_stack 0
		.amdhsa_enable_private_segment 0
		.amdhsa_system_sgpr_workgroup_id_x 1
		.amdhsa_system_sgpr_workgroup_id_y 1
		.amdhsa_system_sgpr_workgroup_id_z 1
		.amdhsa_system_sgpr_workgroup_info 0
		.amdhsa_system_vgpr_workitem_id 1
		.amdhsa_next_free_vgpr 16
		.amdhsa_next_free_sgpr 40
		.amdhsa_accum_offset 16
		.amdhsa_reserve_vcc 1
		.amdhsa_float_round_mode_32 0
		.amdhsa_float_round_mode_16_64 0
		.amdhsa_float_denorm_mode_32 3
		.amdhsa_float_denorm_mode_16_64 3
		.amdhsa_dx10_clamp 1
		.amdhsa_ieee_mode 1
		.amdhsa_fp16_overflow 0
		.amdhsa_tg_split 0
		.amdhsa_exception_fp_ieee_invalid_op 0
		.amdhsa_exception_fp_denorm_src 0
		.amdhsa_exception_fp_ieee_div_zero 0
		.amdhsa_exception_fp_ieee_overflow 0
		.amdhsa_exception_fp_ieee_underflow 0
		.amdhsa_exception_fp_ieee_inexact 0
		.amdhsa_exception_int_div_zero 0
	.end_amdhsa_kernel
	.section	.text._ZL40rocblas_trsm_block_backward_substitutionIffPKPKfPKPfLb0ELb1ELb0EEv18rocblas_operation_llT0_T1_lllT2_lllib,"axG",@progbits,_ZL40rocblas_trsm_block_backward_substitutionIffPKPKfPKPfLb0ELb1ELb0EEv18rocblas_operation_llT0_T1_lllT2_lllib,comdat
.Lfunc_end51:
	.size	_ZL40rocblas_trsm_block_backward_substitutionIffPKPKfPKPfLb0ELb1ELb0EEv18rocblas_operation_llT0_T1_lllT2_lllib, .Lfunc_end51-_ZL40rocblas_trsm_block_backward_substitutionIffPKPKfPKPfLb0ELb1ELb0EEv18rocblas_operation_llT0_T1_lllT2_lllib
                                        ; -- End function
	.set _ZL40rocblas_trsm_block_backward_substitutionIffPKPKfPKPfLb0ELb1ELb0EEv18rocblas_operation_llT0_T1_lllT2_lllib.num_vgpr, 16
	.set _ZL40rocblas_trsm_block_backward_substitutionIffPKPKfPKPfLb0ELb1ELb0EEv18rocblas_operation_llT0_T1_lllT2_lllib.num_agpr, 0
	.set _ZL40rocblas_trsm_block_backward_substitutionIffPKPKfPKPfLb0ELb1ELb0EEv18rocblas_operation_llT0_T1_lllT2_lllib.numbered_sgpr, 40
	.set _ZL40rocblas_trsm_block_backward_substitutionIffPKPKfPKPfLb0ELb1ELb0EEv18rocblas_operation_llT0_T1_lllT2_lllib.num_named_barrier, 0
	.set _ZL40rocblas_trsm_block_backward_substitutionIffPKPKfPKPfLb0ELb1ELb0EEv18rocblas_operation_llT0_T1_lllT2_lllib.private_seg_size, 0
	.set _ZL40rocblas_trsm_block_backward_substitutionIffPKPKfPKPfLb0ELb1ELb0EEv18rocblas_operation_llT0_T1_lllT2_lllib.uses_vcc, 1
	.set _ZL40rocblas_trsm_block_backward_substitutionIffPKPKfPKPfLb0ELb1ELb0EEv18rocblas_operation_llT0_T1_lllT2_lllib.uses_flat_scratch, 0
	.set _ZL40rocblas_trsm_block_backward_substitutionIffPKPKfPKPfLb0ELb1ELb0EEv18rocblas_operation_llT0_T1_lllT2_lllib.has_dyn_sized_stack, 0
	.set _ZL40rocblas_trsm_block_backward_substitutionIffPKPKfPKPfLb0ELb1ELb0EEv18rocblas_operation_llT0_T1_lllT2_lllib.has_recursion, 0
	.set _ZL40rocblas_trsm_block_backward_substitutionIffPKPKfPKPfLb0ELb1ELb0EEv18rocblas_operation_llT0_T1_lllT2_lllib.has_indirect_call, 0
	.section	.AMDGPU.csdata,"",@progbits
; Kernel info:
; codeLenInByte = 1368
; TotalNumSgprs: 46
; NumVgprs: 16
; NumAgprs: 0
; TotalNumVgprs: 16
; ScratchSize: 0
; MemoryBound: 0
; FloatMode: 240
; IeeeMode: 1
; LDSByteSize: 0 bytes/workgroup (compile time only)
; SGPRBlocks: 5
; VGPRBlocks: 1
; NumSGPRsForWavesPerEU: 46
; NumVGPRsForWavesPerEU: 16
; AccumOffset: 16
; Occupancy: 8
; WaveLimiterHint : 1
; COMPUTE_PGM_RSRC2:SCRATCH_EN: 0
; COMPUTE_PGM_RSRC2:USER_SGPR: 2
; COMPUTE_PGM_RSRC2:TRAP_HANDLER: 0
; COMPUTE_PGM_RSRC2:TGID_X_EN: 1
; COMPUTE_PGM_RSRC2:TGID_Y_EN: 1
; COMPUTE_PGM_RSRC2:TGID_Z_EN: 1
; COMPUTE_PGM_RSRC2:TIDIG_COMP_CNT: 1
; COMPUTE_PGM_RSRC3_GFX90A:ACCUM_OFFSET: 3
; COMPUTE_PGM_RSRC3_GFX90A:TG_SPLIT: 0
	.section	.text._ZL39rocblas_trsm_block_forward_substitutionIffPKPKfPKPfLb0ELb1ELb1EEv18rocblas_operation_llT0_T1_lllT2_lllib,"axG",@progbits,_ZL39rocblas_trsm_block_forward_substitutionIffPKPKfPKPfLb0ELb1ELb1EEv18rocblas_operation_llT0_T1_lllT2_lllib,comdat
	.globl	_ZL39rocblas_trsm_block_forward_substitutionIffPKPKfPKPfLb0ELb1ELb1EEv18rocblas_operation_llT0_T1_lllT2_lllib ; -- Begin function _ZL39rocblas_trsm_block_forward_substitutionIffPKPKfPKPfLb0ELb1ELb1EEv18rocblas_operation_llT0_T1_lllT2_lllib
	.p2align	8
	.type	_ZL39rocblas_trsm_block_forward_substitutionIffPKPKfPKPfLb0ELb1ELb1EEv18rocblas_operation_llT0_T1_lllT2_lllib,@function
_ZL39rocblas_trsm_block_forward_substitutionIffPKPKfPKPfLb0ELb1ELb1EEv18rocblas_operation_llT0_T1_lllT2_lllib: ; @_ZL39rocblas_trsm_block_forward_substitutionIffPKPKfPKPfLb0ELb1ELb1EEv18rocblas_operation_llT0_T1_lllT2_lllib
; %bb.0:
	s_load_dwordx4 s[12:15], s[0:1], 0x20
	s_mov_b32 s5, 0
	s_lshl_b64 s[16:17], s[4:5], 3
	v_and_b32_e32 v2, 0x3ff, v0
	v_bfe_u32 v6, v0, 10, 10
	s_waitcnt lgkmcnt(0)
	s_add_u32 s18, s12, s16
	s_addc_u32 s19, s13, s17
	s_load_dwordx2 s[20:21], s[18:19], 0x0
	s_load_dwordx4 s[8:11], s[0:1], 0x8
	s_load_dwordx4 s[4:7], s[0:1], 0x40
	s_load_dwordx2 s[12:13], s[0:1], 0x30
	s_lshl_b64 s[14:15], s[14:15], 2
	s_waitcnt lgkmcnt(0)
	s_add_u32 s18, s20, s14
	s_addc_u32 s19, s21, s15
	s_add_u32 s4, s4, s16
	s_addc_u32 s5, s5, s17
	s_load_dwordx2 s[14:15], s[0:1], 0x50
	s_load_dword s22, s[0:1], 0x64
	s_load_dword s2, s[0:1], 0x74
	s_load_dwordx2 s[16:17], s[4:5], 0x0
	s_add_u32 s20, s0, 0x68
	s_addc_u32 s21, s1, 0
	s_waitcnt lgkmcnt(0)
	s_lshr_b32 s2, s2, 16
	s_bitcmp0_b32 s22, 0
	s_cbranch_scc1 .LBB52_7
; %bb.1:
	s_lshl_b32 s4, s2, 2
	s_add_i32 s22, s4, 0
	v_cmp_lt_i64_e64 s[4:5], s[8:9], 1
	s_and_b64 vcc, exec, s[4:5]
	s_cbranch_vccnz .LBB52_6
; %bb.2:
	v_mov_b32_e32 v3, 0
	v_lshlrev_b32_e32 v0, 2, v2
	v_mov_b32_e32 v1, v3
	v_add_u32_e32 v4, s22, v0
	v_cmp_gt_u64_e64 s[4:5], s[8:9], v[2:3]
	v_lshl_add_u64 v[0:1], s[18:19], 0, v[0:1]
	s_mov_b32 s23, 0
	s_branch .LBB52_4
.LBB52_3:                               ;   in Loop: Header=BB52_4 Depth=1
	s_or_b64 exec, exec, s[18:19]
	s_add_i32 s23, s23, s2
	s_ashr_i32 s18, s23, 31
	v_mov_b32_e32 v8, s23
	v_mov_b32_e32 v9, s18
	v_cmp_le_i64_e32 vcc, s[8:9], v[8:9]
	s_cbranch_vccnz .LBB52_6
.LBB52_4:                               ; =>This Inner Loop Header: Depth=1
	v_add_u32_e32 v3, s23, v6
	v_cmp_gt_i32_e32 vcc, v2, v3
	s_and_b64 s[24:25], s[4:5], vcc
	s_and_saveexec_b64 s[18:19], s[24:25]
	s_cbranch_execz .LBB52_3
; %bb.5:                                ;   in Loop: Header=BB52_4 Depth=1
	v_ashrrev_i32_e32 v5, 31, v3
	v_mul_lo_u32 v7, s13, v3
	v_mul_lo_u32 v5, s12, v5
	v_mad_u64_u32 v[8:9], s[24:25], s12, v3, 0
	v_add3_u32 v9, v9, v5, v7
	v_lshl_add_u64 v[8:9], v[8:9], 2, v[0:1]
	flat_load_dword v5, v[8:9]
	s_load_dword s24, s[20:21], 0xc
	s_waitcnt lgkmcnt(0)
	s_and_b32 s24, s24, 0xffff
	v_mul_lo_u32 v3, v3, s24
	v_lshl_add_u32 v3, v3, 2, v4
	s_waitcnt vmcnt(0)
	ds_write_b32 v3, v5
	s_branch .LBB52_3
.LBB52_6:
	s_mov_b64 s[4:5], src_shared_base
	s_load_dword s4, s[20:21], 0xc
	s_mov_b32 s23, s5
	s_mov_b32 s13, 0
	s_mov_b64 s[18:19], s[22:23]
	s_waitcnt lgkmcnt(0)
	s_and_b32 s12, s4, 0xffff
.LBB52_7:
	s_mul_i32 s3, s3, s2
	v_add_u32_e32 v0, s3, v6
	v_mov_b32_e32 v1, 0
	v_cmp_gt_i64_e32 vcc, s[10:11], v[0:1]
	s_and_saveexec_b64 s[2:3], vcc
	s_cbranch_execz .LBB52_17
; %bb.8:
	v_mov_b32_e32 v3, v1
	v_cmp_gt_i64_e32 vcc, s[8:9], v[2:3]
	s_and_b64 exec, exec, vcc
	s_cbranch_execz .LBB52_17
; %bb.9:
	v_mad_u64_u32 v[4:5], s[4:5], s14, v2, 0
	s_lshl_b64 s[2:3], s[6:7], 2
	v_mov_b32_e32 v8, v5
	s_add_u32 s2, s16, s2
	v_mad_u64_u32 v[8:9], s[4:5], s15, v2, v[8:9]
	s_addc_u32 s3, s17, s3
	v_mov_b32_e32 v5, v8
	v_lshl_add_u64 v[4:5], v[4:5], 2, s[2:3]
	v_lshl_add_u64 v[0:1], v[0:1], 2, v[4:5]
	flat_load_dword v4, v[0:1]
	s_load_dword s2, s[0:1], 0x18
	v_cmp_lt_u64_e64 s[0:1], s[8:9], 2
	s_and_b64 vcc, exec, s[0:1]
	s_waitcnt vmcnt(0) lgkmcnt(0)
	v_mul_f32_e32 v7, s2, v4
	s_cbranch_vccnz .LBB52_16
; %bb.10:
	v_lshlrev_b32_e32 v4, 2, v2
	v_mov_b32_e32 v5, 0
	s_add_u32 s0, s8, -1
	v_lshl_add_u64 v[4:5], s[18:19], 0, v[4:5]
	v_lshl_add_u32 v6, v6, 2, 0
	s_addc_u32 s1, s9, -1
	s_lshl_b64 s[2:3], s[12:13], 2
	s_mov_b64 s[4:5], 0
	s_branch .LBB52_12
.LBB52_11:                              ;   in Loop: Header=BB52_12 Depth=1
	s_or_b64 exec, exec, s[6:7]
	s_add_u32 s4, s4, 1
	s_addc_u32 s5, s5, 0
	s_cmp_eq_u64 s[0:1], s[4:5]
	v_lshl_add_u64 v[4:5], v[4:5], 0, s[2:3]
	s_cbranch_scc1 .LBB52_16
.LBB52_12:                              ; =>This Inner Loop Header: Depth=1
	v_cmp_eq_u64_e32 vcc, s[4:5], v[2:3]
	s_barrier
	s_and_saveexec_b64 s[6:7], vcc
; %bb.13:                               ;   in Loop: Header=BB52_12 Depth=1
	ds_write_b32 v6, v7
; %bb.14:                               ;   in Loop: Header=BB52_12 Depth=1
	s_or_b64 exec, exec, s[6:7]
	v_cmp_lt_u64_e32 vcc, s[4:5], v[2:3]
	s_waitcnt lgkmcnt(0)
	s_barrier
	s_and_saveexec_b64 s[6:7], vcc
	s_cbranch_execz .LBB52_11
; %bb.15:                               ;   in Loop: Header=BB52_12 Depth=1
	flat_load_dword v8, v[4:5]
	ds_read_b32 v9, v6
	s_waitcnt vmcnt(0) lgkmcnt(0)
	v_fma_f32 v7, -v8, v9, v7
	s_branch .LBB52_11
.LBB52_16:
	flat_store_dword v[0:1], v7
.LBB52_17:
	s_endpgm
	.section	.rodata,"a",@progbits
	.p2align	6, 0x0
	.amdhsa_kernel _ZL39rocblas_trsm_block_forward_substitutionIffPKPKfPKPfLb0ELb1ELb1EEv18rocblas_operation_llT0_T1_lllT2_lllib
		.amdhsa_group_segment_fixed_size 0
		.amdhsa_private_segment_fixed_size 0
		.amdhsa_kernarg_size 360
		.amdhsa_user_sgpr_count 2
		.amdhsa_user_sgpr_dispatch_ptr 0
		.amdhsa_user_sgpr_queue_ptr 0
		.amdhsa_user_sgpr_kernarg_segment_ptr 1
		.amdhsa_user_sgpr_dispatch_id 0
		.amdhsa_user_sgpr_kernarg_preload_length 0
		.amdhsa_user_sgpr_kernarg_preload_offset 0
		.amdhsa_user_sgpr_private_segment_size 0
		.amdhsa_uses_dynamic_stack 0
		.amdhsa_enable_private_segment 0
		.amdhsa_system_sgpr_workgroup_id_x 1
		.amdhsa_system_sgpr_workgroup_id_y 1
		.amdhsa_system_sgpr_workgroup_id_z 1
		.amdhsa_system_sgpr_workgroup_info 0
		.amdhsa_system_vgpr_workitem_id 1
		.amdhsa_next_free_vgpr 10
		.amdhsa_next_free_sgpr 26
		.amdhsa_accum_offset 12
		.amdhsa_reserve_vcc 1
		.amdhsa_float_round_mode_32 0
		.amdhsa_float_round_mode_16_64 0
		.amdhsa_float_denorm_mode_32 3
		.amdhsa_float_denorm_mode_16_64 3
		.amdhsa_dx10_clamp 1
		.amdhsa_ieee_mode 1
		.amdhsa_fp16_overflow 0
		.amdhsa_tg_split 0
		.amdhsa_exception_fp_ieee_invalid_op 0
		.amdhsa_exception_fp_denorm_src 0
		.amdhsa_exception_fp_ieee_div_zero 0
		.amdhsa_exception_fp_ieee_overflow 0
		.amdhsa_exception_fp_ieee_underflow 0
		.amdhsa_exception_fp_ieee_inexact 0
		.amdhsa_exception_int_div_zero 0
	.end_amdhsa_kernel
	.section	.text._ZL39rocblas_trsm_block_forward_substitutionIffPKPKfPKPfLb0ELb1ELb1EEv18rocblas_operation_llT0_T1_lllT2_lllib,"axG",@progbits,_ZL39rocblas_trsm_block_forward_substitutionIffPKPKfPKPfLb0ELb1ELb1EEv18rocblas_operation_llT0_T1_lllT2_lllib,comdat
.Lfunc_end52:
	.size	_ZL39rocblas_trsm_block_forward_substitutionIffPKPKfPKPfLb0ELb1ELb1EEv18rocblas_operation_llT0_T1_lllT2_lllib, .Lfunc_end52-_ZL39rocblas_trsm_block_forward_substitutionIffPKPKfPKPfLb0ELb1ELb1EEv18rocblas_operation_llT0_T1_lllT2_lllib
                                        ; -- End function
	.set _ZL39rocblas_trsm_block_forward_substitutionIffPKPKfPKPfLb0ELb1ELb1EEv18rocblas_operation_llT0_T1_lllT2_lllib.num_vgpr, 10
	.set _ZL39rocblas_trsm_block_forward_substitutionIffPKPKfPKPfLb0ELb1ELb1EEv18rocblas_operation_llT0_T1_lllT2_lllib.num_agpr, 0
	.set _ZL39rocblas_trsm_block_forward_substitutionIffPKPKfPKPfLb0ELb1ELb1EEv18rocblas_operation_llT0_T1_lllT2_lllib.numbered_sgpr, 26
	.set _ZL39rocblas_trsm_block_forward_substitutionIffPKPKfPKPfLb0ELb1ELb1EEv18rocblas_operation_llT0_T1_lllT2_lllib.num_named_barrier, 0
	.set _ZL39rocblas_trsm_block_forward_substitutionIffPKPKfPKPfLb0ELb1ELb1EEv18rocblas_operation_llT0_T1_lllT2_lllib.private_seg_size, 0
	.set _ZL39rocblas_trsm_block_forward_substitutionIffPKPKfPKPfLb0ELb1ELb1EEv18rocblas_operation_llT0_T1_lllT2_lllib.uses_vcc, 1
	.set _ZL39rocblas_trsm_block_forward_substitutionIffPKPKfPKPfLb0ELb1ELb1EEv18rocblas_operation_llT0_T1_lllT2_lllib.uses_flat_scratch, 0
	.set _ZL39rocblas_trsm_block_forward_substitutionIffPKPKfPKPfLb0ELb1ELb1EEv18rocblas_operation_llT0_T1_lllT2_lllib.has_dyn_sized_stack, 0
	.set _ZL39rocblas_trsm_block_forward_substitutionIffPKPKfPKPfLb0ELb1ELb1EEv18rocblas_operation_llT0_T1_lllT2_lllib.has_recursion, 0
	.set _ZL39rocblas_trsm_block_forward_substitutionIffPKPKfPKPfLb0ELb1ELb1EEv18rocblas_operation_llT0_T1_lllT2_lllib.has_indirect_call, 0
	.section	.AMDGPU.csdata,"",@progbits
; Kernel info:
; codeLenInByte = 704
; TotalNumSgprs: 32
; NumVgprs: 10
; NumAgprs: 0
; TotalNumVgprs: 10
; ScratchSize: 0
; MemoryBound: 0
; FloatMode: 240
; IeeeMode: 1
; LDSByteSize: 0 bytes/workgroup (compile time only)
; SGPRBlocks: 3
; VGPRBlocks: 1
; NumSGPRsForWavesPerEU: 32
; NumVGPRsForWavesPerEU: 10
; AccumOffset: 12
; Occupancy: 8
; WaveLimiterHint : 1
; COMPUTE_PGM_RSRC2:SCRATCH_EN: 0
; COMPUTE_PGM_RSRC2:USER_SGPR: 2
; COMPUTE_PGM_RSRC2:TRAP_HANDLER: 0
; COMPUTE_PGM_RSRC2:TGID_X_EN: 1
; COMPUTE_PGM_RSRC2:TGID_Y_EN: 1
; COMPUTE_PGM_RSRC2:TGID_Z_EN: 1
; COMPUTE_PGM_RSRC2:TIDIG_COMP_CNT: 1
; COMPUTE_PGM_RSRC3_GFX90A:ACCUM_OFFSET: 2
; COMPUTE_PGM_RSRC3_GFX90A:TG_SPLIT: 0
	.section	.text._ZL40rocblas_trsm_block_backward_substitutionIffPKPKfPKPfLb0ELb1ELb1EEv18rocblas_operation_llT0_T1_lllT2_lllib,"axG",@progbits,_ZL40rocblas_trsm_block_backward_substitutionIffPKPKfPKPfLb0ELb1ELb1EEv18rocblas_operation_llT0_T1_lllT2_lllib,comdat
	.globl	_ZL40rocblas_trsm_block_backward_substitutionIffPKPKfPKPfLb0ELb1ELb1EEv18rocblas_operation_llT0_T1_lllT2_lllib ; -- Begin function _ZL40rocblas_trsm_block_backward_substitutionIffPKPKfPKPfLb0ELb1ELb1EEv18rocblas_operation_llT0_T1_lllT2_lllib
	.p2align	8
	.type	_ZL40rocblas_trsm_block_backward_substitutionIffPKPKfPKPfLb0ELb1ELb1EEv18rocblas_operation_llT0_T1_lllT2_lllib,@function
_ZL40rocblas_trsm_block_backward_substitutionIffPKPKfPKPfLb0ELb1ELb1EEv18rocblas_operation_llT0_T1_lllT2_lllib: ; @_ZL40rocblas_trsm_block_backward_substitutionIffPKPKfPKPfLb0ELb1ELb1EEv18rocblas_operation_llT0_T1_lllT2_lllib
; %bb.0:
	s_load_dwordx4 s[16:19], s[0:1], 0x20
	s_mov_b32 s5, 0
	s_lshl_b64 s[4:5], s[4:5], 3
	v_and_b32_e32 v2, 0x3ff, v0
	v_bfe_u32 v6, v0, 10, 10
	s_waitcnt lgkmcnt(0)
	s_add_u32 s6, s16, s4
	s_addc_u32 s7, s17, s5
	s_load_dwordx2 s[16:17], s[6:7], 0x0
	s_load_dwordx4 s[8:11], s[0:1], 0x8
	s_load_dwordx4 s[12:15], s[0:1], 0x40
	s_load_dwordx2 s[24:25], s[0:1], 0x30
	s_lshl_b64 s[6:7], s[18:19], 2
	s_waitcnt lgkmcnt(0)
	s_add_u32 s6, s16, s6
	s_addc_u32 s7, s17, s7
	s_add_u32 s4, s12, s4
	s_addc_u32 s5, s13, s5
	s_load_dwordx2 s[18:19], s[4:5], 0x0
	s_load_dwordx2 s[12:13], s[0:1], 0x50
	s_load_dword s16, s[0:1], 0x64
	s_load_dword s2, s[0:1], 0x74
	s_add_u32 s20, s0, 0x68
	s_addc_u32 s21, s1, 0
	s_mov_b64 s[4:5], 1
	s_waitcnt lgkmcnt(0)
	s_lshr_b32 s2, s2, 16
	s_bitcmp0_b32 s16, 0
	s_cbranch_scc1 .LBB53_6
; %bb.1:
	s_lshl_b32 s4, s2, 2
	s_add_i32 s22, s4, 0
	v_cmp_lt_i64_e64 s[4:5], s[8:9], 1
	s_mov_b64 s[16:17], 1
	s_and_b64 vcc, exec, s[4:5]
	s_cbranch_vccnz .LBB53_7
; %bb.2:
	v_mad_u64_u32 v[0:1], s[26:27], s24, v2, 0
	v_mov_b32_e32 v4, v1
	v_mad_u64_u32 v[4:5], s[24:25], s25, v2, v[4:5]
	v_mov_b32_e32 v3, 0
	v_mov_b32_e32 v1, v4
	v_lshl_add_u32 v7, v2, 2, s22
	v_cmp_gt_u64_e64 s[4:5], s[8:9], v[2:3]
	v_lshl_add_u64 v[0:1], v[0:1], 2, s[6:7]
	s_mov_b32 s23, 0
	s_branch .LBB53_4
.LBB53_3:                               ;   in Loop: Header=BB53_4 Depth=1
	s_or_b64 exec, exec, s[6:7]
	s_add_i32 s23, s23, s2
	s_ashr_i32 s6, s23, 31
	v_mov_b32_e32 v4, s23
	v_mov_b32_e32 v5, s6
	v_cmp_le_i64_e32 vcc, s[8:9], v[4:5]
	s_cbranch_vccnz .LBB53_7
.LBB53_4:                               ; =>This Inner Loop Header: Depth=1
	v_add_u32_e32 v4, s23, v6
	v_ashrrev_i32_e32 v5, 31, v4
	v_cmp_gt_i64_e32 vcc, s[8:9], v[4:5]
	v_cmp_lt_i32_e64 s[6:7], v2, v4
	s_and_b64 s[6:7], s[6:7], vcc
	s_and_b64 s[24:25], s[4:5], s[6:7]
	s_and_saveexec_b64 s[6:7], s[24:25]
	s_cbranch_execz .LBB53_3
; %bb.5:                                ;   in Loop: Header=BB53_4 Depth=1
	v_lshl_add_u64 v[8:9], v[4:5], 2, v[0:1]
	flat_load_dword v3, v[8:9]
	s_load_dword s24, s[20:21], 0xc
	s_waitcnt lgkmcnt(0)
	s_and_b32 s24, s24, 0xffff
	v_mul_lo_u32 v4, v4, s24
	v_lshl_add_u32 v4, v4, 2, v7
	s_waitcnt vmcnt(0)
	ds_write_b32 v4, v3
	s_branch .LBB53_3
.LBB53_6:
	s_mov_b64 s[16:17], s[24:25]
	s_branch .LBB53_8
.LBB53_7:
	s_mov_b64 s[4:5], src_shared_base
	s_load_dword s4, s[20:21], 0xc
	s_mov_b32 s23, s5
	s_mov_b64 s[6:7], s[22:23]
	s_waitcnt lgkmcnt(0)
	s_and_b32 s4, s4, 0xffff
.LBB53_8:
	s_mul_i32 s3, s3, s2
	v_add_u32_e32 v0, s3, v6
	v_mov_b32_e32 v1, 0
	v_cmp_gt_i64_e32 vcc, s[10:11], v[0:1]
	s_and_saveexec_b64 s[2:3], vcc
	s_cbranch_execz .LBB53_19
; %bb.9:
	v_mov_b32_e32 v3, v1
	v_cmp_gt_i64_e32 vcc, s[8:9], v[2:3]
	s_and_b64 exec, exec, vcc
	s_cbranch_execz .LBB53_19
; %bb.10:
	v_mad_u64_u32 v[4:5], s[10:11], s12, v0, 0
	s_lshl_b64 s[2:3], s[14:15], 2
	v_mov_b32_e32 v8, v5
	s_add_u32 s2, s18, s2
	v_mad_u64_u32 v[0:1], s[10:11], s13, v0, v[8:9]
	s_addc_u32 s3, s19, s3
	v_mov_b32_e32 v5, v0
	v_lshl_add_u64 v[0:1], v[4:5], 2, s[2:3]
	v_lshlrev_b32_e32 v4, 2, v2
	v_mov_b32_e32 v5, 0
	v_lshl_add_u64 v[0:1], v[0:1], 0, v[4:5]
	flat_load_dword v4, v[0:1]
	s_load_dword s2, s[0:1], 0x18
	v_cmp_lt_u64_e64 s[0:1], s[8:9], 2
	s_and_b64 vcc, exec, s[0:1]
	s_waitcnt vmcnt(0) lgkmcnt(0)
	v_mul_f32_e32 v7, s2, v4
	s_cbranch_vccnz .LBB53_18
; %bb.11:
	v_mad_u64_u32 v[4:5], s[0:1], s16, v2, 0
	v_mov_b32_e32 v8, v5
	v_mad_u64_u32 v[8:9], s[0:1], s17, v2, v[8:9]
	s_add_u32 s0, s8, -1
	s_addc_u32 s1, s9, -1
	s_mul_i32 s2, s4, s1
	s_mul_hi_u32 s3, s4, s0
	s_add_i32 s3, s3, s2
	s_mul_i32 s2, s4, s0
	s_lshl_b64 s[2:3], s[2:3], 2
	s_add_u32 s2, s6, s2
	v_mov_b32_e32 v5, v8
	s_addc_u32 s3, s7, s3
	v_lshl_add_u64 v[4:5], v[4:5], 2, s[2:3]
	s_lshl_b32 s2, s4, 2
	s_sub_u32 s2, 0, s2
	v_lshl_add_u32 v6, v6, 2, 0
	s_subb_u32 s3, 0, 0
.LBB53_12:                              ; =>This Inner Loop Header: Depth=1
	v_cmp_eq_u64_e32 vcc, s[0:1], v[2:3]
	s_barrier
	s_and_saveexec_b64 s[4:5], vcc
; %bb.13:                               ;   in Loop: Header=BB53_12 Depth=1
	ds_write_b32 v6, v7
; %bb.14:                               ;   in Loop: Header=BB53_12 Depth=1
	s_or_b64 exec, exec, s[4:5]
	v_cmp_gt_i64_e32 vcc, s[0:1], v[2:3]
	s_waitcnt lgkmcnt(0)
	s_barrier
	s_and_saveexec_b64 s[4:5], vcc
	s_cbranch_execz .LBB53_16
; %bb.15:                               ;   in Loop: Header=BB53_12 Depth=1
	flat_load_dword v8, v[4:5]
	ds_read_b32 v9, v6
	s_waitcnt vmcnt(0) lgkmcnt(0)
	v_fma_f32 v7, -v8, v9, v7
.LBB53_16:                              ;   in Loop: Header=BB53_12 Depth=1
	s_or_b64 exec, exec, s[4:5]
	s_add_u32 s4, s0, -1
	s_addc_u32 s5, s1, -1
	s_add_u32 s0, s0, 1
	s_addc_u32 s1, s1, 0
	v_cmp_lt_u64_e64 s[0:1], s[0:1], 3
	v_lshl_add_u64 v[4:5], v[4:5], 0, s[2:3]
	s_and_b64 vcc, exec, s[0:1]
	s_cbranch_vccnz .LBB53_18
; %bb.17:                               ;   in Loop: Header=BB53_12 Depth=1
	s_mov_b64 s[0:1], s[4:5]
	s_branch .LBB53_12
.LBB53_18:
	flat_store_dword v[0:1], v7
.LBB53_19:
	s_endpgm
	.section	.rodata,"a",@progbits
	.p2align	6, 0x0
	.amdhsa_kernel _ZL40rocblas_trsm_block_backward_substitutionIffPKPKfPKPfLb0ELb1ELb1EEv18rocblas_operation_llT0_T1_lllT2_lllib
		.amdhsa_group_segment_fixed_size 0
		.amdhsa_private_segment_fixed_size 0
		.amdhsa_kernarg_size 360
		.amdhsa_user_sgpr_count 2
		.amdhsa_user_sgpr_dispatch_ptr 0
		.amdhsa_user_sgpr_queue_ptr 0
		.amdhsa_user_sgpr_kernarg_segment_ptr 1
		.amdhsa_user_sgpr_dispatch_id 0
		.amdhsa_user_sgpr_kernarg_preload_length 0
		.amdhsa_user_sgpr_kernarg_preload_offset 0
		.amdhsa_user_sgpr_private_segment_size 0
		.amdhsa_uses_dynamic_stack 0
		.amdhsa_enable_private_segment 0
		.amdhsa_system_sgpr_workgroup_id_x 1
		.amdhsa_system_sgpr_workgroup_id_y 1
		.amdhsa_system_sgpr_workgroup_id_z 1
		.amdhsa_system_sgpr_workgroup_info 0
		.amdhsa_system_vgpr_workitem_id 1
		.amdhsa_next_free_vgpr 10
		.amdhsa_next_free_sgpr 28
		.amdhsa_accum_offset 12
		.amdhsa_reserve_vcc 1
		.amdhsa_float_round_mode_32 0
		.amdhsa_float_round_mode_16_64 0
		.amdhsa_float_denorm_mode_32 3
		.amdhsa_float_denorm_mode_16_64 3
		.amdhsa_dx10_clamp 1
		.amdhsa_ieee_mode 1
		.amdhsa_fp16_overflow 0
		.amdhsa_tg_split 0
		.amdhsa_exception_fp_ieee_invalid_op 0
		.amdhsa_exception_fp_denorm_src 0
		.amdhsa_exception_fp_ieee_div_zero 0
		.amdhsa_exception_fp_ieee_overflow 0
		.amdhsa_exception_fp_ieee_underflow 0
		.amdhsa_exception_fp_ieee_inexact 0
		.amdhsa_exception_int_div_zero 0
	.end_amdhsa_kernel
	.section	.text._ZL40rocblas_trsm_block_backward_substitutionIffPKPKfPKPfLb0ELb1ELb1EEv18rocblas_operation_llT0_T1_lllT2_lllib,"axG",@progbits,_ZL40rocblas_trsm_block_backward_substitutionIffPKPKfPKPfLb0ELb1ELb1EEv18rocblas_operation_llT0_T1_lllT2_lllib,comdat
.Lfunc_end53:
	.size	_ZL40rocblas_trsm_block_backward_substitutionIffPKPKfPKPfLb0ELb1ELb1EEv18rocblas_operation_llT0_T1_lllT2_lllib, .Lfunc_end53-_ZL40rocblas_trsm_block_backward_substitutionIffPKPKfPKPfLb0ELb1ELb1EEv18rocblas_operation_llT0_T1_lllT2_lllib
                                        ; -- End function
	.set _ZL40rocblas_trsm_block_backward_substitutionIffPKPKfPKPfLb0ELb1ELb1EEv18rocblas_operation_llT0_T1_lllT2_lllib.num_vgpr, 10
	.set _ZL40rocblas_trsm_block_backward_substitutionIffPKPKfPKPfLb0ELb1ELb1EEv18rocblas_operation_llT0_T1_lllT2_lllib.num_agpr, 0
	.set _ZL40rocblas_trsm_block_backward_substitutionIffPKPKfPKPfLb0ELb1ELb1EEv18rocblas_operation_llT0_T1_lllT2_lllib.numbered_sgpr, 28
	.set _ZL40rocblas_trsm_block_backward_substitutionIffPKPKfPKPfLb0ELb1ELb1EEv18rocblas_operation_llT0_T1_lllT2_lllib.num_named_barrier, 0
	.set _ZL40rocblas_trsm_block_backward_substitutionIffPKPKfPKPfLb0ELb1ELb1EEv18rocblas_operation_llT0_T1_lllT2_lllib.private_seg_size, 0
	.set _ZL40rocblas_trsm_block_backward_substitutionIffPKPKfPKPfLb0ELb1ELb1EEv18rocblas_operation_llT0_T1_lllT2_lllib.uses_vcc, 1
	.set _ZL40rocblas_trsm_block_backward_substitutionIffPKPKfPKPfLb0ELb1ELb1EEv18rocblas_operation_llT0_T1_lllT2_lllib.uses_flat_scratch, 0
	.set _ZL40rocblas_trsm_block_backward_substitutionIffPKPKfPKPfLb0ELb1ELb1EEv18rocblas_operation_llT0_T1_lllT2_lllib.has_dyn_sized_stack, 0
	.set _ZL40rocblas_trsm_block_backward_substitutionIffPKPKfPKPfLb0ELb1ELb1EEv18rocblas_operation_llT0_T1_lllT2_lllib.has_recursion, 0
	.set _ZL40rocblas_trsm_block_backward_substitutionIffPKPKfPKPfLb0ELb1ELb1EEv18rocblas_operation_llT0_T1_lllT2_lllib.has_indirect_call, 0
	.section	.AMDGPU.csdata,"",@progbits
; Kernel info:
; codeLenInByte = 788
; TotalNumSgprs: 34
; NumVgprs: 10
; NumAgprs: 0
; TotalNumVgprs: 10
; ScratchSize: 0
; MemoryBound: 0
; FloatMode: 240
; IeeeMode: 1
; LDSByteSize: 0 bytes/workgroup (compile time only)
; SGPRBlocks: 4
; VGPRBlocks: 1
; NumSGPRsForWavesPerEU: 34
; NumVGPRsForWavesPerEU: 10
; AccumOffset: 12
; Occupancy: 8
; WaveLimiterHint : 1
; COMPUTE_PGM_RSRC2:SCRATCH_EN: 0
; COMPUTE_PGM_RSRC2:USER_SGPR: 2
; COMPUTE_PGM_RSRC2:TRAP_HANDLER: 0
; COMPUTE_PGM_RSRC2:TGID_X_EN: 1
; COMPUTE_PGM_RSRC2:TGID_Y_EN: 1
; COMPUTE_PGM_RSRC2:TGID_Z_EN: 1
; COMPUTE_PGM_RSRC2:TIDIG_COMP_CNT: 1
; COMPUTE_PGM_RSRC3_GFX90A:ACCUM_OFFSET: 2
; COMPUTE_PGM_RSRC3_GFX90A:TG_SPLIT: 0
	.section	.text._ZL39rocblas_trsm_block_forward_substitutionIffPKPKfPKPfLb1ELb1ELb0EEv18rocblas_operation_llT0_T1_lllT2_lllib,"axG",@progbits,_ZL39rocblas_trsm_block_forward_substitutionIffPKPKfPKPfLb1ELb1ELb0EEv18rocblas_operation_llT0_T1_lllT2_lllib,comdat
	.globl	_ZL39rocblas_trsm_block_forward_substitutionIffPKPKfPKPfLb1ELb1ELb0EEv18rocblas_operation_llT0_T1_lllT2_lllib ; -- Begin function _ZL39rocblas_trsm_block_forward_substitutionIffPKPKfPKPfLb1ELb1ELb0EEv18rocblas_operation_llT0_T1_lllT2_lllib
	.p2align	8
	.type	_ZL39rocblas_trsm_block_forward_substitutionIffPKPKfPKPfLb1ELb1ELb0EEv18rocblas_operation_llT0_T1_lllT2_lllib,@function
_ZL39rocblas_trsm_block_forward_substitutionIffPKPKfPKPfLb1ELb1ELb0EEv18rocblas_operation_llT0_T1_lllT2_lllib: ; @_ZL39rocblas_trsm_block_forward_substitutionIffPKPKfPKPfLb1ELb1ELb0EEv18rocblas_operation_llT0_T1_lllT2_lllib
; %bb.0:
	s_load_dword s24, s[0:1], 0x64
	s_load_dwordx4 s[8:11], s[0:1], 0x8
	s_load_dwordx4 s[20:23], s[0:1], 0x20
	s_load_dword s2, s[0:1], 0x74
	s_mov_b32 s5, 0
	s_waitcnt lgkmcnt(0)
	s_bitcmp1_b32 s24, 0
	s_cselect_b64 s[6:7], -1, 0
	s_lshl_b64 s[4:5], s[4:5], 3
	s_add_u32 s16, s20, s4
	s_addc_u32 s17, s21, s5
	s_load_dwordx2 s[20:21], s[16:17], 0x0
	s_load_dwordx2 s[26:27], s[0:1], 0x30
	s_load_dwordx4 s[12:15], s[0:1], 0x40
	s_load_dwordx2 s[18:19], s[0:1], 0x50
	s_lshl_b64 s[16:17], s[22:23], 2
	s_waitcnt lgkmcnt(0)
	s_add_u32 s16, s20, s16
	s_addc_u32 s17, s21, s17
	s_add_u32 s4, s12, s4
	s_addc_u32 s5, s13, s5
	s_load_dwordx2 s[12:13], s[4:5], 0x0
	s_add_u32 s22, s0, 0x68
	s_addc_u32 s23, s1, 0
	s_lshr_b32 s2, s2, 16
	v_and_b32_e32 v2, 0x3ff, v0
	v_bfe_u32 v8, v0, 10, 10
	s_bitcmp0_b32 s24, 0
	s_mov_b64 s[20:21], 1
	s_cbranch_scc1 .LBB54_12
; %bb.1:
	s_lshl_b32 s4, s2, 2
	v_cmp_lt_i64_e64 s[20:21], s[8:9], 1
	s_add_i32 s24, s4, 0
	s_mov_b64 s[4:5], 1
	s_and_b64 vcc, exec, s[20:21]
	s_cbranch_vccnz .LBB54_13
; %bb.2:
	v_mad_u64_u32 v[0:1], s[20:21], s26, v2, 0
	v_mov_b32_e32 v6, v1
	v_mad_u64_u32 v[6:7], s[20:21], s27, v2, v[6:7]
	v_mov_b32_e32 v3, 0
	v_mov_b32_e32 v1, v6
	v_lshlrev_b32_e32 v4, 2, v2
	v_cmp_le_u64_e32 vcc, s[8:9], v[2:3]
	v_lshl_add_u64 v[0:1], v[0:1], 2, s[16:17]
	v_mov_b32_e32 v5, v3
	v_add_u32_e32 v9, s24, v4
	v_lshl_add_u64 v[4:5], v[0:1], 0, v[4:5]
	s_xor_b64 s[16:17], vcc, -1
	s_mov_b32 s25, s2
	v_mov_b32_e32 v6, v8
	s_branch .LBB54_4
.LBB54_3:                               ;   in Loop: Header=BB54_4 Depth=1
	s_or_b64 exec, exec, s[26:27]
	s_ashr_i32 s20, s25, 31
	v_mov_b32_e32 v10, s25
	v_mov_b32_e32 v11, s20
	v_cmp_le_i64_e32 vcc, s[8:9], v[10:11]
	v_add_u32_e32 v6, s2, v6
	s_add_i32 s25, s25, s2
	s_cbranch_vccnz .LBB54_13
.LBB54_4:                               ; =>This Inner Loop Header: Depth=1
	v_cmp_gt_i32_e32 vcc, v2, v6
	s_and_b64 s[26:27], s[16:17], vcc
	s_mov_b64 s[20:21], 0
                                        ; implicit-def: $vgpr3
	s_and_saveexec_b64 s[28:29], s[26:27]
	s_xor_b64 s[26:27], exec, s[28:29]
	s_cbranch_execnz .LBB54_7
; %bb.5:                                ;   in Loop: Header=BB54_4 Depth=1
	s_or_saveexec_b64 s[26:27], s[26:27]
	v_mov_b32_e32 v7, v6
	s_xor_b64 exec, exec, s[26:27]
	s_cbranch_execnz .LBB54_8
.LBB54_6:                               ;   in Loop: Header=BB54_4 Depth=1
	s_or_b64 exec, exec, s[26:27]
	s_and_saveexec_b64 s[26:27], s[20:21]
	s_cbranch_execz .LBB54_3
	s_branch .LBB54_11
.LBB54_7:                               ;   in Loop: Header=BB54_4 Depth=1
	v_ashrrev_i32_e32 v7, 31, v6
	v_lshl_add_u64 v[10:11], v[6:7], 2, v[0:1]
	s_waitcnt vmcnt(0) lgkmcnt(0)
	flat_load_dword v3, v[10:11]
	s_mov_b64 s[20:21], exec
	s_or_saveexec_b64 s[26:27], s[26:27]
	v_mov_b32_e32 v7, v6
	s_xor_b64 exec, exec, s[26:27]
	s_cbranch_execz .LBB54_6
.LBB54_8:                               ;   in Loop: Header=BB54_4 Depth=1
	v_cmp_eq_u32_e32 vcc, v2, v6
	s_and_b64 s[34:35], s[16:17], vcc
	s_mov_b64 s[30:31], s[20:21]
                                        ; implicit-def: $vgpr3
	s_and_saveexec_b64 s[28:29], s[34:35]
	s_cbranch_execz .LBB54_10
; %bb.9:                                ;   in Loop: Header=BB54_4 Depth=1
	s_waitcnt vmcnt(0) lgkmcnt(0)
	flat_load_dword v3, v[4:5]
	s_waitcnt vmcnt(0) lgkmcnt(0)
	v_div_scale_f32 v7, s[30:31], v3, v3, 1.0
	v_rcp_f32_e32 v10, v7
	v_div_scale_f32 v11, vcc, 1.0, v3, 1.0
	s_or_b64 s[30:31], s[20:21], exec
	v_fma_f32 v12, -v7, v10, 1.0
	v_fmac_f32_e32 v10, v12, v10
	v_mul_f32_e32 v12, v11, v10
	v_fma_f32 v13, -v7, v12, v11
	v_fmac_f32_e32 v12, v13, v10
	v_fma_f32 v7, -v7, v12, v11
	v_div_fmas_f32 v7, v7, v10, v12
	v_div_fixup_f32 v3, v7, v3, 1.0
.LBB54_10:                              ;   in Loop: Header=BB54_4 Depth=1
	s_or_b64 exec, exec, s[28:29]
	s_andn2_b64 s[20:21], s[20:21], exec
	s_and_b64 s[28:29], s[30:31], exec
	s_or_b64 s[20:21], s[20:21], s[28:29]
	v_mov_b32_e32 v7, v2
	s_or_b64 exec, exec, s[26:27]
	s_and_saveexec_b64 s[26:27], s[20:21]
	s_cbranch_execz .LBB54_3
.LBB54_11:                              ;   in Loop: Header=BB54_4 Depth=1
	s_load_dword s20, s[22:23], 0xc
	s_waitcnt lgkmcnt(0)
	s_and_b32 s20, s20, 0xffff
	v_mul_lo_u32 v7, v7, s20
	v_lshl_add_u32 v7, v7, 2, v9
	s_waitcnt vmcnt(0)
	ds_write_b32 v7, v3
	s_branch .LBB54_3
.LBB54_12:
	s_mov_b64 s[4:5], s[26:27]
	s_branch .LBB54_14
.LBB54_13:
	s_mov_b64 s[16:17], src_shared_base
	s_load_dword s16, s[22:23], 0xc
	s_mov_b32 s25, s17
	s_mov_b32 s21, 0
	s_waitcnt lgkmcnt(0)
	s_and_b32 s20, s16, 0xffff
	s_mov_b64 s[16:17], s[24:25]
.LBB54_14:
	s_mul_i32 s3, s3, s2
	v_add_u32_e32 v0, s3, v8
	v_mov_b32_e32 v1, 0
	v_cmp_gt_i64_e32 vcc, s[10:11], v[0:1]
	s_and_saveexec_b64 s[2:3], vcc
	s_cbranch_execz .LBB54_26
; %bb.15:
	s_waitcnt vmcnt(0)
	v_mov_b32_e32 v3, v1
	v_cmp_gt_i64_e32 vcc, s[8:9], v[2:3]
	s_and_b64 exec, exec, vcc
	s_cbranch_execz .LBB54_26
; %bb.16:
	v_mad_u64_u32 v[4:5], s[10:11], s18, v2, 0
	s_lshl_b64 s[2:3], s[14:15], 2
	v_mov_b32_e32 v6, v5
	s_waitcnt lgkmcnt(0)
	s_add_u32 s2, s12, s2
	v_mad_u64_u32 v[6:7], s[10:11], s19, v2, v[6:7]
	s_addc_u32 s3, s13, s3
	v_mov_b32_e32 v5, v6
	v_lshl_add_u64 v[4:5], v[4:5], 2, s[2:3]
	v_lshl_add_u64 v[0:1], v[0:1], 2, v[4:5]
	flat_load_dword v4, v[0:1]
	s_load_dword s10, s[0:1], 0x18
	v_cmp_lt_u64_e64 s[2:3], s[8:9], 2
	s_add_u32 s0, s8, -1
	s_addc_u32 s1, s9, -1
	s_and_b64 vcc, exec, s[2:3]
	s_waitcnt vmcnt(0) lgkmcnt(0)
	v_mul_f32_e32 v9, s10, v4
	s_cbranch_vccnz .LBB54_23
; %bb.17:
	s_add_u32 s2, s20, s4
	v_mad_u64_u32 v[4:5], s[2:3], s2, v2, 0
	s_addc_u32 s8, s21, s5
	v_mov_b32_e32 v6, v5
	v_mad_u64_u32 v[6:7], s[2:3], s8, v2, v[6:7]
	v_mov_b32_e32 v5, v6
	v_mad_u64_u32 v[6:7], s[8:9], s4, v2, 0
	;; [unrolled: 2-line block ×3, first 2 shown]
	v_mov_b32_e32 v7, v10
	v_lshl_add_u64 v[4:5], v[4:5], 2, s[16:17]
	s_mov_b32 s3, 0
	v_lshl_add_u32 v8, v8, 2, 0
	v_lshl_add_u64 v[6:7], v[6:7], 2, s[16:17]
	s_lshl_b32 s2, s20, 2
	s_mov_b64 s[8:9], 0
	s_branch .LBB54_19
.LBB54_18:                              ;   in Loop: Header=BB54_19 Depth=1
	s_or_b64 exec, exec, s[10:11]
	s_add_u32 s8, s8, 1
	s_addc_u32 s9, s9, 0
	s_cmp_eq_u64 s[0:1], s[8:9]
	v_lshl_add_u64 v[6:7], v[6:7], 0, s[2:3]
	s_cbranch_scc1 .LBB54_23
.LBB54_19:                              ; =>This Inner Loop Header: Depth=1
	v_cmp_eq_u64_e32 vcc, s[8:9], v[2:3]
	s_barrier
	s_and_saveexec_b64 s[10:11], vcc
	s_cbranch_execz .LBB54_21
; %bb.20:                               ;   in Loop: Header=BB54_19 Depth=1
	flat_load_dword v10, v[4:5]
	s_waitcnt vmcnt(0) lgkmcnt(0)
	v_div_scale_f32 v11, s[12:13], v10, v10, 1.0
	v_rcp_f32_e32 v12, v11
	v_div_scale_f32 v13, vcc, 1.0, v10, 1.0
	v_fma_f32 v14, -v11, v12, 1.0
	v_fmac_f32_e32 v12, v14, v12
	v_mul_f32_e32 v14, v13, v12
	v_fma_f32 v15, -v11, v14, v13
	v_fmac_f32_e32 v14, v15, v12
	v_fma_f32 v11, -v11, v14, v13
	v_div_fmas_f32 v11, v11, v12, v14
	v_div_fixup_f32 v11, v11, v10, 1.0
	v_cndmask_b32_e64 v10, v11, v10, s[6:7]
	v_mul_f32_e32 v9, v9, v10
	ds_write_b32 v8, v9
.LBB54_21:                              ;   in Loop: Header=BB54_19 Depth=1
	s_or_b64 exec, exec, s[10:11]
	v_cmp_lt_u64_e32 vcc, s[8:9], v[2:3]
	s_waitcnt lgkmcnt(0)
	s_barrier
	s_and_saveexec_b64 s[10:11], vcc
	s_cbranch_execz .LBB54_18
; %bb.22:                               ;   in Loop: Header=BB54_19 Depth=1
	flat_load_dword v10, v[6:7]
	ds_read_b32 v11, v8
	s_waitcnt vmcnt(0) lgkmcnt(0)
	v_fma_f32 v9, -v10, v11, v9
	s_branch .LBB54_18
.LBB54_23:
	v_cmp_eq_u64_e32 vcc, s[0:1], v[2:3]
	s_and_saveexec_b64 s[0:1], vcc
	s_cbranch_execz .LBB54_25
; %bb.24:
	s_add_u32 s2, s20, s4
	v_mad_u64_u32 v[4:5], s[2:3], s2, v2, 0
	s_addc_u32 s4, s21, s5
	v_mov_b32_e32 v6, v5
	v_mad_u64_u32 v[2:3], s[2:3], s4, v2, v[6:7]
	v_mov_b32_e32 v5, v2
	v_lshl_add_u64 v[2:3], v[4:5], 2, s[16:17]
	flat_load_dword v2, v[2:3]
	s_waitcnt vmcnt(0) lgkmcnt(0)
	v_div_scale_f32 v3, s[2:3], v2, v2, 1.0
	v_rcp_f32_e32 v4, v3
	v_div_scale_f32 v5, vcc, 1.0, v2, 1.0
	v_fma_f32 v6, -v3, v4, 1.0
	v_fmac_f32_e32 v4, v6, v4
	v_mul_f32_e32 v6, v5, v4
	v_fma_f32 v7, -v3, v6, v5
	v_fmac_f32_e32 v6, v7, v4
	v_fma_f32 v3, -v3, v6, v5
	v_div_fmas_f32 v3, v3, v4, v6
	v_div_fixup_f32 v3, v3, v2, 1.0
	v_cndmask_b32_e64 v2, v3, v2, s[6:7]
	v_mul_f32_e32 v9, v9, v2
.LBB54_25:
	s_or_b64 exec, exec, s[0:1]
	flat_store_dword v[0:1], v9
.LBB54_26:
	s_endpgm
	.section	.rodata,"a",@progbits
	.p2align	6, 0x0
	.amdhsa_kernel _ZL39rocblas_trsm_block_forward_substitutionIffPKPKfPKPfLb1ELb1ELb0EEv18rocblas_operation_llT0_T1_lllT2_lllib
		.amdhsa_group_segment_fixed_size 0
		.amdhsa_private_segment_fixed_size 0
		.amdhsa_kernarg_size 360
		.amdhsa_user_sgpr_count 2
		.amdhsa_user_sgpr_dispatch_ptr 0
		.amdhsa_user_sgpr_queue_ptr 0
		.amdhsa_user_sgpr_kernarg_segment_ptr 1
		.amdhsa_user_sgpr_dispatch_id 0
		.amdhsa_user_sgpr_kernarg_preload_length 0
		.amdhsa_user_sgpr_kernarg_preload_offset 0
		.amdhsa_user_sgpr_private_segment_size 0
		.amdhsa_uses_dynamic_stack 0
		.amdhsa_enable_private_segment 0
		.amdhsa_system_sgpr_workgroup_id_x 1
		.amdhsa_system_sgpr_workgroup_id_y 1
		.amdhsa_system_sgpr_workgroup_id_z 1
		.amdhsa_system_sgpr_workgroup_info 0
		.amdhsa_system_vgpr_workitem_id 1
		.amdhsa_next_free_vgpr 16
		.amdhsa_next_free_sgpr 36
		.amdhsa_accum_offset 16
		.amdhsa_reserve_vcc 1
		.amdhsa_float_round_mode_32 0
		.amdhsa_float_round_mode_16_64 0
		.amdhsa_float_denorm_mode_32 3
		.amdhsa_float_denorm_mode_16_64 3
		.amdhsa_dx10_clamp 1
		.amdhsa_ieee_mode 1
		.amdhsa_fp16_overflow 0
		.amdhsa_tg_split 0
		.amdhsa_exception_fp_ieee_invalid_op 0
		.amdhsa_exception_fp_denorm_src 0
		.amdhsa_exception_fp_ieee_div_zero 0
		.amdhsa_exception_fp_ieee_overflow 0
		.amdhsa_exception_fp_ieee_underflow 0
		.amdhsa_exception_fp_ieee_inexact 0
		.amdhsa_exception_int_div_zero 0
	.end_amdhsa_kernel
	.section	.text._ZL39rocblas_trsm_block_forward_substitutionIffPKPKfPKPfLb1ELb1ELb0EEv18rocblas_operation_llT0_T1_lllT2_lllib,"axG",@progbits,_ZL39rocblas_trsm_block_forward_substitutionIffPKPKfPKPfLb1ELb1ELb0EEv18rocblas_operation_llT0_T1_lllT2_lllib,comdat
.Lfunc_end54:
	.size	_ZL39rocblas_trsm_block_forward_substitutionIffPKPKfPKPfLb1ELb1ELb0EEv18rocblas_operation_llT0_T1_lllT2_lllib, .Lfunc_end54-_ZL39rocblas_trsm_block_forward_substitutionIffPKPKfPKPfLb1ELb1ELb0EEv18rocblas_operation_llT0_T1_lllT2_lllib
                                        ; -- End function
	.set _ZL39rocblas_trsm_block_forward_substitutionIffPKPKfPKPfLb1ELb1ELb0EEv18rocblas_operation_llT0_T1_lllT2_lllib.num_vgpr, 16
	.set _ZL39rocblas_trsm_block_forward_substitutionIffPKPKfPKPfLb1ELb1ELb0EEv18rocblas_operation_llT0_T1_lllT2_lllib.num_agpr, 0
	.set _ZL39rocblas_trsm_block_forward_substitutionIffPKPKfPKPfLb1ELb1ELb0EEv18rocblas_operation_llT0_T1_lllT2_lllib.numbered_sgpr, 36
	.set _ZL39rocblas_trsm_block_forward_substitutionIffPKPKfPKPfLb1ELb1ELb0EEv18rocblas_operation_llT0_T1_lllT2_lllib.num_named_barrier, 0
	.set _ZL39rocblas_trsm_block_forward_substitutionIffPKPKfPKPfLb1ELb1ELb0EEv18rocblas_operation_llT0_T1_lllT2_lllib.private_seg_size, 0
	.set _ZL39rocblas_trsm_block_forward_substitutionIffPKPKfPKPfLb1ELb1ELb0EEv18rocblas_operation_llT0_T1_lllT2_lllib.uses_vcc, 1
	.set _ZL39rocblas_trsm_block_forward_substitutionIffPKPKfPKPfLb1ELb1ELb0EEv18rocblas_operation_llT0_T1_lllT2_lllib.uses_flat_scratch, 0
	.set _ZL39rocblas_trsm_block_forward_substitutionIffPKPKfPKPfLb1ELb1ELb0EEv18rocblas_operation_llT0_T1_lllT2_lllib.has_dyn_sized_stack, 0
	.set _ZL39rocblas_trsm_block_forward_substitutionIffPKPKfPKPfLb1ELb1ELb0EEv18rocblas_operation_llT0_T1_lllT2_lllib.has_recursion, 0
	.set _ZL39rocblas_trsm_block_forward_substitutionIffPKPKfPKPfLb1ELb1ELb0EEv18rocblas_operation_llT0_T1_lllT2_lllib.has_indirect_call, 0
	.section	.AMDGPU.csdata,"",@progbits
; Kernel info:
; codeLenInByte = 1256
; TotalNumSgprs: 42
; NumVgprs: 16
; NumAgprs: 0
; TotalNumVgprs: 16
; ScratchSize: 0
; MemoryBound: 0
; FloatMode: 240
; IeeeMode: 1
; LDSByteSize: 0 bytes/workgroup (compile time only)
; SGPRBlocks: 5
; VGPRBlocks: 1
; NumSGPRsForWavesPerEU: 42
; NumVGPRsForWavesPerEU: 16
; AccumOffset: 16
; Occupancy: 8
; WaveLimiterHint : 1
; COMPUTE_PGM_RSRC2:SCRATCH_EN: 0
; COMPUTE_PGM_RSRC2:USER_SGPR: 2
; COMPUTE_PGM_RSRC2:TRAP_HANDLER: 0
; COMPUTE_PGM_RSRC2:TGID_X_EN: 1
; COMPUTE_PGM_RSRC2:TGID_Y_EN: 1
; COMPUTE_PGM_RSRC2:TGID_Z_EN: 1
; COMPUTE_PGM_RSRC2:TIDIG_COMP_CNT: 1
; COMPUTE_PGM_RSRC3_GFX90A:ACCUM_OFFSET: 3
; COMPUTE_PGM_RSRC3_GFX90A:TG_SPLIT: 0
	.section	.text._ZL40rocblas_trsm_block_backward_substitutionIffPKPKfPKPfLb1ELb1ELb0EEv18rocblas_operation_llT0_T1_lllT2_lllib,"axG",@progbits,_ZL40rocblas_trsm_block_backward_substitutionIffPKPKfPKPfLb1ELb1ELb0EEv18rocblas_operation_llT0_T1_lllT2_lllib,comdat
	.globl	_ZL40rocblas_trsm_block_backward_substitutionIffPKPKfPKPfLb1ELb1ELb0EEv18rocblas_operation_llT0_T1_lllT2_lllib ; -- Begin function _ZL40rocblas_trsm_block_backward_substitutionIffPKPKfPKPfLb1ELb1ELb0EEv18rocblas_operation_llT0_T1_lllT2_lllib
	.p2align	8
	.type	_ZL40rocblas_trsm_block_backward_substitutionIffPKPKfPKPfLb1ELb1ELb0EEv18rocblas_operation_llT0_T1_lllT2_lllib,@function
_ZL40rocblas_trsm_block_backward_substitutionIffPKPKfPKPfLb1ELb1ELb0EEv18rocblas_operation_llT0_T1_lllT2_lllib: ; @_ZL40rocblas_trsm_block_backward_substitutionIffPKPKfPKPfLb1ELb1ELb0EEv18rocblas_operation_llT0_T1_lllT2_lllib
; %bb.0:
	s_load_dword s26, s[0:1], 0x64
	s_load_dwordx4 s[12:15], s[0:1], 0x8
	s_load_dwordx4 s[20:23], s[0:1], 0x20
	s_load_dword s2, s[0:1], 0x74
	s_mov_b32 s5, 0
	s_waitcnt lgkmcnt(0)
	s_bitcmp1_b32 s26, 0
	s_cselect_b64 s[6:7], -1, 0
	s_lshl_b64 s[4:5], s[4:5], 3
	s_add_u32 s20, s20, s4
	s_addc_u32 s21, s21, s5
	s_load_dwordx2 s[24:25], s[20:21], 0x0
	s_load_dwordx2 s[16:17], s[0:1], 0x30
	s_load_dwordx4 s[8:11], s[0:1], 0x40
	s_load_dwordx2 s[18:19], s[0:1], 0x50
	s_lshl_b64 s[20:21], s[22:23], 2
	s_waitcnt lgkmcnt(0)
	s_add_u32 s22, s24, s20
	s_addc_u32 s23, s25, s21
	s_add_u32 s4, s8, s4
	s_addc_u32 s5, s9, s5
	s_load_dwordx2 s[20:21], s[4:5], 0x0
	s_add_u32 s24, s0, 0x68
	s_addc_u32 s25, s1, 0
	s_lshr_b32 s2, s2, 16
	v_and_b32_e32 v2, 0x3ff, v0
	s_bitcmp0_b32 s26, 0
	v_bfe_u32 v8, v0, 10, 10
	s_cbranch_scc1 .LBB55_15
; %bb.1:
	s_lshl_b32 s4, s2, 2
	s_add_i32 s26, s4, 0
	v_cmp_lt_i64_e64 s[4:5], s[12:13], 1
	s_and_b64 vcc, exec, s[4:5]
	s_cbranch_vccnz .LBB55_14
; %bb.2:
	v_mad_u64_u32 v[4:5], s[8:9], s16, v2, 0
	v_mov_b32_e32 v3, 0
	v_mov_b32_e32 v6, v5
	v_lshlrev_b32_e32 v0, 2, v2
	v_mov_b32_e32 v1, v3
	v_mad_u64_u32 v[6:7], s[8:9], s17, v2, v[6:7]
	v_add_u32_e32 v9, s26, v0
	v_cmp_le_u64_e64 s[28:29], s[12:13], v[2:3]
	v_lshl_add_u64 v[0:1], s[22:23], 0, v[0:1]
	v_mov_b32_e32 v5, v6
	v_cmp_gt_u64_e64 s[4:5], s[12:13], v[2:3]
	v_lshl_add_u64 v[4:5], v[4:5], 2, v[0:1]
	s_xor_b64 s[22:23], s[28:29], -1
	s_mov_b32 s27, s2
	v_mov_b32_e32 v6, v8
	s_branch .LBB55_4
.LBB55_3:                               ;   in Loop: Header=BB55_4 Depth=1
	s_or_b64 exec, exec, s[30:31]
	s_ashr_i32 s8, s27, 31
	v_mov_b32_e32 v10, s27
	v_mov_b32_e32 v11, s8
	v_cmp_le_i64_e32 vcc, s[12:13], v[10:11]
	v_add_u32_e32 v6, s2, v6
	s_add_i32 s27, s27, s2
	s_cbranch_vccnz .LBB55_14
.LBB55_4:                               ; =>This Inner Loop Header: Depth=1
	s_mov_b64 s[8:9], 0
	s_mov_b64 s[34:35], s[28:29]
                                        ; implicit-def: $vgpr3
	s_and_saveexec_b64 s[30:31], s[4:5]
	s_cbranch_execnz .LBB55_7
; %bb.5:                                ;   in Loop: Header=BB55_4 Depth=1
	s_or_b64 exec, exec, s[30:31]
	v_mov_b32_e32 v7, v6
	s_and_saveexec_b64 s[30:31], s[34:35]
	s_cbranch_execnz .LBB55_10
.LBB55_6:                               ;   in Loop: Header=BB55_4 Depth=1
	s_or_b64 exec, exec, s[30:31]
	s_and_saveexec_b64 s[30:31], s[8:9]
	s_cbranch_execz .LBB55_3
	s_branch .LBB55_13
.LBB55_7:                               ;   in Loop: Header=BB55_4 Depth=1
	v_ashrrev_i32_e32 v7, 31, v6
	v_cmp_gt_i64_e32 vcc, s[12:13], v[6:7]
	v_cmp_lt_i32_e64 s[8:9], v2, v6
	s_and_b64 s[38:39], s[8:9], vcc
	s_mov_b64 s[34:35], -1
	s_mov_b64 s[8:9], 0
                                        ; implicit-def: $vgpr3
	s_and_saveexec_b64 s[36:37], s[38:39]
	s_cbranch_execz .LBB55_9
; %bb.8:                                ;   in Loop: Header=BB55_4 Depth=1
	s_waitcnt vmcnt(0) lgkmcnt(0)
	v_mul_lo_u32 v3, s17, v6
	v_mul_lo_u32 v7, s16, v7
	v_mad_u64_u32 v[10:11], s[34:35], s16, v6, 0
	v_add3_u32 v11, v11, v7, v3
	v_lshl_add_u64 v[10:11], v[10:11], 2, v[0:1]
	flat_load_dword v3, v[10:11]
	s_mov_b64 s[8:9], exec
	s_xor_b64 s[34:35], exec, -1
.LBB55_9:                               ;   in Loop: Header=BB55_4 Depth=1
	s_or_b64 exec, exec, s[36:37]
	s_andn2_b64 s[36:37], s[28:29], exec
	s_and_b64 s[34:35], s[34:35], exec
	s_and_b64 s[8:9], s[8:9], exec
	s_or_b64 s[34:35], s[36:37], s[34:35]
	s_or_b64 exec, exec, s[30:31]
	v_mov_b32_e32 v7, v6
	s_and_saveexec_b64 s[30:31], s[34:35]
	s_cbranch_execz .LBB55_6
.LBB55_10:                              ;   in Loop: Header=BB55_4 Depth=1
	v_cmp_eq_u32_e32 vcc, v2, v6
	s_and_b64 s[38:39], s[22:23], vcc
	s_mov_b64 s[36:37], s[8:9]
                                        ; implicit-def: $vgpr3
	s_and_saveexec_b64 s[34:35], s[38:39]
	s_cbranch_execz .LBB55_12
; %bb.11:                               ;   in Loop: Header=BB55_4 Depth=1
	s_waitcnt vmcnt(0) lgkmcnt(0)
	flat_load_dword v3, v[4:5]
	s_waitcnt vmcnt(0) lgkmcnt(0)
	v_div_scale_f32 v7, s[36:37], v3, v3, 1.0
	v_rcp_f32_e32 v10, v7
	v_div_scale_f32 v11, vcc, 1.0, v3, 1.0
	s_or_b64 s[36:37], s[8:9], exec
	v_fma_f32 v12, -v7, v10, 1.0
	v_fmac_f32_e32 v10, v12, v10
	v_mul_f32_e32 v12, v11, v10
	v_fma_f32 v13, -v7, v12, v11
	v_fmac_f32_e32 v12, v13, v10
	v_fma_f32 v7, -v7, v12, v11
	v_div_fmas_f32 v7, v7, v10, v12
	v_div_fixup_f32 v3, v7, v3, 1.0
.LBB55_12:                              ;   in Loop: Header=BB55_4 Depth=1
	s_or_b64 exec, exec, s[34:35]
	s_andn2_b64 s[8:9], s[8:9], exec
	s_and_b64 s[34:35], s[36:37], exec
	s_or_b64 s[8:9], s[8:9], s[34:35]
	v_mov_b32_e32 v7, v2
	s_or_b64 exec, exec, s[30:31]
	s_and_saveexec_b64 s[30:31], s[8:9]
	s_cbranch_execz .LBB55_3
.LBB55_13:                              ;   in Loop: Header=BB55_4 Depth=1
	s_load_dword s8, s[24:25], 0xc
	s_waitcnt lgkmcnt(0)
	s_and_b32 s8, s8, 0xffff
	v_mul_lo_u32 v7, v7, s8
	v_lshl_add_u32 v7, v7, 2, v9
	s_waitcnt vmcnt(0)
	ds_write_b32 v7, v3
	s_branch .LBB55_3
.LBB55_14:
	s_mov_b64 s[4:5], src_shared_base
	s_load_dword s4, s[24:25], 0xc
	s_mov_b32 s27, s5
	s_mov_b32 s17, 0
	s_mov_b64 s[22:23], s[26:27]
	s_waitcnt lgkmcnt(0)
	s_and_b32 s16, s4, 0xffff
.LBB55_15:
	s_mul_i32 s3, s3, s2
	v_add_u32_e32 v0, s3, v8
	v_mov_b32_e32 v1, 0
	v_cmp_gt_i64_e32 vcc, s[14:15], v[0:1]
	s_and_saveexec_b64 s[2:3], vcc
	s_cbranch_execz .LBB55_28
; %bb.16:
	s_waitcnt vmcnt(0)
	v_mov_b32_e32 v3, v1
	v_cmp_gt_i64_e32 vcc, s[12:13], v[2:3]
	s_and_b64 exec, exec, vcc
	s_cbranch_execz .LBB55_28
; %bb.17:
	v_mad_u64_u32 v[4:5], s[4:5], s18, v0, 0
	s_lshl_b64 s[2:3], s[10:11], 2
	v_mov_b32_e32 v6, v5
	s_waitcnt lgkmcnt(0)
	s_add_u32 s2, s20, s2
	v_mad_u64_u32 v[0:1], s[4:5], s19, v0, v[6:7]
	s_addc_u32 s3, s21, s3
	v_mov_b32_e32 v5, v0
	v_lshl_add_u64 v[0:1], v[4:5], 2, s[2:3]
	v_lshlrev_b32_e32 v6, 2, v2
	v_mov_b32_e32 v7, 0
	v_lshl_add_u64 v[0:1], v[0:1], 0, v[6:7]
	flat_load_dword v4, v[0:1]
	s_load_dword s2, s[0:1], 0x18
	v_cmp_lt_u64_e64 s[0:1], s[12:13], 2
	s_and_b64 vcc, exec, s[0:1]
	s_waitcnt vmcnt(0) lgkmcnt(0)
	v_mul_f32_e32 v9, s2, v4
	s_cbranch_vccnz .LBB55_25
; %bb.18:
	v_mad_u64_u32 v[4:5], s[0:1], v2, s16, v[2:3]
	v_mov_b32_e32 v10, v5
	v_mad_u64_u32 v[10:11], s[0:1], v2, s17, v[10:11]
	s_add_u32 s0, s12, -1
	s_addc_u32 s1, s13, -1
	s_mul_i32 s2, s16, s1
	s_mul_hi_u32 s3, s16, s0
	s_add_i32 s2, s3, s2
	s_mul_i32 s3, s17, s0
	s_add_i32 s3, s2, s3
	s_mul_i32 s2, s16, s0
	s_lshl_b64 s[2:3], s[2:3], 2
	s_add_u32 s2, s22, s2
	s_addc_u32 s3, s23, s3
	v_lshl_add_u64 v[6:7], s[2:3], 0, v[6:7]
	s_lshl_b64 s[2:3], s[16:17], 2
	v_mov_b32_e32 v5, v10
	s_sub_u32 s2, 0, s2
	v_lshl_add_u64 v[4:5], v[4:5], 2, s[22:23]
	v_lshl_add_u32 v8, v8, 2, 0
	s_subb_u32 s3, 0, s3
.LBB55_19:                              ; =>This Inner Loop Header: Depth=1
	v_cmp_eq_u64_e32 vcc, s[0:1], v[2:3]
	s_barrier
	s_and_saveexec_b64 s[4:5], vcc
	s_cbranch_execz .LBB55_21
; %bb.20:                               ;   in Loop: Header=BB55_19 Depth=1
	flat_load_dword v10, v[4:5]
	s_waitcnt vmcnt(0) lgkmcnt(0)
	v_div_scale_f32 v11, s[8:9], v10, v10, 1.0
	v_rcp_f32_e32 v12, v11
	v_div_scale_f32 v13, vcc, 1.0, v10, 1.0
	v_fma_f32 v14, -v11, v12, 1.0
	v_fmac_f32_e32 v12, v14, v12
	v_mul_f32_e32 v14, v13, v12
	v_fma_f32 v15, -v11, v14, v13
	v_fmac_f32_e32 v14, v15, v12
	v_fma_f32 v11, -v11, v14, v13
	v_div_fmas_f32 v11, v11, v12, v14
	v_div_fixup_f32 v11, v11, v10, 1.0
	v_cndmask_b32_e64 v10, v11, v10, s[6:7]
	v_mul_f32_e32 v9, v9, v10
	ds_write_b32 v8, v9
.LBB55_21:                              ;   in Loop: Header=BB55_19 Depth=1
	s_or_b64 exec, exec, s[4:5]
	v_cmp_gt_i64_e32 vcc, s[0:1], v[2:3]
	s_waitcnt lgkmcnt(0)
	s_barrier
	s_and_saveexec_b64 s[4:5], vcc
	s_cbranch_execz .LBB55_23
; %bb.22:                               ;   in Loop: Header=BB55_19 Depth=1
	flat_load_dword v10, v[6:7]
	ds_read_b32 v11, v8
	s_waitcnt vmcnt(0) lgkmcnt(0)
	v_fma_f32 v9, -v10, v11, v9
.LBB55_23:                              ;   in Loop: Header=BB55_19 Depth=1
	s_or_b64 exec, exec, s[4:5]
	s_add_u32 s4, s0, -1
	s_addc_u32 s5, s1, -1
	s_add_u32 s0, s0, 1
	s_addc_u32 s1, s1, 0
	v_cmp_lt_u64_e64 s[0:1], s[0:1], 3
	v_lshl_add_u64 v[6:7], v[6:7], 0, s[2:3]
	s_and_b64 vcc, exec, s[0:1]
	s_cbranch_vccnz .LBB55_25
; %bb.24:                               ;   in Loop: Header=BB55_19 Depth=1
	s_mov_b64 s[0:1], s[4:5]
	s_branch .LBB55_19
.LBB55_25:
	v_cmp_eq_u32_e32 vcc, 0, v2
	s_and_saveexec_b64 s[0:1], vcc
	s_cbranch_execz .LBB55_27
; %bb.26:
	v_mad_u64_u32 v[4:5], s[2:3], v2, s16, v[2:3]
	v_mov_b32_e32 v6, v5
	v_mad_u64_u32 v[2:3], s[2:3], v2, s17, v[6:7]
	v_mov_b32_e32 v5, v2
	v_lshl_add_u64 v[2:3], v[4:5], 2, s[22:23]
	flat_load_dword v2, v[2:3]
	s_waitcnt vmcnt(0) lgkmcnt(0)
	v_div_scale_f32 v3, s[2:3], v2, v2, 1.0
	v_rcp_f32_e32 v4, v3
	v_div_scale_f32 v5, vcc, 1.0, v2, 1.0
	v_fma_f32 v6, -v3, v4, 1.0
	v_fmac_f32_e32 v4, v6, v4
	v_mul_f32_e32 v6, v5, v4
	v_fma_f32 v7, -v3, v6, v5
	v_fmac_f32_e32 v6, v7, v4
	v_fma_f32 v3, -v3, v6, v5
	v_div_fmas_f32 v3, v3, v4, v6
	v_div_fixup_f32 v3, v3, v2, 1.0
	v_cndmask_b32_e64 v2, v3, v2, s[6:7]
	v_mul_f32_e32 v9, v9, v2
.LBB55_27:
	s_or_b64 exec, exec, s[0:1]
	flat_store_dword v[0:1], v9
.LBB55_28:
	s_endpgm
	.section	.rodata,"a",@progbits
	.p2align	6, 0x0
	.amdhsa_kernel _ZL40rocblas_trsm_block_backward_substitutionIffPKPKfPKPfLb1ELb1ELb0EEv18rocblas_operation_llT0_T1_lllT2_lllib
		.amdhsa_group_segment_fixed_size 0
		.amdhsa_private_segment_fixed_size 0
		.amdhsa_kernarg_size 360
		.amdhsa_user_sgpr_count 2
		.amdhsa_user_sgpr_dispatch_ptr 0
		.amdhsa_user_sgpr_queue_ptr 0
		.amdhsa_user_sgpr_kernarg_segment_ptr 1
		.amdhsa_user_sgpr_dispatch_id 0
		.amdhsa_user_sgpr_kernarg_preload_length 0
		.amdhsa_user_sgpr_kernarg_preload_offset 0
		.amdhsa_user_sgpr_private_segment_size 0
		.amdhsa_uses_dynamic_stack 0
		.amdhsa_enable_private_segment 0
		.amdhsa_system_sgpr_workgroup_id_x 1
		.amdhsa_system_sgpr_workgroup_id_y 1
		.amdhsa_system_sgpr_workgroup_id_z 1
		.amdhsa_system_sgpr_workgroup_info 0
		.amdhsa_system_vgpr_workitem_id 1
		.amdhsa_next_free_vgpr 16
		.amdhsa_next_free_sgpr 40
		.amdhsa_accum_offset 16
		.amdhsa_reserve_vcc 1
		.amdhsa_float_round_mode_32 0
		.amdhsa_float_round_mode_16_64 0
		.amdhsa_float_denorm_mode_32 3
		.amdhsa_float_denorm_mode_16_64 3
		.amdhsa_dx10_clamp 1
		.amdhsa_ieee_mode 1
		.amdhsa_fp16_overflow 0
		.amdhsa_tg_split 0
		.amdhsa_exception_fp_ieee_invalid_op 0
		.amdhsa_exception_fp_denorm_src 0
		.amdhsa_exception_fp_ieee_div_zero 0
		.amdhsa_exception_fp_ieee_overflow 0
		.amdhsa_exception_fp_ieee_underflow 0
		.amdhsa_exception_fp_ieee_inexact 0
		.amdhsa_exception_int_div_zero 0
	.end_amdhsa_kernel
	.section	.text._ZL40rocblas_trsm_block_backward_substitutionIffPKPKfPKPfLb1ELb1ELb0EEv18rocblas_operation_llT0_T1_lllT2_lllib,"axG",@progbits,_ZL40rocblas_trsm_block_backward_substitutionIffPKPKfPKPfLb1ELb1ELb0EEv18rocblas_operation_llT0_T1_lllT2_lllib,comdat
.Lfunc_end55:
	.size	_ZL40rocblas_trsm_block_backward_substitutionIffPKPKfPKPfLb1ELb1ELb0EEv18rocblas_operation_llT0_T1_lllT2_lllib, .Lfunc_end55-_ZL40rocblas_trsm_block_backward_substitutionIffPKPKfPKPfLb1ELb1ELb0EEv18rocblas_operation_llT0_T1_lllT2_lllib
                                        ; -- End function
	.set _ZL40rocblas_trsm_block_backward_substitutionIffPKPKfPKPfLb1ELb1ELb0EEv18rocblas_operation_llT0_T1_lllT2_lllib.num_vgpr, 16
	.set _ZL40rocblas_trsm_block_backward_substitutionIffPKPKfPKPfLb1ELb1ELb0EEv18rocblas_operation_llT0_T1_lllT2_lllib.num_agpr, 0
	.set _ZL40rocblas_trsm_block_backward_substitutionIffPKPKfPKPfLb1ELb1ELb0EEv18rocblas_operation_llT0_T1_lllT2_lllib.numbered_sgpr, 40
	.set _ZL40rocblas_trsm_block_backward_substitutionIffPKPKfPKPfLb1ELb1ELb0EEv18rocblas_operation_llT0_T1_lllT2_lllib.num_named_barrier, 0
	.set _ZL40rocblas_trsm_block_backward_substitutionIffPKPKfPKPfLb1ELb1ELb0EEv18rocblas_operation_llT0_T1_lllT2_lllib.private_seg_size, 0
	.set _ZL40rocblas_trsm_block_backward_substitutionIffPKPKfPKPfLb1ELb1ELb0EEv18rocblas_operation_llT0_T1_lllT2_lllib.uses_vcc, 1
	.set _ZL40rocblas_trsm_block_backward_substitutionIffPKPKfPKPfLb1ELb1ELb0EEv18rocblas_operation_llT0_T1_lllT2_lllib.uses_flat_scratch, 0
	.set _ZL40rocblas_trsm_block_backward_substitutionIffPKPKfPKPfLb1ELb1ELb0EEv18rocblas_operation_llT0_T1_lllT2_lllib.has_dyn_sized_stack, 0
	.set _ZL40rocblas_trsm_block_backward_substitutionIffPKPKfPKPfLb1ELb1ELb0EEv18rocblas_operation_llT0_T1_lllT2_lllib.has_recursion, 0
	.set _ZL40rocblas_trsm_block_backward_substitutionIffPKPKfPKPfLb1ELb1ELb0EEv18rocblas_operation_llT0_T1_lllT2_lllib.has_indirect_call, 0
	.section	.AMDGPU.csdata,"",@progbits
; Kernel info:
; codeLenInByte = 1352
; TotalNumSgprs: 46
; NumVgprs: 16
; NumAgprs: 0
; TotalNumVgprs: 16
; ScratchSize: 0
; MemoryBound: 0
; FloatMode: 240
; IeeeMode: 1
; LDSByteSize: 0 bytes/workgroup (compile time only)
; SGPRBlocks: 5
; VGPRBlocks: 1
; NumSGPRsForWavesPerEU: 46
; NumVGPRsForWavesPerEU: 16
; AccumOffset: 16
; Occupancy: 8
; WaveLimiterHint : 1
; COMPUTE_PGM_RSRC2:SCRATCH_EN: 0
; COMPUTE_PGM_RSRC2:USER_SGPR: 2
; COMPUTE_PGM_RSRC2:TRAP_HANDLER: 0
; COMPUTE_PGM_RSRC2:TGID_X_EN: 1
; COMPUTE_PGM_RSRC2:TGID_Y_EN: 1
; COMPUTE_PGM_RSRC2:TGID_Z_EN: 1
; COMPUTE_PGM_RSRC2:TIDIG_COMP_CNT: 1
; COMPUTE_PGM_RSRC3_GFX90A:ACCUM_OFFSET: 3
; COMPUTE_PGM_RSRC3_GFX90A:TG_SPLIT: 0
	.section	.text._ZL39rocblas_trsm_block_forward_substitutionIffPKPKfPKPfLb1ELb1ELb1EEv18rocblas_operation_llT0_T1_lllT2_lllib,"axG",@progbits,_ZL39rocblas_trsm_block_forward_substitutionIffPKPKfPKPfLb1ELb1ELb1EEv18rocblas_operation_llT0_T1_lllT2_lllib,comdat
	.globl	_ZL39rocblas_trsm_block_forward_substitutionIffPKPKfPKPfLb1ELb1ELb1EEv18rocblas_operation_llT0_T1_lllT2_lllib ; -- Begin function _ZL39rocblas_trsm_block_forward_substitutionIffPKPKfPKPfLb1ELb1ELb1EEv18rocblas_operation_llT0_T1_lllT2_lllib
	.p2align	8
	.type	_ZL39rocblas_trsm_block_forward_substitutionIffPKPKfPKPfLb1ELb1ELb1EEv18rocblas_operation_llT0_T1_lllT2_lllib,@function
_ZL39rocblas_trsm_block_forward_substitutionIffPKPKfPKPfLb1ELb1ELb1EEv18rocblas_operation_llT0_T1_lllT2_lllib: ; @_ZL39rocblas_trsm_block_forward_substitutionIffPKPKfPKPfLb1ELb1ELb1EEv18rocblas_operation_llT0_T1_lllT2_lllib
; %bb.0:
	s_load_dwordx4 s[12:15], s[0:1], 0x20
	s_mov_b32 s5, 0
	s_lshl_b64 s[16:17], s[4:5], 3
	v_and_b32_e32 v2, 0x3ff, v0
	v_bfe_u32 v6, v0, 10, 10
	s_waitcnt lgkmcnt(0)
	s_add_u32 s12, s12, s16
	s_addc_u32 s13, s13, s17
	s_load_dwordx2 s[18:19], s[12:13], 0x0
	s_load_dwordx4 s[8:11], s[0:1], 0x8
	s_load_dwordx4 s[4:7], s[0:1], 0x40
	s_load_dwordx2 s[24:25], s[0:1], 0x30
	s_lshl_b64 s[12:13], s[14:15], 2
	s_waitcnt lgkmcnt(0)
	s_add_u32 s18, s18, s12
	s_addc_u32 s19, s19, s13
	s_add_u32 s4, s4, s16
	s_addc_u32 s5, s5, s17
	s_load_dwordx2 s[16:17], s[4:5], 0x0
	s_load_dwordx2 s[12:13], s[0:1], 0x50
	s_load_dword s14, s[0:1], 0x64
	s_load_dword s2, s[0:1], 0x74
	s_add_u32 s20, s0, 0x68
	s_addc_u32 s21, s1, 0
	s_mov_b64 s[4:5], 1
	s_waitcnt lgkmcnt(0)
	s_lshr_b32 s2, s2, 16
	s_bitcmp0_b32 s14, 0
	s_cbranch_scc1 .LBB56_6
; %bb.1:
	s_lshl_b32 s4, s2, 2
	s_add_i32 s22, s4, 0
	v_cmp_lt_i64_e64 s[4:5], s[8:9], 1
	s_mov_b64 s[14:15], 1
	s_and_b64 vcc, exec, s[4:5]
	s_cbranch_vccnz .LBB56_7
; %bb.2:
	v_mad_u64_u32 v[0:1], s[26:27], s24, v2, 0
	v_mov_b32_e32 v4, v1
	v_mad_u64_u32 v[4:5], s[24:25], s25, v2, v[4:5]
	v_mov_b32_e32 v3, 0
	v_mov_b32_e32 v1, v4
	v_lshl_add_u32 v7, v2, 2, s22
	v_cmp_gt_u64_e64 s[4:5], s[8:9], v[2:3]
	v_lshl_add_u64 v[0:1], v[0:1], 2, s[18:19]
	s_mov_b32 s23, 0
	s_branch .LBB56_4
.LBB56_3:                               ;   in Loop: Header=BB56_4 Depth=1
	s_or_b64 exec, exec, s[18:19]
	s_add_i32 s23, s23, s2
	s_ashr_i32 s18, s23, 31
	v_mov_b32_e32 v4, s23
	v_mov_b32_e32 v5, s18
	v_cmp_le_i64_e32 vcc, s[8:9], v[4:5]
	s_cbranch_vccnz .LBB56_7
.LBB56_4:                               ; =>This Inner Loop Header: Depth=1
	v_add_u32_e32 v4, s23, v6
	v_cmp_gt_i32_e32 vcc, v2, v4
	s_and_b64 s[24:25], s[4:5], vcc
	s_and_saveexec_b64 s[18:19], s[24:25]
	s_cbranch_execz .LBB56_3
; %bb.5:                                ;   in Loop: Header=BB56_4 Depth=1
	v_ashrrev_i32_e32 v5, 31, v4
	v_lshl_add_u64 v[8:9], v[4:5], 2, v[0:1]
	flat_load_dword v3, v[8:9]
	s_load_dword s24, s[20:21], 0xc
	s_waitcnt lgkmcnt(0)
	s_and_b32 s24, s24, 0xffff
	v_mul_lo_u32 v4, v4, s24
	v_lshl_add_u32 v4, v4, 2, v7
	s_waitcnt vmcnt(0)
	ds_write_b32 v4, v3
	s_branch .LBB56_3
.LBB56_6:
	s_mov_b64 s[14:15], s[24:25]
	s_branch .LBB56_8
.LBB56_7:
	s_mov_b64 s[4:5], src_shared_base
	s_load_dword s4, s[20:21], 0xc
	s_mov_b32 s23, s5
	s_mov_b64 s[18:19], s[22:23]
	s_waitcnt lgkmcnt(0)
	s_and_b32 s4, s4, 0xffff
.LBB56_8:
	s_mul_i32 s3, s3, s2
	v_add_u32_e32 v0, s3, v6
	v_mov_b32_e32 v1, 0
	v_cmp_gt_i64_e32 vcc, s[10:11], v[0:1]
	s_and_saveexec_b64 s[2:3], vcc
	s_cbranch_execz .LBB56_18
; %bb.9:
	v_mov_b32_e32 v3, v1
	v_cmp_gt_i64_e32 vcc, s[8:9], v[2:3]
	s_and_b64 exec, exec, vcc
	s_cbranch_execz .LBB56_18
; %bb.10:
	s_lshl_b64 s[2:3], s[6:7], 2
	v_mad_u64_u32 v[4:5], s[6:7], s12, v2, 0
	v_mov_b32_e32 v8, v5
	s_add_u32 s2, s16, s2
	v_mad_u64_u32 v[8:9], s[6:7], s13, v2, v[8:9]
	s_addc_u32 s3, s17, s3
	v_mov_b32_e32 v5, v8
	v_lshl_add_u64 v[4:5], v[4:5], 2, s[2:3]
	v_lshl_add_u64 v[0:1], v[0:1], 2, v[4:5]
	flat_load_dword v4, v[0:1]
	s_load_dword s2, s[0:1], 0x18
	v_cmp_lt_u64_e64 s[0:1], s[8:9], 2
	s_and_b64 vcc, exec, s[0:1]
	s_waitcnt vmcnt(0) lgkmcnt(0)
	v_mul_f32_e32 v7, s2, v4
	s_cbranch_vccnz .LBB56_17
; %bb.11:
	v_mad_u64_u32 v[4:5], s[2:3], s14, v2, 0
	v_mov_b32_e32 v8, v5
	v_mad_u64_u32 v[8:9], s[2:3], s15, v2, v[8:9]
	v_mov_b32_e32 v5, v8
	s_add_u32 s2, s8, -1
	s_mov_b32 s1, 0
	v_lshl_add_u32 v6, v6, 2, 0
	v_lshl_add_u64 v[4:5], v[4:5], 2, s[18:19]
	s_addc_u32 s3, s9, -1
	s_lshl_b32 s0, s4, 2
	s_mov_b64 s[4:5], 0
	s_branch .LBB56_13
.LBB56_12:                              ;   in Loop: Header=BB56_13 Depth=1
	s_or_b64 exec, exec, s[6:7]
	s_add_u32 s4, s4, 1
	s_addc_u32 s5, s5, 0
	s_cmp_eq_u64 s[2:3], s[4:5]
	v_lshl_add_u64 v[4:5], v[4:5], 0, s[0:1]
	s_cbranch_scc1 .LBB56_17
.LBB56_13:                              ; =>This Inner Loop Header: Depth=1
	v_cmp_eq_u64_e32 vcc, s[4:5], v[2:3]
	s_barrier
	s_and_saveexec_b64 s[6:7], vcc
; %bb.14:                               ;   in Loop: Header=BB56_13 Depth=1
	ds_write_b32 v6, v7
; %bb.15:                               ;   in Loop: Header=BB56_13 Depth=1
	s_or_b64 exec, exec, s[6:7]
	v_cmp_lt_u64_e32 vcc, s[4:5], v[2:3]
	s_waitcnt lgkmcnt(0)
	s_barrier
	s_and_saveexec_b64 s[6:7], vcc
	s_cbranch_execz .LBB56_12
; %bb.16:                               ;   in Loop: Header=BB56_13 Depth=1
	flat_load_dword v8, v[4:5]
	ds_read_b32 v9, v6
	s_waitcnt vmcnt(0) lgkmcnt(0)
	v_fma_f32 v7, -v8, v9, v7
	s_branch .LBB56_12
.LBB56_17:
	flat_store_dword v[0:1], v7
.LBB56_18:
	s_endpgm
	.section	.rodata,"a",@progbits
	.p2align	6, 0x0
	.amdhsa_kernel _ZL39rocblas_trsm_block_forward_substitutionIffPKPKfPKPfLb1ELb1ELb1EEv18rocblas_operation_llT0_T1_lllT2_lllib
		.amdhsa_group_segment_fixed_size 0
		.amdhsa_private_segment_fixed_size 0
		.amdhsa_kernarg_size 360
		.amdhsa_user_sgpr_count 2
		.amdhsa_user_sgpr_dispatch_ptr 0
		.amdhsa_user_sgpr_queue_ptr 0
		.amdhsa_user_sgpr_kernarg_segment_ptr 1
		.amdhsa_user_sgpr_dispatch_id 0
		.amdhsa_user_sgpr_kernarg_preload_length 0
		.amdhsa_user_sgpr_kernarg_preload_offset 0
		.amdhsa_user_sgpr_private_segment_size 0
		.amdhsa_uses_dynamic_stack 0
		.amdhsa_enable_private_segment 0
		.amdhsa_system_sgpr_workgroup_id_x 1
		.amdhsa_system_sgpr_workgroup_id_y 1
		.amdhsa_system_sgpr_workgroup_id_z 1
		.amdhsa_system_sgpr_workgroup_info 0
		.amdhsa_system_vgpr_workitem_id 1
		.amdhsa_next_free_vgpr 10
		.amdhsa_next_free_sgpr 28
		.amdhsa_accum_offset 12
		.amdhsa_reserve_vcc 1
		.amdhsa_float_round_mode_32 0
		.amdhsa_float_round_mode_16_64 0
		.amdhsa_float_denorm_mode_32 3
		.amdhsa_float_denorm_mode_16_64 3
		.amdhsa_dx10_clamp 1
		.amdhsa_ieee_mode 1
		.amdhsa_fp16_overflow 0
		.amdhsa_tg_split 0
		.amdhsa_exception_fp_ieee_invalid_op 0
		.amdhsa_exception_fp_denorm_src 0
		.amdhsa_exception_fp_ieee_div_zero 0
		.amdhsa_exception_fp_ieee_overflow 0
		.amdhsa_exception_fp_ieee_underflow 0
		.amdhsa_exception_fp_ieee_inexact 0
		.amdhsa_exception_int_div_zero 0
	.end_amdhsa_kernel
	.section	.text._ZL39rocblas_trsm_block_forward_substitutionIffPKPKfPKPfLb1ELb1ELb1EEv18rocblas_operation_llT0_T1_lllT2_lllib,"axG",@progbits,_ZL39rocblas_trsm_block_forward_substitutionIffPKPKfPKPfLb1ELb1ELb1EEv18rocblas_operation_llT0_T1_lllT2_lllib,comdat
.Lfunc_end56:
	.size	_ZL39rocblas_trsm_block_forward_substitutionIffPKPKfPKPfLb1ELb1ELb1EEv18rocblas_operation_llT0_T1_lllT2_lllib, .Lfunc_end56-_ZL39rocblas_trsm_block_forward_substitutionIffPKPKfPKPfLb1ELb1ELb1EEv18rocblas_operation_llT0_T1_lllT2_lllib
                                        ; -- End function
	.set _ZL39rocblas_trsm_block_forward_substitutionIffPKPKfPKPfLb1ELb1ELb1EEv18rocblas_operation_llT0_T1_lllT2_lllib.num_vgpr, 10
	.set _ZL39rocblas_trsm_block_forward_substitutionIffPKPKfPKPfLb1ELb1ELb1EEv18rocblas_operation_llT0_T1_lllT2_lllib.num_agpr, 0
	.set _ZL39rocblas_trsm_block_forward_substitutionIffPKPKfPKPfLb1ELb1ELb1EEv18rocblas_operation_llT0_T1_lllT2_lllib.numbered_sgpr, 28
	.set _ZL39rocblas_trsm_block_forward_substitutionIffPKPKfPKPfLb1ELb1ELb1EEv18rocblas_operation_llT0_T1_lllT2_lllib.num_named_barrier, 0
	.set _ZL39rocblas_trsm_block_forward_substitutionIffPKPKfPKPfLb1ELb1ELb1EEv18rocblas_operation_llT0_T1_lllT2_lllib.private_seg_size, 0
	.set _ZL39rocblas_trsm_block_forward_substitutionIffPKPKfPKPfLb1ELb1ELb1EEv18rocblas_operation_llT0_T1_lllT2_lllib.uses_vcc, 1
	.set _ZL39rocblas_trsm_block_forward_substitutionIffPKPKfPKPfLb1ELb1ELb1EEv18rocblas_operation_llT0_T1_lllT2_lllib.uses_flat_scratch, 0
	.set _ZL39rocblas_trsm_block_forward_substitutionIffPKPKfPKPfLb1ELb1ELb1EEv18rocblas_operation_llT0_T1_lllT2_lllib.has_dyn_sized_stack, 0
	.set _ZL39rocblas_trsm_block_forward_substitutionIffPKPKfPKPfLb1ELb1ELb1EEv18rocblas_operation_llT0_T1_lllT2_lllib.has_recursion, 0
	.set _ZL39rocblas_trsm_block_forward_substitutionIffPKPKfPKPfLb1ELb1ELb1EEv18rocblas_operation_llT0_T1_lllT2_lllib.has_indirect_call, 0
	.section	.AMDGPU.csdata,"",@progbits
; Kernel info:
; codeLenInByte = 724
; TotalNumSgprs: 34
; NumVgprs: 10
; NumAgprs: 0
; TotalNumVgprs: 10
; ScratchSize: 0
; MemoryBound: 0
; FloatMode: 240
; IeeeMode: 1
; LDSByteSize: 0 bytes/workgroup (compile time only)
; SGPRBlocks: 4
; VGPRBlocks: 1
; NumSGPRsForWavesPerEU: 34
; NumVGPRsForWavesPerEU: 10
; AccumOffset: 12
; Occupancy: 8
; WaveLimiterHint : 1
; COMPUTE_PGM_RSRC2:SCRATCH_EN: 0
; COMPUTE_PGM_RSRC2:USER_SGPR: 2
; COMPUTE_PGM_RSRC2:TRAP_HANDLER: 0
; COMPUTE_PGM_RSRC2:TGID_X_EN: 1
; COMPUTE_PGM_RSRC2:TGID_Y_EN: 1
; COMPUTE_PGM_RSRC2:TGID_Z_EN: 1
; COMPUTE_PGM_RSRC2:TIDIG_COMP_CNT: 1
; COMPUTE_PGM_RSRC3_GFX90A:ACCUM_OFFSET: 2
; COMPUTE_PGM_RSRC3_GFX90A:TG_SPLIT: 0
	.section	.text._ZL40rocblas_trsm_block_backward_substitutionIffPKPKfPKPfLb1ELb1ELb1EEv18rocblas_operation_llT0_T1_lllT2_lllib,"axG",@progbits,_ZL40rocblas_trsm_block_backward_substitutionIffPKPKfPKPfLb1ELb1ELb1EEv18rocblas_operation_llT0_T1_lllT2_lllib,comdat
	.globl	_ZL40rocblas_trsm_block_backward_substitutionIffPKPKfPKPfLb1ELb1ELb1EEv18rocblas_operation_llT0_T1_lllT2_lllib ; -- Begin function _ZL40rocblas_trsm_block_backward_substitutionIffPKPKfPKPfLb1ELb1ELb1EEv18rocblas_operation_llT0_T1_lllT2_lllib
	.p2align	8
	.type	_ZL40rocblas_trsm_block_backward_substitutionIffPKPKfPKPfLb1ELb1ELb1EEv18rocblas_operation_llT0_T1_lllT2_lllib,@function
_ZL40rocblas_trsm_block_backward_substitutionIffPKPKfPKPfLb1ELb1ELb1EEv18rocblas_operation_llT0_T1_lllT2_lllib: ; @_ZL40rocblas_trsm_block_backward_substitutionIffPKPKfPKPfLb1ELb1ELb1EEv18rocblas_operation_llT0_T1_lllT2_lllib
; %bb.0:
	s_load_dwordx4 s[16:19], s[0:1], 0x20
	s_mov_b32 s5, 0
	s_lshl_b64 s[4:5], s[4:5], 3
	v_and_b32_e32 v2, 0x3ff, v0
	v_bfe_u32 v6, v0, 10, 10
	s_waitcnt lgkmcnt(0)
	s_add_u32 s6, s16, s4
	s_addc_u32 s7, s17, s5
	s_load_dwordx2 s[20:21], s[6:7], 0x0
	s_load_dwordx4 s[8:11], s[0:1], 0x8
	s_load_dwordx4 s[12:15], s[0:1], 0x40
	s_load_dwordx2 s[16:17], s[0:1], 0x30
	s_lshl_b64 s[6:7], s[18:19], 2
	s_waitcnt lgkmcnt(0)
	s_add_u32 s6, s20, s6
	s_addc_u32 s7, s21, s7
	s_add_u32 s4, s12, s4
	s_addc_u32 s5, s13, s5
	s_load_dwordx2 s[12:13], s[0:1], 0x50
	s_load_dword s22, s[0:1], 0x64
	s_load_dword s2, s[0:1], 0x74
	s_load_dwordx2 s[18:19], s[4:5], 0x0
	s_add_u32 s20, s0, 0x68
	s_addc_u32 s21, s1, 0
	s_waitcnt lgkmcnt(0)
	s_lshr_b32 s2, s2, 16
	s_bitcmp0_b32 s22, 0
	s_cbranch_scc1 .LBB57_7
; %bb.1:
	s_lshl_b32 s4, s2, 2
	s_add_i32 s22, s4, 0
	v_cmp_lt_i64_e64 s[4:5], s[8:9], 1
	s_and_b64 vcc, exec, s[4:5]
	s_cbranch_vccnz .LBB57_6
; %bb.2:
	v_mov_b32_e32 v3, 0
	v_lshlrev_b32_e32 v0, 2, v2
	v_mov_b32_e32 v1, v3
	v_add_u32_e32 v7, s22, v0
	v_cmp_gt_u64_e64 s[4:5], s[8:9], v[2:3]
	v_lshl_add_u64 v[0:1], s[6:7], 0, v[0:1]
	s_mov_b32 s23, 0
	s_branch .LBB57_4
.LBB57_3:                               ;   in Loop: Header=BB57_4 Depth=1
	s_or_b64 exec, exec, s[6:7]
	s_add_i32 s23, s23, s2
	s_ashr_i32 s6, s23, 31
	v_mov_b32_e32 v4, s23
	v_mov_b32_e32 v5, s6
	v_cmp_le_i64_e32 vcc, s[8:9], v[4:5]
	s_cbranch_vccnz .LBB57_6
.LBB57_4:                               ; =>This Inner Loop Header: Depth=1
	v_add_u32_e32 v4, s23, v6
	v_ashrrev_i32_e32 v5, 31, v4
	v_cmp_gt_i64_e32 vcc, s[8:9], v[4:5]
	v_cmp_lt_i32_e64 s[6:7], v2, v4
	s_and_b64 s[6:7], s[6:7], vcc
	s_and_b64 s[24:25], s[4:5], s[6:7]
	s_and_saveexec_b64 s[6:7], s[24:25]
	s_cbranch_execz .LBB57_3
; %bb.5:                                ;   in Loop: Header=BB57_4 Depth=1
	v_mul_lo_u32 v3, s17, v4
	v_mul_lo_u32 v5, s16, v5
	v_mad_u64_u32 v[8:9], s[24:25], s16, v4, 0
	v_add3_u32 v9, v9, v5, v3
	v_lshl_add_u64 v[8:9], v[8:9], 2, v[0:1]
	flat_load_dword v3, v[8:9]
	s_load_dword s24, s[20:21], 0xc
	s_waitcnt lgkmcnt(0)
	s_and_b32 s24, s24, 0xffff
	v_mul_lo_u32 v4, v4, s24
	v_lshl_add_u32 v4, v4, 2, v7
	s_waitcnt vmcnt(0)
	ds_write_b32 v4, v3
	s_branch .LBB57_3
.LBB57_6:
	s_mov_b64 s[4:5], src_shared_base
	s_load_dword s4, s[20:21], 0xc
	s_mov_b32 s23, s5
	s_mov_b32 s17, 0
	s_mov_b64 s[6:7], s[22:23]
	s_waitcnt lgkmcnt(0)
	s_and_b32 s16, s4, 0xffff
.LBB57_7:
	s_mul_i32 s3, s3, s2
	v_add_u32_e32 v0, s3, v6
	v_mov_b32_e32 v1, 0
	v_cmp_gt_i64_e32 vcc, s[10:11], v[0:1]
	s_and_saveexec_b64 s[2:3], vcc
	s_cbranch_execz .LBB57_18
; %bb.8:
	v_mov_b32_e32 v3, v1
	v_cmp_gt_i64_e32 vcc, s[8:9], v[2:3]
	s_and_b64 exec, exec, vcc
	s_cbranch_execz .LBB57_18
; %bb.9:
	v_mad_u64_u32 v[4:5], s[4:5], s12, v0, 0
	s_lshl_b64 s[2:3], s[14:15], 2
	v_mov_b32_e32 v8, v5
	s_add_u32 s2, s18, s2
	v_mad_u64_u32 v[0:1], s[4:5], s13, v0, v[8:9]
	s_addc_u32 s3, s19, s3
	v_mov_b32_e32 v5, v0
	v_lshl_add_u64 v[0:1], v[4:5], 2, s[2:3]
	v_lshlrev_b32_e32 v4, 2, v2
	v_mov_b32_e32 v5, 0
	v_lshl_add_u64 v[0:1], v[0:1], 0, v[4:5]
	flat_load_dword v7, v[0:1]
	s_load_dword s2, s[0:1], 0x18
	v_cmp_lt_u64_e64 s[0:1], s[8:9], 2
	s_and_b64 vcc, exec, s[0:1]
	s_waitcnt vmcnt(0) lgkmcnt(0)
	v_mul_f32_e32 v7, s2, v7
	s_cbranch_vccnz .LBB57_17
; %bb.10:
	s_add_u32 s0, s8, -1
	s_addc_u32 s1, s9, -1
	s_mul_i32 s2, s16, s1
	s_mul_hi_u32 s3, s16, s0
	s_add_i32 s2, s3, s2
	s_mul_i32 s3, s17, s0
	s_add_i32 s3, s2, s3
	s_mul_i32 s2, s16, s0
	s_lshl_b64 s[2:3], s[2:3], 2
	s_add_u32 s2, s6, s2
	s_addc_u32 s3, s7, s3
	v_lshl_add_u64 v[4:5], s[2:3], 0, v[4:5]
	s_lshl_b64 s[2:3], s[16:17], 2
	s_sub_u32 s2, 0, s2
	v_lshl_add_u32 v6, v6, 2, 0
	s_subb_u32 s3, 0, s3
.LBB57_11:                              ; =>This Inner Loop Header: Depth=1
	v_cmp_eq_u64_e32 vcc, s[0:1], v[2:3]
	s_barrier
	s_and_saveexec_b64 s[4:5], vcc
; %bb.12:                               ;   in Loop: Header=BB57_11 Depth=1
	ds_write_b32 v6, v7
; %bb.13:                               ;   in Loop: Header=BB57_11 Depth=1
	s_or_b64 exec, exec, s[4:5]
	v_cmp_gt_i64_e32 vcc, s[0:1], v[2:3]
	s_waitcnt lgkmcnt(0)
	s_barrier
	s_and_saveexec_b64 s[4:5], vcc
	s_cbranch_execz .LBB57_15
; %bb.14:                               ;   in Loop: Header=BB57_11 Depth=1
	flat_load_dword v8, v[4:5]
	ds_read_b32 v9, v6
	s_waitcnt vmcnt(0) lgkmcnt(0)
	v_fma_f32 v7, -v8, v9, v7
.LBB57_15:                              ;   in Loop: Header=BB57_11 Depth=1
	s_or_b64 exec, exec, s[4:5]
	s_add_u32 s4, s0, -1
	s_addc_u32 s5, s1, -1
	s_add_u32 s0, s0, 1
	s_addc_u32 s1, s1, 0
	v_cmp_lt_u64_e64 s[0:1], s[0:1], 3
	v_lshl_add_u64 v[4:5], v[4:5], 0, s[2:3]
	s_and_b64 vcc, exec, s[0:1]
	s_cbranch_vccnz .LBB57_17
; %bb.16:                               ;   in Loop: Header=BB57_11 Depth=1
	s_mov_b64 s[0:1], s[4:5]
	s_branch .LBB57_11
.LBB57_17:
	flat_store_dword v[0:1], v7
.LBB57_18:
	s_endpgm
	.section	.rodata,"a",@progbits
	.p2align	6, 0x0
	.amdhsa_kernel _ZL40rocblas_trsm_block_backward_substitutionIffPKPKfPKPfLb1ELb1ELb1EEv18rocblas_operation_llT0_T1_lllT2_lllib
		.amdhsa_group_segment_fixed_size 0
		.amdhsa_private_segment_fixed_size 0
		.amdhsa_kernarg_size 360
		.amdhsa_user_sgpr_count 2
		.amdhsa_user_sgpr_dispatch_ptr 0
		.amdhsa_user_sgpr_queue_ptr 0
		.amdhsa_user_sgpr_kernarg_segment_ptr 1
		.amdhsa_user_sgpr_dispatch_id 0
		.amdhsa_user_sgpr_kernarg_preload_length 0
		.amdhsa_user_sgpr_kernarg_preload_offset 0
		.amdhsa_user_sgpr_private_segment_size 0
		.amdhsa_uses_dynamic_stack 0
		.amdhsa_enable_private_segment 0
		.amdhsa_system_sgpr_workgroup_id_x 1
		.amdhsa_system_sgpr_workgroup_id_y 1
		.amdhsa_system_sgpr_workgroup_id_z 1
		.amdhsa_system_sgpr_workgroup_info 0
		.amdhsa_system_vgpr_workitem_id 1
		.amdhsa_next_free_vgpr 10
		.amdhsa_next_free_sgpr 26
		.amdhsa_accum_offset 12
		.amdhsa_reserve_vcc 1
		.amdhsa_float_round_mode_32 0
		.amdhsa_float_round_mode_16_64 0
		.amdhsa_float_denorm_mode_32 3
		.amdhsa_float_denorm_mode_16_64 3
		.amdhsa_dx10_clamp 1
		.amdhsa_ieee_mode 1
		.amdhsa_fp16_overflow 0
		.amdhsa_tg_split 0
		.amdhsa_exception_fp_ieee_invalid_op 0
		.amdhsa_exception_fp_denorm_src 0
		.amdhsa_exception_fp_ieee_div_zero 0
		.amdhsa_exception_fp_ieee_overflow 0
		.amdhsa_exception_fp_ieee_underflow 0
		.amdhsa_exception_fp_ieee_inexact 0
		.amdhsa_exception_int_div_zero 0
	.end_amdhsa_kernel
	.section	.text._ZL40rocblas_trsm_block_backward_substitutionIffPKPKfPKPfLb1ELb1ELb1EEv18rocblas_operation_llT0_T1_lllT2_lllib,"axG",@progbits,_ZL40rocblas_trsm_block_backward_substitutionIffPKPKfPKPfLb1ELb1ELb1EEv18rocblas_operation_llT0_T1_lllT2_lllib,comdat
.Lfunc_end57:
	.size	_ZL40rocblas_trsm_block_backward_substitutionIffPKPKfPKPfLb1ELb1ELb1EEv18rocblas_operation_llT0_T1_lllT2_lllib, .Lfunc_end57-_ZL40rocblas_trsm_block_backward_substitutionIffPKPKfPKPfLb1ELb1ELb1EEv18rocblas_operation_llT0_T1_lllT2_lllib
                                        ; -- End function
	.set _ZL40rocblas_trsm_block_backward_substitutionIffPKPKfPKPfLb1ELb1ELb1EEv18rocblas_operation_llT0_T1_lllT2_lllib.num_vgpr, 10
	.set _ZL40rocblas_trsm_block_backward_substitutionIffPKPKfPKPfLb1ELb1ELb1EEv18rocblas_operation_llT0_T1_lllT2_lllib.num_agpr, 0
	.set _ZL40rocblas_trsm_block_backward_substitutionIffPKPKfPKPfLb1ELb1ELb1EEv18rocblas_operation_llT0_T1_lllT2_lllib.numbered_sgpr, 26
	.set _ZL40rocblas_trsm_block_backward_substitutionIffPKPKfPKPfLb1ELb1ELb1EEv18rocblas_operation_llT0_T1_lllT2_lllib.num_named_barrier, 0
	.set _ZL40rocblas_trsm_block_backward_substitutionIffPKPKfPKPfLb1ELb1ELb1EEv18rocblas_operation_llT0_T1_lllT2_lllib.private_seg_size, 0
	.set _ZL40rocblas_trsm_block_backward_substitutionIffPKPKfPKPfLb1ELb1ELb1EEv18rocblas_operation_llT0_T1_lllT2_lllib.uses_vcc, 1
	.set _ZL40rocblas_trsm_block_backward_substitutionIffPKPKfPKPfLb1ELb1ELb1EEv18rocblas_operation_llT0_T1_lllT2_lllib.uses_flat_scratch, 0
	.set _ZL40rocblas_trsm_block_backward_substitutionIffPKPKfPKPfLb1ELb1ELb1EEv18rocblas_operation_llT0_T1_lllT2_lllib.has_dyn_sized_stack, 0
	.set _ZL40rocblas_trsm_block_backward_substitutionIffPKPKfPKPfLb1ELb1ELb1EEv18rocblas_operation_llT0_T1_lllT2_lllib.has_recursion, 0
	.set _ZL40rocblas_trsm_block_backward_substitutionIffPKPKfPKPfLb1ELb1ELb1EEv18rocblas_operation_llT0_T1_lllT2_lllib.has_indirect_call, 0
	.section	.AMDGPU.csdata,"",@progbits
; Kernel info:
; codeLenInByte = 772
; TotalNumSgprs: 32
; NumVgprs: 10
; NumAgprs: 0
; TotalNumVgprs: 10
; ScratchSize: 0
; MemoryBound: 0
; FloatMode: 240
; IeeeMode: 1
; LDSByteSize: 0 bytes/workgroup (compile time only)
; SGPRBlocks: 3
; VGPRBlocks: 1
; NumSGPRsForWavesPerEU: 32
; NumVGPRsForWavesPerEU: 10
; AccumOffset: 12
; Occupancy: 8
; WaveLimiterHint : 1
; COMPUTE_PGM_RSRC2:SCRATCH_EN: 0
; COMPUTE_PGM_RSRC2:USER_SGPR: 2
; COMPUTE_PGM_RSRC2:TRAP_HANDLER: 0
; COMPUTE_PGM_RSRC2:TGID_X_EN: 1
; COMPUTE_PGM_RSRC2:TGID_Y_EN: 1
; COMPUTE_PGM_RSRC2:TGID_Z_EN: 1
; COMPUTE_PGM_RSRC2:TIDIG_COMP_CNT: 1
; COMPUTE_PGM_RSRC3_GFX90A:ACCUM_OFFSET: 2
; COMPUTE_PGM_RSRC3_GFX90A:TG_SPLIT: 0
	.section	.text._ZL39rocblas_trsm_block_forward_substitutionIffPKPKfPKPfLb1ELb0ELb0EEv18rocblas_operation_llT0_T1_lllT2_lllib,"axG",@progbits,_ZL39rocblas_trsm_block_forward_substitutionIffPKPKfPKPfLb1ELb0ELb0EEv18rocblas_operation_llT0_T1_lllT2_lllib,comdat
	.globl	_ZL39rocblas_trsm_block_forward_substitutionIffPKPKfPKPfLb1ELb0ELb0EEv18rocblas_operation_llT0_T1_lllT2_lllib ; -- Begin function _ZL39rocblas_trsm_block_forward_substitutionIffPKPKfPKPfLb1ELb0ELb0EEv18rocblas_operation_llT0_T1_lllT2_lllib
	.p2align	8
	.type	_ZL39rocblas_trsm_block_forward_substitutionIffPKPKfPKPfLb1ELb0ELb0EEv18rocblas_operation_llT0_T1_lllT2_lllib,@function
_ZL39rocblas_trsm_block_forward_substitutionIffPKPKfPKPfLb1ELb0ELb0EEv18rocblas_operation_llT0_T1_lllT2_lllib: ; @_ZL39rocblas_trsm_block_forward_substitutionIffPKPKfPKPfLb1ELb0ELb0EEv18rocblas_operation_llT0_T1_lllT2_lllib
; %bb.0:
	s_load_dword s24, s[0:1], 0x64
	s_load_dwordx4 s[8:11], s[0:1], 0x8
	s_load_dwordx4 s[20:23], s[0:1], 0x20
	s_load_dword s2, s[0:1], 0x74
	s_mov_b32 s5, 0
	s_waitcnt lgkmcnt(0)
	s_bitcmp1_b32 s24, 0
	s_cselect_b64 s[6:7], -1, 0
	s_lshl_b64 s[4:5], s[4:5], 3
	s_add_u32 s16, s20, s4
	s_addc_u32 s17, s21, s5
	s_load_dwordx2 s[20:21], s[16:17], 0x0
	s_load_dwordx2 s[26:27], s[0:1], 0x30
	s_load_dwordx4 s[12:15], s[0:1], 0x40
	s_load_dwordx2 s[18:19], s[0:1], 0x50
	s_lshl_b64 s[16:17], s[22:23], 2
	s_waitcnt lgkmcnt(0)
	s_add_u32 s16, s20, s16
	s_addc_u32 s17, s21, s17
	s_add_u32 s4, s12, s4
	s_addc_u32 s5, s13, s5
	s_load_dwordx2 s[12:13], s[4:5], 0x0
	s_add_u32 s22, s0, 0x68
	s_addc_u32 s23, s1, 0
	s_lshr_b32 s2, s2, 16
	v_and_b32_e32 v2, 0x3ff, v0
	v_bfe_u32 v8, v0, 10, 10
	s_bitcmp0_b32 s24, 0
	s_mov_b64 s[20:21], 1
	s_cbranch_scc1 .LBB58_12
; %bb.1:
	s_lshl_b32 s4, s2, 2
	v_cmp_lt_i64_e64 s[20:21], s[8:9], 1
	s_add_i32 s24, s4, 0
	s_mov_b64 s[4:5], 1
	s_and_b64 vcc, exec, s[20:21]
	s_cbranch_vccnz .LBB58_13
; %bb.2:
	v_mad_u64_u32 v[0:1], s[20:21], s26, v2, 0
	v_mov_b32_e32 v6, v1
	v_mad_u64_u32 v[6:7], s[20:21], s27, v2, v[6:7]
	v_mov_b32_e32 v3, 0
	v_mov_b32_e32 v1, v6
	v_lshlrev_b32_e32 v4, 2, v2
	v_cmp_le_u64_e32 vcc, s[8:9], v[2:3]
	v_lshl_add_u64 v[0:1], v[0:1], 2, s[16:17]
	v_mov_b32_e32 v5, v3
	v_add_u32_e32 v9, s24, v4
	v_lshl_add_u64 v[4:5], v[0:1], 0, v[4:5]
	s_xor_b64 s[16:17], vcc, -1
	s_mov_b32 s25, s2
	v_mov_b32_e32 v6, v8
	s_branch .LBB58_4
.LBB58_3:                               ;   in Loop: Header=BB58_4 Depth=1
	s_or_b64 exec, exec, s[26:27]
	s_ashr_i32 s20, s25, 31
	v_mov_b32_e32 v10, s25
	v_mov_b32_e32 v11, s20
	v_cmp_le_i64_e32 vcc, s[8:9], v[10:11]
	v_add_u32_e32 v6, s2, v6
	s_add_i32 s25, s25, s2
	s_cbranch_vccnz .LBB58_13
.LBB58_4:                               ; =>This Inner Loop Header: Depth=1
	v_cmp_gt_i32_e32 vcc, v2, v6
	s_and_b64 s[26:27], s[16:17], vcc
	s_mov_b64 s[20:21], 0
                                        ; implicit-def: $vgpr3
	s_and_saveexec_b64 s[28:29], s[26:27]
	s_xor_b64 s[26:27], exec, s[28:29]
	s_cbranch_execnz .LBB58_7
; %bb.5:                                ;   in Loop: Header=BB58_4 Depth=1
	s_or_saveexec_b64 s[26:27], s[26:27]
	v_mov_b32_e32 v7, v6
	s_xor_b64 exec, exec, s[26:27]
	s_cbranch_execnz .LBB58_8
.LBB58_6:                               ;   in Loop: Header=BB58_4 Depth=1
	s_or_b64 exec, exec, s[26:27]
	s_and_saveexec_b64 s[26:27], s[20:21]
	s_cbranch_execz .LBB58_3
	s_branch .LBB58_11
.LBB58_7:                               ;   in Loop: Header=BB58_4 Depth=1
	v_ashrrev_i32_e32 v7, 31, v6
	v_lshl_add_u64 v[10:11], v[6:7], 2, v[0:1]
	s_waitcnt vmcnt(0) lgkmcnt(0)
	flat_load_dword v3, v[10:11]
	s_mov_b64 s[20:21], exec
	s_or_saveexec_b64 s[26:27], s[26:27]
	v_mov_b32_e32 v7, v6
	s_xor_b64 exec, exec, s[26:27]
	s_cbranch_execz .LBB58_6
.LBB58_8:                               ;   in Loop: Header=BB58_4 Depth=1
	v_cmp_eq_u32_e32 vcc, v2, v6
	s_and_b64 s[34:35], s[16:17], vcc
	s_mov_b64 s[30:31], s[20:21]
                                        ; implicit-def: $vgpr3
	s_and_saveexec_b64 s[28:29], s[34:35]
	s_cbranch_execz .LBB58_10
; %bb.9:                                ;   in Loop: Header=BB58_4 Depth=1
	s_waitcnt vmcnt(0) lgkmcnt(0)
	flat_load_dword v3, v[4:5]
	s_waitcnt vmcnt(0) lgkmcnt(0)
	v_div_scale_f32 v7, s[30:31], v3, v3, 1.0
	v_rcp_f32_e32 v10, v7
	v_div_scale_f32 v11, vcc, 1.0, v3, 1.0
	s_or_b64 s[30:31], s[20:21], exec
	v_fma_f32 v12, -v7, v10, 1.0
	v_fmac_f32_e32 v10, v12, v10
	v_mul_f32_e32 v12, v11, v10
	v_fma_f32 v13, -v7, v12, v11
	v_fmac_f32_e32 v12, v13, v10
	v_fma_f32 v7, -v7, v12, v11
	v_div_fmas_f32 v7, v7, v10, v12
	v_div_fixup_f32 v3, v7, v3, 1.0
.LBB58_10:                              ;   in Loop: Header=BB58_4 Depth=1
	s_or_b64 exec, exec, s[28:29]
	s_andn2_b64 s[20:21], s[20:21], exec
	s_and_b64 s[28:29], s[30:31], exec
	s_or_b64 s[20:21], s[20:21], s[28:29]
	v_mov_b32_e32 v7, v2
	s_or_b64 exec, exec, s[26:27]
	s_and_saveexec_b64 s[26:27], s[20:21]
	s_cbranch_execz .LBB58_3
.LBB58_11:                              ;   in Loop: Header=BB58_4 Depth=1
	s_load_dword s20, s[22:23], 0xc
	s_waitcnt lgkmcnt(0)
	s_and_b32 s20, s20, 0xffff
	v_mul_lo_u32 v7, v7, s20
	v_lshl_add_u32 v7, v7, 2, v9
	s_waitcnt vmcnt(0)
	ds_write_b32 v7, v3
	s_branch .LBB58_3
.LBB58_12:
	s_mov_b64 s[4:5], s[26:27]
	s_branch .LBB58_14
.LBB58_13:
	s_mov_b64 s[16:17], src_shared_base
	s_load_dword s16, s[22:23], 0xc
	s_mov_b32 s25, s17
	s_mov_b32 s21, 0
	s_waitcnt lgkmcnt(0)
	s_and_b32 s20, s16, 0xffff
	s_mov_b64 s[16:17], s[24:25]
.LBB58_14:
	s_mul_i32 s3, s3, s2
	v_add_u32_e32 v0, s3, v8
	v_mov_b32_e32 v1, 0
	v_cmp_gt_i64_e32 vcc, s[10:11], v[0:1]
	s_and_saveexec_b64 s[2:3], vcc
	s_cbranch_execz .LBB58_26
; %bb.15:
	s_waitcnt vmcnt(0)
	v_mov_b32_e32 v3, v1
	v_cmp_gt_i64_e32 vcc, s[8:9], v[2:3]
	s_and_b64 exec, exec, vcc
	s_cbranch_execz .LBB58_26
; %bb.16:
	v_mad_u64_u32 v[4:5], s[10:11], s18, v0, 0
	s_lshl_b64 s[2:3], s[14:15], 2
	v_mov_b32_e32 v6, v5
	s_waitcnt lgkmcnt(0)
	s_add_u32 s2, s12, s2
	v_mad_u64_u32 v[0:1], s[10:11], s19, v0, v[6:7]
	s_addc_u32 s3, s13, s3
	v_mov_b32_e32 v5, v0
	v_lshl_add_u64 v[0:1], v[4:5], 2, s[2:3]
	v_lshlrev_b32_e32 v4, 2, v2
	v_mov_b32_e32 v5, 0
	v_lshl_add_u64 v[0:1], v[0:1], 0, v[4:5]
	flat_load_dword v4, v[0:1]
	s_load_dword s10, s[0:1], 0x18
	v_cmp_lt_u64_e64 s[2:3], s[8:9], 2
	s_add_u32 s0, s8, -1
	s_addc_u32 s1, s9, -1
	s_and_b64 vcc, exec, s[2:3]
	s_waitcnt vmcnt(0) lgkmcnt(0)
	v_mul_f32_e32 v9, s10, v4
	s_cbranch_vccnz .LBB58_23
; %bb.17:
	s_add_u32 s2, s20, s4
	v_mad_u64_u32 v[4:5], s[2:3], s2, v2, 0
	s_addc_u32 s8, s21, s5
	v_mov_b32_e32 v6, v5
	v_mad_u64_u32 v[6:7], s[2:3], s8, v2, v[6:7]
	v_mov_b32_e32 v5, v6
	v_mad_u64_u32 v[6:7], s[8:9], s4, v2, 0
	;; [unrolled: 2-line block ×3, first 2 shown]
	v_mov_b32_e32 v7, v10
	v_lshl_add_u64 v[4:5], v[4:5], 2, s[16:17]
	s_mov_b32 s3, 0
	v_lshl_add_u32 v8, v8, 2, 0
	v_lshl_add_u64 v[6:7], v[6:7], 2, s[16:17]
	s_lshl_b32 s2, s20, 2
	s_mov_b64 s[8:9], 0
	s_branch .LBB58_19
.LBB58_18:                              ;   in Loop: Header=BB58_19 Depth=1
	s_or_b64 exec, exec, s[10:11]
	s_add_u32 s8, s8, 1
	s_addc_u32 s9, s9, 0
	s_cmp_eq_u64 s[0:1], s[8:9]
	v_lshl_add_u64 v[6:7], v[6:7], 0, s[2:3]
	s_cbranch_scc1 .LBB58_23
.LBB58_19:                              ; =>This Inner Loop Header: Depth=1
	v_cmp_eq_u64_e32 vcc, s[8:9], v[2:3]
	s_barrier
	s_and_saveexec_b64 s[10:11], vcc
	s_cbranch_execz .LBB58_21
; %bb.20:                               ;   in Loop: Header=BB58_19 Depth=1
	flat_load_dword v10, v[4:5]
	s_waitcnt vmcnt(0) lgkmcnt(0)
	v_div_scale_f32 v11, s[12:13], v10, v10, 1.0
	v_rcp_f32_e32 v12, v11
	v_div_scale_f32 v13, vcc, 1.0, v10, 1.0
	v_fma_f32 v14, -v11, v12, 1.0
	v_fmac_f32_e32 v12, v14, v12
	v_mul_f32_e32 v14, v13, v12
	v_fma_f32 v15, -v11, v14, v13
	v_fmac_f32_e32 v14, v15, v12
	v_fma_f32 v11, -v11, v14, v13
	v_div_fmas_f32 v11, v11, v12, v14
	v_div_fixup_f32 v11, v11, v10, 1.0
	v_cndmask_b32_e64 v10, v11, v10, s[6:7]
	v_mul_f32_e32 v9, v9, v10
	ds_write_b32 v8, v9
.LBB58_21:                              ;   in Loop: Header=BB58_19 Depth=1
	s_or_b64 exec, exec, s[10:11]
	v_cmp_lt_u64_e32 vcc, s[8:9], v[2:3]
	s_waitcnt lgkmcnt(0)
	s_barrier
	s_and_saveexec_b64 s[10:11], vcc
	s_cbranch_execz .LBB58_18
; %bb.22:                               ;   in Loop: Header=BB58_19 Depth=1
	flat_load_dword v10, v[6:7]
	ds_read_b32 v11, v8
	s_waitcnt vmcnt(0) lgkmcnt(0)
	v_fma_f32 v9, -v10, v11, v9
	s_branch .LBB58_18
.LBB58_23:
	v_cmp_eq_u64_e32 vcc, s[0:1], v[2:3]
	s_and_saveexec_b64 s[0:1], vcc
	s_cbranch_execz .LBB58_25
; %bb.24:
	s_add_u32 s2, s20, s4
	v_mad_u64_u32 v[4:5], s[2:3], s2, v2, 0
	s_addc_u32 s4, s21, s5
	v_mov_b32_e32 v6, v5
	v_mad_u64_u32 v[2:3], s[2:3], s4, v2, v[6:7]
	v_mov_b32_e32 v5, v2
	v_lshl_add_u64 v[2:3], v[4:5], 2, s[16:17]
	flat_load_dword v2, v[2:3]
	s_waitcnt vmcnt(0) lgkmcnt(0)
	v_div_scale_f32 v3, s[2:3], v2, v2, 1.0
	v_rcp_f32_e32 v4, v3
	v_div_scale_f32 v5, vcc, 1.0, v2, 1.0
	v_fma_f32 v6, -v3, v4, 1.0
	v_fmac_f32_e32 v4, v6, v4
	v_mul_f32_e32 v6, v5, v4
	v_fma_f32 v7, -v3, v6, v5
	v_fmac_f32_e32 v6, v7, v4
	v_fma_f32 v3, -v3, v6, v5
	v_div_fmas_f32 v3, v3, v4, v6
	v_div_fixup_f32 v3, v3, v2, 1.0
	v_cndmask_b32_e64 v2, v3, v2, s[6:7]
	v_mul_f32_e32 v9, v9, v2
.LBB58_25:
	s_or_b64 exec, exec, s[0:1]
	flat_store_dword v[0:1], v9
.LBB58_26:
	s_endpgm
	.section	.rodata,"a",@progbits
	.p2align	6, 0x0
	.amdhsa_kernel _ZL39rocblas_trsm_block_forward_substitutionIffPKPKfPKPfLb1ELb0ELb0EEv18rocblas_operation_llT0_T1_lllT2_lllib
		.amdhsa_group_segment_fixed_size 0
		.amdhsa_private_segment_fixed_size 0
		.amdhsa_kernarg_size 360
		.amdhsa_user_sgpr_count 2
		.amdhsa_user_sgpr_dispatch_ptr 0
		.amdhsa_user_sgpr_queue_ptr 0
		.amdhsa_user_sgpr_kernarg_segment_ptr 1
		.amdhsa_user_sgpr_dispatch_id 0
		.amdhsa_user_sgpr_kernarg_preload_length 0
		.amdhsa_user_sgpr_kernarg_preload_offset 0
		.amdhsa_user_sgpr_private_segment_size 0
		.amdhsa_uses_dynamic_stack 0
		.amdhsa_enable_private_segment 0
		.amdhsa_system_sgpr_workgroup_id_x 1
		.amdhsa_system_sgpr_workgroup_id_y 1
		.amdhsa_system_sgpr_workgroup_id_z 1
		.amdhsa_system_sgpr_workgroup_info 0
		.amdhsa_system_vgpr_workitem_id 1
		.amdhsa_next_free_vgpr 16
		.amdhsa_next_free_sgpr 36
		.amdhsa_accum_offset 16
		.amdhsa_reserve_vcc 1
		.amdhsa_float_round_mode_32 0
		.amdhsa_float_round_mode_16_64 0
		.amdhsa_float_denorm_mode_32 3
		.amdhsa_float_denorm_mode_16_64 3
		.amdhsa_dx10_clamp 1
		.amdhsa_ieee_mode 1
		.amdhsa_fp16_overflow 0
		.amdhsa_tg_split 0
		.amdhsa_exception_fp_ieee_invalid_op 0
		.amdhsa_exception_fp_denorm_src 0
		.amdhsa_exception_fp_ieee_div_zero 0
		.amdhsa_exception_fp_ieee_overflow 0
		.amdhsa_exception_fp_ieee_underflow 0
		.amdhsa_exception_fp_ieee_inexact 0
		.amdhsa_exception_int_div_zero 0
	.end_amdhsa_kernel
	.section	.text._ZL39rocblas_trsm_block_forward_substitutionIffPKPKfPKPfLb1ELb0ELb0EEv18rocblas_operation_llT0_T1_lllT2_lllib,"axG",@progbits,_ZL39rocblas_trsm_block_forward_substitutionIffPKPKfPKPfLb1ELb0ELb0EEv18rocblas_operation_llT0_T1_lllT2_lllib,comdat
.Lfunc_end58:
	.size	_ZL39rocblas_trsm_block_forward_substitutionIffPKPKfPKPfLb1ELb0ELb0EEv18rocblas_operation_llT0_T1_lllT2_lllib, .Lfunc_end58-_ZL39rocblas_trsm_block_forward_substitutionIffPKPKfPKPfLb1ELb0ELb0EEv18rocblas_operation_llT0_T1_lllT2_lllib
                                        ; -- End function
	.set _ZL39rocblas_trsm_block_forward_substitutionIffPKPKfPKPfLb1ELb0ELb0EEv18rocblas_operation_llT0_T1_lllT2_lllib.num_vgpr, 16
	.set _ZL39rocblas_trsm_block_forward_substitutionIffPKPKfPKPfLb1ELb0ELb0EEv18rocblas_operation_llT0_T1_lllT2_lllib.num_agpr, 0
	.set _ZL39rocblas_trsm_block_forward_substitutionIffPKPKfPKPfLb1ELb0ELb0EEv18rocblas_operation_llT0_T1_lllT2_lllib.numbered_sgpr, 36
	.set _ZL39rocblas_trsm_block_forward_substitutionIffPKPKfPKPfLb1ELb0ELb0EEv18rocblas_operation_llT0_T1_lllT2_lllib.num_named_barrier, 0
	.set _ZL39rocblas_trsm_block_forward_substitutionIffPKPKfPKPfLb1ELb0ELb0EEv18rocblas_operation_llT0_T1_lllT2_lllib.private_seg_size, 0
	.set _ZL39rocblas_trsm_block_forward_substitutionIffPKPKfPKPfLb1ELb0ELb0EEv18rocblas_operation_llT0_T1_lllT2_lllib.uses_vcc, 1
	.set _ZL39rocblas_trsm_block_forward_substitutionIffPKPKfPKPfLb1ELb0ELb0EEv18rocblas_operation_llT0_T1_lllT2_lllib.uses_flat_scratch, 0
	.set _ZL39rocblas_trsm_block_forward_substitutionIffPKPKfPKPfLb1ELb0ELb0EEv18rocblas_operation_llT0_T1_lllT2_lllib.has_dyn_sized_stack, 0
	.set _ZL39rocblas_trsm_block_forward_substitutionIffPKPKfPKPfLb1ELb0ELb0EEv18rocblas_operation_llT0_T1_lllT2_lllib.has_recursion, 0
	.set _ZL39rocblas_trsm_block_forward_substitutionIffPKPKfPKPfLb1ELb0ELb0EEv18rocblas_operation_llT0_T1_lllT2_lllib.has_indirect_call, 0
	.section	.AMDGPU.csdata,"",@progbits
; Kernel info:
; codeLenInByte = 1264
; TotalNumSgprs: 42
; NumVgprs: 16
; NumAgprs: 0
; TotalNumVgprs: 16
; ScratchSize: 0
; MemoryBound: 0
; FloatMode: 240
; IeeeMode: 1
; LDSByteSize: 0 bytes/workgroup (compile time only)
; SGPRBlocks: 5
; VGPRBlocks: 1
; NumSGPRsForWavesPerEU: 42
; NumVGPRsForWavesPerEU: 16
; AccumOffset: 16
; Occupancy: 8
; WaveLimiterHint : 1
; COMPUTE_PGM_RSRC2:SCRATCH_EN: 0
; COMPUTE_PGM_RSRC2:USER_SGPR: 2
; COMPUTE_PGM_RSRC2:TRAP_HANDLER: 0
; COMPUTE_PGM_RSRC2:TGID_X_EN: 1
; COMPUTE_PGM_RSRC2:TGID_Y_EN: 1
; COMPUTE_PGM_RSRC2:TGID_Z_EN: 1
; COMPUTE_PGM_RSRC2:TIDIG_COMP_CNT: 1
; COMPUTE_PGM_RSRC3_GFX90A:ACCUM_OFFSET: 3
; COMPUTE_PGM_RSRC3_GFX90A:TG_SPLIT: 0
	.section	.text._ZL40rocblas_trsm_block_backward_substitutionIffPKPKfPKPfLb1ELb0ELb0EEv18rocblas_operation_llT0_T1_lllT2_lllib,"axG",@progbits,_ZL40rocblas_trsm_block_backward_substitutionIffPKPKfPKPfLb1ELb0ELb0EEv18rocblas_operation_llT0_T1_lllT2_lllib,comdat
	.globl	_ZL40rocblas_trsm_block_backward_substitutionIffPKPKfPKPfLb1ELb0ELb0EEv18rocblas_operation_llT0_T1_lllT2_lllib ; -- Begin function _ZL40rocblas_trsm_block_backward_substitutionIffPKPKfPKPfLb1ELb0ELb0EEv18rocblas_operation_llT0_T1_lllT2_lllib
	.p2align	8
	.type	_ZL40rocblas_trsm_block_backward_substitutionIffPKPKfPKPfLb1ELb0ELb0EEv18rocblas_operation_llT0_T1_lllT2_lllib,@function
_ZL40rocblas_trsm_block_backward_substitutionIffPKPKfPKPfLb1ELb0ELb0EEv18rocblas_operation_llT0_T1_lllT2_lllib: ; @_ZL40rocblas_trsm_block_backward_substitutionIffPKPKfPKPfLb1ELb0ELb0EEv18rocblas_operation_llT0_T1_lllT2_lllib
; %bb.0:
	s_load_dword s26, s[0:1], 0x64
	s_load_dwordx4 s[12:15], s[0:1], 0x8
	s_load_dwordx4 s[20:23], s[0:1], 0x20
	s_load_dword s2, s[0:1], 0x74
	s_mov_b32 s5, 0
	s_waitcnt lgkmcnt(0)
	s_bitcmp1_b32 s26, 0
	s_cselect_b64 s[6:7], -1, 0
	s_lshl_b64 s[4:5], s[4:5], 3
	s_add_u32 s20, s20, s4
	s_addc_u32 s21, s21, s5
	s_load_dwordx2 s[24:25], s[20:21], 0x0
	s_load_dwordx2 s[16:17], s[0:1], 0x30
	s_load_dwordx4 s[8:11], s[0:1], 0x40
	s_load_dwordx2 s[18:19], s[0:1], 0x50
	s_lshl_b64 s[20:21], s[22:23], 2
	s_waitcnt lgkmcnt(0)
	s_add_u32 s22, s24, s20
	s_addc_u32 s23, s25, s21
	s_add_u32 s4, s8, s4
	s_addc_u32 s5, s9, s5
	s_load_dwordx2 s[20:21], s[4:5], 0x0
	s_add_u32 s24, s0, 0x68
	s_addc_u32 s25, s1, 0
	s_lshr_b32 s2, s2, 16
	v_and_b32_e32 v2, 0x3ff, v0
	s_bitcmp0_b32 s26, 0
	v_bfe_u32 v8, v0, 10, 10
	s_cbranch_scc1 .LBB59_15
; %bb.1:
	s_lshl_b32 s4, s2, 2
	s_add_i32 s26, s4, 0
	v_cmp_lt_i64_e64 s[4:5], s[12:13], 1
	s_and_b64 vcc, exec, s[4:5]
	s_cbranch_vccnz .LBB59_14
; %bb.2:
	v_mad_u64_u32 v[4:5], s[8:9], s16, v2, 0
	v_mov_b32_e32 v3, 0
	v_mov_b32_e32 v6, v5
	v_lshlrev_b32_e32 v0, 2, v2
	v_mov_b32_e32 v1, v3
	v_mad_u64_u32 v[6:7], s[8:9], s17, v2, v[6:7]
	v_add_u32_e32 v9, s26, v0
	v_cmp_le_u64_e64 s[28:29], s[12:13], v[2:3]
	v_lshl_add_u64 v[0:1], s[22:23], 0, v[0:1]
	v_mov_b32_e32 v5, v6
	v_cmp_gt_u64_e64 s[4:5], s[12:13], v[2:3]
	v_lshl_add_u64 v[4:5], v[4:5], 2, v[0:1]
	s_xor_b64 s[22:23], s[28:29], -1
	s_mov_b32 s27, s2
	v_mov_b32_e32 v6, v8
	s_branch .LBB59_4
.LBB59_3:                               ;   in Loop: Header=BB59_4 Depth=1
	s_or_b64 exec, exec, s[30:31]
	s_ashr_i32 s8, s27, 31
	v_mov_b32_e32 v10, s27
	v_mov_b32_e32 v11, s8
	v_cmp_le_i64_e32 vcc, s[12:13], v[10:11]
	v_add_u32_e32 v6, s2, v6
	s_add_i32 s27, s27, s2
	s_cbranch_vccnz .LBB59_14
.LBB59_4:                               ; =>This Inner Loop Header: Depth=1
	s_mov_b64 s[8:9], 0
	s_mov_b64 s[34:35], s[28:29]
                                        ; implicit-def: $vgpr3
	s_and_saveexec_b64 s[30:31], s[4:5]
	s_cbranch_execnz .LBB59_7
; %bb.5:                                ;   in Loop: Header=BB59_4 Depth=1
	s_or_b64 exec, exec, s[30:31]
	v_mov_b32_e32 v7, v6
	s_and_saveexec_b64 s[30:31], s[34:35]
	s_cbranch_execnz .LBB59_10
.LBB59_6:                               ;   in Loop: Header=BB59_4 Depth=1
	s_or_b64 exec, exec, s[30:31]
	s_and_saveexec_b64 s[30:31], s[8:9]
	s_cbranch_execz .LBB59_3
	s_branch .LBB59_13
.LBB59_7:                               ;   in Loop: Header=BB59_4 Depth=1
	v_ashrrev_i32_e32 v7, 31, v6
	v_cmp_gt_i64_e32 vcc, s[12:13], v[6:7]
	v_cmp_lt_i32_e64 s[8:9], v2, v6
	s_and_b64 s[38:39], s[8:9], vcc
	s_mov_b64 s[34:35], -1
	s_mov_b64 s[8:9], 0
                                        ; implicit-def: $vgpr3
	s_and_saveexec_b64 s[36:37], s[38:39]
	s_cbranch_execz .LBB59_9
; %bb.8:                                ;   in Loop: Header=BB59_4 Depth=1
	s_waitcnt vmcnt(0) lgkmcnt(0)
	v_mul_lo_u32 v3, s17, v6
	v_mul_lo_u32 v7, s16, v7
	v_mad_u64_u32 v[10:11], s[34:35], s16, v6, 0
	v_add3_u32 v11, v11, v7, v3
	v_lshl_add_u64 v[10:11], v[10:11], 2, v[0:1]
	flat_load_dword v3, v[10:11]
	s_mov_b64 s[8:9], exec
	s_xor_b64 s[34:35], exec, -1
.LBB59_9:                               ;   in Loop: Header=BB59_4 Depth=1
	s_or_b64 exec, exec, s[36:37]
	s_andn2_b64 s[36:37], s[28:29], exec
	s_and_b64 s[34:35], s[34:35], exec
	s_and_b64 s[8:9], s[8:9], exec
	s_or_b64 s[34:35], s[36:37], s[34:35]
	s_or_b64 exec, exec, s[30:31]
	v_mov_b32_e32 v7, v6
	s_and_saveexec_b64 s[30:31], s[34:35]
	s_cbranch_execz .LBB59_6
.LBB59_10:                              ;   in Loop: Header=BB59_4 Depth=1
	v_cmp_eq_u32_e32 vcc, v2, v6
	s_and_b64 s[38:39], s[22:23], vcc
	s_mov_b64 s[36:37], s[8:9]
                                        ; implicit-def: $vgpr3
	s_and_saveexec_b64 s[34:35], s[38:39]
	s_cbranch_execz .LBB59_12
; %bb.11:                               ;   in Loop: Header=BB59_4 Depth=1
	s_waitcnt vmcnt(0) lgkmcnt(0)
	flat_load_dword v3, v[4:5]
	s_waitcnt vmcnt(0) lgkmcnt(0)
	v_div_scale_f32 v7, s[36:37], v3, v3, 1.0
	v_rcp_f32_e32 v10, v7
	v_div_scale_f32 v11, vcc, 1.0, v3, 1.0
	s_or_b64 s[36:37], s[8:9], exec
	v_fma_f32 v12, -v7, v10, 1.0
	v_fmac_f32_e32 v10, v12, v10
	v_mul_f32_e32 v12, v11, v10
	v_fma_f32 v13, -v7, v12, v11
	v_fmac_f32_e32 v12, v13, v10
	v_fma_f32 v7, -v7, v12, v11
	v_div_fmas_f32 v7, v7, v10, v12
	v_div_fixup_f32 v3, v7, v3, 1.0
.LBB59_12:                              ;   in Loop: Header=BB59_4 Depth=1
	s_or_b64 exec, exec, s[34:35]
	s_andn2_b64 s[8:9], s[8:9], exec
	s_and_b64 s[34:35], s[36:37], exec
	s_or_b64 s[8:9], s[8:9], s[34:35]
	v_mov_b32_e32 v7, v2
	s_or_b64 exec, exec, s[30:31]
	s_and_saveexec_b64 s[30:31], s[8:9]
	s_cbranch_execz .LBB59_3
.LBB59_13:                              ;   in Loop: Header=BB59_4 Depth=1
	s_load_dword s8, s[24:25], 0xc
	s_waitcnt lgkmcnt(0)
	s_and_b32 s8, s8, 0xffff
	v_mul_lo_u32 v7, v7, s8
	v_lshl_add_u32 v7, v7, 2, v9
	s_waitcnt vmcnt(0)
	ds_write_b32 v7, v3
	s_branch .LBB59_3
.LBB59_14:
	s_mov_b64 s[4:5], src_shared_base
	s_load_dword s4, s[24:25], 0xc
	s_mov_b32 s27, s5
	s_mov_b32 s17, 0
	s_mov_b64 s[22:23], s[26:27]
	s_waitcnt lgkmcnt(0)
	s_and_b32 s16, s4, 0xffff
.LBB59_15:
	s_mul_i32 s3, s3, s2
	v_add_u32_e32 v0, s3, v8
	v_mov_b32_e32 v1, 0
	v_cmp_gt_i64_e32 vcc, s[14:15], v[0:1]
	s_and_saveexec_b64 s[2:3], vcc
	s_cbranch_execz .LBB59_28
; %bb.16:
	s_waitcnt vmcnt(0)
	v_mov_b32_e32 v3, v1
	v_cmp_gt_i64_e32 vcc, s[12:13], v[2:3]
	s_and_b64 exec, exec, vcc
	s_cbranch_execz .LBB59_28
; %bb.17:
	v_mad_u64_u32 v[4:5], s[4:5], s18, v2, 0
	s_lshl_b64 s[2:3], s[10:11], 2
	v_mov_b32_e32 v6, v5
	s_waitcnt lgkmcnt(0)
	s_add_u32 s2, s20, s2
	v_mad_u64_u32 v[6:7], s[4:5], s19, v2, v[6:7]
	s_addc_u32 s3, s21, s3
	v_mov_b32_e32 v5, v6
	v_lshl_add_u64 v[4:5], v[4:5], 2, s[2:3]
	v_lshl_add_u64 v[0:1], v[0:1], 2, v[4:5]
	flat_load_dword v4, v[0:1]
	s_load_dword s2, s[0:1], 0x18
	v_cmp_lt_u64_e64 s[0:1], s[12:13], 2
	s_and_b64 vcc, exec, s[0:1]
	s_waitcnt vmcnt(0) lgkmcnt(0)
	v_mul_f32_e32 v9, s2, v4
	s_cbranch_vccnz .LBB59_25
; %bb.18:
	v_mad_u64_u32 v[4:5], s[0:1], v2, s16, v[2:3]
	v_mov_b32_e32 v6, v5
	v_mad_u64_u32 v[6:7], s[0:1], v2, s17, v[6:7]
	s_add_u32 s0, s12, -1
	s_addc_u32 s1, s13, -1
	s_mul_i32 s2, s16, s1
	s_mul_hi_u32 s3, s16, s0
	s_add_i32 s2, s3, s2
	s_mul_i32 s3, s17, s0
	s_add_i32 s3, s2, s3
	s_mul_i32 s2, s16, s0
	s_lshl_b64 s[2:3], s[2:3], 2
	s_add_u32 s2, s22, s2
	v_mov_b32_e32 v5, v6
	v_lshlrev_b32_e32 v6, 2, v2
	v_mov_b32_e32 v7, 0
	s_addc_u32 s3, s23, s3
	v_lshl_add_u64 v[6:7], s[2:3], 0, v[6:7]
	s_lshl_b64 s[2:3], s[16:17], 2
	s_sub_u32 s2, 0, s2
	v_lshl_add_u64 v[4:5], v[4:5], 2, s[22:23]
	v_lshl_add_u32 v8, v8, 2, 0
	s_subb_u32 s3, 0, s3
.LBB59_19:                              ; =>This Inner Loop Header: Depth=1
	v_cmp_eq_u64_e32 vcc, s[0:1], v[2:3]
	s_barrier
	s_and_saveexec_b64 s[4:5], vcc
	s_cbranch_execz .LBB59_21
; %bb.20:                               ;   in Loop: Header=BB59_19 Depth=1
	flat_load_dword v10, v[4:5]
	s_waitcnt vmcnt(0) lgkmcnt(0)
	v_div_scale_f32 v11, s[8:9], v10, v10, 1.0
	v_rcp_f32_e32 v12, v11
	v_div_scale_f32 v13, vcc, 1.0, v10, 1.0
	v_fma_f32 v14, -v11, v12, 1.0
	v_fmac_f32_e32 v12, v14, v12
	v_mul_f32_e32 v14, v13, v12
	v_fma_f32 v15, -v11, v14, v13
	v_fmac_f32_e32 v14, v15, v12
	v_fma_f32 v11, -v11, v14, v13
	v_div_fmas_f32 v11, v11, v12, v14
	v_div_fixup_f32 v11, v11, v10, 1.0
	v_cndmask_b32_e64 v10, v11, v10, s[6:7]
	v_mul_f32_e32 v9, v9, v10
	ds_write_b32 v8, v9
.LBB59_21:                              ;   in Loop: Header=BB59_19 Depth=1
	s_or_b64 exec, exec, s[4:5]
	v_cmp_gt_i64_e32 vcc, s[0:1], v[2:3]
	s_waitcnt lgkmcnt(0)
	s_barrier
	s_and_saveexec_b64 s[4:5], vcc
	s_cbranch_execz .LBB59_23
; %bb.22:                               ;   in Loop: Header=BB59_19 Depth=1
	flat_load_dword v10, v[6:7]
	ds_read_b32 v11, v8
	s_waitcnt vmcnt(0) lgkmcnt(0)
	v_fma_f32 v9, -v10, v11, v9
.LBB59_23:                              ;   in Loop: Header=BB59_19 Depth=1
	s_or_b64 exec, exec, s[4:5]
	s_add_u32 s4, s0, -1
	s_addc_u32 s5, s1, -1
	s_add_u32 s0, s0, 1
	s_addc_u32 s1, s1, 0
	v_cmp_lt_u64_e64 s[0:1], s[0:1], 3
	v_lshl_add_u64 v[6:7], v[6:7], 0, s[2:3]
	s_and_b64 vcc, exec, s[0:1]
	s_cbranch_vccnz .LBB59_25
; %bb.24:                               ;   in Loop: Header=BB59_19 Depth=1
	s_mov_b64 s[0:1], s[4:5]
	s_branch .LBB59_19
.LBB59_25:
	v_cmp_eq_u32_e32 vcc, 0, v2
	s_and_saveexec_b64 s[0:1], vcc
	s_cbranch_execz .LBB59_27
; %bb.26:
	v_mad_u64_u32 v[4:5], s[2:3], v2, s16, v[2:3]
	v_mov_b32_e32 v6, v5
	v_mad_u64_u32 v[2:3], s[2:3], v2, s17, v[6:7]
	v_mov_b32_e32 v5, v2
	v_lshl_add_u64 v[2:3], v[4:5], 2, s[22:23]
	flat_load_dword v2, v[2:3]
	s_waitcnt vmcnt(0) lgkmcnt(0)
	v_div_scale_f32 v3, s[2:3], v2, v2, 1.0
	v_rcp_f32_e32 v4, v3
	v_div_scale_f32 v5, vcc, 1.0, v2, 1.0
	v_fma_f32 v6, -v3, v4, 1.0
	v_fmac_f32_e32 v4, v6, v4
	v_mul_f32_e32 v6, v5, v4
	v_fma_f32 v7, -v3, v6, v5
	v_fmac_f32_e32 v6, v7, v4
	v_fma_f32 v3, -v3, v6, v5
	v_div_fmas_f32 v3, v3, v4, v6
	v_div_fixup_f32 v3, v3, v2, 1.0
	v_cndmask_b32_e64 v2, v3, v2, s[6:7]
	v_mul_f32_e32 v9, v9, v2
.LBB59_27:
	s_or_b64 exec, exec, s[0:1]
	flat_store_dword v[0:1], v9
.LBB59_28:
	s_endpgm
	.section	.rodata,"a",@progbits
	.p2align	6, 0x0
	.amdhsa_kernel _ZL40rocblas_trsm_block_backward_substitutionIffPKPKfPKPfLb1ELb0ELb0EEv18rocblas_operation_llT0_T1_lllT2_lllib
		.amdhsa_group_segment_fixed_size 0
		.amdhsa_private_segment_fixed_size 0
		.amdhsa_kernarg_size 360
		.amdhsa_user_sgpr_count 2
		.amdhsa_user_sgpr_dispatch_ptr 0
		.amdhsa_user_sgpr_queue_ptr 0
		.amdhsa_user_sgpr_kernarg_segment_ptr 1
		.amdhsa_user_sgpr_dispatch_id 0
		.amdhsa_user_sgpr_kernarg_preload_length 0
		.amdhsa_user_sgpr_kernarg_preload_offset 0
		.amdhsa_user_sgpr_private_segment_size 0
		.amdhsa_uses_dynamic_stack 0
		.amdhsa_enable_private_segment 0
		.amdhsa_system_sgpr_workgroup_id_x 1
		.amdhsa_system_sgpr_workgroup_id_y 1
		.amdhsa_system_sgpr_workgroup_id_z 1
		.amdhsa_system_sgpr_workgroup_info 0
		.amdhsa_system_vgpr_workitem_id 1
		.amdhsa_next_free_vgpr 16
		.amdhsa_next_free_sgpr 40
		.amdhsa_accum_offset 16
		.amdhsa_reserve_vcc 1
		.amdhsa_float_round_mode_32 0
		.amdhsa_float_round_mode_16_64 0
		.amdhsa_float_denorm_mode_32 3
		.amdhsa_float_denorm_mode_16_64 3
		.amdhsa_dx10_clamp 1
		.amdhsa_ieee_mode 1
		.amdhsa_fp16_overflow 0
		.amdhsa_tg_split 0
		.amdhsa_exception_fp_ieee_invalid_op 0
		.amdhsa_exception_fp_denorm_src 0
		.amdhsa_exception_fp_ieee_div_zero 0
		.amdhsa_exception_fp_ieee_overflow 0
		.amdhsa_exception_fp_ieee_underflow 0
		.amdhsa_exception_fp_ieee_inexact 0
		.amdhsa_exception_int_div_zero 0
	.end_amdhsa_kernel
	.section	.text._ZL40rocblas_trsm_block_backward_substitutionIffPKPKfPKPfLb1ELb0ELb0EEv18rocblas_operation_llT0_T1_lllT2_lllib,"axG",@progbits,_ZL40rocblas_trsm_block_backward_substitutionIffPKPKfPKPfLb1ELb0ELb0EEv18rocblas_operation_llT0_T1_lllT2_lllib,comdat
.Lfunc_end59:
	.size	_ZL40rocblas_trsm_block_backward_substitutionIffPKPKfPKPfLb1ELb0ELb0EEv18rocblas_operation_llT0_T1_lllT2_lllib, .Lfunc_end59-_ZL40rocblas_trsm_block_backward_substitutionIffPKPKfPKPfLb1ELb0ELb0EEv18rocblas_operation_llT0_T1_lllT2_lllib
                                        ; -- End function
	.set _ZL40rocblas_trsm_block_backward_substitutionIffPKPKfPKPfLb1ELb0ELb0EEv18rocblas_operation_llT0_T1_lllT2_lllib.num_vgpr, 16
	.set _ZL40rocblas_trsm_block_backward_substitutionIffPKPKfPKPfLb1ELb0ELb0EEv18rocblas_operation_llT0_T1_lllT2_lllib.num_agpr, 0
	.set _ZL40rocblas_trsm_block_backward_substitutionIffPKPKfPKPfLb1ELb0ELb0EEv18rocblas_operation_llT0_T1_lllT2_lllib.numbered_sgpr, 40
	.set _ZL40rocblas_trsm_block_backward_substitutionIffPKPKfPKPfLb1ELb0ELb0EEv18rocblas_operation_llT0_T1_lllT2_lllib.num_named_barrier, 0
	.set _ZL40rocblas_trsm_block_backward_substitutionIffPKPKfPKPfLb1ELb0ELb0EEv18rocblas_operation_llT0_T1_lllT2_lllib.private_seg_size, 0
	.set _ZL40rocblas_trsm_block_backward_substitutionIffPKPKfPKPfLb1ELb0ELb0EEv18rocblas_operation_llT0_T1_lllT2_lllib.uses_vcc, 1
	.set _ZL40rocblas_trsm_block_backward_substitutionIffPKPKfPKPfLb1ELb0ELb0EEv18rocblas_operation_llT0_T1_lllT2_lllib.uses_flat_scratch, 0
	.set _ZL40rocblas_trsm_block_backward_substitutionIffPKPKfPKPfLb1ELb0ELb0EEv18rocblas_operation_llT0_T1_lllT2_lllib.has_dyn_sized_stack, 0
	.set _ZL40rocblas_trsm_block_backward_substitutionIffPKPKfPKPfLb1ELb0ELb0EEv18rocblas_operation_llT0_T1_lllT2_lllib.has_recursion, 0
	.set _ZL40rocblas_trsm_block_backward_substitutionIffPKPKfPKPfLb1ELb0ELb0EEv18rocblas_operation_llT0_T1_lllT2_lllib.has_indirect_call, 0
	.section	.AMDGPU.csdata,"",@progbits
; Kernel info:
; codeLenInByte = 1352
; TotalNumSgprs: 46
; NumVgprs: 16
; NumAgprs: 0
; TotalNumVgprs: 16
; ScratchSize: 0
; MemoryBound: 0
; FloatMode: 240
; IeeeMode: 1
; LDSByteSize: 0 bytes/workgroup (compile time only)
; SGPRBlocks: 5
; VGPRBlocks: 1
; NumSGPRsForWavesPerEU: 46
; NumVGPRsForWavesPerEU: 16
; AccumOffset: 16
; Occupancy: 8
; WaveLimiterHint : 1
; COMPUTE_PGM_RSRC2:SCRATCH_EN: 0
; COMPUTE_PGM_RSRC2:USER_SGPR: 2
; COMPUTE_PGM_RSRC2:TRAP_HANDLER: 0
; COMPUTE_PGM_RSRC2:TGID_X_EN: 1
; COMPUTE_PGM_RSRC2:TGID_Y_EN: 1
; COMPUTE_PGM_RSRC2:TGID_Z_EN: 1
; COMPUTE_PGM_RSRC2:TIDIG_COMP_CNT: 1
; COMPUTE_PGM_RSRC3_GFX90A:ACCUM_OFFSET: 3
; COMPUTE_PGM_RSRC3_GFX90A:TG_SPLIT: 0
	.section	.text._ZL39rocblas_trsm_block_forward_substitutionIffPKPKfPKPfLb1ELb0ELb1EEv18rocblas_operation_llT0_T1_lllT2_lllib,"axG",@progbits,_ZL39rocblas_trsm_block_forward_substitutionIffPKPKfPKPfLb1ELb0ELb1EEv18rocblas_operation_llT0_T1_lllT2_lllib,comdat
	.globl	_ZL39rocblas_trsm_block_forward_substitutionIffPKPKfPKPfLb1ELb0ELb1EEv18rocblas_operation_llT0_T1_lllT2_lllib ; -- Begin function _ZL39rocblas_trsm_block_forward_substitutionIffPKPKfPKPfLb1ELb0ELb1EEv18rocblas_operation_llT0_T1_lllT2_lllib
	.p2align	8
	.type	_ZL39rocblas_trsm_block_forward_substitutionIffPKPKfPKPfLb1ELb0ELb1EEv18rocblas_operation_llT0_T1_lllT2_lllib,@function
_ZL39rocblas_trsm_block_forward_substitutionIffPKPKfPKPfLb1ELb0ELb1EEv18rocblas_operation_llT0_T1_lllT2_lllib: ; @_ZL39rocblas_trsm_block_forward_substitutionIffPKPKfPKPfLb1ELb0ELb1EEv18rocblas_operation_llT0_T1_lllT2_lllib
; %bb.0:
	s_load_dwordx4 s[12:15], s[0:1], 0x20
	s_mov_b32 s5, 0
	s_lshl_b64 s[16:17], s[4:5], 3
	v_and_b32_e32 v2, 0x3ff, v0
	v_bfe_u32 v6, v0, 10, 10
	s_waitcnt lgkmcnt(0)
	s_add_u32 s12, s12, s16
	s_addc_u32 s13, s13, s17
	s_load_dwordx2 s[18:19], s[12:13], 0x0
	s_load_dwordx4 s[8:11], s[0:1], 0x8
	s_load_dwordx4 s[4:7], s[0:1], 0x40
	s_load_dwordx2 s[24:25], s[0:1], 0x30
	s_lshl_b64 s[12:13], s[14:15], 2
	s_waitcnt lgkmcnt(0)
	s_add_u32 s18, s18, s12
	s_addc_u32 s19, s19, s13
	s_add_u32 s4, s4, s16
	s_addc_u32 s5, s5, s17
	s_load_dwordx2 s[16:17], s[4:5], 0x0
	s_load_dwordx2 s[12:13], s[0:1], 0x50
	s_load_dword s14, s[0:1], 0x64
	s_load_dword s2, s[0:1], 0x74
	s_add_u32 s20, s0, 0x68
	s_addc_u32 s21, s1, 0
	s_mov_b64 s[4:5], 1
	s_waitcnt lgkmcnt(0)
	s_lshr_b32 s2, s2, 16
	s_bitcmp0_b32 s14, 0
	s_cbranch_scc1 .LBB60_6
; %bb.1:
	s_lshl_b32 s4, s2, 2
	s_add_i32 s22, s4, 0
	v_cmp_lt_i64_e64 s[4:5], s[8:9], 1
	s_mov_b64 s[14:15], 1
	s_and_b64 vcc, exec, s[4:5]
	s_cbranch_vccnz .LBB60_7
; %bb.2:
	v_mad_u64_u32 v[0:1], s[26:27], s24, v2, 0
	v_mov_b32_e32 v4, v1
	v_mad_u64_u32 v[4:5], s[24:25], s25, v2, v[4:5]
	v_mov_b32_e32 v3, 0
	v_mov_b32_e32 v1, v4
	v_lshl_add_u32 v7, v2, 2, s22
	v_cmp_gt_u64_e64 s[4:5], s[8:9], v[2:3]
	v_lshl_add_u64 v[0:1], v[0:1], 2, s[18:19]
	s_mov_b32 s23, 0
	s_branch .LBB60_4
.LBB60_3:                               ;   in Loop: Header=BB60_4 Depth=1
	s_or_b64 exec, exec, s[18:19]
	s_add_i32 s23, s23, s2
	s_ashr_i32 s18, s23, 31
	v_mov_b32_e32 v4, s23
	v_mov_b32_e32 v5, s18
	v_cmp_le_i64_e32 vcc, s[8:9], v[4:5]
	s_cbranch_vccnz .LBB60_7
.LBB60_4:                               ; =>This Inner Loop Header: Depth=1
	v_add_u32_e32 v4, s23, v6
	v_cmp_gt_i32_e32 vcc, v2, v4
	s_and_b64 s[24:25], s[4:5], vcc
	s_and_saveexec_b64 s[18:19], s[24:25]
	s_cbranch_execz .LBB60_3
; %bb.5:                                ;   in Loop: Header=BB60_4 Depth=1
	v_ashrrev_i32_e32 v5, 31, v4
	v_lshl_add_u64 v[8:9], v[4:5], 2, v[0:1]
	flat_load_dword v3, v[8:9]
	s_load_dword s24, s[20:21], 0xc
	s_waitcnt lgkmcnt(0)
	s_and_b32 s24, s24, 0xffff
	v_mul_lo_u32 v4, v4, s24
	v_lshl_add_u32 v4, v4, 2, v7
	s_waitcnt vmcnt(0)
	ds_write_b32 v4, v3
	s_branch .LBB60_3
.LBB60_6:
	s_mov_b64 s[14:15], s[24:25]
	s_branch .LBB60_8
.LBB60_7:
	s_mov_b64 s[4:5], src_shared_base
	s_load_dword s4, s[20:21], 0xc
	s_mov_b32 s23, s5
	s_mov_b64 s[18:19], s[22:23]
	s_waitcnt lgkmcnt(0)
	s_and_b32 s4, s4, 0xffff
.LBB60_8:
	s_mul_i32 s3, s3, s2
	v_add_u32_e32 v0, s3, v6
	v_mov_b32_e32 v1, 0
	v_cmp_gt_i64_e32 vcc, s[10:11], v[0:1]
	s_and_saveexec_b64 s[2:3], vcc
	s_cbranch_execz .LBB60_18
; %bb.9:
	v_mov_b32_e32 v3, v1
	v_cmp_gt_i64_e32 vcc, s[8:9], v[2:3]
	s_and_b64 exec, exec, vcc
	s_cbranch_execz .LBB60_18
; %bb.10:
	s_lshl_b64 s[2:3], s[6:7], 2
	v_mad_u64_u32 v[4:5], s[6:7], s12, v0, 0
	v_mov_b32_e32 v8, v5
	s_add_u32 s2, s16, s2
	v_mad_u64_u32 v[0:1], s[6:7], s13, v0, v[8:9]
	s_addc_u32 s3, s17, s3
	v_mov_b32_e32 v5, v0
	v_lshl_add_u64 v[0:1], v[4:5], 2, s[2:3]
	v_lshlrev_b32_e32 v4, 2, v2
	v_mov_b32_e32 v5, 0
	v_lshl_add_u64 v[0:1], v[0:1], 0, v[4:5]
	flat_load_dword v4, v[0:1]
	s_load_dword s2, s[0:1], 0x18
	v_cmp_lt_u64_e64 s[0:1], s[8:9], 2
	s_and_b64 vcc, exec, s[0:1]
	s_waitcnt vmcnt(0) lgkmcnt(0)
	v_mul_f32_e32 v7, s2, v4
	s_cbranch_vccnz .LBB60_17
; %bb.11:
	v_mad_u64_u32 v[4:5], s[2:3], s14, v2, 0
	v_mov_b32_e32 v8, v5
	v_mad_u64_u32 v[8:9], s[2:3], s15, v2, v[8:9]
	v_mov_b32_e32 v5, v8
	s_add_u32 s2, s8, -1
	s_mov_b32 s1, 0
	v_lshl_add_u32 v6, v6, 2, 0
	v_lshl_add_u64 v[4:5], v[4:5], 2, s[18:19]
	s_addc_u32 s3, s9, -1
	s_lshl_b32 s0, s4, 2
	s_mov_b64 s[4:5], 0
	s_branch .LBB60_13
.LBB60_12:                              ;   in Loop: Header=BB60_13 Depth=1
	s_or_b64 exec, exec, s[6:7]
	s_add_u32 s4, s4, 1
	s_addc_u32 s5, s5, 0
	s_cmp_eq_u64 s[2:3], s[4:5]
	v_lshl_add_u64 v[4:5], v[4:5], 0, s[0:1]
	s_cbranch_scc1 .LBB60_17
.LBB60_13:                              ; =>This Inner Loop Header: Depth=1
	v_cmp_eq_u64_e32 vcc, s[4:5], v[2:3]
	s_barrier
	s_and_saveexec_b64 s[6:7], vcc
; %bb.14:                               ;   in Loop: Header=BB60_13 Depth=1
	ds_write_b32 v6, v7
; %bb.15:                               ;   in Loop: Header=BB60_13 Depth=1
	s_or_b64 exec, exec, s[6:7]
	v_cmp_lt_u64_e32 vcc, s[4:5], v[2:3]
	s_waitcnt lgkmcnt(0)
	s_barrier
	s_and_saveexec_b64 s[6:7], vcc
	s_cbranch_execz .LBB60_12
; %bb.16:                               ;   in Loop: Header=BB60_13 Depth=1
	flat_load_dword v8, v[4:5]
	ds_read_b32 v9, v6
	s_waitcnt vmcnt(0) lgkmcnt(0)
	v_fma_f32 v7, -v8, v9, v7
	s_branch .LBB60_12
.LBB60_17:
	flat_store_dword v[0:1], v7
.LBB60_18:
	s_endpgm
	.section	.rodata,"a",@progbits
	.p2align	6, 0x0
	.amdhsa_kernel _ZL39rocblas_trsm_block_forward_substitutionIffPKPKfPKPfLb1ELb0ELb1EEv18rocblas_operation_llT0_T1_lllT2_lllib
		.amdhsa_group_segment_fixed_size 0
		.amdhsa_private_segment_fixed_size 0
		.amdhsa_kernarg_size 360
		.amdhsa_user_sgpr_count 2
		.amdhsa_user_sgpr_dispatch_ptr 0
		.amdhsa_user_sgpr_queue_ptr 0
		.amdhsa_user_sgpr_kernarg_segment_ptr 1
		.amdhsa_user_sgpr_dispatch_id 0
		.amdhsa_user_sgpr_kernarg_preload_length 0
		.amdhsa_user_sgpr_kernarg_preload_offset 0
		.amdhsa_user_sgpr_private_segment_size 0
		.amdhsa_uses_dynamic_stack 0
		.amdhsa_enable_private_segment 0
		.amdhsa_system_sgpr_workgroup_id_x 1
		.amdhsa_system_sgpr_workgroup_id_y 1
		.amdhsa_system_sgpr_workgroup_id_z 1
		.amdhsa_system_sgpr_workgroup_info 0
		.amdhsa_system_vgpr_workitem_id 1
		.amdhsa_next_free_vgpr 10
		.amdhsa_next_free_sgpr 28
		.amdhsa_accum_offset 12
		.amdhsa_reserve_vcc 1
		.amdhsa_float_round_mode_32 0
		.amdhsa_float_round_mode_16_64 0
		.amdhsa_float_denorm_mode_32 3
		.amdhsa_float_denorm_mode_16_64 3
		.amdhsa_dx10_clamp 1
		.amdhsa_ieee_mode 1
		.amdhsa_fp16_overflow 0
		.amdhsa_tg_split 0
		.amdhsa_exception_fp_ieee_invalid_op 0
		.amdhsa_exception_fp_denorm_src 0
		.amdhsa_exception_fp_ieee_div_zero 0
		.amdhsa_exception_fp_ieee_overflow 0
		.amdhsa_exception_fp_ieee_underflow 0
		.amdhsa_exception_fp_ieee_inexact 0
		.amdhsa_exception_int_div_zero 0
	.end_amdhsa_kernel
	.section	.text._ZL39rocblas_trsm_block_forward_substitutionIffPKPKfPKPfLb1ELb0ELb1EEv18rocblas_operation_llT0_T1_lllT2_lllib,"axG",@progbits,_ZL39rocblas_trsm_block_forward_substitutionIffPKPKfPKPfLb1ELb0ELb1EEv18rocblas_operation_llT0_T1_lllT2_lllib,comdat
.Lfunc_end60:
	.size	_ZL39rocblas_trsm_block_forward_substitutionIffPKPKfPKPfLb1ELb0ELb1EEv18rocblas_operation_llT0_T1_lllT2_lllib, .Lfunc_end60-_ZL39rocblas_trsm_block_forward_substitutionIffPKPKfPKPfLb1ELb0ELb1EEv18rocblas_operation_llT0_T1_lllT2_lllib
                                        ; -- End function
	.set _ZL39rocblas_trsm_block_forward_substitutionIffPKPKfPKPfLb1ELb0ELb1EEv18rocblas_operation_llT0_T1_lllT2_lllib.num_vgpr, 10
	.set _ZL39rocblas_trsm_block_forward_substitutionIffPKPKfPKPfLb1ELb0ELb1EEv18rocblas_operation_llT0_T1_lllT2_lllib.num_agpr, 0
	.set _ZL39rocblas_trsm_block_forward_substitutionIffPKPKfPKPfLb1ELb0ELb1EEv18rocblas_operation_llT0_T1_lllT2_lllib.numbered_sgpr, 28
	.set _ZL39rocblas_trsm_block_forward_substitutionIffPKPKfPKPfLb1ELb0ELb1EEv18rocblas_operation_llT0_T1_lllT2_lllib.num_named_barrier, 0
	.set _ZL39rocblas_trsm_block_forward_substitutionIffPKPKfPKPfLb1ELb0ELb1EEv18rocblas_operation_llT0_T1_lllT2_lllib.private_seg_size, 0
	.set _ZL39rocblas_trsm_block_forward_substitutionIffPKPKfPKPfLb1ELb0ELb1EEv18rocblas_operation_llT0_T1_lllT2_lllib.uses_vcc, 1
	.set _ZL39rocblas_trsm_block_forward_substitutionIffPKPKfPKPfLb1ELb0ELb1EEv18rocblas_operation_llT0_T1_lllT2_lllib.uses_flat_scratch, 0
	.set _ZL39rocblas_trsm_block_forward_substitutionIffPKPKfPKPfLb1ELb0ELb1EEv18rocblas_operation_llT0_T1_lllT2_lllib.has_dyn_sized_stack, 0
	.set _ZL39rocblas_trsm_block_forward_substitutionIffPKPKfPKPfLb1ELb0ELb1EEv18rocblas_operation_llT0_T1_lllT2_lllib.has_recursion, 0
	.set _ZL39rocblas_trsm_block_forward_substitutionIffPKPKfPKPfLb1ELb0ELb1EEv18rocblas_operation_llT0_T1_lllT2_lllib.has_indirect_call, 0
	.section	.AMDGPU.csdata,"",@progbits
; Kernel info:
; codeLenInByte = 732
; TotalNumSgprs: 34
; NumVgprs: 10
; NumAgprs: 0
; TotalNumVgprs: 10
; ScratchSize: 0
; MemoryBound: 0
; FloatMode: 240
; IeeeMode: 1
; LDSByteSize: 0 bytes/workgroup (compile time only)
; SGPRBlocks: 4
; VGPRBlocks: 1
; NumSGPRsForWavesPerEU: 34
; NumVGPRsForWavesPerEU: 10
; AccumOffset: 12
; Occupancy: 8
; WaveLimiterHint : 1
; COMPUTE_PGM_RSRC2:SCRATCH_EN: 0
; COMPUTE_PGM_RSRC2:USER_SGPR: 2
; COMPUTE_PGM_RSRC2:TRAP_HANDLER: 0
; COMPUTE_PGM_RSRC2:TGID_X_EN: 1
; COMPUTE_PGM_RSRC2:TGID_Y_EN: 1
; COMPUTE_PGM_RSRC2:TGID_Z_EN: 1
; COMPUTE_PGM_RSRC2:TIDIG_COMP_CNT: 1
; COMPUTE_PGM_RSRC3_GFX90A:ACCUM_OFFSET: 2
; COMPUTE_PGM_RSRC3_GFX90A:TG_SPLIT: 0
	.section	.text._ZL40rocblas_trsm_block_backward_substitutionIffPKPKfPKPfLb1ELb0ELb1EEv18rocblas_operation_llT0_T1_lllT2_lllib,"axG",@progbits,_ZL40rocblas_trsm_block_backward_substitutionIffPKPKfPKPfLb1ELb0ELb1EEv18rocblas_operation_llT0_T1_lllT2_lllib,comdat
	.globl	_ZL40rocblas_trsm_block_backward_substitutionIffPKPKfPKPfLb1ELb0ELb1EEv18rocblas_operation_llT0_T1_lllT2_lllib ; -- Begin function _ZL40rocblas_trsm_block_backward_substitutionIffPKPKfPKPfLb1ELb0ELb1EEv18rocblas_operation_llT0_T1_lllT2_lllib
	.p2align	8
	.type	_ZL40rocblas_trsm_block_backward_substitutionIffPKPKfPKPfLb1ELb0ELb1EEv18rocblas_operation_llT0_T1_lllT2_lllib,@function
_ZL40rocblas_trsm_block_backward_substitutionIffPKPKfPKPfLb1ELb0ELb1EEv18rocblas_operation_llT0_T1_lllT2_lllib: ; @_ZL40rocblas_trsm_block_backward_substitutionIffPKPKfPKPfLb1ELb0ELb1EEv18rocblas_operation_llT0_T1_lllT2_lllib
; %bb.0:
	s_load_dwordx4 s[16:19], s[0:1], 0x20
	s_mov_b32 s5, 0
	s_lshl_b64 s[4:5], s[4:5], 3
	v_and_b32_e32 v2, 0x3ff, v0
	v_bfe_u32 v6, v0, 10, 10
	s_waitcnt lgkmcnt(0)
	s_add_u32 s6, s16, s4
	s_addc_u32 s7, s17, s5
	s_load_dwordx2 s[20:21], s[6:7], 0x0
	s_load_dwordx4 s[8:11], s[0:1], 0x8
	s_load_dwordx4 s[12:15], s[0:1], 0x40
	s_load_dwordx2 s[16:17], s[0:1], 0x30
	s_lshl_b64 s[6:7], s[18:19], 2
	s_waitcnt lgkmcnt(0)
	s_add_u32 s6, s20, s6
	s_addc_u32 s7, s21, s7
	s_add_u32 s4, s12, s4
	s_addc_u32 s5, s13, s5
	s_load_dwordx2 s[12:13], s[0:1], 0x50
	s_load_dword s22, s[0:1], 0x64
	s_load_dword s2, s[0:1], 0x74
	s_load_dwordx2 s[18:19], s[4:5], 0x0
	s_add_u32 s20, s0, 0x68
	s_addc_u32 s21, s1, 0
	s_waitcnt lgkmcnt(0)
	s_lshr_b32 s2, s2, 16
	s_bitcmp0_b32 s22, 0
	s_cbranch_scc1 .LBB61_7
; %bb.1:
	s_lshl_b32 s4, s2, 2
	s_add_i32 s22, s4, 0
	v_cmp_lt_i64_e64 s[4:5], s[8:9], 1
	s_and_b64 vcc, exec, s[4:5]
	s_cbranch_vccnz .LBB61_6
; %bb.2:
	v_mov_b32_e32 v3, 0
	v_lshlrev_b32_e32 v0, 2, v2
	v_mov_b32_e32 v1, v3
	v_add_u32_e32 v7, s22, v0
	v_cmp_gt_u64_e64 s[4:5], s[8:9], v[2:3]
	v_lshl_add_u64 v[0:1], s[6:7], 0, v[0:1]
	s_mov_b32 s23, 0
	s_branch .LBB61_4
.LBB61_3:                               ;   in Loop: Header=BB61_4 Depth=1
	s_or_b64 exec, exec, s[6:7]
	s_add_i32 s23, s23, s2
	s_ashr_i32 s6, s23, 31
	v_mov_b32_e32 v4, s23
	v_mov_b32_e32 v5, s6
	v_cmp_le_i64_e32 vcc, s[8:9], v[4:5]
	s_cbranch_vccnz .LBB61_6
.LBB61_4:                               ; =>This Inner Loop Header: Depth=1
	v_add_u32_e32 v4, s23, v6
	v_ashrrev_i32_e32 v5, 31, v4
	v_cmp_gt_i64_e32 vcc, s[8:9], v[4:5]
	v_cmp_lt_i32_e64 s[6:7], v2, v4
	s_and_b64 s[6:7], s[6:7], vcc
	s_and_b64 s[24:25], s[4:5], s[6:7]
	s_and_saveexec_b64 s[6:7], s[24:25]
	s_cbranch_execz .LBB61_3
; %bb.5:                                ;   in Loop: Header=BB61_4 Depth=1
	v_mul_lo_u32 v3, s17, v4
	v_mul_lo_u32 v5, s16, v5
	v_mad_u64_u32 v[8:9], s[24:25], s16, v4, 0
	v_add3_u32 v9, v9, v5, v3
	v_lshl_add_u64 v[8:9], v[8:9], 2, v[0:1]
	flat_load_dword v3, v[8:9]
	s_load_dword s24, s[20:21], 0xc
	s_waitcnt lgkmcnt(0)
	s_and_b32 s24, s24, 0xffff
	v_mul_lo_u32 v4, v4, s24
	v_lshl_add_u32 v4, v4, 2, v7
	s_waitcnt vmcnt(0)
	ds_write_b32 v4, v3
	s_branch .LBB61_3
.LBB61_6:
	s_mov_b64 s[4:5], src_shared_base
	s_load_dword s4, s[20:21], 0xc
	s_mov_b32 s23, s5
	s_mov_b32 s17, 0
	s_mov_b64 s[6:7], s[22:23]
	s_waitcnt lgkmcnt(0)
	s_and_b32 s16, s4, 0xffff
.LBB61_7:
	s_mul_i32 s3, s3, s2
	v_add_u32_e32 v0, s3, v6
	v_mov_b32_e32 v1, 0
	v_cmp_gt_i64_e32 vcc, s[10:11], v[0:1]
	s_and_saveexec_b64 s[2:3], vcc
	s_cbranch_execz .LBB61_18
; %bb.8:
	v_mov_b32_e32 v3, v1
	v_cmp_gt_i64_e32 vcc, s[8:9], v[2:3]
	s_and_b64 exec, exec, vcc
	s_cbranch_execz .LBB61_18
; %bb.9:
	v_mad_u64_u32 v[4:5], s[4:5], s12, v2, 0
	s_lshl_b64 s[2:3], s[14:15], 2
	v_mov_b32_e32 v8, v5
	s_add_u32 s2, s18, s2
	v_mad_u64_u32 v[8:9], s[4:5], s13, v2, v[8:9]
	s_addc_u32 s3, s19, s3
	v_mov_b32_e32 v5, v8
	v_lshl_add_u64 v[4:5], v[4:5], 2, s[2:3]
	v_lshl_add_u64 v[0:1], v[0:1], 2, v[4:5]
	flat_load_dword v4, v[0:1]
	s_load_dword s2, s[0:1], 0x18
	v_cmp_lt_u64_e64 s[0:1], s[8:9], 2
	s_and_b64 vcc, exec, s[0:1]
	s_waitcnt vmcnt(0) lgkmcnt(0)
	v_mul_f32_e32 v7, s2, v4
	s_cbranch_vccnz .LBB61_17
; %bb.10:
	s_add_u32 s0, s8, -1
	s_addc_u32 s1, s9, -1
	s_mul_i32 s2, s16, s1
	s_mul_hi_u32 s3, s16, s0
	s_add_i32 s2, s3, s2
	s_mul_i32 s3, s17, s0
	s_add_i32 s3, s2, s3
	s_mul_i32 s2, s16, s0
	s_lshl_b64 s[2:3], s[2:3], 2
	s_add_u32 s2, s6, s2
	v_lshlrev_b32_e32 v4, 2, v2
	v_mov_b32_e32 v5, 0
	s_addc_u32 s3, s7, s3
	v_lshl_add_u64 v[4:5], s[2:3], 0, v[4:5]
	s_lshl_b64 s[2:3], s[16:17], 2
	s_sub_u32 s2, 0, s2
	v_lshl_add_u32 v6, v6, 2, 0
	s_subb_u32 s3, 0, s3
.LBB61_11:                              ; =>This Inner Loop Header: Depth=1
	v_cmp_eq_u64_e32 vcc, s[0:1], v[2:3]
	s_barrier
	s_and_saveexec_b64 s[4:5], vcc
; %bb.12:                               ;   in Loop: Header=BB61_11 Depth=1
	ds_write_b32 v6, v7
; %bb.13:                               ;   in Loop: Header=BB61_11 Depth=1
	s_or_b64 exec, exec, s[4:5]
	v_cmp_gt_i64_e32 vcc, s[0:1], v[2:3]
	s_waitcnt lgkmcnt(0)
	s_barrier
	s_and_saveexec_b64 s[4:5], vcc
	s_cbranch_execz .LBB61_15
; %bb.14:                               ;   in Loop: Header=BB61_11 Depth=1
	flat_load_dword v8, v[4:5]
	ds_read_b32 v9, v6
	s_waitcnt vmcnt(0) lgkmcnt(0)
	v_fma_f32 v7, -v8, v9, v7
.LBB61_15:                              ;   in Loop: Header=BB61_11 Depth=1
	s_or_b64 exec, exec, s[4:5]
	s_add_u32 s4, s0, -1
	s_addc_u32 s5, s1, -1
	s_add_u32 s0, s0, 1
	s_addc_u32 s1, s1, 0
	v_cmp_lt_u64_e64 s[0:1], s[0:1], 3
	v_lshl_add_u64 v[4:5], v[4:5], 0, s[2:3]
	s_and_b64 vcc, exec, s[0:1]
	s_cbranch_vccnz .LBB61_17
; %bb.16:                               ;   in Loop: Header=BB61_11 Depth=1
	s_mov_b64 s[0:1], s[4:5]
	s_branch .LBB61_11
.LBB61_17:
	flat_store_dword v[0:1], v7
.LBB61_18:
	s_endpgm
	.section	.rodata,"a",@progbits
	.p2align	6, 0x0
	.amdhsa_kernel _ZL40rocblas_trsm_block_backward_substitutionIffPKPKfPKPfLb1ELb0ELb1EEv18rocblas_operation_llT0_T1_lllT2_lllib
		.amdhsa_group_segment_fixed_size 0
		.amdhsa_private_segment_fixed_size 0
		.amdhsa_kernarg_size 360
		.amdhsa_user_sgpr_count 2
		.amdhsa_user_sgpr_dispatch_ptr 0
		.amdhsa_user_sgpr_queue_ptr 0
		.amdhsa_user_sgpr_kernarg_segment_ptr 1
		.amdhsa_user_sgpr_dispatch_id 0
		.amdhsa_user_sgpr_kernarg_preload_length 0
		.amdhsa_user_sgpr_kernarg_preload_offset 0
		.amdhsa_user_sgpr_private_segment_size 0
		.amdhsa_uses_dynamic_stack 0
		.amdhsa_enable_private_segment 0
		.amdhsa_system_sgpr_workgroup_id_x 1
		.amdhsa_system_sgpr_workgroup_id_y 1
		.amdhsa_system_sgpr_workgroup_id_z 1
		.amdhsa_system_sgpr_workgroup_info 0
		.amdhsa_system_vgpr_workitem_id 1
		.amdhsa_next_free_vgpr 10
		.amdhsa_next_free_sgpr 26
		.amdhsa_accum_offset 12
		.amdhsa_reserve_vcc 1
		.amdhsa_float_round_mode_32 0
		.amdhsa_float_round_mode_16_64 0
		.amdhsa_float_denorm_mode_32 3
		.amdhsa_float_denorm_mode_16_64 3
		.amdhsa_dx10_clamp 1
		.amdhsa_ieee_mode 1
		.amdhsa_fp16_overflow 0
		.amdhsa_tg_split 0
		.amdhsa_exception_fp_ieee_invalid_op 0
		.amdhsa_exception_fp_denorm_src 0
		.amdhsa_exception_fp_ieee_div_zero 0
		.amdhsa_exception_fp_ieee_overflow 0
		.amdhsa_exception_fp_ieee_underflow 0
		.amdhsa_exception_fp_ieee_inexact 0
		.amdhsa_exception_int_div_zero 0
	.end_amdhsa_kernel
	.section	.text._ZL40rocblas_trsm_block_backward_substitutionIffPKPKfPKPfLb1ELb0ELb1EEv18rocblas_operation_llT0_T1_lllT2_lllib,"axG",@progbits,_ZL40rocblas_trsm_block_backward_substitutionIffPKPKfPKPfLb1ELb0ELb1EEv18rocblas_operation_llT0_T1_lllT2_lllib,comdat
.Lfunc_end61:
	.size	_ZL40rocblas_trsm_block_backward_substitutionIffPKPKfPKPfLb1ELb0ELb1EEv18rocblas_operation_llT0_T1_lllT2_lllib, .Lfunc_end61-_ZL40rocblas_trsm_block_backward_substitutionIffPKPKfPKPfLb1ELb0ELb1EEv18rocblas_operation_llT0_T1_lllT2_lllib
                                        ; -- End function
	.set _ZL40rocblas_trsm_block_backward_substitutionIffPKPKfPKPfLb1ELb0ELb1EEv18rocblas_operation_llT0_T1_lllT2_lllib.num_vgpr, 10
	.set _ZL40rocblas_trsm_block_backward_substitutionIffPKPKfPKPfLb1ELb0ELb1EEv18rocblas_operation_llT0_T1_lllT2_lllib.num_agpr, 0
	.set _ZL40rocblas_trsm_block_backward_substitutionIffPKPKfPKPfLb1ELb0ELb1EEv18rocblas_operation_llT0_T1_lllT2_lllib.numbered_sgpr, 26
	.set _ZL40rocblas_trsm_block_backward_substitutionIffPKPKfPKPfLb1ELb0ELb1EEv18rocblas_operation_llT0_T1_lllT2_lllib.num_named_barrier, 0
	.set _ZL40rocblas_trsm_block_backward_substitutionIffPKPKfPKPfLb1ELb0ELb1EEv18rocblas_operation_llT0_T1_lllT2_lllib.private_seg_size, 0
	.set _ZL40rocblas_trsm_block_backward_substitutionIffPKPKfPKPfLb1ELb0ELb1EEv18rocblas_operation_llT0_T1_lllT2_lllib.uses_vcc, 1
	.set _ZL40rocblas_trsm_block_backward_substitutionIffPKPKfPKPfLb1ELb0ELb1EEv18rocblas_operation_llT0_T1_lllT2_lllib.uses_flat_scratch, 0
	.set _ZL40rocblas_trsm_block_backward_substitutionIffPKPKfPKPfLb1ELb0ELb1EEv18rocblas_operation_llT0_T1_lllT2_lllib.has_dyn_sized_stack, 0
	.set _ZL40rocblas_trsm_block_backward_substitutionIffPKPKfPKPfLb1ELb0ELb1EEv18rocblas_operation_llT0_T1_lllT2_lllib.has_recursion, 0
	.set _ZL40rocblas_trsm_block_backward_substitutionIffPKPKfPKPfLb1ELb0ELb1EEv18rocblas_operation_llT0_T1_lllT2_lllib.has_indirect_call, 0
	.section	.AMDGPU.csdata,"",@progbits
; Kernel info:
; codeLenInByte = 772
; TotalNumSgprs: 32
; NumVgprs: 10
; NumAgprs: 0
; TotalNumVgprs: 10
; ScratchSize: 0
; MemoryBound: 0
; FloatMode: 240
; IeeeMode: 1
; LDSByteSize: 0 bytes/workgroup (compile time only)
; SGPRBlocks: 3
; VGPRBlocks: 1
; NumSGPRsForWavesPerEU: 32
; NumVGPRsForWavesPerEU: 10
; AccumOffset: 12
; Occupancy: 8
; WaveLimiterHint : 1
; COMPUTE_PGM_RSRC2:SCRATCH_EN: 0
; COMPUTE_PGM_RSRC2:USER_SGPR: 2
; COMPUTE_PGM_RSRC2:TRAP_HANDLER: 0
; COMPUTE_PGM_RSRC2:TGID_X_EN: 1
; COMPUTE_PGM_RSRC2:TGID_Y_EN: 1
; COMPUTE_PGM_RSRC2:TGID_Z_EN: 1
; COMPUTE_PGM_RSRC2:TIDIG_COMP_CNT: 1
; COMPUTE_PGM_RSRC3_GFX90A:ACCUM_OFFSET: 2
; COMPUTE_PGM_RSRC3_GFX90A:TG_SPLIT: 0
	.section	.text._ZL26setup_batched_array_kernelILi128EfEvPT0_lPS1_,"axG",@progbits,_ZL26setup_batched_array_kernelILi128EfEvPT0_lPS1_,comdat
	.globl	_ZL26setup_batched_array_kernelILi128EfEvPT0_lPS1_ ; -- Begin function _ZL26setup_batched_array_kernelILi128EfEvPT0_lPS1_
	.p2align	8
	.type	_ZL26setup_batched_array_kernelILi128EfEvPT0_lPS1_,@function
_ZL26setup_batched_array_kernelILi128EfEvPT0_lPS1_: ; @_ZL26setup_batched_array_kernelILi128EfEvPT0_lPS1_
; %bb.0:
	s_load_dwordx4 s[4:7], s[0:1], 0x0
	s_mov_b32 s3, 0
	s_load_dwordx2 s[0:1], s[0:1], 0x10
	v_mov_b32_e32 v0, 0
	s_waitcnt lgkmcnt(0)
	s_mul_i32 s7, s7, s2
	s_mul_hi_u32 s8, s6, s2
	s_add_i32 s7, s8, s7
	s_mul_i32 s6, s6, s2
	s_lshl_b64 s[6:7], s[6:7], 2
	s_add_u32 s4, s4, s6
	s_addc_u32 s5, s5, s7
	s_lshl_b64 s[2:3], s[2:3], 3
	s_add_u32 s0, s0, s2
	s_addc_u32 s1, s1, s3
	v_mov_b64_e32 v[2:3], s[4:5]
	global_store_dwordx2 v0, v[2:3], s[0:1]
	s_endpgm
	.section	.rodata,"a",@progbits
	.p2align	6, 0x0
	.amdhsa_kernel _ZL26setup_batched_array_kernelILi128EfEvPT0_lPS1_
		.amdhsa_group_segment_fixed_size 0
		.amdhsa_private_segment_fixed_size 0
		.amdhsa_kernarg_size 24
		.amdhsa_user_sgpr_count 2
		.amdhsa_user_sgpr_dispatch_ptr 0
		.amdhsa_user_sgpr_queue_ptr 0
		.amdhsa_user_sgpr_kernarg_segment_ptr 1
		.amdhsa_user_sgpr_dispatch_id 0
		.amdhsa_user_sgpr_kernarg_preload_length 0
		.amdhsa_user_sgpr_kernarg_preload_offset 0
		.amdhsa_user_sgpr_private_segment_size 0
		.amdhsa_uses_dynamic_stack 0
		.amdhsa_enable_private_segment 0
		.amdhsa_system_sgpr_workgroup_id_x 1
		.amdhsa_system_sgpr_workgroup_id_y 0
		.amdhsa_system_sgpr_workgroup_id_z 0
		.amdhsa_system_sgpr_workgroup_info 0
		.amdhsa_system_vgpr_workitem_id 0
		.amdhsa_next_free_vgpr 4
		.amdhsa_next_free_sgpr 9
		.amdhsa_accum_offset 4
		.amdhsa_reserve_vcc 0
		.amdhsa_float_round_mode_32 0
		.amdhsa_float_round_mode_16_64 0
		.amdhsa_float_denorm_mode_32 3
		.amdhsa_float_denorm_mode_16_64 3
		.amdhsa_dx10_clamp 1
		.amdhsa_ieee_mode 1
		.amdhsa_fp16_overflow 0
		.amdhsa_tg_split 0
		.amdhsa_exception_fp_ieee_invalid_op 0
		.amdhsa_exception_fp_denorm_src 0
		.amdhsa_exception_fp_ieee_div_zero 0
		.amdhsa_exception_fp_ieee_overflow 0
		.amdhsa_exception_fp_ieee_underflow 0
		.amdhsa_exception_fp_ieee_inexact 0
		.amdhsa_exception_int_div_zero 0
	.end_amdhsa_kernel
	.section	.text._ZL26setup_batched_array_kernelILi128EfEvPT0_lPS1_,"axG",@progbits,_ZL26setup_batched_array_kernelILi128EfEvPT0_lPS1_,comdat
.Lfunc_end62:
	.size	_ZL26setup_batched_array_kernelILi128EfEvPT0_lPS1_, .Lfunc_end62-_ZL26setup_batched_array_kernelILi128EfEvPT0_lPS1_
                                        ; -- End function
	.set _ZL26setup_batched_array_kernelILi128EfEvPT0_lPS1_.num_vgpr, 4
	.set _ZL26setup_batched_array_kernelILi128EfEvPT0_lPS1_.num_agpr, 0
	.set _ZL26setup_batched_array_kernelILi128EfEvPT0_lPS1_.numbered_sgpr, 9
	.set _ZL26setup_batched_array_kernelILi128EfEvPT0_lPS1_.num_named_barrier, 0
	.set _ZL26setup_batched_array_kernelILi128EfEvPT0_lPS1_.private_seg_size, 0
	.set _ZL26setup_batched_array_kernelILi128EfEvPT0_lPS1_.uses_vcc, 0
	.set _ZL26setup_batched_array_kernelILi128EfEvPT0_lPS1_.uses_flat_scratch, 0
	.set _ZL26setup_batched_array_kernelILi128EfEvPT0_lPS1_.has_dyn_sized_stack, 0
	.set _ZL26setup_batched_array_kernelILi128EfEvPT0_lPS1_.has_recursion, 0
	.set _ZL26setup_batched_array_kernelILi128EfEvPT0_lPS1_.has_indirect_call, 0
	.section	.AMDGPU.csdata,"",@progbits
; Kernel info:
; codeLenInByte = 84
; TotalNumSgprs: 15
; NumVgprs: 4
; NumAgprs: 0
; TotalNumVgprs: 4
; ScratchSize: 0
; MemoryBound: 0
; FloatMode: 240
; IeeeMode: 1
; LDSByteSize: 0 bytes/workgroup (compile time only)
; SGPRBlocks: 1
; VGPRBlocks: 0
; NumSGPRsForWavesPerEU: 15
; NumVGPRsForWavesPerEU: 4
; AccumOffset: 4
; Occupancy: 8
; WaveLimiterHint : 0
; COMPUTE_PGM_RSRC2:SCRATCH_EN: 0
; COMPUTE_PGM_RSRC2:USER_SGPR: 2
; COMPUTE_PGM_RSRC2:TRAP_HANDLER: 0
; COMPUTE_PGM_RSRC2:TGID_X_EN: 1
; COMPUTE_PGM_RSRC2:TGID_Y_EN: 0
; COMPUTE_PGM_RSRC2:TGID_Z_EN: 0
; COMPUTE_PGM_RSRC2:TIDIG_COMP_CNT: 0
; COMPUTE_PGM_RSRC3_GFX90A:ACCUM_OFFSET: 0
; COMPUTE_PGM_RSRC3_GFX90A:TG_SPLIT: 0
	.section	.text._ZL25rocblas_trtri_trsm_kernelILi128ELi16ELi8EfPKPKfPKPfEv13rocblas_fill_17rocblas_diagonal_T3_lilT4_lli,"axG",@progbits,_ZL25rocblas_trtri_trsm_kernelILi128ELi16ELi8EfPKPKfPKPfEv13rocblas_fill_17rocblas_diagonal_T3_lilT4_lli,comdat
	.globl	_ZL25rocblas_trtri_trsm_kernelILi128ELi16ELi8EfPKPKfPKPfEv13rocblas_fill_17rocblas_diagonal_T3_lilT4_lli ; -- Begin function _ZL25rocblas_trtri_trsm_kernelILi128ELi16ELi8EfPKPKfPKPfEv13rocblas_fill_17rocblas_diagonal_T3_lilT4_lli
	.p2align	8
	.type	_ZL25rocblas_trtri_trsm_kernelILi128ELi16ELi8EfPKPKfPKPfEv13rocblas_fill_17rocblas_diagonal_T3_lilT4_lli,@function
_ZL25rocblas_trtri_trsm_kernelILi128ELi16ELi8EfPKPKfPKPfEv13rocblas_fill_17rocblas_diagonal_T3_lilT4_lli: ; @_ZL25rocblas_trtri_trsm_kernelILi128ELi16ELi8EfPKPKfPKPfEv13rocblas_fill_17rocblas_diagonal_T3_lilT4_lli
; %bb.0:
	s_load_dwordx4 s[12:15], s[0:1], 0x8
	s_load_dwordx4 s[8:11], s[0:1], 0x28
	s_mov_b32 s4, s3
	s_mov_b32 s5, 0
	s_lshl_b64 s[4:5], s[4:5], 3
	s_waitcnt lgkmcnt(0)
	s_add_u32 s6, s12, s4
	s_addc_u32 s7, s13, s5
	s_add_u32 s4, s8, s4
	s_addc_u32 s5, s9, s5
	s_load_dwordx2 s[18:19], s[6:7], 0x0
	s_load_dwordx2 s[12:13], s[4:5], 0x0
	v_cmp_gt_u32_e64 s[6:7], 16, v0
	v_cmp_lt_u32_e64 s[4:5], 15, v0
	v_cmp_gt_u32_e64 s[8:9], 32, v0
	v_cmp_lt_u32_e32 vcc, 31, v0
	v_mov_b32_e32 v2, v0
	s_and_saveexec_b64 s[16:17], s[4:5]
	s_cbranch_execz .LBB63_6
; %bb.1:
                                        ; implicit-def: $vgpr2
	s_and_saveexec_b64 s[4:5], vcc
	s_xor_b64 s[4:5], exec, s[4:5]
; %bb.2:
	v_subrev_u32_e32 v2, 32, v0
; %bb.3:
	s_andn2_saveexec_b64 s[4:5], s[4:5]
; %bb.4:
	v_add_u32_e32 v2, -16, v0
; %bb.5:
	s_or_b64 exec, exec, s[4:5]
.LBB63_6:
	s_or_b64 exec, exec, s[16:17]
	s_load_dword s16, s[0:1], 0x18
	s_load_dwordx2 s[4:5], s[0:1], 0x0
	s_lshl_b32 s3, s2, 1
	v_mov_b32_e32 v1, 0xc00
	v_cndmask_b32_e64 v1, 0, v1, s[8:9]
	s_waitcnt lgkmcnt(0)
	s_ashr_i32 s17, s16, 31
	s_lshl_b64 s[0:1], s[16:17], 4
	s_add_u32 s24, s0, 16
	s_addc_u32 s25, s1, 0
	s_mul_hi_u32 s21, s24, s3
	s_mul_i32 s22, s25, s3
	s_mul_i32 s20, s24, s3
	s_add_i32 s21, s21, s22
	s_lshl_b64 s[20:21], s[20:21], 2
	s_add_u32 s18, s18, s20
	s_addc_u32 s19, s19, s21
	s_lshl_b64 s[14:15], s[14:15], 2
	s_add_u32 s18, s18, s14
	s_addc_u32 s19, s19, s15
	v_mov_b32_e32 v4, 0x800
	s_and_saveexec_b64 s[14:15], vcc
	s_xor_b64 s[14:15], exec, s[14:15]
	s_cbranch_execz .LBB63_13
; %bb.7:
	v_cmp_gt_u32_e32 vcc, 48, v0
	s_and_saveexec_b64 s[20:21], vcc
	s_cbranch_execz .LBB63_12
; %bb.8:
	s_cmpk_eq_i32 s4, 0x7a
	v_mov_b32_e32 v3, 0
	s_mov_b64 s[22:23], -1
	s_cbranch_scc1 .LBB63_10
; %bb.9:
	s_lshl_b64 s[22:23], s[16:17], 6
	s_add_u32 s22, s18, s22
	s_addc_u32 s23, s19, s23
	v_lshl_add_u64 v[6:7], v[2:3], 2, s[22:23]
	v_mad_i64_i32 v[8:9], s[22:23], s16, 60, v[6:7]
	flat_load_dword v5, v[8:9]
	s_lshl_b64 s[22:23], s[16:17], 2
	s_sub_u32 s22, 0, s22
	v_lshlrev_b32_e32 v10, 2, v2
	s_subb_u32 s23, 0, s23
	v_lshl_add_u64 v[8:9], v[8:9], 0, s[22:23]
	s_waitcnt vmcnt(0) lgkmcnt(0)
	ds_write_b32 v10, v5 offset:960
	flat_load_dword v5, v[8:9]
	v_lshl_add_u64 v[8:9], v[8:9], 0, s[22:23]
	s_waitcnt vmcnt(0) lgkmcnt(0)
	ds_write_b32 v10, v5 offset:896
	flat_load_dword v5, v[8:9]
	;; [unrolled: 4-line block ×13, first 2 shown]
	v_lshl_add_u64 v[8:9], v[8:9], 0, s[22:23]
	s_mov_b64 s[22:23], 0
	s_waitcnt vmcnt(0) lgkmcnt(0)
	ds_write_b32 v10, v5 offset:128
	flat_load_dword v5, v[8:9]
	s_waitcnt vmcnt(0) lgkmcnt(0)
	ds_write_b32 v10, v5 offset:64
	flat_load_dword v5, v[6:7]
	s_waitcnt vmcnt(0) lgkmcnt(0)
	ds_write_b32 v10, v5
.LBB63_10:
	s_andn2_b64 vcc, exec, s[22:23]
	s_cbranch_vccnz .LBB63_12
; %bb.11:
	v_lshl_add_u64 v[6:7], v[2:3], 2, s[18:19]
	flat_load_dword v3, v[6:7] offset:64
	v_lshlrev_b32_e32 v5, 2, v2
	s_lshl_b64 s[22:23], s[16:17], 2
	v_lshl_add_u64 v[6:7], v[6:7], 0, s[22:23]
	s_waitcnt vmcnt(0) lgkmcnt(0)
	ds_write_b32 v5, v3
	flat_load_dword v3, v[6:7] offset:64
	v_lshl_add_u64 v[6:7], v[6:7], 0, s[22:23]
	s_waitcnt vmcnt(0) lgkmcnt(0)
	ds_write_b32 v5, v3 offset:64
	flat_load_dword v3, v[6:7] offset:64
	v_lshl_add_u64 v[6:7], v[6:7], 0, s[22:23]
	s_waitcnt vmcnt(0) lgkmcnt(0)
	ds_write_b32 v5, v3 offset:128
	;; [unrolled: 4-line block ×14, first 2 shown]
	flat_load_dword v3, v[6:7] offset:64
	s_waitcnt vmcnt(0) lgkmcnt(0)
	ds_write_b32 v5, v3 offset:960
.LBB63_12:
	s_or_b64 exec, exec, s[20:21]
.LBB63_13:
	s_or_saveexec_b64 s[14:15], s[14:15]
	v_cndmask_b32_e64 v8, v1, v4, s[6:7]
	s_xor_b64 exec, exec, s[14:15]
	s_cbranch_execz .LBB63_80
; %bb.14:
	v_mov_b32_e32 v1, s25
	v_cndmask_b32_e64 v5, v1, 0, s[6:7]
	v_mov_b32_e32 v1, s24
	v_cndmask_b32_e64 v4, v1, 0, s[6:7]
	s_mov_b64 s[20:21], -1
	s_cmpk_eq_i32 s4, 0x7a
	v_lshl_add_u64 v[4:5], v[4:5], 2, s[18:19]
	s_cbranch_scc1 .LBB63_48
; %bb.15:
	v_mov_b32_e32 v3, 0
	v_lshl_add_u64 v[6:7], v[2:3], 2, v[4:5]
	v_cmp_gt_u32_e32 vcc, 16, v2
	v_mov_b32_e32 v1, 0
	s_and_saveexec_b64 s[18:19], vcc
	s_cbranch_execz .LBB63_17
; %bb.16:
	v_mad_i64_i32 v[10:11], s[20:21], s16, 60, v[6:7]
	flat_load_dword v1, v[10:11]
.LBB63_17:
	s_or_b64 exec, exec, s[18:19]
	v_sub_u32_e32 v9, 0xffffff10, v2
	v_lshl_add_u32 v9, v9, 2, v8
	v_cmp_gt_u32_e32 vcc, 15, v2
	s_waitcnt vmcnt(0) lgkmcnt(0)
	ds_write_b32 v9, v1 offset:1020
	s_and_saveexec_b64 s[18:19], vcc
	s_cbranch_execz .LBB63_19
; %bb.18:
	v_mad_i64_i32 v[10:11], s[20:21], s16, 56, v[6:7]
	flat_load_dword v3, v[10:11]
.LBB63_19:
	s_or_b64 exec, exec, s[18:19]
	v_sub_u32_e32 v1, 0xffffff20, v2
	v_lshl_add_u32 v1, v1, 2, v8
	s_waitcnt vmcnt(0) lgkmcnt(0)
	ds_write_b32 v1, v3 offset:1020
	v_cmp_gt_u32_e32 vcc, 14, v2
	v_mov_b32_e32 v1, 0
	v_mov_b32_e32 v3, 0
	s_and_saveexec_b64 s[18:19], vcc
	s_cbranch_execz .LBB63_21
; %bb.20:
	v_mad_i64_i32 v[10:11], s[20:21], s16, 52, v[6:7]
	flat_load_dword v3, v[10:11]
.LBB63_21:
	s_or_b64 exec, exec, s[18:19]
	v_sub_u32_e32 v9, 0xffffff30, v2
	v_lshl_add_u32 v9, v9, 2, v8
	v_cmp_gt_u32_e32 vcc, 13, v2
	s_waitcnt vmcnt(0) lgkmcnt(0)
	ds_write_b32 v9, v3 offset:1020
	s_and_saveexec_b64 s[18:19], vcc
	s_cbranch_execz .LBB63_23
; %bb.22:
	v_mad_i64_i32 v[10:11], s[20:21], s16, 48, v[6:7]
	flat_load_dword v1, v[10:11]
.LBB63_23:
	s_or_b64 exec, exec, s[18:19]
	v_sub_u32_e32 v3, 0xffffff40, v2
	v_lshl_add_u32 v3, v3, 2, v8
	s_waitcnt vmcnt(0) lgkmcnt(0)
	ds_write_b32 v3, v1 offset:1020
	v_cmp_gt_u32_e32 vcc, 12, v2
	v_mov_b32_e32 v1, 0
	;; [unrolled: 26-line block ×3, first 2 shown]
	v_mov_b32_e32 v3, 0
	s_and_saveexec_b64 s[18:19], vcc
	s_cbranch_execz .LBB63_29
; %bb.28:
	v_mad_i64_i32 v[10:11], s[20:21], s16, 36, v[6:7]
	flat_load_dword v3, v[10:11]
.LBB63_29:
	s_or_b64 exec, exec, s[18:19]
	v_sub_u32_e32 v9, 0xffffff70, v2
	v_lshl_add_u32 v9, v9, 2, v8
	v_cmp_gt_u32_e32 vcc, 9, v2
	s_waitcnt vmcnt(0) lgkmcnt(0)
	ds_write_b32 v9, v3 offset:1020
	s_and_saveexec_b64 s[18:19], vcc
	s_cbranch_execz .LBB63_31
; %bb.30:
	s_lshl_b64 s[20:21], s[16:17], 5
	v_lshl_add_u64 v[10:11], v[6:7], 0, s[20:21]
	flat_load_dword v1, v[10:11]
.LBB63_31:
	s_or_b64 exec, exec, s[18:19]
	v_sub_u32_e32 v3, 0xffffff80, v2
	v_lshl_add_u32 v3, v3, 2, v8
	s_waitcnt vmcnt(0) lgkmcnt(0)
	ds_write_b32 v3, v1 offset:1020
	v_cmp_gt_u32_e32 vcc, 8, v2
	v_mov_b32_e32 v1, 0
	v_mov_b32_e32 v3, 0
	s_and_saveexec_b64 s[18:19], vcc
	s_cbranch_execz .LBB63_33
; %bb.32:
	v_mad_i64_i32 v[10:11], s[20:21], s16, 28, v[6:7]
	flat_load_dword v3, v[10:11]
.LBB63_33:
	s_or_b64 exec, exec, s[18:19]
	v_sub_u32_e32 v9, 0xffffff90, v2
	v_lshl_add_u32 v9, v9, 2, v8
	v_cmp_gt_u32_e32 vcc, 7, v2
	s_waitcnt vmcnt(0) lgkmcnt(0)
	ds_write_b32 v9, v3 offset:1020
	s_and_saveexec_b64 s[18:19], vcc
	s_cbranch_execz .LBB63_35
; %bb.34:
	v_mad_i64_i32 v[10:11], s[20:21], s16, 24, v[6:7]
	flat_load_dword v1, v[10:11]
.LBB63_35:
	s_or_b64 exec, exec, s[18:19]
	v_sub_u32_e32 v3, 0xffffffa0, v2
	v_lshl_add_u32 v3, v3, 2, v8
	s_waitcnt vmcnt(0) lgkmcnt(0)
	ds_write_b32 v3, v1 offset:1020
	v_cmp_gt_u32_e32 vcc, 6, v2
	v_mov_b32_e32 v1, 0
	v_mov_b32_e32 v3, 0
	s_and_saveexec_b64 s[18:19], vcc
	s_cbranch_execz .LBB63_37
; %bb.36:
	v_mad_i64_i32 v[10:11], s[20:21], s16, 20, v[6:7]
	flat_load_dword v3, v[10:11]
.LBB63_37:
	s_or_b64 exec, exec, s[18:19]
	v_sub_u32_e32 v9, 0xffffffb0, v2
	v_lshl_add_u32 v9, v9, 2, v8
	v_cmp_gt_u32_e32 vcc, 5, v2
	s_waitcnt vmcnt(0) lgkmcnt(0)
	ds_write_b32 v9, v3 offset:1020
	s_and_saveexec_b64 s[18:19], vcc
	s_cbranch_execz .LBB63_39
; %bb.38:
	v_lshl_add_u64 v[10:11], v[6:7], 0, s[0:1]
	flat_load_dword v1, v[10:11]
.LBB63_39:
	s_or_b64 exec, exec, s[18:19]
	v_sub_u32_e32 v3, 0xffffffc0, v2
	v_lshl_add_u32 v3, v3, 2, v8
	s_waitcnt vmcnt(0) lgkmcnt(0)
	ds_write_b32 v3, v1 offset:1020
	v_cmp_gt_u32_e32 vcc, 4, v2
	v_mov_b32_e32 v1, 0
	v_mov_b32_e32 v3, 0
	s_and_saveexec_b64 s[18:19], vcc
	s_cbranch_execz .LBB63_41
; %bb.40:
	v_mad_i64_i32 v[10:11], s[20:21], s16, 12, v[6:7]
	flat_load_dword v3, v[10:11]
.LBB63_41:
	s_or_b64 exec, exec, s[18:19]
	v_sub_u32_e32 v9, 0xffffffd0, v2
	v_lshl_add_u32 v9, v9, 2, v8
	v_cmp_gt_u32_e32 vcc, 3, v2
	s_waitcnt vmcnt(0) lgkmcnt(0)
	ds_write_b32 v9, v3 offset:1020
	s_and_saveexec_b64 s[18:19], vcc
	s_cbranch_execz .LBB63_43
; %bb.42:
	v_lshl_add_u64 v[10:11], s[16:17], 3, v[6:7]
	flat_load_dword v1, v[10:11]
.LBB63_43:
	s_or_b64 exec, exec, s[18:19]
	v_sub_u32_e32 v3, 0xffffffe0, v2
	v_lshl_add_u32 v3, v3, 2, v8
	s_waitcnt vmcnt(0) lgkmcnt(0)
	ds_write_b32 v3, v1 offset:1020
	v_cmp_gt_u32_e32 vcc, 2, v2
	v_mov_b32_e32 v1, 0
	v_mov_b32_e32 v3, 0
	s_and_saveexec_b64 s[18:19], vcc
	s_cbranch_execz .LBB63_45
; %bb.44:
	v_lshl_add_u64 v[10:11], s[16:17], 2, v[6:7]
	flat_load_dword v3, v[10:11]
.LBB63_45:
	s_or_b64 exec, exec, s[18:19]
	v_sub_u32_e32 v9, -16, v2
	v_lshl_add_u32 v9, v9, 2, v8
	v_cmp_eq_u32_e32 vcc, 0, v2
	s_waitcnt vmcnt(0) lgkmcnt(0)
	ds_write_b32 v9, v3 offset:1020
	s_and_saveexec_b64 s[18:19], vcc
	s_cbranch_execz .LBB63_47
; %bb.46:
	flat_load_dword v1, v[6:7]
.LBB63_47:
	s_or_b64 exec, exec, s[18:19]
	v_lshlrev_b32_e32 v3, 2, v2
	v_sub_u32_e32 v3, v8, v3
	s_mov_b64 s[20:21], 0
	s_waitcnt vmcnt(0) lgkmcnt(0)
	ds_write_b32 v3, v1 offset:1020
.LBB63_48:
	s_and_b64 vcc, exec, s[20:21]
	s_cbranch_vccz .LBB63_80
; %bb.49:
	v_mov_b32_e32 v3, 0
	v_lshl_add_u64 v[4:5], v[2:3], 2, v[4:5]
	flat_load_dword v6, v[4:5]
	v_lshl_add_u32 v1, v2, 2, v8
	v_cmp_ne_u32_e32 vcc, 0, v2
	s_waitcnt vmcnt(0) lgkmcnt(0)
	ds_write_b32 v1, v6
	v_mov_b32_e32 v6, 0
	s_and_saveexec_b64 s[18:19], vcc
	s_cbranch_execz .LBB63_51
; %bb.50:
	v_lshl_add_u64 v[6:7], s[16:17], 2, v[4:5]
	flat_load_dword v6, v[6:7]
.LBB63_51:
	s_or_b64 exec, exec, s[18:19]
	v_cmp_lt_u32_e32 vcc, 1, v2
	s_waitcnt vmcnt(0) lgkmcnt(0)
	ds_write_b32 v1, v6 offset:64
	s_and_saveexec_b64 s[18:19], vcc
	s_cbranch_execz .LBB63_53
; %bb.52:
	v_lshl_add_u64 v[6:7], s[16:17], 3, v[4:5]
	flat_load_dword v3, v[6:7]
.LBB63_53:
	s_or_b64 exec, exec, s[18:19]
	s_waitcnt vmcnt(0) lgkmcnt(0)
	ds_write_b32 v1, v3 offset:128
	v_cmp_lt_u32_e32 vcc, 2, v2
	v_mov_b32_e32 v3, 0
	v_mov_b32_e32 v6, 0
	s_and_saveexec_b64 s[18:19], vcc
	s_cbranch_execz .LBB63_55
; %bb.54:
	v_mad_i64_i32 v[6:7], s[20:21], s16, 12, v[4:5]
	flat_load_dword v6, v[6:7]
.LBB63_55:
	s_or_b64 exec, exec, s[18:19]
	v_cmp_lt_u32_e32 vcc, 3, v2
	s_waitcnt vmcnt(0) lgkmcnt(0)
	ds_write_b32 v1, v6 offset:192
	s_and_saveexec_b64 s[18:19], vcc
	s_cbranch_execz .LBB63_57
; %bb.56:
	v_lshl_add_u64 v[6:7], v[4:5], 0, s[0:1]
	flat_load_dword v3, v[6:7]
.LBB63_57:
	s_or_b64 exec, exec, s[18:19]
	s_waitcnt vmcnt(0) lgkmcnt(0)
	ds_write_b32 v1, v3 offset:256
	v_cmp_lt_u32_e32 vcc, 4, v2
	v_mov_b32_e32 v3, 0
	v_mov_b32_e32 v6, 0
	s_and_saveexec_b64 s[0:1], vcc
	s_cbranch_execz .LBB63_59
; %bb.58:
	v_mad_i64_i32 v[6:7], s[18:19], s16, 20, v[4:5]
	flat_load_dword v6, v[6:7]
.LBB63_59:
	s_or_b64 exec, exec, s[0:1]
	v_cmp_lt_u32_e32 vcc, 5, v2
	s_waitcnt vmcnt(0) lgkmcnt(0)
	ds_write_b32 v1, v6 offset:320
	s_and_saveexec_b64 s[0:1], vcc
	s_cbranch_execz .LBB63_61
; %bb.60:
	v_mad_i64_i32 v[6:7], s[18:19], s16, 24, v[4:5]
	flat_load_dword v3, v[6:7]
.LBB63_61:
	s_or_b64 exec, exec, s[0:1]
	s_waitcnt vmcnt(0) lgkmcnt(0)
	ds_write_b32 v1, v3 offset:384
	v_cmp_lt_u32_e32 vcc, 6, v2
	v_mov_b32_e32 v3, 0
	v_mov_b32_e32 v6, 0
	s_and_saveexec_b64 s[0:1], vcc
	s_cbranch_execz .LBB63_63
; %bb.62:
	v_mad_i64_i32 v[6:7], s[18:19], s16, 28, v[4:5]
	flat_load_dword v6, v[6:7]
.LBB63_63:
	s_or_b64 exec, exec, s[0:1]
	v_cmp_lt_u32_e32 vcc, 7, v2
	s_waitcnt vmcnt(0) lgkmcnt(0)
	ds_write_b32 v1, v6 offset:448
	s_and_saveexec_b64 s[0:1], vcc
	s_cbranch_execz .LBB63_65
; %bb.64:
	s_lshl_b64 s[18:19], s[16:17], 5
	v_lshl_add_u64 v[6:7], v[4:5], 0, s[18:19]
	flat_load_dword v3, v[6:7]
.LBB63_65:
	s_or_b64 exec, exec, s[0:1]
	s_waitcnt vmcnt(0) lgkmcnt(0)
	ds_write_b32 v1, v3 offset:512
	v_cmp_lt_u32_e32 vcc, 8, v2
	v_mov_b32_e32 v3, 0
	v_mov_b32_e32 v6, 0
	s_and_saveexec_b64 s[0:1], vcc
	s_cbranch_execz .LBB63_67
; %bb.66:
	v_mad_i64_i32 v[6:7], s[18:19], s16, 36, v[4:5]
	flat_load_dword v6, v[6:7]
.LBB63_67:
	s_or_b64 exec, exec, s[0:1]
	v_cmp_lt_u32_e32 vcc, 9, v2
	s_waitcnt vmcnt(0) lgkmcnt(0)
	ds_write_b32 v1, v6 offset:576
	s_and_saveexec_b64 s[0:1], vcc
	s_cbranch_execz .LBB63_69
; %bb.68:
	v_mad_i64_i32 v[6:7], s[18:19], s16, 40, v[4:5]
	flat_load_dword v3, v[6:7]
.LBB63_69:
	s_or_b64 exec, exec, s[0:1]
	s_waitcnt vmcnt(0) lgkmcnt(0)
	ds_write_b32 v1, v3 offset:640
	v_cmp_lt_u32_e32 vcc, 10, v2
	v_mov_b32_e32 v3, 0
	v_mov_b32_e32 v6, 0
	s_and_saveexec_b64 s[0:1], vcc
	s_cbranch_execz .LBB63_71
; %bb.70:
	v_mad_i64_i32 v[6:7], s[18:19], s16, 44, v[4:5]
	flat_load_dword v6, v[6:7]
.LBB63_71:
	s_or_b64 exec, exec, s[0:1]
	v_cmp_lt_u32_e32 vcc, 11, v2
	s_waitcnt vmcnt(0) lgkmcnt(0)
	ds_write_b32 v1, v6 offset:704
	s_and_saveexec_b64 s[0:1], vcc
	s_cbranch_execz .LBB63_73
; %bb.72:
	v_mad_i64_i32 v[6:7], s[18:19], s16, 48, v[4:5]
	flat_load_dword v3, v[6:7]
.LBB63_73:
	s_or_b64 exec, exec, s[0:1]
	s_waitcnt vmcnt(0) lgkmcnt(0)
	ds_write_b32 v1, v3 offset:768
	v_cmp_lt_u32_e32 vcc, 12, v2
	v_mov_b32_e32 v3, 0
	v_mov_b32_e32 v6, 0
	s_and_saveexec_b64 s[0:1], vcc
	s_cbranch_execz .LBB63_75
; %bb.74:
	v_mad_i64_i32 v[6:7], s[18:19], s16, 52, v[4:5]
	flat_load_dword v6, v[6:7]
.LBB63_75:
	s_or_b64 exec, exec, s[0:1]
	v_cmp_lt_u32_e32 vcc, 13, v2
	s_waitcnt vmcnt(0) lgkmcnt(0)
	ds_write_b32 v1, v6 offset:832
	s_and_saveexec_b64 s[0:1], vcc
	s_cbranch_execz .LBB63_77
; %bb.76:
	v_mad_i64_i32 v[6:7], s[18:19], s16, 56, v[4:5]
	flat_load_dword v3, v[6:7]
.LBB63_77:
	s_or_b64 exec, exec, s[0:1]
	s_waitcnt vmcnt(0) lgkmcnt(0)
	ds_write_b32 v1, v3 offset:896
	v_cmp_lt_u32_e32 vcc, 14, v2
	v_mov_b32_e32 v3, 0
	s_and_saveexec_b64 s[0:1], vcc
	s_cbranch_execz .LBB63_79
; %bb.78:
	v_mad_i64_i32 v[4:5], s[16:17], s16, 60, v[4:5]
	flat_load_dword v3, v[4:5]
.LBB63_79:
	s_or_b64 exec, exec, s[0:1]
	s_waitcnt vmcnt(0) lgkmcnt(0)
	ds_write_b32 v1, v3 offset:960
.LBB63_80:
	s_or_b64 exec, exec, s[14:15]
	s_waitcnt lgkmcnt(0)
	s_barrier
	s_and_saveexec_b64 s[0:1], s[8:9]
	s_cbranch_execz .LBB63_86
; %bb.81:
	v_mul_i32_i24_e32 v1, 0x44, v2
	s_cmpk_eq_i32 s5, 0x84
	v_mov_b32_e32 v4, 1.0
	v_add_u32_e32 v1, v8, v1
	s_cbranch_scc1 .LBB63_85
; %bb.82:
	ds_read_b32 v3, v1
	v_mov_b32_e32 v4, 1.0
	s_waitcnt lgkmcnt(0)
	v_cmp_neq_f32_e32 vcc, 0, v3
	s_and_saveexec_b64 s[14:15], vcc
	s_cbranch_execz .LBB63_84
; %bb.83:
	v_div_scale_f32 v4, s[16:17], v3, v3, 1.0
	v_rcp_f32_e32 v5, v4
	v_div_scale_f32 v6, vcc, 1.0, v3, 1.0
	v_fma_f32 v7, -v4, v5, 1.0
	v_fmac_f32_e32 v5, v7, v5
	v_mul_f32_e32 v7, v6, v5
	v_fma_f32 v9, -v4, v7, v6
	v_fmac_f32_e32 v7, v9, v5
	v_fma_f32 v4, -v4, v7, v6
	v_div_fmas_f32 v4, v4, v5, v7
	v_div_fixup_f32 v4, v4, v3, 1.0
.LBB63_84:
	s_or_b64 exec, exec, s[14:15]
.LBB63_85:
	ds_write_b32 v1, v4
.LBB63_86:
	s_or_b64 exec, exec, s[0:1]
	s_waitcnt lgkmcnt(0)
	s_barrier
	s_and_saveexec_b64 s[0:1], s[8:9]
	s_cbranch_execz .LBB63_108
; %bb.87:
	v_lshl_add_u32 v1, v2, 2, v8
	v_mul_i32_i24_e32 v7, 0x44, v2
	v_add_u32_e32 v3, 64, v1
	v_add_u32_e32 v4, 4, v8
	;; [unrolled: 1-line block ×4, first 2 shown]
	s_mov_b32 s5, 0
	v_add_u32_e32 v7, v8, v7
	s_branch .LBB63_89
.LBB63_88:                              ;   in Loop: Header=BB63_89 Depth=1
	v_add_u32_e32 v3, 0x80, v3
	v_add_u32_e32 v4, 0x88, v4
	;; [unrolled: 1-line block ×3, first 2 shown]
	s_cmp_eq_u32 s5, 16
	v_add_u32_e32 v6, 0x80, v6
	s_cbranch_scc1 .LBB63_108
.LBB63_89:                              ; =>This Loop Header: Depth=1
                                        ;     Child Loop BB63_95 Depth 2
                                        ;     Child Loop BB63_104 Depth 2
	v_cmp_ge_i32_e32 vcc, s5, v2
                                        ; implicit-def: $sgpr16
	s_and_saveexec_b64 s[14:15], vcc
	s_xor_b64 s[14:15], exec, s[14:15]
; %bb.90:                               ;   in Loop: Header=BB63_89 Depth=1
	s_lshl_b32 s16, s5, 6
; %bb.91:                               ;   in Loop: Header=BB63_89 Depth=1
	s_or_saveexec_b64 s[14:15], s[14:15]
	v_mov_b32_e32 v9, 0
	v_mov_b32_e32 v10, s16
	s_xor_b64 exec, exec, s[14:15]
	s_cbranch_execz .LBB63_93
; %bb.92:                               ;   in Loop: Header=BB63_89 Depth=1
	s_mul_i32 s16, s5, 0x44
	v_add_u32_e32 v9, s16, v8
	s_lshl_b32 s16, s5, 6
	v_add_u32_e32 v10, s16, v1
	ds_read_b32 v10, v10
	ds_read_b32 v9, v9
	s_waitcnt lgkmcnt(0)
	v_fma_f32 v9, v10, v9, 0
	v_mov_b32_e32 v10, s16
.LBB63_93:                              ;   in Loop: Header=BB63_89 Depth=1
	s_or_b64 exec, exec, s[14:15]
	s_or_b32 s16, s5, 1
	v_add_u32_e32 v10, v1, v10
	v_mov_b32_e32 v11, v4
	v_mov_b32_e32 v12, v3
	s_mov_b32 s17, s16
	s_branch .LBB63_95
.LBB63_94:                              ;   in Loop: Header=BB63_95 Depth=2
	s_or_b64 exec, exec, s[14:15]
	s_add_i32 s17, s17, 1
	v_add_u32_e32 v12, 64, v12
	s_cmp_eq_u32 s17, 16
	v_add_u32_e32 v11, 4, v11
	s_cbranch_scc1 .LBB63_99
.LBB63_95:                              ;   Parent Loop BB63_89 Depth=1
                                        ; =>  This Inner Loop Header: Depth=2
	v_cmp_eq_u32_e32 vcc, s17, v2
	s_and_saveexec_b64 s[14:15], vcc
	s_cbranch_execz .LBB63_97
; %bb.96:                               ;   in Loop: Header=BB63_95 Depth=2
	ds_read_b32 v13, v7
	s_waitcnt lgkmcnt(0)
	v_mul_f32_e64 v13, -v9, v13
	ds_write_b32 v10, v13
.LBB63_97:                              ;   in Loop: Header=BB63_95 Depth=2
	s_or_b64 exec, exec, s[14:15]
	v_cmp_lt_i32_e32 vcc, s17, v2
	s_and_saveexec_b64 s[14:15], vcc
	s_cbranch_execz .LBB63_94
; %bb.98:                               ;   in Loop: Header=BB63_95 Depth=2
	ds_read_b32 v13, v12
	ds_read_b32 v14, v11
	s_waitcnt lgkmcnt(0)
	v_fmac_f32_e32 v9, v13, v14
	s_branch .LBB63_94
.LBB63_99:                              ;   in Loop: Header=BB63_89 Depth=1
	v_cmp_lt_i32_e32 vcc, s16, v2
	v_mov_b32_e32 v9, 0
	s_and_saveexec_b64 s[14:15], vcc
	s_cbranch_execz .LBB63_101
; %bb.100:                              ;   in Loop: Header=BB63_89 Depth=1
	s_mul_i32 s17, s16, 0x44
	v_add_u32_e32 v9, s17, v8
	v_lshl_add_u32 v10, s16, 6, v1
	ds_read_b32 v10, v10
	ds_read_b32 v9, v9
	s_waitcnt lgkmcnt(0)
	v_fma_f32 v9, v10, v9, 0
.LBB63_101:                             ;   in Loop: Header=BB63_89 Depth=1
	s_or_b64 exec, exec, s[14:15]
	s_add_i32 s5, s5, 2
	s_cmp_gt_u32 s16, 14
	s_cbranch_scc1 .LBB63_88
; %bb.102:                              ;   in Loop: Header=BB63_89 Depth=1
	s_lshl_b32 s14, s16, 6
	v_add_u32_e32 v10, s14, v1
	v_mov_b32_e32 v11, v6
	v_mov_b32_e32 v12, v5
	s_mov_b32 s16, s5
	s_branch .LBB63_104
.LBB63_103:                             ;   in Loop: Header=BB63_104 Depth=2
	s_or_b64 exec, exec, s[14:15]
	s_add_i32 s16, s16, 1
	v_add_u32_e32 v12, 4, v12
	s_cmp_lg_u32 s16, 16
	v_add_u32_e32 v11, 64, v11
	s_cbranch_scc0 .LBB63_88
.LBB63_104:                             ;   Parent Loop BB63_89 Depth=1
                                        ; =>  This Inner Loop Header: Depth=2
	v_cmp_eq_u32_e32 vcc, s16, v2
	s_and_saveexec_b64 s[14:15], vcc
	s_cbranch_execz .LBB63_106
; %bb.105:                              ;   in Loop: Header=BB63_104 Depth=2
	ds_read_b32 v13, v7
	s_waitcnt lgkmcnt(0)
	v_mul_f32_e64 v13, -v9, v13
	ds_write_b32 v10, v13
.LBB63_106:                             ;   in Loop: Header=BB63_104 Depth=2
	s_or_b64 exec, exec, s[14:15]
	v_cmp_lt_i32_e32 vcc, s16, v2
	s_and_saveexec_b64 s[14:15], vcc
	s_cbranch_execz .LBB63_103
; %bb.107:                              ;   in Loop: Header=BB63_104 Depth=2
	ds_read_b32 v13, v11
	ds_read_b32 v14, v12
	s_waitcnt lgkmcnt(0)
	v_fmac_f32_e32 v9, v13, v14
	s_branch .LBB63_103
.LBB63_108:
	s_or_b64 exec, exec, s[0:1]
	s_cmpk_lg_i32 s4, 0x7a
	s_cselect_b64 s[0:1], -1, 0
	s_movk_i32 s4, 0x100
	v_and_b32_e32 v1, 15, v0
	v_lshrrev_b32_e32 v3, 4, v0
	v_cmp_gt_u32_e64 s[4:5], s4, v0
	s_and_b64 vcc, exec, s[0:1]
	s_waitcnt lgkmcnt(0)
	s_barrier
	s_cbranch_vccz .LBB63_113
; %bb.109:
	s_mov_b64 s[16:17], 0
	s_mov_b64 s[14:15], 0
                                        ; implicit-def: $vgpr4
	s_and_saveexec_b64 s[18:19], s[4:5]
	s_cbranch_execz .LBB63_114
; %bb.110:
	s_movk_i32 s14, 0xf0
	v_bitop3_b32 v4, v0, s14, v0 bitop3:0xc
	v_mov_b32_e32 v7, 0xc3c
	v_lshlrev_b32_e32 v5, 2, v1
	v_add_u32_e32 v6, 1, v3
	v_lshl_or_b32 v7, v4, 2, v7
	v_mov_b32_e32 v4, 0
	s_mov_b64 s[14:15], 0
.LBB63_111:                             ; =>This Inner Loop Header: Depth=1
	ds_read_b32 v9, v5
	ds_read_b32 v10, v7
	v_add_u32_e32 v6, -1, v6
	v_cmp_eq_u32_e32 vcc, 0, v6
	v_add_u32_e32 v7, -4, v7
	v_add_u32_e32 v5, 64, v5
	s_or_b64 s[14:15], vcc, s[14:15]
	s_waitcnt lgkmcnt(0)
	v_fmac_f32_e32 v4, v9, v10
	s_andn2_b64 exec, exec, s[14:15]
	s_cbranch_execnz .LBB63_111
; %bb.112:
	s_or_b64 exec, exec, s[14:15]
	s_mov_b64 s[14:15], exec
	s_or_b64 exec, exec, s[18:19]
	s_and_b64 vcc, exec, s[16:17]
	s_cbranch_vccnz .LBB63_115
	s_branch .LBB63_120
.LBB63_113:
	s_mov_b64 s[14:15], 0
                                        ; implicit-def: $vgpr4
	s_cbranch_execnz .LBB63_115
	s_branch .LBB63_120
.LBB63_114:
	s_or_b64 exec, exec, s[18:19]
	s_and_b64 vcc, exec, s[16:17]
	s_cbranch_vccz .LBB63_120
.LBB63_115:
                                        ; implicit-def: $vgpr4
	s_and_saveexec_b64 s[16:17], s[4:5]
	s_cbranch_execz .LBB63_119
; %bb.116:
	v_lshlrev_b32_e32 v4, 2, v0
	v_and_b32_e32 v4, 0x3c0, v4
	v_lshlrev_b32_e32 v6, 2, v3
	s_movk_i32 s18, 0x800
	v_or3_b32 v6, v4, v6, s18
	v_lshlrev_b32_e32 v4, 2, v1
	v_add_u32_e32 v5, -1, v3
	v_lshl_or_b32 v7, v3, 6, v4
	v_mov_b32_e32 v4, 0
	s_mov_b64 s[18:19], 0
.LBB63_117:                             ; =>This Inner Loop Header: Depth=1
	ds_read_b32 v9, v7
	ds_read_b32 v10, v6
	v_add_u32_e32 v5, 1, v5
	v_cmp_lt_u32_e32 vcc, 14, v5
	v_add_u32_e32 v6, 4, v6
	v_add_u32_e32 v7, 64, v7
	s_or_b64 s[18:19], vcc, s[18:19]
	s_waitcnt lgkmcnt(0)
	v_fmac_f32_e32 v4, v9, v10
	s_andn2_b64 exec, exec, s[18:19]
	s_cbranch_execnz .LBB63_117
; %bb.118:
	s_or_b64 exec, exec, s[18:19]
	s_or_b64 s[14:15], s[14:15], exec
.LBB63_119:
	s_or_b64 exec, exec, s[16:17]
.LBB63_120:
	s_and_saveexec_b64 s[16:17], s[14:15]
; %bb.121:
	v_lshlrev_b32_e32 v5, 2, v0
	ds_write_b32 v5, v4 offset:1024
; %bb.122:
	s_or_b64 exec, exec, s[16:17]
	s_bfe_u32 s14, s2, 0x1d0002
	s_mov_b32 s15, 0
	s_and_b32 s16, s3, 6
	s_lshl_b64 s[2:3], s[14:15], 16
	s_add_u32 s2, s12, s2
	s_addc_u32 s3, s13, s3
	s_mulk_i32 s16, 0x2040
	s_add_u32 s12, s2, s16
	s_addc_u32 s13, s3, 0
	s_lshl_b64 s[2:3], s[10:11], 2
	s_add_u32 s2, s12, s2
	s_addc_u32 s3, s13, s3
	s_and_b64 vcc, exec, s[0:1]
	s_waitcnt lgkmcnt(0)
	s_barrier
	s_cbranch_vccz .LBB63_128
; %bb.123:
	s_mov_b64 s[12:13], 0
	s_mov_b64 s[10:11], 0
                                        ; implicit-def: $vgpr4
	s_and_saveexec_b64 s[14:15], s[4:5]
	s_cbranch_execz .LBB63_127
; %bb.124:
	v_lshlrev_b32_e32 v6, 2, v0
	v_xor_b32_e32 v4, 15, v1
	v_and_b32_e32 v6, 0x3c0, v6
	v_lshlrev_b32_e32 v7, 2, v1
	s_movk_i32 s10, 0x400
	v_or3_b32 v6, v6, v7, s10
	v_lshlrev_b32_e32 v4, 2, v4
	v_lshlrev_b32_e32 v7, 6, v1
	v_sub_u32_e32 v4, v4, v7
	v_add_u32_e32 v5, -1, v1
	v_add_u32_e32 v7, 0xbc0, v4
	v_mov_b32_e32 v4, 0
	s_mov_b64 s[10:11], 0
.LBB63_125:                             ; =>This Inner Loop Header: Depth=1
	ds_read_b32 v9, v7
	ds_read_b32 v10, v6
	v_add_u32_e32 v5, 1, v5
	v_cmp_lt_u32_e32 vcc, 14, v5
	v_add_u32_e32 v6, 4, v6
	v_subrev_u32_e32 v7, 64, v7
	s_or_b64 s[10:11], vcc, s[10:11]
	s_waitcnt lgkmcnt(0)
	v_fma_f32 v4, -v9, v10, v4
	s_andn2_b64 exec, exec, s[10:11]
	s_cbranch_execnz .LBB63_125
; %bb.126:
	s_or_b64 exec, exec, s[10:11]
	s_mov_b64 s[10:11], exec
.LBB63_127:
	s_or_b64 exec, exec, s[14:15]
	s_mov_b64 s[14:15], 0x2000
	s_and_b64 vcc, exec, s[12:13]
	s_cbranch_vccnz .LBB63_129
	s_branch .LBB63_134
.LBB63_128:
	s_mov_b64 s[10:11], 0
                                        ; implicit-def: $vgpr4
	s_mov_b64 s[14:15], 0x2000
	s_cbranch_execz .LBB63_134
.LBB63_129:
                                        ; implicit-def: $vgpr4
	s_and_saveexec_b64 s[12:13], s[4:5]
	s_cbranch_execz .LBB63_133
; %bb.130:
	v_mov_b32_e32 v4, 0xc00
	v_lshl_or_b32 v5, v1, 2, v4
	v_and_b32_e32 v0, 0xf0, v0
	v_mov_b32_e32 v4, 0x400
	v_lshl_or_b32 v0, v0, 2, v4
	v_add_u32_e32 v6, 1, v1
	v_mov_b32_e32 v4, 0
	s_mov_b64 s[4:5], 0
.LBB63_131:                             ; =>This Inner Loop Header: Depth=1
	ds_read_b32 v7, v5
	ds_read_b32 v9, v0
	v_add_u32_e32 v6, -1, v6
	v_cmp_eq_u32_e32 vcc, 0, v6
	v_add_u32_e32 v0, 4, v0
	v_add_u32_e32 v5, 64, v5
	s_or_b64 s[4:5], vcc, s[4:5]
	s_waitcnt lgkmcnt(0)
	v_fma_f32 v4, -v7, v9, v4
	s_andn2_b64 exec, exec, s[4:5]
	s_cbranch_execnz .LBB63_131
; %bb.132:
	s_or_b64 exec, exec, s[4:5]
	s_or_b64 s[10:11], s[10:11], exec
.LBB63_133:
	s_or_b64 exec, exec, s[12:13]
	s_mov_b64 s[14:15], 64
.LBB63_134:
	s_and_saveexec_b64 s[4:5], s[10:11]
	s_cbranch_execnz .LBB63_136
; %bb.135:
	s_or_b64 exec, exec, s[4:5]
	s_and_saveexec_b64 s[4:5], s[8:9]
	s_cbranch_execnz .LBB63_137
	s_branch .LBB63_146
.LBB63_136:
	v_lshlrev_b32_e32 v0, 2, v1
	v_lshl_or_b32 v0, v3, 9, v0
	v_mov_b32_e32 v1, 0
	v_lshl_add_u64 v[0:1], s[2:3], 0, v[0:1]
	v_lshl_add_u64 v[0:1], v[0:1], 0, s[14:15]
	flat_store_dword v[0:1], v4
	s_or_b64 exec, exec, s[4:5]
	s_and_saveexec_b64 s[4:5], s[8:9]
	s_cbranch_execz .LBB63_146
.LBB63_137:
	v_mov_b32_e32 v0, 0x810
	v_cndmask_b32_e64 v4, v0, 0, s[6:7]
	s_andn2_b64 vcc, exec, s[0:1]
	s_mov_b64 s[0:1], -1
	s_cbranch_vccnz .LBB63_142
; %bb.138:
	s_mov_b32 s0, 16
	v_cmp_gt_i32_e32 vcc, 16, v2
	s_and_saveexec_b64 s[4:5], vcc
	s_cbranch_execz .LBB63_141
; %bb.139:
	v_mov_b32_e32 v3, 0
	v_lshlrev_b32_e32 v0, 2, v4
	v_mov_b32_e32 v1, v3
	v_lshl_add_u64 v[0:1], s[2:3], 0, v[0:1]
	v_lshl_add_u64 v[0:1], v[2:3], 2, v[0:1]
	v_lshlrev_b32_e32 v3, 2, v2
	v_sub_u32_e32 v3, v8, v3
	v_add_u32_e32 v3, 60, v3
	s_mov_b64 s[6:7], 0
	s_mov_b32 s1, 0
.LBB63_140:                             ; =>This Inner Loop Header: Depth=1
	ds_read_b32 v5, v3
	s_add_i32 s0, s0, -1
	s_lshl_b64 s[8:9], s[0:1], 9
	v_cmp_le_i32_e32 vcc, s0, v2
	v_add_u32_e32 v3, 64, v3
	v_lshl_add_u64 v[6:7], v[0:1], 0, s[8:9]
	s_or_b64 s[6:7], vcc, s[6:7]
	s_waitcnt lgkmcnt(0)
	flat_store_dword v[6:7], v5
	s_andn2_b64 exec, exec, s[6:7]
	s_cbranch_execnz .LBB63_140
.LBB63_141:
	s_or_b64 exec, exec, s[4:5]
	s_mov_b64 s[0:1], 0
.LBB63_142:
	s_andn2_b64 vcc, exec, s[0:1]
	s_cbranch_vccnz .LBB63_146
; %bb.143:
	v_cmp_lt_i32_e32 vcc, -1, v2
	s_and_b64 exec, exec, vcc
	s_cbranch_execz .LBB63_146
; %bb.144:
	v_mov_b32_e32 v3, 0
	v_lshlrev_b32_e32 v0, 2, v4
	v_mov_b32_e32 v1, v3
	v_lshl_add_u64 v[0:1], s[2:3], 0, v[0:1]
	v_lshl_add_u32 v5, v2, 2, v8
	v_lshl_add_u64 v[0:1], v[2:3], 2, v[0:1]
	v_add_u32_e32 v2, 1, v2
	s_mov_b64 s[0:1], 0
	s_mov_b64 s[2:3], 0x200
.LBB63_145:                             ; =>This Inner Loop Header: Depth=1
	ds_read_b32 v3, v5
	v_add_u32_e32 v2, -1, v2
	v_cmp_eq_u32_e32 vcc, 0, v2
	v_add_u32_e32 v5, 64, v5
	s_or_b64 s[0:1], vcc, s[0:1]
	s_waitcnt lgkmcnt(0)
	flat_store_dword v[0:1], v3
	v_lshl_add_u64 v[0:1], v[0:1], 0, s[2:3]
	s_andn2_b64 exec, exec, s[0:1]
	s_cbranch_execnz .LBB63_145
.LBB63_146:
	s_endpgm
	.section	.rodata,"a",@progbits
	.p2align	6, 0x0
	.amdhsa_kernel _ZL25rocblas_trtri_trsm_kernelILi128ELi16ELi8EfPKPKfPKPfEv13rocblas_fill_17rocblas_diagonal_T3_lilT4_lli
		.amdhsa_group_segment_fixed_size 4096
		.amdhsa_private_segment_fixed_size 0
		.amdhsa_kernarg_size 68
		.amdhsa_user_sgpr_count 2
		.amdhsa_user_sgpr_dispatch_ptr 0
		.amdhsa_user_sgpr_queue_ptr 0
		.amdhsa_user_sgpr_kernarg_segment_ptr 1
		.amdhsa_user_sgpr_dispatch_id 0
		.amdhsa_user_sgpr_kernarg_preload_length 0
		.amdhsa_user_sgpr_kernarg_preload_offset 0
		.amdhsa_user_sgpr_private_segment_size 0
		.amdhsa_uses_dynamic_stack 0
		.amdhsa_enable_private_segment 0
		.amdhsa_system_sgpr_workgroup_id_x 1
		.amdhsa_system_sgpr_workgroup_id_y 0
		.amdhsa_system_sgpr_workgroup_id_z 1
		.amdhsa_system_sgpr_workgroup_info 0
		.amdhsa_system_vgpr_workitem_id 0
		.amdhsa_next_free_vgpr 15
		.amdhsa_next_free_sgpr 26
		.amdhsa_accum_offset 16
		.amdhsa_reserve_vcc 1
		.amdhsa_float_round_mode_32 0
		.amdhsa_float_round_mode_16_64 0
		.amdhsa_float_denorm_mode_32 3
		.amdhsa_float_denorm_mode_16_64 3
		.amdhsa_dx10_clamp 1
		.amdhsa_ieee_mode 1
		.amdhsa_fp16_overflow 0
		.amdhsa_tg_split 0
		.amdhsa_exception_fp_ieee_invalid_op 0
		.amdhsa_exception_fp_denorm_src 0
		.amdhsa_exception_fp_ieee_div_zero 0
		.amdhsa_exception_fp_ieee_overflow 0
		.amdhsa_exception_fp_ieee_underflow 0
		.amdhsa_exception_fp_ieee_inexact 0
		.amdhsa_exception_int_div_zero 0
	.end_amdhsa_kernel
	.section	.text._ZL25rocblas_trtri_trsm_kernelILi128ELi16ELi8EfPKPKfPKPfEv13rocblas_fill_17rocblas_diagonal_T3_lilT4_lli,"axG",@progbits,_ZL25rocblas_trtri_trsm_kernelILi128ELi16ELi8EfPKPKfPKPfEv13rocblas_fill_17rocblas_diagonal_T3_lilT4_lli,comdat
.Lfunc_end63:
	.size	_ZL25rocblas_trtri_trsm_kernelILi128ELi16ELi8EfPKPKfPKPfEv13rocblas_fill_17rocblas_diagonal_T3_lilT4_lli, .Lfunc_end63-_ZL25rocblas_trtri_trsm_kernelILi128ELi16ELi8EfPKPKfPKPfEv13rocblas_fill_17rocblas_diagonal_T3_lilT4_lli
                                        ; -- End function
	.set _ZL25rocblas_trtri_trsm_kernelILi128ELi16ELi8EfPKPKfPKPfEv13rocblas_fill_17rocblas_diagonal_T3_lilT4_lli.num_vgpr, 15
	.set _ZL25rocblas_trtri_trsm_kernelILi128ELi16ELi8EfPKPKfPKPfEv13rocblas_fill_17rocblas_diagonal_T3_lilT4_lli.num_agpr, 0
	.set _ZL25rocblas_trtri_trsm_kernelILi128ELi16ELi8EfPKPKfPKPfEv13rocblas_fill_17rocblas_diagonal_T3_lilT4_lli.numbered_sgpr, 26
	.set _ZL25rocblas_trtri_trsm_kernelILi128ELi16ELi8EfPKPKfPKPfEv13rocblas_fill_17rocblas_diagonal_T3_lilT4_lli.num_named_barrier, 0
	.set _ZL25rocblas_trtri_trsm_kernelILi128ELi16ELi8EfPKPKfPKPfEv13rocblas_fill_17rocblas_diagonal_T3_lilT4_lli.private_seg_size, 0
	.set _ZL25rocblas_trtri_trsm_kernelILi128ELi16ELi8EfPKPKfPKPfEv13rocblas_fill_17rocblas_diagonal_T3_lilT4_lli.uses_vcc, 1
	.set _ZL25rocblas_trtri_trsm_kernelILi128ELi16ELi8EfPKPKfPKPfEv13rocblas_fill_17rocblas_diagonal_T3_lilT4_lli.uses_flat_scratch, 0
	.set _ZL25rocblas_trtri_trsm_kernelILi128ELi16ELi8EfPKPKfPKPfEv13rocblas_fill_17rocblas_diagonal_T3_lilT4_lli.has_dyn_sized_stack, 0
	.set _ZL25rocblas_trtri_trsm_kernelILi128ELi16ELi8EfPKPKfPKPfEv13rocblas_fill_17rocblas_diagonal_T3_lilT4_lli.has_recursion, 0
	.set _ZL25rocblas_trtri_trsm_kernelILi128ELi16ELi8EfPKPKfPKPfEv13rocblas_fill_17rocblas_diagonal_T3_lilT4_lli.has_indirect_call, 0
	.section	.AMDGPU.csdata,"",@progbits
; Kernel info:
; codeLenInByte = 4876
; TotalNumSgprs: 32
; NumVgprs: 15
; NumAgprs: 0
; TotalNumVgprs: 15
; ScratchSize: 0
; MemoryBound: 0
; FloatMode: 240
; IeeeMode: 1
; LDSByteSize: 4096 bytes/workgroup (compile time only)
; SGPRBlocks: 3
; VGPRBlocks: 1
; NumSGPRsForWavesPerEU: 32
; NumVGPRsForWavesPerEU: 15
; AccumOffset: 16
; Occupancy: 8
; WaveLimiterHint : 1
; COMPUTE_PGM_RSRC2:SCRATCH_EN: 0
; COMPUTE_PGM_RSRC2:USER_SGPR: 2
; COMPUTE_PGM_RSRC2:TRAP_HANDLER: 0
; COMPUTE_PGM_RSRC2:TGID_X_EN: 1
; COMPUTE_PGM_RSRC2:TGID_Y_EN: 0
; COMPUTE_PGM_RSRC2:TGID_Z_EN: 1
; COMPUTE_PGM_RSRC2:TIDIG_COMP_CNT: 0
; COMPUTE_PGM_RSRC3_GFX90A:ACCUM_OFFSET: 3
; COMPUTE_PGM_RSRC3_GFX90A:TG_SPLIT: 0
	.section	.text._ZL18rocblas_trtri_fillILi128EfPKPfEvP15_rocblas_handle13rocblas_fill_ililT1_llii,"axG",@progbits,_ZL18rocblas_trtri_fillILi128EfPKPfEvP15_rocblas_handle13rocblas_fill_ililT1_llii,comdat
	.globl	_ZL18rocblas_trtri_fillILi128EfPKPfEvP15_rocblas_handle13rocblas_fill_ililT1_llii ; -- Begin function _ZL18rocblas_trtri_fillILi128EfPKPfEvP15_rocblas_handle13rocblas_fill_ililT1_llii
	.p2align	8
	.type	_ZL18rocblas_trtri_fillILi128EfPKPfEvP15_rocblas_handle13rocblas_fill_ililT1_llii,@function
_ZL18rocblas_trtri_fillILi128EfPKPfEvP15_rocblas_handle13rocblas_fill_ililT1_llii: ; @_ZL18rocblas_trtri_fillILi128EfPKPfEvP15_rocblas_handle13rocblas_fill_ililT1_llii
; %bb.0:
	s_mov_b32 s12, s3
	s_load_dword s3, s[0:1], 0x40
	s_load_dwordx2 s[8:9], s[0:1], 0x10
	s_waitcnt lgkmcnt(0)
	s_ashr_i32 s4, s3, 31
	s_mul_hi_u32 s5, s8, s3
	s_mul_i32 s4, s8, s4
	s_add_i32 s4, s5, s4
	s_mul_i32 s5, s9, s3
	s_mul_i32 s10, s8, s3
	s_mov_b32 s3, 0
	s_add_i32 s11, s4, s5
	s_lshl_b64 s[4:5], s[2:3], 7
	v_or_b32_e32 v0, s4, v0
	v_mov_b32_e32 v1, s5
	v_cmp_gt_u64_e32 vcc, s[10:11], v[0:1]
	s_and_saveexec_b64 s[4:5], vcc
	s_cbranch_execz .LBB64_14
; %bb.1:
	s_load_dword s2, s[0:1], 0x18
	s_load_dwordx4 s[4:7], s[0:1], 0x20
	s_load_dwordx2 s[14:15], s[0:1], 0x30
	s_mov_b32 s13, s3
	s_lshl_b64 s[12:13], s[12:13], 3
	s_waitcnt lgkmcnt(0)
	s_ashr_i32 s3, s2, 31
	s_add_u32 s12, s6, s12
	v_cvt_f32_u32_e32 v4, s8
	v_cvt_f32_u32_e32 v5, s9
	s_addc_u32 s13, s7, s13
	s_load_dwordx2 s[16:17], s[12:13], 0x0
	s_load_dwordx2 s[6:7], s[0:1], 0x8
	s_lshl_b64 s[12:13], s[14:15], 2
	v_fmamk_f32 v4, v5, 0x4f800000, v4
	v_rcp_f32_e32 v5, v4
	v_cvt_f32_u32_e32 v6, s8
	s_waitcnt lgkmcnt(0)
	s_add_u32 s12, s16, s12
	s_addc_u32 s13, s17, s13
	s_add_i32 s14, s7, -2
	v_cvt_f64_i32_e32 v[2:3], s14
	s_add_i32 s14, s7, -1
	s_mul_hi_i32 s15, s14, s7
	s_mul_i32 s14, s14, s7
	v_mul_f32_e32 v5, 0x5f7ffffc, v5
	v_rcp_iflag_f32_e32 v6, v6
	s_ashr_i32 s24, s7, 31
	s_lshl_b64 s[16:17], s[14:15], 2
	v_mul_f32_e32 v7, 0x2f800000, v5
	s_mov_b32 s25, s7
	s_add_u32 s7, s16, -7
	s_load_dword s16, s[0:1], 0x48
	s_load_dword s18, s[0:1], 0x54
	v_trunc_f32_e32 v7, v7
	v_fmamk_f32 v5, v7, 0xcf800000, v5
	v_cvt_u32_f32_e32 v10, v5
	v_mul_f32_e32 v5, 0x4f7ffffe, v6
	v_cvt_u32_f32_e32 v11, v7
	v_cvt_u32_f32_e32 v12, v5
	s_addc_u32 s26, s17, -1
	s_waitcnt lgkmcnt(0)
	s_and_b32 s0, s18, 0xffff
	s_mov_b32 s20, 0
	s_lshr_b64 s[14:15], s[14:15], 1
	s_mul_hi_u32 s17, s0, s16
	s_mul_i32 s16, s0, s16
	s_mov_b64 s[18:19], 0
	v_mov_b32_e32 v4, 0
	s_brev_b32 s21, 8
	v_mov_b32_e32 v13, 0x260
	s_movk_i32 s27, 0xffe0
	v_mov_b32_e32 v14, 0x100
	v_mov_b32_e32 v15, 0xffffff80
	s_branch .LBB64_3
.LBB64_2:                               ;   in Loop: Header=BB64_3 Depth=1
	v_lshl_add_u64 v[0:1], v[0:1], 0, s[16:17]
	v_cmp_le_u64_e32 vcc, s[10:11], v[0:1]
	s_or_b64 s[18:19], vcc, s[18:19]
	s_andn2_b64 exec, exec, s[18:19]
	s_cbranch_execz .LBB64_14
.LBB64_3:                               ; =>This Inner Loop Header: Depth=1
	v_or_b32_e32 v5, s9, v1
	v_cmp_ne_u64_e32 vcc, 0, v[4:5]
                                        ; implicit-def: $vgpr6_vgpr7
	s_and_saveexec_b64 s[0:1], vcc
	s_xor_b64 s[22:23], exec, s[0:1]
	s_cbranch_execz .LBB64_5
; %bb.4:                                ;   in Loop: Header=BB64_3 Depth=1
	s_sub_u32 s28, 0, s8
	v_readfirstlane_b32 s0, v10
	v_readfirstlane_b32 s31, v11
	s_subb_u32 s29, 0, s9
	s_mul_hi_u32 s30, s28, s0
	s_mul_i32 s33, s28, s31
	s_mul_i32 s1, s29, s0
	s_add_i32 s30, s30, s33
	s_add_i32 s30, s30, s1
	s_mul_i32 s34, s28, s0
	s_mul_i32 s33, s0, s30
	s_mul_hi_u32 s35, s0, s34
	s_mul_hi_u32 s1, s0, s30
	s_add_u32 s33, s35, s33
	s_addc_u32 s1, 0, s1
	s_mul_hi_u32 s36, s31, s34
	s_mul_i32 s34, s31, s34
	s_add_u32 s33, s33, s34
	s_mul_hi_u32 s35, s31, s30
	s_addc_u32 s1, s1, s36
	s_addc_u32 s33, s35, 0
	s_mul_i32 s30, s31, s30
	s_add_u32 s1, s1, s30
	s_addc_u32 s30, 0, s33
	s_add_u32 s33, s0, s1
	s_cselect_b64 s[0:1], -1, 0
	s_cmp_lg_u64 s[0:1], 0
	s_addc_u32 s30, s31, s30
	s_mul_i32 s0, s28, s30
	s_mul_hi_u32 s1, s28, s33
	s_add_i32 s0, s1, s0
	s_mul_i32 s29, s29, s33
	s_add_i32 s0, s0, s29
	s_mul_i32 s28, s28, s33
	s_mul_hi_u32 s29, s30, s28
	s_mul_i32 s31, s30, s28
	s_mul_i32 s35, s33, s0
	s_mul_hi_u32 s28, s33, s28
	s_mul_hi_u32 s34, s33, s0
	s_add_u32 s28, s28, s35
	s_addc_u32 s34, 0, s34
	s_add_u32 s28, s28, s31
	s_mul_hi_u32 s1, s30, s0
	s_addc_u32 s28, s34, s29
	s_addc_u32 s1, s1, 0
	s_mul_i32 s0, s30, s0
	s_add_u32 s0, s28, s0
	s_addc_u32 s28, 0, s1
	s_add_u32 s29, s33, s0
	s_cselect_b64 s[0:1], -1, 0
	s_cmp_lg_u64 s[0:1], 0
	s_addc_u32 s28, s30, s28
	v_mad_u64_u32 v[6:7], s[0:1], v0, s28, 0
	v_mul_hi_u32 v8, v0, s29
	v_mov_b32_e32 v9, v4
	v_lshl_add_u64 v[6:7], v[8:9], 0, v[6:7]
	v_mad_u64_u32 v[16:17], s[0:1], v1, s29, 0
	v_add_co_u32_e32 v5, vcc, v6, v16
	v_mad_u64_u32 v[8:9], s[0:1], v1, s28, 0
	s_nop 0
	v_addc_co_u32_e32 v6, vcc, v7, v17, vcc
	v_mov_b32_e32 v7, v4
	s_nop 0
	v_addc_co_u32_e32 v9, vcc, 0, v9, vcc
	v_lshl_add_u64 v[6:7], v[6:7], 0, v[8:9]
	v_mul_lo_u32 v5, s9, v6
	v_mul_lo_u32 v16, s8, v7
	v_mad_u64_u32 v[8:9], s[0:1], s8, v6, 0
	v_add3_u32 v5, v9, v16, v5
	v_sub_u32_e32 v9, v1, v5
	v_mov_b32_e32 v16, s9
	v_sub_co_u32_e32 v18, vcc, v0, v8
	s_nop 1
	v_subb_co_u32_e64 v8, s[0:1], v9, v16, vcc
	v_subrev_co_u32_e64 v9, s[0:1], s8, v18
	v_subb_co_u32_e32 v5, vcc, v1, v5, vcc
	s_nop 0
	v_subbrev_co_u32_e64 v8, s[0:1], 0, v8, s[0:1]
	v_cmp_le_u32_e64 s[0:1], s9, v8
	v_cmp_le_u32_e32 vcc, s9, v5
	s_nop 0
	v_cndmask_b32_e64 v16, 0, -1, s[0:1]
	v_cmp_le_u32_e64 s[0:1], s8, v9
	s_nop 1
	v_cndmask_b32_e64 v9, 0, -1, s[0:1]
	v_cmp_eq_u32_e64 s[0:1], s9, v8
	s_nop 1
	v_cndmask_b32_e64 v19, v16, v9, s[0:1]
	v_lshl_add_u64 v[8:9], v[6:7], 0, 2
	v_lshl_add_u64 v[16:17], v[6:7], 0, 1
	v_cmp_ne_u32_e64 s[0:1], 0, v19
	s_nop 1
	v_cndmask_b32_e64 v9, v17, v9, s[0:1]
	v_cndmask_b32_e64 v17, 0, -1, vcc
	v_cmp_le_u32_e32 vcc, s8, v18
	s_nop 1
	v_cndmask_b32_e64 v18, 0, -1, vcc
	v_cmp_eq_u32_e32 vcc, s9, v5
	s_nop 1
	v_cndmask_b32_e32 v5, v17, v18, vcc
	v_cmp_ne_u32_e32 vcc, 0, v5
	v_cndmask_b32_e64 v5, v16, v8, s[0:1]
	s_nop 0
	v_cndmask_b32_e32 v7, v7, v9, vcc
	v_cndmask_b32_e32 v6, v6, v5, vcc
.LBB64_5:                               ;   in Loop: Header=BB64_3 Depth=1
	s_andn2_saveexec_b64 s[0:1], s[22:23]
	s_cbranch_execz .LBB64_7
; %bb.6:                                ;   in Loop: Header=BB64_3 Depth=1
	s_sub_i32 s22, 0, s8
	v_mul_lo_u32 v5, s22, v12
	v_mul_hi_u32 v5, v12, v5
	v_add_u32_e32 v5, v12, v5
	v_mul_hi_u32 v5, v0, v5
	v_mul_lo_u32 v6, v5, s8
	v_sub_u32_e32 v6, v0, v6
	v_subrev_u32_e32 v7, s8, v6
	v_cmp_le_u32_e32 vcc, s8, v6
	s_nop 1
	v_cndmask_b32_e32 v6, v6, v7, vcc
	v_add_u32_e32 v7, 1, v5
	v_cndmask_b32_e32 v5, v5, v7, vcc
	v_add_u32_e32 v7, 1, v5
	v_cmp_le_u32_e32 vcc, s8, v6
	s_nop 1
	v_cndmask_b32_e32 v6, v5, v7, vcc
	v_mov_b32_e32 v7, v4
.LBB64_7:                               ;   in Loop: Header=BB64_3 Depth=1
	s_or_b64 exec, exec, s[0:1]
	v_mul_lo_u32 v5, v7, s8
	v_mul_lo_u32 v16, v6, s9
	v_mad_u64_u32 v[8:9], s[0:1], v6, s8, 0
	v_add3_u32 v5, v9, v16, v5
	v_sub_co_u32_e32 v8, vcc, v0, v8
	s_cmpk_lt_i32 s6, 0x7a
	s_nop 0
	v_subb_co_u32_e32 v9, vcc, v1, v5, vcc
	s_mov_b64 s[0:1], -1
	s_cbranch_scc1 .LBB64_11
; %bb.8:                                ;   in Loop: Header=BB64_3 Depth=1
	s_cmpk_eq_i32 s6, 0x7a
	s_cbranch_scc0 .LBB64_10
; %bb.9:                                ;   in Loop: Header=BB64_3 Depth=1
	v_lshlrev_b64 v[16:17], 3, v[8:9]
	v_mov_b32_e32 v5, s26
	v_sub_co_u32_e32 v18, vcc, s7, v16
	v_cvt_f64_u32_e32 v[18:19], v18
	s_nop 0
	v_subb_co_u32_e32 v5, vcc, v5, v17, vcc
	v_cvt_f64_u32_e32 v[16:17], v5
	v_ldexp_f64 v[16:17], v[16:17], 32
	v_add_f64 v[16:17], v[16:17], v[18:19]
	v_cmp_gt_f64_e32 vcc, s[20:21], v[16:17]
	s_nop 1
	v_cndmask_b32_e32 v5, 0, v14, vcc
	v_ldexp_f64 v[16:17], v[16:17], v5
	v_rsq_f64_e32 v[18:19], v[16:17]
	v_cndmask_b32_e32 v5, 0, v15, vcc
	v_cmp_class_f64_e32 vcc, v[16:17], v13
	v_mul_f64 v[20:21], v[16:17], v[18:19]
	v_mul_f64 v[18:19], v[18:19], 0.5
	v_fma_f64 v[22:23], -v[18:19], v[20:21], 0.5
	v_fmac_f64_e32 v[20:21], v[20:21], v[22:23]
	v_fma_f64 v[24:25], -v[20:21], v[20:21], v[16:17]
	v_fmac_f64_e32 v[18:19], v[18:19], v[22:23]
	v_fmac_f64_e32 v[20:21], v[24:25], v[18:19]
	v_fma_f64 v[22:23], -v[20:21], v[20:21], v[16:17]
	v_fmac_f64_e32 v[20:21], v[22:23], v[18:19]
	v_ldexp_f64 v[18:19], v[20:21], v5
	v_cndmask_b32_e32 v17, v19, v17, vcc
	v_cndmask_b32_e32 v16, v18, v16, vcc
	v_fma_f64 v[16:17], v[16:17], 0.5, -0.5
	v_floor_f64_e32 v[16:17], v[16:17]
	v_add_f64 v[16:17], v[2:3], -v[16:17]
	v_trunc_f64_e32 v[16:17], v[16:17]
	v_ldexp_f64 v[18:19], v[16:17], s27
	v_floor_f64_e32 v[18:19], v[18:19]
	v_fmac_f64_e32 v[16:17], 0xc1f00000, v[18:19]
	v_cvt_u32_f64_e32 v16, v[16:17]
	v_cvt_u32_f64_e32 v17, v[18:19]
	v_mov_b32_e32 v5, s15
	v_subrev_co_u32_e32 v18, vcc, s14, v8
	v_mul_lo_u32 v24, v6, s5
	s_nop 0
	v_subb_co_u32_e32 v19, vcc, v9, v5, vcc
	v_mov_b32_e32 v5, s24
	v_sub_co_u32_e32 v20, vcc, s25, v16
	v_mul_lo_u32 v26, v17, s2
	s_nop 0
	v_subb_co_u32_e32 v21, vcc, v5, v17, vcc
	v_lshl_add_u64 v[22:23], v[20:21], 0, -1
	v_mul_lo_u32 v5, v23, v20
	v_mul_lo_u32 v23, v22, v21
	v_mad_u64_u32 v[20:21], s[0:1], v22, v20, 0
	v_add3_u32 v21, v21, v23, v5
	v_mul_lo_u32 v5, v7, s4
	v_mad_u64_u32 v[22:23], s[0:1], v6, s4, 0
	v_add3_u32 v23, v23, v24, v5
	;; [unrolled: 3-line block ×3, first 2 shown]
	v_lshl_add_u64 v[22:23], v[22:23], 2, s[12:13]
	v_lshl_add_u64 v[22:23], v[24:25], 2, v[22:23]
	;; [unrolled: 1-line block ×4, first 2 shown]
	v_lshlrev_b64 v[18:19], 1, v[20:21]
	v_and_b32_e32 v18, -4, v18
	v_lshl_add_u64 v[16:17], v[16:17], 0, v[18:19]
	flat_store_dword v[16:17], v4 offset:4
.LBB64_10:                              ;   in Loop: Header=BB64_3 Depth=1
	s_mov_b64 s[0:1], 0
.LBB64_11:                              ;   in Loop: Header=BB64_3 Depth=1
	s_andn2_b64 vcc, exec, s[0:1]
	s_cbranch_vccnz .LBB64_2
; %bb.12:                               ;   in Loop: Header=BB64_3 Depth=1
	s_cmpk_lg_i32 s6, 0x79
	s_cbranch_scc1 .LBB64_2
; %bb.13:                               ;   in Loop: Header=BB64_3 Depth=1
	v_lshlrev_b64 v[16:17], 3, v[8:9]
	v_or_b32_e32 v5, 1, v16
	v_cvt_f64_u32_e32 v[16:17], v17
	v_ldexp_f64 v[16:17], v[16:17], 32
	v_cvt_f64_u32_e32 v[18:19], v5
	v_add_f64 v[16:17], v[16:17], v[18:19]
	v_cmp_gt_f64_e32 vcc, s[20:21], v[16:17]
	s_nop 1
	v_cndmask_b32_e32 v5, 0, v14, vcc
	v_ldexp_f64 v[16:17], v[16:17], v5
	v_rsq_f64_e32 v[18:19], v[16:17]
	v_cndmask_b32_e32 v5, 0, v15, vcc
	v_cmp_class_f64_e32 vcc, v[16:17], v13
	v_mul_f64 v[20:21], v[16:17], v[18:19]
	v_mul_f64 v[18:19], v[18:19], 0.5
	v_fma_f64 v[22:23], -v[18:19], v[20:21], 0.5
	v_fmac_f64_e32 v[20:21], v[20:21], v[22:23]
	v_fma_f64 v[24:25], -v[20:21], v[20:21], v[16:17]
	v_fmac_f64_e32 v[18:19], v[18:19], v[22:23]
	v_fmac_f64_e32 v[20:21], v[24:25], v[18:19]
	v_fma_f64 v[22:23], -v[20:21], v[20:21], v[16:17]
	v_fmac_f64_e32 v[20:21], v[22:23], v[18:19]
	v_ldexp_f64 v[18:19], v[20:21], v5
	v_cndmask_b32_e32 v17, v19, v17, vcc
	v_cndmask_b32_e32 v16, v18, v16, vcc
	v_add_f64 v[16:17], v[16:17], -1.0
	v_mul_f64 v[16:17], v[16:17], 0.5
	v_trunc_f64_e32 v[16:17], v[16:17]
	v_ldexp_f64 v[18:19], v[16:17], s27
	v_floor_f64_e32 v[18:19], v[18:19]
	v_fmac_f64_e32 v[16:17], 0xc1f00000, v[18:19]
	v_cvt_u32_f64_e32 v16, v[16:17]
	v_cvt_u32_f64_e32 v17, v[18:19]
	v_mad_u64_u32 v[18:19], s[0:1], v16, v16, v[16:17]
	v_mul_lo_u32 v5, v16, v17
	v_add3_u32 v19, v5, v19, v5
	v_lshrrev_b64 v[18:19], 1, v[18:19]
	v_sub_co_u32_e32 v8, vcc, v8, v18
	v_mul_lo_u32 v5, v7, s4
	v_mul_lo_u32 v18, v6, s5
	v_mad_u64_u32 v[6:7], s[0:1], v6, s4, 0
	v_subb_co_u32_e32 v9, vcc, v9, v19, vcc
	v_add3_u32 v7, v7, v18, v5
	v_mov_b64_e32 v[18:19], s[2:3]
	v_mul_lo_u32 v5, s3, v16
	v_mad_u64_u32 v[18:19], s[0:1], s2, v16, v[18:19]
	v_mul_lo_u32 v16, s2, v17
	v_add3_u32 v19, v5, v19, v16
	v_lshl_add_u64 v[6:7], v[6:7], 2, s[12:13]
	v_lshl_add_u64 v[6:7], v[18:19], 2, v[6:7]
	;; [unrolled: 1-line block ×3, first 2 shown]
	flat_store_dword v[6:7], v4
	s_branch .LBB64_2
.LBB64_14:
	s_endpgm
	.section	.rodata,"a",@progbits
	.p2align	6, 0x0
	.amdhsa_kernel _ZL18rocblas_trtri_fillILi128EfPKPfEvP15_rocblas_handle13rocblas_fill_ililT1_llii
		.amdhsa_group_segment_fixed_size 0
		.amdhsa_private_segment_fixed_size 0
		.amdhsa_kernarg_size 328
		.amdhsa_user_sgpr_count 2
		.amdhsa_user_sgpr_dispatch_ptr 0
		.amdhsa_user_sgpr_queue_ptr 0
		.amdhsa_user_sgpr_kernarg_segment_ptr 1
		.amdhsa_user_sgpr_dispatch_id 0
		.amdhsa_user_sgpr_kernarg_preload_length 0
		.amdhsa_user_sgpr_kernarg_preload_offset 0
		.amdhsa_user_sgpr_private_segment_size 0
		.amdhsa_uses_dynamic_stack 0
		.amdhsa_enable_private_segment 0
		.amdhsa_system_sgpr_workgroup_id_x 1
		.amdhsa_system_sgpr_workgroup_id_y 0
		.amdhsa_system_sgpr_workgroup_id_z 1
		.amdhsa_system_sgpr_workgroup_info 0
		.amdhsa_system_vgpr_workitem_id 0
		.amdhsa_next_free_vgpr 27
		.amdhsa_next_free_sgpr 37
		.amdhsa_accum_offset 28
		.amdhsa_reserve_vcc 1
		.amdhsa_float_round_mode_32 0
		.amdhsa_float_round_mode_16_64 0
		.amdhsa_float_denorm_mode_32 3
		.amdhsa_float_denorm_mode_16_64 3
		.amdhsa_dx10_clamp 1
		.amdhsa_ieee_mode 1
		.amdhsa_fp16_overflow 0
		.amdhsa_tg_split 0
		.amdhsa_exception_fp_ieee_invalid_op 0
		.amdhsa_exception_fp_denorm_src 0
		.amdhsa_exception_fp_ieee_div_zero 0
		.amdhsa_exception_fp_ieee_overflow 0
		.amdhsa_exception_fp_ieee_underflow 0
		.amdhsa_exception_fp_ieee_inexact 0
		.amdhsa_exception_int_div_zero 0
	.end_amdhsa_kernel
	.section	.text._ZL18rocblas_trtri_fillILi128EfPKPfEvP15_rocblas_handle13rocblas_fill_ililT1_llii,"axG",@progbits,_ZL18rocblas_trtri_fillILi128EfPKPfEvP15_rocblas_handle13rocblas_fill_ililT1_llii,comdat
.Lfunc_end64:
	.size	_ZL18rocblas_trtri_fillILi128EfPKPfEvP15_rocblas_handle13rocblas_fill_ililT1_llii, .Lfunc_end64-_ZL18rocblas_trtri_fillILi128EfPKPfEvP15_rocblas_handle13rocblas_fill_ililT1_llii
                                        ; -- End function
	.set _ZL18rocblas_trtri_fillILi128EfPKPfEvP15_rocblas_handle13rocblas_fill_ililT1_llii.num_vgpr, 27
	.set _ZL18rocblas_trtri_fillILi128EfPKPfEvP15_rocblas_handle13rocblas_fill_ililT1_llii.num_agpr, 0
	.set _ZL18rocblas_trtri_fillILi128EfPKPfEvP15_rocblas_handle13rocblas_fill_ililT1_llii.numbered_sgpr, 37
	.set _ZL18rocblas_trtri_fillILi128EfPKPfEvP15_rocblas_handle13rocblas_fill_ililT1_llii.num_named_barrier, 0
	.set _ZL18rocblas_trtri_fillILi128EfPKPfEvP15_rocblas_handle13rocblas_fill_ililT1_llii.private_seg_size, 0
	.set _ZL18rocblas_trtri_fillILi128EfPKPfEvP15_rocblas_handle13rocblas_fill_ililT1_llii.uses_vcc, 1
	.set _ZL18rocblas_trtri_fillILi128EfPKPfEvP15_rocblas_handle13rocblas_fill_ililT1_llii.uses_flat_scratch, 0
	.set _ZL18rocblas_trtri_fillILi128EfPKPfEvP15_rocblas_handle13rocblas_fill_ililT1_llii.has_dyn_sized_stack, 0
	.set _ZL18rocblas_trtri_fillILi128EfPKPfEvP15_rocblas_handle13rocblas_fill_ililT1_llii.has_recursion, 0
	.set _ZL18rocblas_trtri_fillILi128EfPKPfEvP15_rocblas_handle13rocblas_fill_ililT1_llii.has_indirect_call, 0
	.section	.AMDGPU.csdata,"",@progbits
; Kernel info:
; codeLenInByte = 1852
; TotalNumSgprs: 43
; NumVgprs: 27
; NumAgprs: 0
; TotalNumVgprs: 27
; ScratchSize: 0
; MemoryBound: 0
; FloatMode: 240
; IeeeMode: 1
; LDSByteSize: 0 bytes/workgroup (compile time only)
; SGPRBlocks: 5
; VGPRBlocks: 3
; NumSGPRsForWavesPerEU: 43
; NumVGPRsForWavesPerEU: 27
; AccumOffset: 28
; Occupancy: 8
; WaveLimiterHint : 1
; COMPUTE_PGM_RSRC2:SCRATCH_EN: 0
; COMPUTE_PGM_RSRC2:USER_SGPR: 2
; COMPUTE_PGM_RSRC2:TRAP_HANDLER: 0
; COMPUTE_PGM_RSRC2:TGID_X_EN: 1
; COMPUTE_PGM_RSRC2:TGID_Y_EN: 0
; COMPUTE_PGM_RSRC2:TGID_Z_EN: 1
; COMPUTE_PGM_RSRC2:TIDIG_COMP_CNT: 0
; COMPUTE_PGM_RSRC3_GFX90A:ACCUM_OFFSET: 6
; COMPUTE_PGM_RSRC3_GFX90A:TG_SPLIT: 0
	.section	.text._ZL24rocblas_copy_matrix_trsmILi128ELi8EfPKPKfPKPfEviiiT2_ilT3_illli,"axG",@progbits,_ZL24rocblas_copy_matrix_trsmILi128ELi8EfPKPKfPKPfEviiiT2_ilT3_illli,comdat
	.globl	_ZL24rocblas_copy_matrix_trsmILi128ELi8EfPKPKfPKPfEviiiT2_ilT3_illli ; -- Begin function _ZL24rocblas_copy_matrix_trsmILi128ELi8EfPKPKfPKPfEviiiT2_ilT3_illli
	.p2align	8
	.type	_ZL24rocblas_copy_matrix_trsmILi128ELi8EfPKPKfPKPfEviiiT2_ilT3_illli,@function
_ZL24rocblas_copy_matrix_trsmILi128ELi8EfPKPKfPKPfEviiiT2_ilT3_illli: ; @_ZL24rocblas_copy_matrix_trsmILi128ELi8EfPKPKfPKPfEviiiT2_ilT3_illli
; %bb.0:
	s_load_dwordx2 s[8:9], s[0:1], 0x0
	v_and_b32_e32 v1, 0x3ff, v0
	v_mov_b32_e32 v3, 0
	v_bfe_u32 v0, v0, 10, 10
	v_lshl_add_u32 v2, s2, 7, v1
	v_lshl_add_u32 v0, s3, 3, v0
	v_mov_b32_e32 v1, v3
	s_waitcnt lgkmcnt(0)
	s_ashr_i32 s7, s9, 31
	s_mov_b32 s6, s9
	s_ashr_i32 s9, s8, 31
	v_cmp_gt_u64_e32 vcc, s[8:9], v[2:3]
	v_cmp_gt_u64_e64 s[2:3], s[6:7], v[0:1]
	s_and_b64 s[2:3], vcc, s[2:3]
	s_and_saveexec_b64 s[8:9], s[2:3]
	s_cbranch_execz .LBB65_3
; %bb.1:
	s_load_dword s18, s[0:1], 0x18
	s_load_dword s19, s[0:1], 0x30
	s_load_dwordx2 s[2:3], s[0:1], 0x10
	s_load_dwordx2 s[12:13], s[0:1], 0x28
	s_mov_b32 s5, 0
	s_waitcnt lgkmcnt(0)
	s_ashr_i32 s20, s18, 31
	s_ashr_i32 s21, s19, 31
	s_lshl_b64 s[14:15], s[4:5], 3
	s_add_u32 s2, s2, s14
	s_addc_u32 s3, s3, s15
	s_load_dwordx4 s[8:11], s[0:1], 0x40
	s_load_dword s4, s[0:1], 0x5c
	s_load_dwordx2 s[16:17], s[2:3], 0x0
	v_mad_u64_u32 v[4:5], s[2:3], s19, v0, 0
	v_mov_b32_e32 v6, v5
	s_add_u32 s0, s12, s14
	v_mad_u64_u32 v[6:7], s[2:3], s21, v0, v[6:7]
	s_addc_u32 s1, s13, s15
	v_mov_b32_e32 v5, v6
	s_waitcnt lgkmcnt(0)
	s_lshl_b64 s[2:3], s[10:11], 2
	s_load_dwordx2 s[0:1], s[0:1], 0x0
	v_lshl_add_u64 v[4:5], v[4:5], 2, s[2:3]
	v_lshlrev_b64 v[6:7], 2, v[2:3]
	v_lshl_add_u64 v[2:3], v[4:5], 0, v[6:7]
	v_mad_u64_u32 v[4:5], s[2:3], s18, v0, 0
	v_mov_b32_e32 v8, v5
	v_mad_u64_u32 v[8:9], s[2:3], s20, v0, v[8:9]
	s_lshl_b32 s4, s4, 3
	v_mov_b32_e32 v5, v8
	s_lshl_b64 s[2:3], s[8:9], 2
	s_waitcnt lgkmcnt(0)
	v_lshl_add_u64 v[2:3], s[0:1], 0, v[2:3]
	s_mul_i32 s21, s21, s4
	s_mul_hi_u32 s0, s19, s4
	v_lshl_add_u64 v[4:5], v[4:5], 2, s[2:3]
	s_mul_i32 s20, s20, s4
	s_mul_hi_u32 s2, s18, s4
	s_add_i32 s1, s0, s21
	s_mul_i32 s0, s19, s4
	v_lshl_add_u64 v[4:5], v[4:5], 0, v[6:7]
	s_add_i32 s3, s2, s20
	s_mul_i32 s2, s18, s4
	s_lshl_b64 s[0:1], s[0:1], 2
	v_lshl_add_u64 v[4:5], s[16:17], 0, v[4:5]
	s_lshl_b64 s[2:3], s[2:3], 2
	s_mov_b64 s[8:9], 0
.LBB65_2:                               ; =>This Inner Loop Header: Depth=1
	flat_load_dword v6, v[4:5]
	v_lshl_add_u64 v[0:1], v[0:1], 0, s[4:5]
	v_cmp_le_u64_e32 vcc, s[6:7], v[0:1]
	v_lshl_add_u64 v[4:5], v[4:5], 0, s[2:3]
	s_or_b64 s[8:9], vcc, s[8:9]
	s_waitcnt vmcnt(0) lgkmcnt(0)
	flat_store_dword v[2:3], v6
	v_lshl_add_u64 v[2:3], v[2:3], 0, s[0:1]
	s_andn2_b64 exec, exec, s[8:9]
	s_cbranch_execnz .LBB65_2
.LBB65_3:
	s_endpgm
	.section	.rodata,"a",@progbits
	.p2align	6, 0x0
	.amdhsa_kernel _ZL24rocblas_copy_matrix_trsmILi128ELi8EfPKPKfPKPfEviiiT2_ilT3_illli
		.amdhsa_group_segment_fixed_size 0
		.amdhsa_private_segment_fixed_size 0
		.amdhsa_kernarg_size 344
		.amdhsa_user_sgpr_count 2
		.amdhsa_user_sgpr_dispatch_ptr 0
		.amdhsa_user_sgpr_queue_ptr 0
		.amdhsa_user_sgpr_kernarg_segment_ptr 1
		.amdhsa_user_sgpr_dispatch_id 0
		.amdhsa_user_sgpr_kernarg_preload_length 0
		.amdhsa_user_sgpr_kernarg_preload_offset 0
		.amdhsa_user_sgpr_private_segment_size 0
		.amdhsa_uses_dynamic_stack 0
		.amdhsa_enable_private_segment 0
		.amdhsa_system_sgpr_workgroup_id_x 1
		.amdhsa_system_sgpr_workgroup_id_y 1
		.amdhsa_system_sgpr_workgroup_id_z 1
		.amdhsa_system_sgpr_workgroup_info 0
		.amdhsa_system_vgpr_workitem_id 1
		.amdhsa_next_free_vgpr 10
		.amdhsa_next_free_sgpr 22
		.amdhsa_accum_offset 12
		.amdhsa_reserve_vcc 1
		.amdhsa_float_round_mode_32 0
		.amdhsa_float_round_mode_16_64 0
		.amdhsa_float_denorm_mode_32 3
		.amdhsa_float_denorm_mode_16_64 3
		.amdhsa_dx10_clamp 1
		.amdhsa_ieee_mode 1
		.amdhsa_fp16_overflow 0
		.amdhsa_tg_split 0
		.amdhsa_exception_fp_ieee_invalid_op 0
		.amdhsa_exception_fp_denorm_src 0
		.amdhsa_exception_fp_ieee_div_zero 0
		.amdhsa_exception_fp_ieee_overflow 0
		.amdhsa_exception_fp_ieee_underflow 0
		.amdhsa_exception_fp_ieee_inexact 0
		.amdhsa_exception_int_div_zero 0
	.end_amdhsa_kernel
	.section	.text._ZL24rocblas_copy_matrix_trsmILi128ELi8EfPKPKfPKPfEviiiT2_ilT3_illli,"axG",@progbits,_ZL24rocblas_copy_matrix_trsmILi128ELi8EfPKPKfPKPfEviiiT2_ilT3_illli,comdat
.Lfunc_end65:
	.size	_ZL24rocblas_copy_matrix_trsmILi128ELi8EfPKPKfPKPfEviiiT2_ilT3_illli, .Lfunc_end65-_ZL24rocblas_copy_matrix_trsmILi128ELi8EfPKPKfPKPfEviiiT2_ilT3_illli
                                        ; -- End function
	.set _ZL24rocblas_copy_matrix_trsmILi128ELi8EfPKPKfPKPfEviiiT2_ilT3_illli.num_vgpr, 10
	.set _ZL24rocblas_copy_matrix_trsmILi128ELi8EfPKPKfPKPfEviiiT2_ilT3_illli.num_agpr, 0
	.set _ZL24rocblas_copy_matrix_trsmILi128ELi8EfPKPKfPKPfEviiiT2_ilT3_illli.numbered_sgpr, 22
	.set _ZL24rocblas_copy_matrix_trsmILi128ELi8EfPKPKfPKPfEviiiT2_ilT3_illli.num_named_barrier, 0
	.set _ZL24rocblas_copy_matrix_trsmILi128ELi8EfPKPKfPKPfEviiiT2_ilT3_illli.private_seg_size, 0
	.set _ZL24rocblas_copy_matrix_trsmILi128ELi8EfPKPKfPKPfEviiiT2_ilT3_illli.uses_vcc, 1
	.set _ZL24rocblas_copy_matrix_trsmILi128ELi8EfPKPKfPKPfEviiiT2_ilT3_illli.uses_flat_scratch, 0
	.set _ZL24rocblas_copy_matrix_trsmILi128ELi8EfPKPKfPKPfEviiiT2_ilT3_illli.has_dyn_sized_stack, 0
	.set _ZL24rocblas_copy_matrix_trsmILi128ELi8EfPKPKfPKPfEviiiT2_ilT3_illli.has_recursion, 0
	.set _ZL24rocblas_copy_matrix_trsmILi128ELi8EfPKPKfPKPfEviiiT2_ilT3_illli.has_indirect_call, 0
	.section	.AMDGPU.csdata,"",@progbits
; Kernel info:
; codeLenInByte = 420
; TotalNumSgprs: 28
; NumVgprs: 10
; NumAgprs: 0
; TotalNumVgprs: 10
; ScratchSize: 0
; MemoryBound: 0
; FloatMode: 240
; IeeeMode: 1
; LDSByteSize: 0 bytes/workgroup (compile time only)
; SGPRBlocks: 3
; VGPRBlocks: 1
; NumSGPRsForWavesPerEU: 28
; NumVGPRsForWavesPerEU: 10
; AccumOffset: 12
; Occupancy: 8
; WaveLimiterHint : 0
; COMPUTE_PGM_RSRC2:SCRATCH_EN: 0
; COMPUTE_PGM_RSRC2:USER_SGPR: 2
; COMPUTE_PGM_RSRC2:TRAP_HANDLER: 0
; COMPUTE_PGM_RSRC2:TGID_X_EN: 1
; COMPUTE_PGM_RSRC2:TGID_Y_EN: 1
; COMPUTE_PGM_RSRC2:TGID_Z_EN: 1
; COMPUTE_PGM_RSRC2:TIDIG_COMP_CNT: 1
; COMPUTE_PGM_RSRC3_GFX90A:ACCUM_OFFSET: 2
; COMPUTE_PGM_RSRC3_GFX90A:TG_SPLIT: 0
	.section	.text._ZL23rocblas_set_matrix_trsmILi128ELi8EdPKPdEvlliT2_llT1_li,"axG",@progbits,_ZL23rocblas_set_matrix_trsmILi128ELi8EdPKPdEvlliT2_llT1_li,comdat
	.globl	_ZL23rocblas_set_matrix_trsmILi128ELi8EdPKPdEvlliT2_llT1_li ; -- Begin function _ZL23rocblas_set_matrix_trsmILi128ELi8EdPKPdEvlliT2_llT1_li
	.p2align	8
	.type	_ZL23rocblas_set_matrix_trsmILi128ELi8EdPKPdEvlliT2_llT1_li,@function
_ZL23rocblas_set_matrix_trsmILi128ELi8EdPKPdEvlliT2_llT1_li: ; @_ZL23rocblas_set_matrix_trsmILi128ELi8EdPKPdEvlliT2_llT1_li
; %bb.0:
	s_load_dwordx4 s[8:11], s[0:1], 0x0
	v_and_b32_e32 v1, 0x3ff, v0
	v_mov_b32_e32 v3, 0
	v_bfe_u32 v0, v0, 10, 10
	v_lshl_add_u32 v2, s2, 7, v1
	v_lshl_add_u32 v0, s3, 3, v0
	v_mov_b32_e32 v1, v3
	s_waitcnt lgkmcnt(0)
	v_cmp_gt_u64_e32 vcc, s[8:9], v[2:3]
	v_cmp_gt_u64_e64 s[2:3], s[10:11], v[0:1]
	s_and_b64 s[2:3], vcc, s[2:3]
	s_and_saveexec_b64 s[6:7], s[2:3]
	s_cbranch_execz .LBB66_2
; %bb.1:
	s_load_dwordx4 s[8:11], s[0:1], 0x18
	s_load_dwordx2 s[2:3], s[0:1], 0x38
	s_mov_b32 s5, 0
	s_lshl_b64 s[0:1], s[4:5], 3
	s_waitcnt lgkmcnt(0)
	s_add_u32 s0, s8, s0
	s_addc_u32 s1, s9, s1
	s_load_dwordx2 s[0:1], s[0:1], 0x0
	v_mad_u64_u32 v[4:5], s[4:5], s10, v0, 0
	s_lshl_b64 s[2:3], s[2:3], 3
	v_mov_b32_e32 v6, v5
	s_waitcnt lgkmcnt(0)
	s_add_u32 s0, s0, s2
	s_addc_u32 s1, s1, s3
	v_mad_u64_u32 v[0:1], s[2:3], s11, v0, v[6:7]
	v_mov_b32_e32 v5, v0
	v_lshl_add_u64 v[0:1], v[4:5], 3, s[0:1]
	v_lshl_add_u64 v[0:1], v[2:3], 3, v[0:1]
	v_mov_b32_e32 v2, v3
	flat_store_dwordx2 v[0:1], v[2:3]
.LBB66_2:
	s_endpgm
	.section	.rodata,"a",@progbits
	.p2align	6, 0x0
	.amdhsa_kernel _ZL23rocblas_set_matrix_trsmILi128ELi8EdPKPdEvlliT2_llT1_li
		.amdhsa_group_segment_fixed_size 0
		.amdhsa_private_segment_fixed_size 0
		.amdhsa_kernarg_size 68
		.amdhsa_user_sgpr_count 2
		.amdhsa_user_sgpr_dispatch_ptr 0
		.amdhsa_user_sgpr_queue_ptr 0
		.amdhsa_user_sgpr_kernarg_segment_ptr 1
		.amdhsa_user_sgpr_dispatch_id 0
		.amdhsa_user_sgpr_kernarg_preload_length 0
		.amdhsa_user_sgpr_kernarg_preload_offset 0
		.amdhsa_user_sgpr_private_segment_size 0
		.amdhsa_uses_dynamic_stack 0
		.amdhsa_enable_private_segment 0
		.amdhsa_system_sgpr_workgroup_id_x 1
		.amdhsa_system_sgpr_workgroup_id_y 1
		.amdhsa_system_sgpr_workgroup_id_z 1
		.amdhsa_system_sgpr_workgroup_info 0
		.amdhsa_system_vgpr_workitem_id 1
		.amdhsa_next_free_vgpr 8
		.amdhsa_next_free_sgpr 12
		.amdhsa_accum_offset 8
		.amdhsa_reserve_vcc 1
		.amdhsa_float_round_mode_32 0
		.amdhsa_float_round_mode_16_64 0
		.amdhsa_float_denorm_mode_32 3
		.amdhsa_float_denorm_mode_16_64 3
		.amdhsa_dx10_clamp 1
		.amdhsa_ieee_mode 1
		.amdhsa_fp16_overflow 0
		.amdhsa_tg_split 0
		.amdhsa_exception_fp_ieee_invalid_op 0
		.amdhsa_exception_fp_denorm_src 0
		.amdhsa_exception_fp_ieee_div_zero 0
		.amdhsa_exception_fp_ieee_overflow 0
		.amdhsa_exception_fp_ieee_underflow 0
		.amdhsa_exception_fp_ieee_inexact 0
		.amdhsa_exception_int_div_zero 0
	.end_amdhsa_kernel
	.section	.text._ZL23rocblas_set_matrix_trsmILi128ELi8EdPKPdEvlliT2_llT1_li,"axG",@progbits,_ZL23rocblas_set_matrix_trsmILi128ELi8EdPKPdEvlliT2_llT1_li,comdat
.Lfunc_end66:
	.size	_ZL23rocblas_set_matrix_trsmILi128ELi8EdPKPdEvlliT2_llT1_li, .Lfunc_end66-_ZL23rocblas_set_matrix_trsmILi128ELi8EdPKPdEvlliT2_llT1_li
                                        ; -- End function
	.set _ZL23rocblas_set_matrix_trsmILi128ELi8EdPKPdEvlliT2_llT1_li.num_vgpr, 8
	.set _ZL23rocblas_set_matrix_trsmILi128ELi8EdPKPdEvlliT2_llT1_li.num_agpr, 0
	.set _ZL23rocblas_set_matrix_trsmILi128ELi8EdPKPdEvlliT2_llT1_li.numbered_sgpr, 12
	.set _ZL23rocblas_set_matrix_trsmILi128ELi8EdPKPdEvlliT2_llT1_li.num_named_barrier, 0
	.set _ZL23rocblas_set_matrix_trsmILi128ELi8EdPKPdEvlliT2_llT1_li.private_seg_size, 0
	.set _ZL23rocblas_set_matrix_trsmILi128ELi8EdPKPdEvlliT2_llT1_li.uses_vcc, 1
	.set _ZL23rocblas_set_matrix_trsmILi128ELi8EdPKPdEvlliT2_llT1_li.uses_flat_scratch, 0
	.set _ZL23rocblas_set_matrix_trsmILi128ELi8EdPKPdEvlliT2_llT1_li.has_dyn_sized_stack, 0
	.set _ZL23rocblas_set_matrix_trsmILi128ELi8EdPKPdEvlliT2_llT1_li.has_recursion, 0
	.set _ZL23rocblas_set_matrix_trsmILi128ELi8EdPKPdEvlliT2_llT1_li.has_indirect_call, 0
	.section	.AMDGPU.csdata,"",@progbits
; Kernel info:
; codeLenInByte = 192
; TotalNumSgprs: 18
; NumVgprs: 8
; NumAgprs: 0
; TotalNumVgprs: 8
; ScratchSize: 0
; MemoryBound: 0
; FloatMode: 240
; IeeeMode: 1
; LDSByteSize: 0 bytes/workgroup (compile time only)
; SGPRBlocks: 2
; VGPRBlocks: 0
; NumSGPRsForWavesPerEU: 18
; NumVGPRsForWavesPerEU: 8
; AccumOffset: 8
; Occupancy: 8
; WaveLimiterHint : 1
; COMPUTE_PGM_RSRC2:SCRATCH_EN: 0
; COMPUTE_PGM_RSRC2:USER_SGPR: 2
; COMPUTE_PGM_RSRC2:TRAP_HANDLER: 0
; COMPUTE_PGM_RSRC2:TGID_X_EN: 1
; COMPUTE_PGM_RSRC2:TGID_Y_EN: 1
; COMPUTE_PGM_RSRC2:TGID_Z_EN: 1
; COMPUTE_PGM_RSRC2:TIDIG_COMP_CNT: 1
; COMPUTE_PGM_RSRC3_GFX90A:ACCUM_OFFSET: 1
; COMPUTE_PGM_RSRC3_GFX90A:TG_SPLIT: 0
	.section	.text._ZL38rocblas_trsm_small_left_device_sharedBILi4ELi4ELb0EddPKPKdPKPdEv13rocblas_fill_18rocblas_operation_17rocblas_diagonal_iiT3_T4_lilT5_lili,"axG",@progbits,_ZL38rocblas_trsm_small_left_device_sharedBILi4ELi4ELb0EddPKPKdPKPdEv13rocblas_fill_18rocblas_operation_17rocblas_diagonal_iiT3_T4_lilT5_lili,comdat
	.globl	_ZL38rocblas_trsm_small_left_device_sharedBILi4ELi4ELb0EddPKPKdPKPdEv13rocblas_fill_18rocblas_operation_17rocblas_diagonal_iiT3_T4_lilT5_lili ; -- Begin function _ZL38rocblas_trsm_small_left_device_sharedBILi4ELi4ELb0EddPKPKdPKPdEv13rocblas_fill_18rocblas_operation_17rocblas_diagonal_iiT3_T4_lilT5_lili
	.p2align	8
	.type	_ZL38rocblas_trsm_small_left_device_sharedBILi4ELi4ELb0EddPKPKdPKPdEv13rocblas_fill_18rocblas_operation_17rocblas_diagonal_iiT3_T4_lilT5_lili,@function
_ZL38rocblas_trsm_small_left_device_sharedBILi4ELi4ELb0EddPKPKdPKPdEv13rocblas_fill_18rocblas_operation_17rocblas_diagonal_iiT3_T4_lilT5_lili: ; @_ZL38rocblas_trsm_small_left_device_sharedBILi4ELi4ELb0EddPKPKdPKPdEv13rocblas_fill_18rocblas_operation_17rocblas_diagonal_iiT3_T4_lilT5_lili
; %bb.0:
	s_load_dwordx2 s[18:19], s[0:1], 0x28
	s_load_dwordx4 s[12:15], s[0:1], 0x40
	s_load_dwordx4 s[4:7], s[0:1], 0x4
	;; [unrolled: 1-line block ×3, first 2 shown]
	s_mov_b32 s16, s3
	s_mov_b32 s17, 0
	s_lshl_b64 s[20:21], s[16:17], 3
	s_waitcnt lgkmcnt(0)
	s_add_u32 s12, s12, s20
	s_addc_u32 s13, s13, s21
	s_load_dwordx2 s[12:13], s[12:13], 0x0
	s_min_i32 s22, s6, 4
	v_cmp_gt_i32_e32 vcc, s22, v0
	s_and_saveexec_b64 s[16:17], vcc
	s_cbranch_execz .LBB67_6
; %bb.1:
	s_load_dword s24, s[0:1], 0x30
	v_lshlrev_b32_e32 v2, 3, v0
	v_mov_b32_e32 v3, 0
	v_mov_b32_e32 v1, v2
	s_mov_b32 s3, s22
	s_waitcnt lgkmcnt(0)
	s_ashr_i32 s25, s24, 31
	s_add_u32 s10, s10, s20
	s_addc_u32 s11, s11, s21
	s_load_dwordx2 s[10:11], s[10:11], 0x0
	s_lshl_b64 s[18:19], s[18:19], 3
	s_waitcnt lgkmcnt(0)
	s_add_u32 s18, s10, s18
	s_addc_u32 s19, s11, s19
	s_lshl_b64 s[10:11], s[24:25], 3
	v_lshl_add_u64 v[4:5], s[18:19], 0, v[2:3]
.LBB67_2:                               ; =>This Inner Loop Header: Depth=1
	flat_load_dwordx2 v[6:7], v[4:5]
	s_add_i32 s3, s3, -1
	v_lshl_add_u64 v[4:5], v[4:5], 0, s[10:11]
	s_cmp_eq_u32 s3, 0
	s_waitcnt vmcnt(0) lgkmcnt(0)
	ds_write_b64 v1, v[6:7]
	v_add_u32_e32 v1, 32, v1
	s_cbranch_scc0 .LBB67_2
; %bb.3:
	v_lshlrev_b32_e32 v1, 5, v0
	s_cmpk_lg_i32 s5, 0x84
	v_mov_b64_e32 v[4:5], 1.0
	v_add_u32_e32 v1, v2, v1
	s_cbranch_scc0 .LBB67_5
; %bb.4:
	ds_read_b64 v[2:3], v1
	s_waitcnt lgkmcnt(0)
	v_div_scale_f64 v[4:5], s[10:11], v[2:3], v[2:3], 1.0
	v_rcp_f64_e32 v[6:7], v[4:5]
	v_div_scale_f64 v[8:9], vcc, 1.0, v[2:3], 1.0
	v_fma_f64 v[10:11], -v[4:5], v[6:7], 1.0
	v_fmac_f64_e32 v[6:7], v[6:7], v[10:11]
	v_fma_f64 v[10:11], -v[4:5], v[6:7], 1.0
	v_fmac_f64_e32 v[6:7], v[6:7], v[10:11]
	v_mul_f64 v[10:11], v[8:9], v[6:7]
	v_fma_f64 v[4:5], -v[4:5], v[10:11], v[8:9]
	v_div_fmas_f64 v[4:5], v[4:5], v[6:7], v[10:11]
	v_div_fixup_f64 v[4:5], v[4:5], v[2:3], 1.0
.LBB67_5:
	ds_write_b64 v1, v[4:5]
.LBB67_6:
	s_or_b64 exec, exec, s[16:17]
	s_load_dword s3, s[0:1], 0x68
	s_load_dword s16, s[0:1], 0x50
	s_lshl_b64 s[0:1], s[14:15], 3
	s_waitcnt lgkmcnt(0)
	s_add_u32 s5, s12, s0
	s_addc_u32 s10, s13, s1
	s_lshl_b32 s0, s2, 2
	s_add_i32 s3, s3, -1
	s_sub_i32 s1, s7, s0
	s_cmp_ge_u32 s2, s3
	s_cselect_b32 s7, s1, 4
	s_mul_hi_i32 s1, s16, s0
	s_mul_i32 s0, s16, s0
	s_lshl_b64 s[0:1], s[0:1], 3
	s_add_u32 s2, s5, s0
	s_addc_u32 s3, s10, s1
	s_cmp_gt_i32 s6, 0
	v_cmp_gt_i32_e64 s[0:1], s7, v0
	s_cselect_b64 s[10:11], -1, 0
	s_and_b64 s[14:15], s[0:1], s[10:11]
	s_and_saveexec_b64 s[12:13], s[14:15]
	s_cbranch_execz .LBB67_9
; %bb.7:
	v_mad_i64_i32 v[2:3], s[14:15], s16, v0, 0
	v_mov_b32_e32 v1, 0x80
	v_lshl_add_u64 v[2:3], v[2:3], 3, s[2:3]
	v_lshl_or_b32 v1, v0, 3, v1
	s_mov_b32 s5, s22
.LBB67_8:                               ; =>This Inner Loop Header: Depth=1
	flat_load_dwordx2 v[4:5], v[2:3]
	s_add_i32 s5, s5, -1
	v_lshl_add_u64 v[2:3], v[2:3], 0, 8
	s_cmp_lg_u32 s5, 0
	s_waitcnt vmcnt(0) lgkmcnt(0)
	v_mul_f64 v[4:5], s[8:9], v[4:5]
	ds_write_b64 v1, v[4:5]
	v_add_u32_e32 v1, 32, v1
	s_cbranch_scc1 .LBB67_8
.LBB67_9:
	s_or_b64 exec, exec, s[12:13]
	v_mov_b32_e32 v1, 0x80
	s_cmpk_eq_i32 s4, 0x6f
	v_lshl_or_b32 v1, v0, 3, v1
	s_mov_b64 s[4:5], -1
	s_waitcnt lgkmcnt(0)
	; wave barrier
	s_cbranch_scc1 .LBB67_18
; %bb.10:
	s_cmp_gt_i32 s6, 3
	s_cbranch_scc0 .LBB67_12
; %bb.11:
	ds_read2_b64 v[2:5], v1 offset1:4
	v_mov_b32_e32 v24, 0
	ds_read2_b64 v[6:9], v24 offset1:10
	ds_read_b128 v[10:13], v24 offset:32
	ds_read2_b64 v[14:17], v1 offset0:8 offset1:12
	ds_read_b128 v[18:21], v24 offset:64
	s_mov_b32 s4, 4
	s_waitcnt lgkmcnt(3)
	v_mul_f64 v[6:7], v[2:3], v[6:7]
	s_waitcnt lgkmcnt(2)
	v_fma_f64 v[2:3], -v[6:7], v[10:11], v[4:5]
	v_mul_f64 v[22:23], v[2:3], v[12:13]
	ds_read_b128 v[2:5], v24 offset:96
	ds_read_b128 v[10:13], v24 offset:112
	s_waitcnt lgkmcnt(2)
	v_fma_f64 v[14:15], -v[6:7], v[18:19], v[14:15]
	v_fma_f64 v[14:15], -v[22:23], v[20:21], v[14:15]
	v_mul_f64 v[8:9], v[14:15], v[8:9]
	s_waitcnt lgkmcnt(1)
	v_fma_f64 v[2:3], -v[6:7], v[2:3], v[16:17]
	v_fma_f64 v[2:3], -v[22:23], v[4:5], v[2:3]
	s_waitcnt lgkmcnt(0)
	v_fma_f64 v[2:3], -v[8:9], v[10:11], v[2:3]
	v_mul_f64 v[2:3], v[2:3], v[12:13]
	ds_write2_b64 v1, v[6:7], v[22:23] offset1:4
	ds_write2_b64 v1, v[8:9], v[2:3] offset0:8 offset1:12
	s_cmp_ge_i32 s4, s22
	s_cbranch_scc0 .LBB67_13
	s_branch .LBB67_17
.LBB67_12:
	s_mov_b32 s4, 0
	s_cmp_ge_i32 s4, s22
	s_cbranch_scc1 .LBB67_17
.LBB67_13:
	v_mov_b32_e32 v2, 0x80
	s_lshl_b32 s5, s4, 5
	v_lshl_or_b32 v4, v0, 3, v2
	s_branch .LBB67_15
.LBB67_14:                              ;   in Loop: Header=BB67_15 Depth=1
	s_mul_i32 s7, s4, 40
	v_mov_b32_e32 v6, s7
	ds_read_b64 v[6:7], v6
	s_add_i32 s4, s4, 1
	s_add_i32 s5, s5, 32
	s_cmp_ge_i32 s4, s22
	s_waitcnt lgkmcnt(0)
	v_mul_f64 v[2:3], v[2:3], v[6:7]
	ds_write_b64 v5, v[2:3]
	s_cbranch_scc1 .LBB67_17
.LBB67_15:                              ; =>This Loop Header: Depth=1
                                        ;     Child Loop BB67_16 Depth 2
	s_lshl_b32 s7, s4, 5
	v_add_u32_e32 v5, s7, v1
	ds_read_b64 v[2:3], v5
	s_cmp_eq_u32 s4, 0
	v_mov_b32_e32 v6, v4
	s_mov_b32 s7, s4
	s_mov_b32 s8, s5
	s_cbranch_scc1 .LBB67_14
.LBB67_16:                              ;   Parent Loop BB67_15 Depth=1
                                        ; =>  This Inner Loop Header: Depth=2
	v_mov_b32_e32 v7, s8
	ds_read_b64 v[8:9], v6
	ds_read_b64 v[10:11], v7
	s_add_i32 s8, s8, 8
	s_add_i32 s7, s7, -1
	v_add_u32_e32 v6, 32, v6
	s_cmp_lg_u32 s7, 0
	s_waitcnt lgkmcnt(0)
	v_fma_f64 v[2:3], -v[8:9], v[10:11], v[2:3]
	s_cbranch_scc1 .LBB67_16
	s_branch .LBB67_14
.LBB67_17:
	s_mov_b64 s[4:5], 0
.LBB67_18:
	s_and_b64 vcc, exec, s[4:5]
	s_cbranch_vccz .LBB67_38
; %bb.19:
	s_add_i32 s4, s22, -1
	s_cmp_gt_i32 s6, 3
	s_mov_b32 s6, -1
	s_cbranch_scc0 .LBB67_21
; %bb.20:
	ds_read2_b64 v[2:5], v1 offset0:8 offset1:12
	v_mov_b32_e32 v26, 0
	ds_read_b128 v[6:9], v26 offset:112
	ds_read2_b64 v[10:13], v1 offset1:4
	ds_read2_b64 v[14:17], v26 offset1:10
	ds_read_b128 v[18:21], v26 offset:96
	s_waitcnt lgkmcnt(3)
	v_mul_f64 v[22:23], v[4:5], v[8:9]
	v_fma_f64 v[24:25], -v[22:23], v[6:7], v[2:3]
	ds_read_b128 v[2:5], v26 offset:64
	ds_read_b128 v[6:9], v26 offset:32
	s_waitcnt lgkmcnt(3)
	v_mul_f64 v[16:17], v[24:25], v[16:17]
	s_waitcnt lgkmcnt(2)
	v_fma_f64 v[12:13], -v[22:23], v[20:21], v[12:13]
	ds_write2_b64 v1, v[16:17], v[22:23] offset0:8 offset1:12
	s_waitcnt lgkmcnt(2)
	v_fma_f64 v[4:5], -v[16:17], v[4:5], v[12:13]
	s_waitcnt lgkmcnt(1)
	v_mul_f64 v[4:5], v[4:5], v[8:9]
	v_fma_f64 v[8:9], -v[22:23], v[18:19], v[10:11]
	v_fma_f64 v[2:3], -v[16:17], v[2:3], v[8:9]
	v_fma_f64 v[2:3], -v[4:5], v[6:7], v[2:3]
	v_mul_f64 v[2:3], v[2:3], v[14:15]
	ds_write2_b64 v1, v[2:3], v[4:5] offset1:4
	s_cmp_lt_i32 s6, 0
	s_cbranch_scc0 .LBB67_22
	s_branch .LBB67_38
.LBB67_21:
	s_mov_b32 s6, s4
	s_cmp_lt_i32 s6, 0
	s_cbranch_scc1 .LBB67_38
.LBB67_22:
	s_and_b32 s5, s6, 3
	s_cmp_eq_u32 s5, 3
	s_mov_b32 s5, s6
	s_cbranch_scc1 .LBB67_27
; %bb.23:
	s_add_i32 s5, s6, 1
	s_and_b32 s7, s5, 3
	s_lshl_b32 s5, s22, 5
	s_lshl_b32 s8, s6, 3
	s_add_i32 s8, s5, s8
	v_lshl_or_b32 v2, v0, 3, s5
	s_sub_i32 s8, s8, 32
	v_add_u32_e32 v4, 0x60, v2
	s_mov_b32 s9, 0
	s_mov_b32 s5, s6
	s_branch .LBB67_25
.LBB67_24:                              ;   in Loop: Header=BB67_25 Depth=1
	s_mul_i32 s12, s5, 40
	v_mov_b32_e32 v6, s12
	ds_read_b64 v[6:7], v6
	s_add_i32 s5, s5, -1
	s_add_i32 s9, s9, 1
	s_add_i32 s8, s8, -8
	s_cmp_lg_u32 s9, s7
	s_waitcnt lgkmcnt(0)
	v_mul_f64 v[2:3], v[2:3], v[6:7]
	ds_write_b64 v5, v[2:3]
	s_cbranch_scc0 .LBB67_27
.LBB67_25:                              ; =>This Loop Header: Depth=1
                                        ;     Child Loop BB67_26 Depth 2
	s_lshl_b32 s12, s5, 5
	v_add_u32_e32 v5, s12, v1
	ds_read_b64 v[2:3], v5
	s_cmp_le_i32 s4, s5
	v_mov_b32_e32 v6, v4
	s_mov_b32 s12, s8
	s_mov_b32 s13, s4
	s_cbranch_scc1 .LBB67_24
.LBB67_26:                              ;   Parent Loop BB67_25 Depth=1
                                        ; =>  This Inner Loop Header: Depth=2
	v_mov_b32_e32 v7, s12
	ds_read_b64 v[8:9], v6
	ds_read_b64 v[10:11], v7
	s_add_i32 s13, s13, -1
	s_sub_i32 s12, s12, 32
	v_subrev_u32_e32 v6, 32, v6
	s_cmp_gt_i32 s13, s5
	s_waitcnt lgkmcnt(0)
	v_fma_f64 v[2:3], -v[8:9], v[10:11], v[2:3]
	s_cbranch_scc1 .LBB67_26
	s_branch .LBB67_24
.LBB67_27:
	s_cmp_lt_u32 s6, 3
	s_cbranch_scc1 .LBB67_38
; %bb.28:
	s_lshl_b32 s7, s22, 5
	s_lshl_b32 s6, s5, 3
	s_add_i32 s9, s7, s6
	v_lshl_or_b32 v2, v0, 3, s7
	s_sub_i32 s6, s9, 32
	v_add_u32_e32 v6, 0x60, v2
	s_sub_i32 s7, s9, 40
	s_sub_i32 s8, s9, 48
	;; [unrolled: 1-line block ×3, first 2 shown]
	s_branch .LBB67_30
.LBB67_29:                              ;   in Loop: Header=BB67_30 Depth=1
	s_sub_i32 s12, s12, 40
	v_mov_b32_e32 v2, s12
	ds_read_b64 v[2:3], v2
	s_add_i32 s12, s5, -4
	s_sub_i32 s6, s6, 32
	s_sub_i32 s7, s7, 32
	;; [unrolled: 1-line block ×4, first 2 shown]
	s_waitcnt lgkmcnt(0)
	v_mul_f64 v[2:3], v[4:5], v[2:3]
	s_cmp_lt_i32 s5, 4
	s_mov_b32 s5, s12
	ds_write_b64 v8, v[2:3]
	s_cbranch_scc1 .LBB67_38
.LBB67_30:                              ; =>This Loop Header: Depth=1
                                        ;     Child Loop BB67_31 Depth 2
                                        ;     Child Loop BB67_33 Depth 2
	;; [unrolled: 1-line block ×4, first 2 shown]
	s_lshl_b32 s13, s5, 5
	v_add_u32_e32 v7, s13, v1
	ds_read_b64 v[2:3], v7
	s_cmp_le_i32 s4, s5
	v_mov_b32_e32 v4, v6
	s_mov_b32 s12, s6
	s_mov_b32 s14, s4
	s_cbranch_scc1 .LBB67_32
.LBB67_31:                              ;   Parent Loop BB67_30 Depth=1
                                        ; =>  This Inner Loop Header: Depth=2
	v_mov_b32_e32 v5, s12
	ds_read_b64 v[8:9], v4
	ds_read_b64 v[10:11], v5
	s_add_i32 s14, s14, -1
	s_sub_i32 s12, s12, 32
	v_subrev_u32_e32 v4, 32, v4
	s_cmp_gt_i32 s14, s5
	s_waitcnt lgkmcnt(0)
	v_fma_f64 v[2:3], -v[8:9], v[10:11], v[2:3]
	s_cbranch_scc1 .LBB67_31
.LBB67_32:                              ;   in Loop: Header=BB67_30 Depth=1
	s_mul_i32 s12, s5, 40
	v_mov_b32_e32 v4, s12
	ds_read_b64 v[10:11], v4
	s_sub_i32 s13, s13, 32
	v_add_u32_e32 v8, s13, v1
	ds_read_b64 v[4:5], v8
	s_cmp_le_i32 s22, s5
	s_waitcnt lgkmcnt(1)
	v_mul_f64 v[2:3], v[2:3], v[10:11]
	ds_write_b64 v7, v[2:3]
	v_mov_b32_e32 v2, v6
	s_mov_b32 s13, s7
	s_mov_b32 s14, s22
	s_cbranch_scc1 .LBB67_34
.LBB67_33:                              ;   Parent Loop BB67_30 Depth=1
                                        ; =>  This Inner Loop Header: Depth=2
	v_mov_b32_e32 v3, s13
	ds_read_b64 v[10:11], v2
	ds_read_b64 v[12:13], v3
	s_add_i32 s14, s14, -1
	s_sub_i32 s13, s13, 32
	v_subrev_u32_e32 v2, 32, v2
	s_cmp_gt_i32 s14, s5
	s_waitcnt lgkmcnt(0)
	v_fma_f64 v[4:5], -v[10:11], v[12:13], v[4:5]
	s_cbranch_scc1 .LBB67_33
.LBB67_34:                              ;   in Loop: Header=BB67_30 Depth=1
	s_sub_i32 s12, s12, 40
	v_mov_b32_e32 v2, s12
	s_add_i32 s13, s5, -2
	ds_read_b64 v[10:11], v2
	s_lshl_b32 s14, s13, 5
	v_add_u32_e32 v7, s14, v1
	ds_read_b64 v[2:3], v7
	s_cmp_le_i32 s4, s13
	s_waitcnt lgkmcnt(1)
	v_mul_f64 v[4:5], v[4:5], v[10:11]
	ds_write_b64 v8, v[4:5]
	v_mov_b32_e32 v4, v6
	s_mov_b32 s14, s8
	s_mov_b32 s15, s4
	s_cbranch_scc1 .LBB67_36
.LBB67_35:                              ;   Parent Loop BB67_30 Depth=1
                                        ; =>  This Inner Loop Header: Depth=2
	v_mov_b32_e32 v5, s14
	ds_read_b64 v[8:9], v4
	ds_read_b64 v[10:11], v5
	s_add_i32 s15, s15, -1
	s_sub_i32 s14, s14, 32
	v_subrev_u32_e32 v4, 32, v4
	s_cmp_gt_i32 s15, s13
	s_waitcnt lgkmcnt(0)
	v_fma_f64 v[2:3], -v[8:9], v[10:11], v[2:3]
	s_cbranch_scc1 .LBB67_35
.LBB67_36:                              ;   in Loop: Header=BB67_30 Depth=1
	s_sub_i32 s12, s12, 40
	v_mov_b32_e32 v4, s12
	s_add_i32 s13, s5, -3
	ds_read_b64 v[10:11], v4
	s_lshl_b32 s14, s13, 5
	v_add_u32_e32 v8, s14, v1
	ds_read_b64 v[4:5], v8
	s_cmp_le_i32 s4, s13
	s_waitcnt lgkmcnt(1)
	v_mul_f64 v[2:3], v[2:3], v[10:11]
	ds_write_b64 v7, v[2:3]
	v_mov_b32_e32 v2, v6
	s_mov_b32 s14, s9
	s_mov_b32 s15, s4
	s_cbranch_scc1 .LBB67_29
.LBB67_37:                              ;   Parent Loop BB67_30 Depth=1
                                        ; =>  This Inner Loop Header: Depth=2
	v_mov_b32_e32 v3, s14
	ds_read_b64 v[10:11], v2
	ds_read_b64 v[12:13], v3
	s_add_i32 s15, s15, -1
	s_sub_i32 s14, s14, 32
	v_subrev_u32_e32 v2, 32, v2
	s_cmp_gt_i32 s15, s13
	s_waitcnt lgkmcnt(0)
	v_fma_f64 v[4:5], -v[10:11], v[12:13], v[4:5]
	s_cbranch_scc1 .LBB67_37
	s_branch .LBB67_29
.LBB67_38:
	s_waitcnt lgkmcnt(0)
	; wave barrier
	s_and_saveexec_b64 s[4:5], s[0:1]
	s_cbranch_execz .LBB67_42
; %bb.39:
	s_andn2_b64 vcc, exec, s[10:11]
	s_cbranch_vccnz .LBB67_42
; %bb.40:
	v_mad_i64_i32 v[2:3], s[0:1], s16, v0, 0
	v_mov_b32_e32 v1, 0x80
	v_lshl_add_u64 v[2:3], v[2:3], 3, s[2:3]
	v_lshl_or_b32 v0, v0, 3, v1
.LBB67_41:                              ; =>This Inner Loop Header: Depth=1
	ds_read_b64 v[4:5], v0
	s_add_i32 s22, s22, -1
	v_add_u32_e32 v0, 32, v0
	s_cmp_lg_u32 s22, 0
	s_waitcnt lgkmcnt(0)
	flat_store_dwordx2 v[2:3], v[4:5]
	v_lshl_add_u64 v[2:3], v[2:3], 0, 8
	s_cbranch_scc1 .LBB67_41
.LBB67_42:
	s_endpgm
	.section	.rodata,"a",@progbits
	.p2align	6, 0x0
	.amdhsa_kernel _ZL38rocblas_trsm_small_left_device_sharedBILi4ELi4ELb0EddPKPKdPKPdEv13rocblas_fill_18rocblas_operation_17rocblas_diagonal_iiT3_T4_lilT5_lili
		.amdhsa_group_segment_fixed_size 256
		.amdhsa_private_segment_fixed_size 0
		.amdhsa_kernarg_size 360
		.amdhsa_user_sgpr_count 2
		.amdhsa_user_sgpr_dispatch_ptr 0
		.amdhsa_user_sgpr_queue_ptr 0
		.amdhsa_user_sgpr_kernarg_segment_ptr 1
		.amdhsa_user_sgpr_dispatch_id 0
		.amdhsa_user_sgpr_kernarg_preload_length 0
		.amdhsa_user_sgpr_kernarg_preload_offset 0
		.amdhsa_user_sgpr_private_segment_size 0
		.amdhsa_uses_dynamic_stack 0
		.amdhsa_enable_private_segment 0
		.amdhsa_system_sgpr_workgroup_id_x 1
		.amdhsa_system_sgpr_workgroup_id_y 0
		.amdhsa_system_sgpr_workgroup_id_z 1
		.amdhsa_system_sgpr_workgroup_info 0
		.amdhsa_system_vgpr_workitem_id 0
		.amdhsa_next_free_vgpr 27
		.amdhsa_next_free_sgpr 26
		.amdhsa_accum_offset 28
		.amdhsa_reserve_vcc 1
		.amdhsa_float_round_mode_32 0
		.amdhsa_float_round_mode_16_64 0
		.amdhsa_float_denorm_mode_32 3
		.amdhsa_float_denorm_mode_16_64 3
		.amdhsa_dx10_clamp 1
		.amdhsa_ieee_mode 1
		.amdhsa_fp16_overflow 0
		.amdhsa_tg_split 0
		.amdhsa_exception_fp_ieee_invalid_op 0
		.amdhsa_exception_fp_denorm_src 0
		.amdhsa_exception_fp_ieee_div_zero 0
		.amdhsa_exception_fp_ieee_overflow 0
		.amdhsa_exception_fp_ieee_underflow 0
		.amdhsa_exception_fp_ieee_inexact 0
		.amdhsa_exception_int_div_zero 0
	.end_amdhsa_kernel
	.section	.text._ZL38rocblas_trsm_small_left_device_sharedBILi4ELi4ELb0EddPKPKdPKPdEv13rocblas_fill_18rocblas_operation_17rocblas_diagonal_iiT3_T4_lilT5_lili,"axG",@progbits,_ZL38rocblas_trsm_small_left_device_sharedBILi4ELi4ELb0EddPKPKdPKPdEv13rocblas_fill_18rocblas_operation_17rocblas_diagonal_iiT3_T4_lilT5_lili,comdat
.Lfunc_end67:
	.size	_ZL38rocblas_trsm_small_left_device_sharedBILi4ELi4ELb0EddPKPKdPKPdEv13rocblas_fill_18rocblas_operation_17rocblas_diagonal_iiT3_T4_lilT5_lili, .Lfunc_end67-_ZL38rocblas_trsm_small_left_device_sharedBILi4ELi4ELb0EddPKPKdPKPdEv13rocblas_fill_18rocblas_operation_17rocblas_diagonal_iiT3_T4_lilT5_lili
                                        ; -- End function
	.set _ZL38rocblas_trsm_small_left_device_sharedBILi4ELi4ELb0EddPKPKdPKPdEv13rocblas_fill_18rocblas_operation_17rocblas_diagonal_iiT3_T4_lilT5_lili.num_vgpr, 27
	.set _ZL38rocblas_trsm_small_left_device_sharedBILi4ELi4ELb0EddPKPKdPKPdEv13rocblas_fill_18rocblas_operation_17rocblas_diagonal_iiT3_T4_lilT5_lili.num_agpr, 0
	.set _ZL38rocblas_trsm_small_left_device_sharedBILi4ELi4ELb0EddPKPKdPKPdEv13rocblas_fill_18rocblas_operation_17rocblas_diagonal_iiT3_T4_lilT5_lili.numbered_sgpr, 26
	.set _ZL38rocblas_trsm_small_left_device_sharedBILi4ELi4ELb0EddPKPKdPKPdEv13rocblas_fill_18rocblas_operation_17rocblas_diagonal_iiT3_T4_lilT5_lili.num_named_barrier, 0
	.set _ZL38rocblas_trsm_small_left_device_sharedBILi4ELi4ELb0EddPKPKdPKPdEv13rocblas_fill_18rocblas_operation_17rocblas_diagonal_iiT3_T4_lilT5_lili.private_seg_size, 0
	.set _ZL38rocblas_trsm_small_left_device_sharedBILi4ELi4ELb0EddPKPKdPKPdEv13rocblas_fill_18rocblas_operation_17rocblas_diagonal_iiT3_T4_lilT5_lili.uses_vcc, 1
	.set _ZL38rocblas_trsm_small_left_device_sharedBILi4ELi4ELb0EddPKPKdPKPdEv13rocblas_fill_18rocblas_operation_17rocblas_diagonal_iiT3_T4_lilT5_lili.uses_flat_scratch, 0
	.set _ZL38rocblas_trsm_small_left_device_sharedBILi4ELi4ELb0EddPKPKdPKPdEv13rocblas_fill_18rocblas_operation_17rocblas_diagonal_iiT3_T4_lilT5_lili.has_dyn_sized_stack, 0
	.set _ZL38rocblas_trsm_small_left_device_sharedBILi4ELi4ELb0EddPKPKdPKPdEv13rocblas_fill_18rocblas_operation_17rocblas_diagonal_iiT3_T4_lilT5_lili.has_recursion, 0
	.set _ZL38rocblas_trsm_small_left_device_sharedBILi4ELi4ELb0EddPKPKdPKPdEv13rocblas_fill_18rocblas_operation_17rocblas_diagonal_iiT3_T4_lilT5_lili.has_indirect_call, 0
	.section	.AMDGPU.csdata,"",@progbits
; Kernel info:
; codeLenInByte = 2064
; TotalNumSgprs: 32
; NumVgprs: 27
; NumAgprs: 0
; TotalNumVgprs: 27
; ScratchSize: 0
; MemoryBound: 0
; FloatMode: 240
; IeeeMode: 1
; LDSByteSize: 256 bytes/workgroup (compile time only)
; SGPRBlocks: 3
; VGPRBlocks: 3
; NumSGPRsForWavesPerEU: 32
; NumVGPRsForWavesPerEU: 27
; AccumOffset: 28
; Occupancy: 8
; WaveLimiterHint : 0
; COMPUTE_PGM_RSRC2:SCRATCH_EN: 0
; COMPUTE_PGM_RSRC2:USER_SGPR: 2
; COMPUTE_PGM_RSRC2:TRAP_HANDLER: 0
; COMPUTE_PGM_RSRC2:TGID_X_EN: 1
; COMPUTE_PGM_RSRC2:TGID_Y_EN: 0
; COMPUTE_PGM_RSRC2:TGID_Z_EN: 1
; COMPUTE_PGM_RSRC2:TIDIG_COMP_CNT: 0
; COMPUTE_PGM_RSRC3_GFX90A:ACCUM_OFFSET: 6
; COMPUTE_PGM_RSRC3_GFX90A:TG_SPLIT: 0
	.section	.text._ZL30rocblas_trsm_small_left_deviceILi4ELi4ELb0EddPKPKdPKPdEv13rocblas_fill_18rocblas_operation_17rocblas_diagonal_iiT3_T4_lilT5_lili,"axG",@progbits,_ZL30rocblas_trsm_small_left_deviceILi4ELi4ELb0EddPKPKdPKPdEv13rocblas_fill_18rocblas_operation_17rocblas_diagonal_iiT3_T4_lilT5_lili,comdat
	.globl	_ZL30rocblas_trsm_small_left_deviceILi4ELi4ELb0EddPKPKdPKPdEv13rocblas_fill_18rocblas_operation_17rocblas_diagonal_iiT3_T4_lilT5_lili ; -- Begin function _ZL30rocblas_trsm_small_left_deviceILi4ELi4ELb0EddPKPKdPKPdEv13rocblas_fill_18rocblas_operation_17rocblas_diagonal_iiT3_T4_lilT5_lili
	.p2align	8
	.type	_ZL30rocblas_trsm_small_left_deviceILi4ELi4ELb0EddPKPKdPKPdEv13rocblas_fill_18rocblas_operation_17rocblas_diagonal_iiT3_T4_lilT5_lili,@function
_ZL30rocblas_trsm_small_left_deviceILi4ELi4ELb0EddPKPKdPKPdEv13rocblas_fill_18rocblas_operation_17rocblas_diagonal_iiT3_T4_lilT5_lili: ; @_ZL30rocblas_trsm_small_left_deviceILi4ELi4ELb0EddPKPKdPKPdEv13rocblas_fill_18rocblas_operation_17rocblas_diagonal_iiT3_T4_lilT5_lili
; %bb.0:
	s_load_dwordx2 s[18:19], s[0:1], 0x28
	s_load_dwordx4 s[12:15], s[0:1], 0x40
	s_load_dwordx4 s[8:11], s[0:1], 0x4
	;; [unrolled: 1-line block ×3, first 2 shown]
	s_mov_b32 s16, s3
	s_mov_b32 s17, 0
	s_lshl_b64 s[20:21], s[16:17], 3
	s_waitcnt lgkmcnt(0)
	s_add_u32 s12, s12, s20
	s_addc_u32 s13, s13, s21
	s_load_dwordx2 s[12:13], s[12:13], 0x0
	s_min_i32 s22, s10, 4
	v_cmp_gt_i32_e32 vcc, s22, v0
	s_and_saveexec_b64 s[16:17], vcc
	s_cbranch_execz .LBB68_6
; %bb.1:
	s_load_dword s24, s[0:1], 0x30
	v_lshlrev_b32_e32 v2, 3, v0
	v_mov_b32_e32 v3, 0
	v_mov_b32_e32 v1, v2
	s_mov_b32 s3, s22
	s_waitcnt lgkmcnt(0)
	s_ashr_i32 s25, s24, 31
	s_add_u32 s6, s6, s20
	s_addc_u32 s7, s7, s21
	s_load_dwordx2 s[6:7], s[6:7], 0x0
	s_lshl_b64 s[18:19], s[18:19], 3
	s_waitcnt lgkmcnt(0)
	s_add_u32 s18, s6, s18
	s_addc_u32 s19, s7, s19
	s_lshl_b64 s[6:7], s[24:25], 3
	v_lshl_add_u64 v[4:5], s[18:19], 0, v[2:3]
.LBB68_2:                               ; =>This Inner Loop Header: Depth=1
	flat_load_dwordx2 v[6:7], v[4:5]
	s_add_i32 s3, s3, -1
	v_lshl_add_u64 v[4:5], v[4:5], 0, s[6:7]
	s_cmp_eq_u32 s3, 0
	s_waitcnt vmcnt(0) lgkmcnt(0)
	ds_write_b64 v1, v[6:7]
	v_add_u32_e32 v1, 32, v1
	s_cbranch_scc0 .LBB68_2
; %bb.3:
	v_lshlrev_b32_e32 v1, 5, v0
	s_cmpk_lg_i32 s9, 0x84
	v_mov_b64_e32 v[4:5], 1.0
	v_add_u32_e32 v1, v2, v1
	s_cbranch_scc0 .LBB68_5
; %bb.4:
	ds_read_b64 v[2:3], v1
	s_waitcnt lgkmcnt(0)
	v_div_scale_f64 v[4:5], s[6:7], v[2:3], v[2:3], 1.0
	v_rcp_f64_e32 v[6:7], v[4:5]
	v_div_scale_f64 v[8:9], vcc, 1.0, v[2:3], 1.0
	v_fma_f64 v[10:11], -v[4:5], v[6:7], 1.0
	v_fmac_f64_e32 v[6:7], v[6:7], v[10:11]
	v_fma_f64 v[10:11], -v[4:5], v[6:7], 1.0
	v_fmac_f64_e32 v[6:7], v[6:7], v[10:11]
	v_mul_f64 v[10:11], v[8:9], v[6:7]
	v_fma_f64 v[4:5], -v[4:5], v[10:11], v[8:9]
	v_div_fmas_f64 v[4:5], v[4:5], v[6:7], v[10:11]
	v_div_fixup_f64 v[4:5], v[4:5], v[2:3], 1.0
.LBB68_5:
	ds_write_b64 v1, v[4:5]
.LBB68_6:
	s_or_b64 exec, exec, s[16:17]
	s_load_dword s3, s[0:1], 0x68
	s_waitcnt lgkmcnt(0)
	; wave barrier
	s_add_i32 s6, s3, -1
	s_lshl_b32 s3, s2, 2
	s_sub_i32 s7, s11, s3
	s_cmp_ge_u32 s2, s6
	s_cselect_b32 s2, s7, 4
	v_cmp_gt_i32_e32 vcc, s2, v0
	s_and_saveexec_b64 s[6:7], vcc
	s_cbranch_execz .LBB68_36
; %bb.7:
	s_load_dword s2, s[0:1], 0x50
	s_lshl_b64 s[0:1], s[14:15], 3
	s_add_u32 s0, s12, s0
	v_add_u32_e32 v0, s3, v0
	s_addc_u32 s1, s13, s1
	s_waitcnt lgkmcnt(0)
	v_mad_i64_i32 v[0:1], s[2:3], s2, v0, 0
	v_lshl_add_u64 v[0:1], v[0:1], 3, s[0:1]
	s_cmpk_eq_i32 s8, 0x6f
	s_mov_b64 s[0:1], -1
	s_cbranch_scc1 .LBB68_16
; %bb.8:
	s_cmp_gt_i32 s10, 3
	s_cbranch_scc0 .LBB68_10
; %bb.9:
	flat_load_dwordx4 v[2:5], v[0:1]
	flat_load_dwordx4 v[6:9], v[0:1] offset:16
	v_mov_b32_e32 v18, 0
	ds_read_b64 v[10:11], v18
	s_mov_b32 s0, 4
	s_waitcnt vmcnt(0) lgkmcnt(0)
	v_mul_f64 v[2:3], s[4:5], v[2:3]
	v_mul_f64 v[14:15], v[2:3], v[10:11]
	flat_store_dwordx2 v[0:1], v[14:15]
	ds_read_b128 v[10:13], v18 offset:32
	s_waitcnt lgkmcnt(0)
	v_mul_f64 v[2:3], v[14:15], v[10:11]
	v_fma_f64 v[2:3], s[4:5], v[4:5], -v[2:3]
	v_mul_f64 v[16:17], v[2:3], v[12:13]
	flat_store_dwordx2 v[0:1], v[16:17] offset:8
	ds_read_b128 v[2:5], v18 offset:64
	ds_read_b64 v[10:11], v18 offset:80
	s_waitcnt lgkmcnt(0)
	v_mul_f64 v[2:3], v[14:15], v[2:3]
	v_fma_f64 v[2:3], s[4:5], v[6:7], -v[2:3]
	v_fma_f64 v[2:3], -v[16:17], v[4:5], v[2:3]
	v_mul_f64 v[6:7], v[2:3], v[10:11]
	flat_store_dwordx2 v[0:1], v[6:7] offset:16
	ds_read_b128 v[2:5], v18 offset:96
	ds_read_b128 v[10:13], v18 offset:112
	s_waitcnt lgkmcnt(0)
	v_mul_f64 v[2:3], v[14:15], v[2:3]
	v_fma_f64 v[2:3], s[4:5], v[8:9], -v[2:3]
	v_fma_f64 v[2:3], -v[16:17], v[4:5], v[2:3]
	v_fma_f64 v[2:3], -v[6:7], v[10:11], v[2:3]
	v_mul_f64 v[2:3], v[2:3], v[12:13]
	flat_store_dwordx2 v[0:1], v[2:3] offset:24
	s_cmp_ge_i32 s0, s22
	s_cbranch_scc0 .LBB68_11
	s_branch .LBB68_15
.LBB68_10:
	s_mov_b32 s0, 0
	s_cmp_ge_i32 s0, s22
	s_cbranch_scc1 .LBB68_15
.LBB68_11:
	s_lshl_b32 s2, s0, 5
	s_mov_b32 s1, 0
	s_branch .LBB68_13
.LBB68_12:                              ;   in Loop: Header=BB68_13 Depth=1
	s_mul_i32 s3, s0, 40
	v_mov_b32_e32 v6, s3
	ds_read_b64 v[6:7], v6
	s_add_i32 s0, s0, 1
	s_add_i32 s2, s2, 32
	s_cmp_ge_i32 s0, s22
	s_waitcnt lgkmcnt(0)
	v_mul_f64 v[4:5], v[4:5], v[6:7]
	flat_store_dwordx2 v[2:3], v[4:5]
	s_cbranch_scc1 .LBB68_15
.LBB68_13:                              ; =>This Loop Header: Depth=1
                                        ;     Child Loop BB68_14 Depth 2
	v_lshl_add_u64 v[2:3], s[0:1], 3, v[0:1]
	flat_load_dwordx2 v[4:5], v[2:3]
	s_cmp_eq_u32 s0, 0
	v_mov_b64_e32 v[6:7], v[0:1]
	s_mov_b32 s3, s0
	s_mov_b32 s6, s2
	s_waitcnt vmcnt(0) lgkmcnt(0)
	v_mul_f64 v[4:5], s[4:5], v[4:5]
	s_cbranch_scc1 .LBB68_12
.LBB68_14:                              ;   Parent Loop BB68_13 Depth=1
                                        ; =>  This Inner Loop Header: Depth=2
	flat_load_dwordx2 v[8:9], v[6:7]
	v_mov_b32_e32 v10, s6
	ds_read_b64 v[10:11], v10
	s_add_i32 s6, s6, 8
	s_add_i32 s3, s3, -1
	v_lshl_add_u64 v[6:7], v[6:7], 0, 8
	s_cmp_lg_u32 s3, 0
	s_waitcnt vmcnt(0) lgkmcnt(0)
	v_fma_f64 v[4:5], -v[8:9], v[10:11], v[4:5]
	s_cbranch_scc1 .LBB68_14
	s_branch .LBB68_12
.LBB68_15:
	s_mov_b64 s[0:1], 0
.LBB68_16:
	s_and_b64 vcc, exec, s[0:1]
	s_cbranch_vccz .LBB68_36
; %bb.17:
	s_add_i32 s8, s22, -1
	s_cmp_gt_i32 s10, 3
	s_mov_b32 s6, -1
	s_cbranch_scc0 .LBB68_19
; %bb.18:
	flat_load_dwordx4 v[2:5], v[0:1] offset:16
	flat_load_dwordx4 v[6:9], v[0:1]
	v_mov_b32_e32 v18, 0
	ds_read_b64 v[10:11], v18 offset:120
	s_waitcnt vmcnt(0) lgkmcnt(0)
	v_mul_f64 v[4:5], s[4:5], v[4:5]
	v_mul_f64 v[10:11], v[4:5], v[10:11]
	flat_store_dwordx2 v[0:1], v[10:11] offset:24
	ds_read_b64 v[4:5], v18 offset:112
	ds_read_b64 v[12:13], v18 offset:80
	s_waitcnt lgkmcnt(0)
	v_mul_f64 v[4:5], v[10:11], v[4:5]
	v_fma_f64 v[2:3], s[4:5], v[2:3], -v[4:5]
	v_mul_f64 v[12:13], v[2:3], v[12:13]
	flat_store_dwordx2 v[0:1], v[12:13] offset:16
	ds_read_b64 v[2:3], v18 offset:104
	ds_read_b64 v[4:5], v18 offset:72
	ds_read_b64 v[14:15], v18 offset:40
	s_waitcnt lgkmcnt(0)
	v_mul_f64 v[2:3], v[10:11], v[2:3]
	v_fma_f64 v[2:3], s[4:5], v[8:9], -v[2:3]
	v_fma_f64 v[2:3], -v[12:13], v[4:5], v[2:3]
	v_mul_f64 v[8:9], v[2:3], v[14:15]
	flat_store_dwordx2 v[0:1], v[8:9] offset:8
	ds_read_b64 v[14:15], v18 offset:96
	ds_read_b64 v[16:17], v18 offset:64
	ds_read2_b64 v[2:5], v18 offset1:4
	s_waitcnt lgkmcnt(0)
	v_mul_f64 v[10:11], v[10:11], v[14:15]
	v_fma_f64 v[6:7], s[4:5], v[6:7], -v[10:11]
	v_fma_f64 v[6:7], -v[12:13], v[16:17], v[6:7]
	v_fma_f64 v[4:5], -v[8:9], v[4:5], v[6:7]
	v_mul_f64 v[2:3], v[4:5], v[2:3]
	flat_store_dwordx2 v[0:1], v[2:3]
	s_cmp_lt_i32 s6, 0
	s_cbranch_scc0 .LBB68_20
	s_branch .LBB68_36
.LBB68_19:
	s_mov_b32 s6, s8
	s_cmp_lt_i32 s6, 0
	s_cbranch_scc1 .LBB68_36
.LBB68_20:
	s_and_b32 s0, s6, 3
	s_cmp_eq_u32 s0, 3
	s_mov_b32 s0, s6
	s_cbranch_scc1 .LBB68_25
; %bb.21:
	s_add_i32 s0, s6, 1
	s_and_b32 s7, s0, 3
	s_lshl_b32 s0, s22, 5
	s_lshl_b32 s1, s6, 3
	s_add_i32 s0, s0, s1
	s_sub_i32 s9, s0, 32
	s_mov_b32 s3, 0
	s_mov_b32 s0, s6
	;; [unrolled: 1-line block ×3, first 2 shown]
	s_branch .LBB68_23
.LBB68_22:                              ;   in Loop: Header=BB68_23 Depth=1
	s_mul_i32 s1, s0, 40
	v_mov_b32_e32 v6, s1
	ds_read_b64 v[6:7], v6
	s_add_i32 s0, s0, -1
	s_add_i32 s10, s10, 1
	s_add_i32 s9, s9, -8
	s_cmp_lg_u32 s10, s7
	s_waitcnt lgkmcnt(0)
	v_mul_f64 v[4:5], v[4:5], v[6:7]
	flat_store_dwordx2 v[2:3], v[4:5]
	s_cbranch_scc0 .LBB68_25
.LBB68_23:                              ; =>This Loop Header: Depth=1
                                        ;     Child Loop BB68_24 Depth 2
	s_mov_b32 s1, s3
	v_lshl_add_u64 v[2:3], s[0:1], 3, v[0:1]
	flat_load_dwordx2 v[4:5], v[2:3]
	s_cmp_le_i32 s8, s0
	s_mov_b32 s1, s9
	s_mov_b32 s2, s8
	s_waitcnt vmcnt(0) lgkmcnt(0)
	v_mul_f64 v[4:5], s[4:5], v[4:5]
	s_cbranch_scc1 .LBB68_22
.LBB68_24:                              ;   Parent Loop BB68_23 Depth=1
                                        ; =>  This Inner Loop Header: Depth=2
	v_lshl_add_u64 v[6:7], s[2:3], 3, v[0:1]
	flat_load_dwordx2 v[6:7], v[6:7]
	v_mov_b32_e32 v8, s1
	ds_read_b64 v[8:9], v8
	s_add_i32 s2, s2, -1
	s_sub_i32 s1, s1, 32
	s_cmp_gt_i32 s2, s0
	s_waitcnt vmcnt(0) lgkmcnt(0)
	v_fma_f64 v[4:5], -v[6:7], v[8:9], v[4:5]
	s_cbranch_scc1 .LBB68_24
	s_branch .LBB68_22
.LBB68_25:
	s_cmp_lt_u32 s6, 3
	s_cbranch_scc1 .LBB68_36
; %bb.26:
	s_lshl_b32 s1, s22, 5
	s_lshl_b32 s2, s0, 3
	s_add_i32 s1, s1, s2
	s_sub_i32 s9, s1, 32
	s_sub_i32 s10, s1, 40
	s_sub_i32 s11, s1, 48
	s_sub_i32 s12, s1, 56
	s_mov_b32 s3, 0
	s_branch .LBB68_28
.LBB68_27:                              ;   in Loop: Header=BB68_28 Depth=1
	s_sub_i32 s1, s1, 40
	v_mov_b32_e32 v6, s1
	ds_read_b64 v[6:7], v6
	s_add_i32 s1, s0, -4
	s_sub_i32 s9, s9, 32
	s_sub_i32 s10, s10, 32
	;; [unrolled: 1-line block ×4, first 2 shown]
	s_waitcnt lgkmcnt(0)
	v_mul_f64 v[4:5], v[4:5], v[6:7]
	s_cmp_lt_i32 s0, 4
	s_mov_b32 s0, s1
	flat_store_dwordx2 v[2:3], v[4:5]
	s_cbranch_scc1 .LBB68_36
.LBB68_28:                              ; =>This Loop Header: Depth=1
                                        ;     Child Loop BB68_29 Depth 2
                                        ;     Child Loop BB68_31 Depth 2
	;; [unrolled: 1-line block ×4, first 2 shown]
	s_mov_b32 s1, s3
	v_lshl_add_u64 v[4:5], s[0:1], 3, v[0:1]
	flat_load_dwordx2 v[2:3], v[4:5]
	s_cmp_le_i32 s8, s0
	s_mov_b32 s1, s9
	s_mov_b32 s2, s8
	s_waitcnt vmcnt(0) lgkmcnt(0)
	v_mul_f64 v[6:7], s[4:5], v[2:3]
	s_cbranch_scc1 .LBB68_30
.LBB68_29:                              ;   Parent Loop BB68_28 Depth=1
                                        ; =>  This Inner Loop Header: Depth=2
	v_lshl_add_u64 v[2:3], s[2:3], 3, v[0:1]
	flat_load_dwordx2 v[2:3], v[2:3]
	v_mov_b32_e32 v8, s1
	ds_read_b64 v[8:9], v8
	s_add_i32 s2, s2, -1
	s_sub_i32 s1, s1, 32
	s_cmp_gt_i32 s2, s0
	s_waitcnt vmcnt(0) lgkmcnt(0)
	v_fma_f64 v[6:7], -v[2:3], v[8:9], v[6:7]
	s_cbranch_scc1 .LBB68_29
.LBB68_30:                              ;   in Loop: Header=BB68_28 Depth=1
	s_add_i32 s2, s0, -1
	v_lshl_add_u64 v[2:3], s[2:3], 3, v[0:1]
	flat_load_dwordx2 v[8:9], v[2:3]
	s_mul_i32 s1, s0, 40
	v_mov_b32_e32 v10, s1
	ds_read_b64 v[10:11], v10
	s_mov_b32 s6, s10
	s_cmp_le_i32 s22, s0
	s_mov_b32 s2, s22
	s_waitcnt lgkmcnt(0)
	v_mul_f64 v[6:7], v[6:7], v[10:11]
	flat_store_dwordx2 v[4:5], v[6:7]
	s_waitcnt vmcnt(0)
	v_mul_f64 v[6:7], s[4:5], v[8:9]
	s_cbranch_scc1 .LBB68_32
.LBB68_31:                              ;   Parent Loop BB68_28 Depth=1
                                        ; =>  This Inner Loop Header: Depth=2
	s_add_i32 s2, s2, -1
	v_lshl_add_u64 v[4:5], s[2:3], 3, v[0:1]
	flat_load_dwordx2 v[4:5], v[4:5]
	v_mov_b32_e32 v8, s6
	ds_read_b64 v[8:9], v8
	s_sub_i32 s6, s6, 32
	s_cmp_gt_i32 s2, s0
	s_waitcnt vmcnt(0) lgkmcnt(0)
	v_fma_f64 v[6:7], -v[4:5], v[8:9], v[6:7]
	s_cbranch_scc1 .LBB68_31
.LBB68_32:                              ;   in Loop: Header=BB68_28 Depth=1
	s_add_i32 s6, s0, -2
	s_mov_b32 s7, s3
	v_lshl_add_u64 v[4:5], s[6:7], 3, v[0:1]
	flat_load_dwordx2 v[8:9], v[4:5]
	s_sub_i32 s1, s1, 40
	v_mov_b32_e32 v10, s1
	ds_read_b64 v[10:11], v10
	s_mov_b32 s7, s11
	s_cmp_le_i32 s8, s6
	s_mov_b32 s2, s8
	s_waitcnt lgkmcnt(0)
	v_mul_f64 v[6:7], v[6:7], v[10:11]
	flat_store_dwordx2 v[2:3], v[6:7]
	s_waitcnt vmcnt(0)
	v_mul_f64 v[6:7], s[4:5], v[8:9]
	s_cbranch_scc1 .LBB68_34
.LBB68_33:                              ;   Parent Loop BB68_28 Depth=1
                                        ; =>  This Inner Loop Header: Depth=2
	v_lshl_add_u64 v[2:3], s[2:3], 3, v[0:1]
	flat_load_dwordx2 v[2:3], v[2:3]
	v_mov_b32_e32 v8, s7
	ds_read_b64 v[8:9], v8
	s_add_i32 s2, s2, -1
	s_sub_i32 s7, s7, 32
	s_cmp_gt_i32 s2, s6
	s_waitcnt vmcnt(0) lgkmcnt(0)
	v_fma_f64 v[6:7], -v[2:3], v[8:9], v[6:7]
	s_cbranch_scc1 .LBB68_33
.LBB68_34:                              ;   in Loop: Header=BB68_28 Depth=1
	s_add_i32 s6, s0, -3
	s_mov_b32 s7, s3
	v_lshl_add_u64 v[2:3], s[6:7], 3, v[0:1]
	flat_load_dwordx2 v[8:9], v[2:3]
	s_sub_i32 s1, s1, 40
	v_mov_b32_e32 v10, s1
	ds_read_b64 v[10:11], v10
	s_mov_b32 s7, s12
	s_cmp_le_i32 s8, s6
	s_mov_b32 s2, s8
	s_waitcnt lgkmcnt(0)
	v_mul_f64 v[6:7], v[6:7], v[10:11]
	flat_store_dwordx2 v[4:5], v[6:7]
	s_waitcnt vmcnt(0)
	v_mul_f64 v[4:5], s[4:5], v[8:9]
	s_cbranch_scc1 .LBB68_27
.LBB68_35:                              ;   Parent Loop BB68_28 Depth=1
                                        ; =>  This Inner Loop Header: Depth=2
	v_lshl_add_u64 v[6:7], s[2:3], 3, v[0:1]
	flat_load_dwordx2 v[6:7], v[6:7]
	v_mov_b32_e32 v8, s7
	ds_read_b64 v[8:9], v8
	s_add_i32 s2, s2, -1
	s_sub_i32 s7, s7, 32
	s_cmp_gt_i32 s2, s6
	s_waitcnt vmcnt(0) lgkmcnt(0)
	v_fma_f64 v[4:5], -v[6:7], v[8:9], v[4:5]
	s_cbranch_scc1 .LBB68_35
	s_branch .LBB68_27
.LBB68_36:
	s_endpgm
	.section	.rodata,"a",@progbits
	.p2align	6, 0x0
	.amdhsa_kernel _ZL30rocblas_trsm_small_left_deviceILi4ELi4ELb0EddPKPKdPKPdEv13rocblas_fill_18rocblas_operation_17rocblas_diagonal_iiT3_T4_lilT5_lili
		.amdhsa_group_segment_fixed_size 128
		.amdhsa_private_segment_fixed_size 0
		.amdhsa_kernarg_size 360
		.amdhsa_user_sgpr_count 2
		.amdhsa_user_sgpr_dispatch_ptr 0
		.amdhsa_user_sgpr_queue_ptr 0
		.amdhsa_user_sgpr_kernarg_segment_ptr 1
		.amdhsa_user_sgpr_dispatch_id 0
		.amdhsa_user_sgpr_kernarg_preload_length 0
		.amdhsa_user_sgpr_kernarg_preload_offset 0
		.amdhsa_user_sgpr_private_segment_size 0
		.amdhsa_uses_dynamic_stack 0
		.amdhsa_enable_private_segment 0
		.amdhsa_system_sgpr_workgroup_id_x 1
		.amdhsa_system_sgpr_workgroup_id_y 0
		.amdhsa_system_sgpr_workgroup_id_z 1
		.amdhsa_system_sgpr_workgroup_info 0
		.amdhsa_system_vgpr_workitem_id 0
		.amdhsa_next_free_vgpr 19
		.amdhsa_next_free_sgpr 26
		.amdhsa_accum_offset 20
		.amdhsa_reserve_vcc 1
		.amdhsa_float_round_mode_32 0
		.amdhsa_float_round_mode_16_64 0
		.amdhsa_float_denorm_mode_32 3
		.amdhsa_float_denorm_mode_16_64 3
		.amdhsa_dx10_clamp 1
		.amdhsa_ieee_mode 1
		.amdhsa_fp16_overflow 0
		.amdhsa_tg_split 0
		.amdhsa_exception_fp_ieee_invalid_op 0
		.amdhsa_exception_fp_denorm_src 0
		.amdhsa_exception_fp_ieee_div_zero 0
		.amdhsa_exception_fp_ieee_overflow 0
		.amdhsa_exception_fp_ieee_underflow 0
		.amdhsa_exception_fp_ieee_inexact 0
		.amdhsa_exception_int_div_zero 0
	.end_amdhsa_kernel
	.section	.text._ZL30rocblas_trsm_small_left_deviceILi4ELi4ELb0EddPKPKdPKPdEv13rocblas_fill_18rocblas_operation_17rocblas_diagonal_iiT3_T4_lilT5_lili,"axG",@progbits,_ZL30rocblas_trsm_small_left_deviceILi4ELi4ELb0EddPKPKdPKPdEv13rocblas_fill_18rocblas_operation_17rocblas_diagonal_iiT3_T4_lilT5_lili,comdat
.Lfunc_end68:
	.size	_ZL30rocblas_trsm_small_left_deviceILi4ELi4ELb0EddPKPKdPKPdEv13rocblas_fill_18rocblas_operation_17rocblas_diagonal_iiT3_T4_lilT5_lili, .Lfunc_end68-_ZL30rocblas_trsm_small_left_deviceILi4ELi4ELb0EddPKPKdPKPdEv13rocblas_fill_18rocblas_operation_17rocblas_diagonal_iiT3_T4_lilT5_lili
                                        ; -- End function
	.set _ZL30rocblas_trsm_small_left_deviceILi4ELi4ELb0EddPKPKdPKPdEv13rocblas_fill_18rocblas_operation_17rocblas_diagonal_iiT3_T4_lilT5_lili.num_vgpr, 19
	.set _ZL30rocblas_trsm_small_left_deviceILi4ELi4ELb0EddPKPKdPKPdEv13rocblas_fill_18rocblas_operation_17rocblas_diagonal_iiT3_T4_lilT5_lili.num_agpr, 0
	.set _ZL30rocblas_trsm_small_left_deviceILi4ELi4ELb0EddPKPKdPKPdEv13rocblas_fill_18rocblas_operation_17rocblas_diagonal_iiT3_T4_lilT5_lili.numbered_sgpr, 26
	.set _ZL30rocblas_trsm_small_left_deviceILi4ELi4ELb0EddPKPKdPKPdEv13rocblas_fill_18rocblas_operation_17rocblas_diagonal_iiT3_T4_lilT5_lili.num_named_barrier, 0
	.set _ZL30rocblas_trsm_small_left_deviceILi4ELi4ELb0EddPKPKdPKPdEv13rocblas_fill_18rocblas_operation_17rocblas_diagonal_iiT3_T4_lilT5_lili.private_seg_size, 0
	.set _ZL30rocblas_trsm_small_left_deviceILi4ELi4ELb0EddPKPKdPKPdEv13rocblas_fill_18rocblas_operation_17rocblas_diagonal_iiT3_T4_lilT5_lili.uses_vcc, 1
	.set _ZL30rocblas_trsm_small_left_deviceILi4ELi4ELb0EddPKPKdPKPdEv13rocblas_fill_18rocblas_operation_17rocblas_diagonal_iiT3_T4_lilT5_lili.uses_flat_scratch, 0
	.set _ZL30rocblas_trsm_small_left_deviceILi4ELi4ELb0EddPKPKdPKPdEv13rocblas_fill_18rocblas_operation_17rocblas_diagonal_iiT3_T4_lilT5_lili.has_dyn_sized_stack, 0
	.set _ZL30rocblas_trsm_small_left_deviceILi4ELi4ELb0EddPKPKdPKPdEv13rocblas_fill_18rocblas_operation_17rocblas_diagonal_iiT3_T4_lilT5_lili.has_recursion, 0
	.set _ZL30rocblas_trsm_small_left_deviceILi4ELi4ELb0EddPKPKdPKPdEv13rocblas_fill_18rocblas_operation_17rocblas_diagonal_iiT3_T4_lilT5_lili.has_indirect_call, 0
	.section	.AMDGPU.csdata,"",@progbits
; Kernel info:
; codeLenInByte = 2032
; TotalNumSgprs: 32
; NumVgprs: 19
; NumAgprs: 0
; TotalNumVgprs: 19
; ScratchSize: 0
; MemoryBound: 0
; FloatMode: 240
; IeeeMode: 1
; LDSByteSize: 128 bytes/workgroup (compile time only)
; SGPRBlocks: 3
; VGPRBlocks: 2
; NumSGPRsForWavesPerEU: 32
; NumVGPRsForWavesPerEU: 19
; AccumOffset: 20
; Occupancy: 8
; WaveLimiterHint : 1
; COMPUTE_PGM_RSRC2:SCRATCH_EN: 0
; COMPUTE_PGM_RSRC2:USER_SGPR: 2
; COMPUTE_PGM_RSRC2:TRAP_HANDLER: 0
; COMPUTE_PGM_RSRC2:TGID_X_EN: 1
; COMPUTE_PGM_RSRC2:TGID_Y_EN: 0
; COMPUTE_PGM_RSRC2:TGID_Z_EN: 1
; COMPUTE_PGM_RSRC2:TIDIG_COMP_CNT: 0
; COMPUTE_PGM_RSRC3_GFX90A:ACCUM_OFFSET: 4
; COMPUTE_PGM_RSRC3_GFX90A:TG_SPLIT: 0
	.section	.text._ZL38rocblas_trsm_small_left_device_sharedBILi4ELi4ELb1EddPKPKdPKPdEv13rocblas_fill_18rocblas_operation_17rocblas_diagonal_iiT3_T4_lilT5_lili,"axG",@progbits,_ZL38rocblas_trsm_small_left_device_sharedBILi4ELi4ELb1EddPKPKdPKPdEv13rocblas_fill_18rocblas_operation_17rocblas_diagonal_iiT3_T4_lilT5_lili,comdat
	.globl	_ZL38rocblas_trsm_small_left_device_sharedBILi4ELi4ELb1EddPKPKdPKPdEv13rocblas_fill_18rocblas_operation_17rocblas_diagonal_iiT3_T4_lilT5_lili ; -- Begin function _ZL38rocblas_trsm_small_left_device_sharedBILi4ELi4ELb1EddPKPKdPKPdEv13rocblas_fill_18rocblas_operation_17rocblas_diagonal_iiT3_T4_lilT5_lili
	.p2align	8
	.type	_ZL38rocblas_trsm_small_left_device_sharedBILi4ELi4ELb1EddPKPKdPKPdEv13rocblas_fill_18rocblas_operation_17rocblas_diagonal_iiT3_T4_lilT5_lili,@function
_ZL38rocblas_trsm_small_left_device_sharedBILi4ELi4ELb1EddPKPKdPKPdEv13rocblas_fill_18rocblas_operation_17rocblas_diagonal_iiT3_T4_lilT5_lili: ; @_ZL38rocblas_trsm_small_left_device_sharedBILi4ELi4ELb1EddPKPKdPKPdEv13rocblas_fill_18rocblas_operation_17rocblas_diagonal_iiT3_T4_lilT5_lili
; %bb.0:
	s_load_dwordx2 s[18:19], s[0:1], 0x28
	s_load_dwordx4 s[12:15], s[0:1], 0x40
	s_load_dwordx4 s[4:7], s[0:1], 0x4
	;; [unrolled: 1-line block ×3, first 2 shown]
	s_mov_b32 s16, s3
	s_mov_b32 s17, 0
	s_lshl_b64 s[20:21], s[16:17], 3
	s_waitcnt lgkmcnt(0)
	s_add_u32 s12, s12, s20
	s_addc_u32 s13, s13, s21
	s_load_dwordx2 s[12:13], s[12:13], 0x0
	s_min_i32 s22, s6, 4
	v_cmp_gt_i32_e32 vcc, s22, v0
	s_and_saveexec_b64 s[16:17], vcc
	s_cbranch_execz .LBB69_6
; %bb.1:
	s_load_dword s24, s[0:1], 0x30
	v_lshlrev_b32_e32 v2, 3, v0
	v_mov_b32_e32 v3, 0
	v_mov_b32_e32 v1, v2
	s_mov_b32 s3, s22
	s_waitcnt lgkmcnt(0)
	s_ashr_i32 s25, s24, 31
	s_add_u32 s10, s10, s20
	s_addc_u32 s11, s11, s21
	s_load_dwordx2 s[10:11], s[10:11], 0x0
	s_lshl_b64 s[18:19], s[18:19], 3
	s_waitcnt lgkmcnt(0)
	s_add_u32 s18, s10, s18
	s_addc_u32 s19, s11, s19
	s_lshl_b64 s[10:11], s[24:25], 3
	v_lshl_add_u64 v[4:5], s[18:19], 0, v[2:3]
.LBB69_2:                               ; =>This Inner Loop Header: Depth=1
	flat_load_dwordx2 v[6:7], v[4:5]
	s_add_i32 s3, s3, -1
	v_lshl_add_u64 v[4:5], v[4:5], 0, s[10:11]
	s_cmp_eq_u32 s3, 0
	s_waitcnt vmcnt(0) lgkmcnt(0)
	ds_write_b64 v1, v[6:7]
	v_add_u32_e32 v1, 32, v1
	s_cbranch_scc0 .LBB69_2
; %bb.3:
	v_lshlrev_b32_e32 v1, 5, v0
	s_cmpk_lg_i32 s5, 0x84
	v_mov_b64_e32 v[4:5], 1.0
	v_add_u32_e32 v1, v2, v1
	s_cbranch_scc0 .LBB69_5
; %bb.4:
	ds_read_b64 v[2:3], v1
	s_waitcnt lgkmcnt(0)
	v_div_scale_f64 v[4:5], s[10:11], v[2:3], v[2:3], 1.0
	v_rcp_f64_e32 v[6:7], v[4:5]
	v_div_scale_f64 v[8:9], vcc, 1.0, v[2:3], 1.0
	v_fma_f64 v[10:11], -v[4:5], v[6:7], 1.0
	v_fmac_f64_e32 v[6:7], v[6:7], v[10:11]
	v_fma_f64 v[10:11], -v[4:5], v[6:7], 1.0
	v_fmac_f64_e32 v[6:7], v[6:7], v[10:11]
	v_mul_f64 v[10:11], v[8:9], v[6:7]
	v_fma_f64 v[4:5], -v[4:5], v[10:11], v[8:9]
	v_div_fmas_f64 v[4:5], v[4:5], v[6:7], v[10:11]
	v_div_fixup_f64 v[4:5], v[4:5], v[2:3], 1.0
.LBB69_5:
	ds_write_b64 v1, v[4:5]
.LBB69_6:
	s_or_b64 exec, exec, s[16:17]
	s_load_dword s3, s[0:1], 0x68
	s_load_dword s16, s[0:1], 0x50
	s_lshl_b64 s[0:1], s[14:15], 3
	s_waitcnt lgkmcnt(0)
	s_add_u32 s5, s12, s0
	s_addc_u32 s10, s13, s1
	s_lshl_b32 s0, s2, 2
	s_add_i32 s3, s3, -1
	s_sub_i32 s1, s7, s0
	s_cmp_ge_u32 s2, s3
	s_cselect_b32 s7, s1, 4
	s_mul_hi_i32 s1, s16, s0
	s_mul_i32 s0, s16, s0
	s_lshl_b64 s[0:1], s[0:1], 3
	s_add_u32 s2, s5, s0
	s_addc_u32 s3, s10, s1
	s_cmp_gt_i32 s6, 0
	v_cmp_gt_i32_e64 s[0:1], s7, v0
	s_cselect_b64 s[10:11], -1, 0
	s_and_b64 s[14:15], s[0:1], s[10:11]
	s_and_saveexec_b64 s[12:13], s[14:15]
	s_cbranch_execz .LBB69_9
; %bb.7:
	v_mad_i64_i32 v[2:3], s[14:15], s16, v0, 0
	v_mov_b32_e32 v1, 0x80
	v_lshl_add_u64 v[2:3], v[2:3], 3, s[2:3]
	v_lshl_or_b32 v1, v0, 3, v1
	s_mov_b32 s5, s22
.LBB69_8:                               ; =>This Inner Loop Header: Depth=1
	flat_load_dwordx2 v[4:5], v[2:3]
	s_add_i32 s5, s5, -1
	v_lshl_add_u64 v[2:3], v[2:3], 0, 8
	s_cmp_lg_u32 s5, 0
	s_waitcnt vmcnt(0) lgkmcnt(0)
	v_mul_f64 v[4:5], s[8:9], v[4:5]
	ds_write_b64 v1, v[4:5]
	v_add_u32_e32 v1, 32, v1
	s_cbranch_scc1 .LBB69_8
.LBB69_9:
	s_or_b64 exec, exec, s[12:13]
	v_mov_b32_e32 v1, 0x80
	s_cmpk_eq_i32 s4, 0x6f
	v_lshl_or_b32 v1, v0, 3, v1
	s_mov_b64 s[4:5], -1
	s_waitcnt lgkmcnt(0)
	; wave barrier
	s_cbranch_scc1 .LBB69_30
; %bb.10:
	s_add_i32 s4, s22, -1
	s_cmp_gt_i32 s6, 3
	s_mov_b32 s7, -1
	s_cbranch_scc0 .LBB69_12
; %bb.11:
	ds_read2_b64 v[2:5], v1 offset0:8 offset1:12
	v_mov_b32_e32 v24, 0
	ds_read2_b64 v[6:9], v24 offset0:7 offset1:15
	ds_read_b128 v[10:13], v24 offset:80
	ds_read2_b64 v[14:17], v1 offset1:4
	ds_read2_b64 v[18:21], v24 offset0:5 offset1:6
	s_waitcnt lgkmcnt(3)
	v_mul_f64 v[22:23], v[4:5], v[8:9]
	s_waitcnt lgkmcnt(2)
	v_fma_f64 v[2:3], -v[22:23], v[12:13], v[2:3]
	v_mul_f64 v[12:13], v[2:3], v[10:11]
	ds_read_b128 v[2:5], v24
	ds_read_b128 v[8:11], v24 offset:16
	s_waitcnt lgkmcnt(3)
	v_fma_f64 v[6:7], -v[22:23], v[6:7], v[16:17]
	s_waitcnt lgkmcnt(2)
	v_fma_f64 v[6:7], -v[12:13], v[20:21], v[6:7]
	v_mul_f64 v[6:7], v[6:7], v[18:19]
	ds_write2_b64 v1, v[12:13], v[22:23] offset0:8 offset1:12
	s_waitcnt lgkmcnt(1)
	v_fma_f64 v[10:11], -v[22:23], v[10:11], v[14:15]
	v_fma_f64 v[8:9], -v[12:13], v[8:9], v[10:11]
	;; [unrolled: 1-line block ×3, first 2 shown]
	v_mul_f64 v[2:3], v[4:5], v[2:3]
	ds_write2_b64 v1, v[2:3], v[6:7] offset1:4
	s_cmp_lt_i32 s7, 0
	s_cbranch_scc0 .LBB69_13
	s_branch .LBB69_29
.LBB69_12:
	s_mov_b32 s7, s4
	s_cmp_lt_i32 s7, 0
	s_cbranch_scc1 .LBB69_29
.LBB69_13:
	s_and_b32 s5, s7, 3
	s_cmp_eq_u32 s5, 3
	v_lshlrev_b32_e32 v4, 3, v0
	s_mov_b32 s5, s7
	s_cbranch_scc1 .LBB69_18
; %bb.14:
	s_add_i32 s5, s7, 1
	s_and_b32 s8, s5, 3
	s_lshl_b32 s5, s7, 5
	s_lshl_b32 s9, s22, 3
	s_add_i32 s5, s5, s9
	v_lshl_or_b32 v2, s22, 5, v4
	s_add_i32 s9, s5, -8
	v_add_u32_e32 v5, 0x60, v2
	s_mov_b32 s12, 0
	s_mov_b32 s5, s7
	s_branch .LBB69_16
.LBB69_15:                              ;   in Loop: Header=BB69_16 Depth=1
	s_mul_i32 s13, s5, 40
	v_mov_b32_e32 v7, s13
	ds_read_b64 v[8:9], v7
	s_add_i32 s5, s5, -1
	s_add_i32 s12, s12, 1
	s_sub_i32 s9, s9, 32
	s_cmp_lg_u32 s12, s8
	s_waitcnt lgkmcnt(0)
	v_mul_f64 v[2:3], v[2:3], v[8:9]
	ds_write_b64 v6, v[2:3]
	s_cbranch_scc0 .LBB69_18
.LBB69_16:                              ; =>This Loop Header: Depth=1
                                        ;     Child Loop BB69_17 Depth 2
	s_lshl_b32 s13, s5, 5
	v_add_u32_e32 v6, s13, v1
	ds_read_b64 v[2:3], v6
	s_cmp_le_i32 s4, s5
	v_mov_b32_e32 v7, v5
	s_mov_b32 s13, s9
	s_mov_b32 s14, s4
	s_cbranch_scc1 .LBB69_15
.LBB69_17:                              ;   Parent Loop BB69_16 Depth=1
                                        ; =>  This Inner Loop Header: Depth=2
	v_mov_b32_e32 v10, s13
	ds_read_b64 v[8:9], v7
	ds_read_b64 v[10:11], v10
	s_add_i32 s14, s14, -1
	s_add_i32 s13, s13, -8
	v_subrev_u32_e32 v7, 32, v7
	s_cmp_gt_i32 s14, s5
	s_waitcnt lgkmcnt(0)
	v_fma_f64 v[2:3], -v[8:9], v[10:11], v[2:3]
	s_cbranch_scc1 .LBB69_17
	s_branch .LBB69_15
.LBB69_18:
	s_cmp_lt_u32 s7, 3
	s_cbranch_scc1 .LBB69_29
; %bb.19:
	s_lshl_b32 s7, s5, 5
	s_lshl_b32 s8, s22, 3
	s_add_i32 s12, s7, s8
	v_lshl_or_b32 v2, s22, 5, v4
	s_add_i32 s7, s12, -8
	v_add_u32_e32 v6, 0x60, v2
	s_sub_i32 s8, s12, 40
	s_add_i32 s9, s12, 0xffffffb8
	s_addk_i32 s12, 0xff98
	s_branch .LBB69_21
.LBB69_20:                              ;   in Loop: Header=BB69_21 Depth=1
	s_sub_i32 s13, s13, 40
	v_mov_b32_e32 v2, s13
	ds_read_b64 v[2:3], v2
	s_add_i32 s13, s5, -4
	s_addk_i32 s7, 0xff80
	s_addk_i32 s8, 0xff80
	s_addk_i32 s9, 0xff80
	s_addk_i32 s12, 0xff80
	s_waitcnt lgkmcnt(0)
	v_mul_f64 v[2:3], v[4:5], v[2:3]
	s_cmp_lt_i32 s5, 4
	s_mov_b32 s5, s13
	ds_write_b64 v8, v[2:3]
	s_cbranch_scc1 .LBB69_29
.LBB69_21:                              ; =>This Loop Header: Depth=1
                                        ;     Child Loop BB69_22 Depth 2
                                        ;     Child Loop BB69_24 Depth 2
	;; [unrolled: 1-line block ×4, first 2 shown]
	s_lshl_b32 s14, s5, 5
	v_add_u32_e32 v7, s14, v1
	ds_read_b64 v[2:3], v7
	s_cmp_le_i32 s4, s5
	v_mov_b32_e32 v4, v6
	s_mov_b32 s13, s7
	s_mov_b32 s15, s4
	s_cbranch_scc1 .LBB69_23
.LBB69_22:                              ;   Parent Loop BB69_21 Depth=1
                                        ; =>  This Inner Loop Header: Depth=2
	v_mov_b32_e32 v5, s13
	ds_read_b64 v[8:9], v4
	ds_read_b64 v[10:11], v5
	s_add_i32 s15, s15, -1
	s_add_i32 s13, s13, -8
	v_subrev_u32_e32 v4, 32, v4
	s_cmp_gt_i32 s15, s5
	s_waitcnt lgkmcnt(0)
	v_fma_f64 v[2:3], -v[8:9], v[10:11], v[2:3]
	s_cbranch_scc1 .LBB69_22
.LBB69_23:                              ;   in Loop: Header=BB69_21 Depth=1
	s_mul_i32 s13, s5, 40
	v_mov_b32_e32 v4, s13
	ds_read_b64 v[10:11], v4
	s_sub_i32 s14, s14, 32
	v_add_u32_e32 v8, s14, v1
	ds_read_b64 v[4:5], v8
	s_cmp_le_i32 s22, s5
	s_waitcnt lgkmcnt(1)
	v_mul_f64 v[2:3], v[2:3], v[10:11]
	ds_write_b64 v7, v[2:3]
	v_mov_b32_e32 v2, v6
	s_mov_b32 s14, s8
	s_mov_b32 s15, s22
	s_cbranch_scc1 .LBB69_25
.LBB69_24:                              ;   Parent Loop BB69_21 Depth=1
                                        ; =>  This Inner Loop Header: Depth=2
	v_mov_b32_e32 v3, s14
	ds_read_b64 v[10:11], v2
	ds_read_b64 v[12:13], v3
	s_add_i32 s15, s15, -1
	s_add_i32 s14, s14, -8
	v_subrev_u32_e32 v2, 32, v2
	s_cmp_gt_i32 s15, s5
	s_waitcnt lgkmcnt(0)
	v_fma_f64 v[4:5], -v[10:11], v[12:13], v[4:5]
	s_cbranch_scc1 .LBB69_24
.LBB69_25:                              ;   in Loop: Header=BB69_21 Depth=1
	s_sub_i32 s13, s13, 40
	v_mov_b32_e32 v2, s13
	s_add_i32 s14, s5, -2
	ds_read_b64 v[10:11], v2
	s_lshl_b32 s15, s14, 5
	v_add_u32_e32 v7, s15, v1
	ds_read_b64 v[2:3], v7
	s_cmp_le_i32 s4, s14
	s_waitcnt lgkmcnt(1)
	v_mul_f64 v[4:5], v[4:5], v[10:11]
	ds_write_b64 v8, v[4:5]
	v_mov_b32_e32 v4, v6
	s_mov_b32 s15, s9
	s_mov_b32 s17, s4
	s_cbranch_scc1 .LBB69_27
.LBB69_26:                              ;   Parent Loop BB69_21 Depth=1
                                        ; =>  This Inner Loop Header: Depth=2
	v_mov_b32_e32 v5, s15
	ds_read_b64 v[8:9], v4
	ds_read_b64 v[10:11], v5
	s_add_i32 s17, s17, -1
	s_add_i32 s15, s15, -8
	v_subrev_u32_e32 v4, 32, v4
	s_cmp_gt_i32 s17, s14
	s_waitcnt lgkmcnt(0)
	v_fma_f64 v[2:3], -v[8:9], v[10:11], v[2:3]
	s_cbranch_scc1 .LBB69_26
.LBB69_27:                              ;   in Loop: Header=BB69_21 Depth=1
	s_sub_i32 s13, s13, 40
	v_mov_b32_e32 v4, s13
	s_add_i32 s14, s5, -3
	ds_read_b64 v[10:11], v4
	s_lshl_b32 s15, s14, 5
	v_add_u32_e32 v8, s15, v1
	ds_read_b64 v[4:5], v8
	s_cmp_le_i32 s4, s14
	s_waitcnt lgkmcnt(1)
	v_mul_f64 v[2:3], v[2:3], v[10:11]
	ds_write_b64 v7, v[2:3]
	v_mov_b32_e32 v2, v6
	s_mov_b32 s15, s12
	s_mov_b32 s17, s4
	s_cbranch_scc1 .LBB69_20
.LBB69_28:                              ;   Parent Loop BB69_21 Depth=1
                                        ; =>  This Inner Loop Header: Depth=2
	v_mov_b32_e32 v3, s15
	ds_read_b64 v[10:11], v2
	ds_read_b64 v[12:13], v3
	s_add_i32 s17, s17, -1
	s_add_i32 s15, s15, -8
	v_subrev_u32_e32 v2, 32, v2
	s_cmp_gt_i32 s17, s14
	s_waitcnt lgkmcnt(0)
	v_fma_f64 v[4:5], -v[10:11], v[12:13], v[4:5]
	s_cbranch_scc1 .LBB69_28
	s_branch .LBB69_20
.LBB69_29:
	s_mov_b64 s[4:5], 0
.LBB69_30:
	s_and_b64 vcc, exec, s[4:5]
	s_cbranch_vccz .LBB69_38
; %bb.31:
	s_cmp_gt_i32 s6, 3
	s_cbranch_scc0 .LBB69_33
; %bb.32:
	ds_read2_b64 v[2:5], v1 offset1:4
	v_mov_b32_e32 v26, 0
	ds_read_b128 v[6:9], v26
	ds_read2_b64 v[10:13], v1 offset0:8 offset1:12
	ds_read_b128 v[14:17], v26 offset:16
	ds_read2_b64 v[18:21], v26 offset0:5 offset1:6
	ds_read2_b64 v[22:25], v26 offset0:7 offset1:15
	s_mov_b32 s4, 4
	s_waitcnt lgkmcnt(4)
	v_mul_f64 v[6:7], v[2:3], v[6:7]
	v_fma_f64 v[8:9], -v[6:7], v[8:9], v[4:5]
	ds_read_b128 v[2:5], v26 offset:80
	s_waitcnt lgkmcnt(2)
	v_mul_f64 v[8:9], v[8:9], v[18:19]
	v_fma_f64 v[10:11], -v[6:7], v[14:15], v[10:11]
	ds_write2_b64 v1, v[6:7], v[8:9] offset1:4
	v_fma_f64 v[10:11], -v[8:9], v[20:21], v[10:11]
	v_fma_f64 v[6:7], -v[6:7], v[16:17], v[12:13]
	s_waitcnt lgkmcnt(1)
	v_mul_f64 v[2:3], v[10:11], v[2:3]
	v_fma_f64 v[6:7], -v[8:9], v[22:23], v[6:7]
	v_fma_f64 v[4:5], -v[2:3], v[4:5], v[6:7]
	v_mul_f64 v[4:5], v[4:5], v[24:25]
	ds_write2_b64 v1, v[2:3], v[4:5] offset0:8 offset1:12
	s_cmp_ge_i32 s4, s22
	s_cbranch_scc0 .LBB69_34
	s_branch .LBB69_38
.LBB69_33:
	s_mov_b32 s4, 0
	s_cmp_ge_i32 s4, s22
	s_cbranch_scc1 .LBB69_38
.LBB69_34:
	v_mov_b32_e32 v2, 0x80
	s_lshl_b32 s5, s4, 3
	v_lshl_or_b32 v4, v0, 3, v2
	s_branch .LBB69_36
.LBB69_35:                              ;   in Loop: Header=BB69_36 Depth=1
	s_lshl_b32 s7, s4, 3
	s_add_i32 s6, s7, s6
	v_mov_b32_e32 v6, s6
	ds_read_b64 v[6:7], v6
	s_add_i32 s4, s4, 1
	s_add_i32 s5, s5, 8
	s_cmp_ge_i32 s4, s22
	s_waitcnt lgkmcnt(0)
	v_mul_f64 v[2:3], v[2:3], v[6:7]
	ds_write_b64 v5, v[2:3]
	s_cbranch_scc1 .LBB69_38
.LBB69_36:                              ; =>This Loop Header: Depth=1
                                        ;     Child Loop BB69_37 Depth 2
	s_lshl_b32 s6, s4, 5
	v_add_u32_e32 v5, s6, v1
	ds_read_b64 v[2:3], v5
	s_cmp_eq_u32 s4, 0
	v_mov_b32_e32 v6, v4
	s_mov_b32 s7, s5
	s_mov_b32 s8, s4
	s_cbranch_scc1 .LBB69_35
.LBB69_37:                              ;   Parent Loop BB69_36 Depth=1
                                        ; =>  This Inner Loop Header: Depth=2
	v_mov_b32_e32 v7, s7
	ds_read_b64 v[8:9], v6
	ds_read_b64 v[10:11], v7
	s_add_i32 s8, s8, -1
	s_add_i32 s7, s7, 32
	v_add_u32_e32 v6, 32, v6
	s_cmp_lg_u32 s8, 0
	s_waitcnt lgkmcnt(0)
	v_fma_f64 v[2:3], -v[8:9], v[10:11], v[2:3]
	s_cbranch_scc1 .LBB69_37
	s_branch .LBB69_35
.LBB69_38:
	s_waitcnt lgkmcnt(0)
	; wave barrier
	s_and_saveexec_b64 s[4:5], s[0:1]
	s_cbranch_execz .LBB69_42
; %bb.39:
	s_andn2_b64 vcc, exec, s[10:11]
	s_cbranch_vccnz .LBB69_42
; %bb.40:
	v_mad_i64_i32 v[2:3], s[0:1], s16, v0, 0
	v_mov_b32_e32 v1, 0x80
	v_lshl_add_u64 v[2:3], v[2:3], 3, s[2:3]
	v_lshl_or_b32 v0, v0, 3, v1
.LBB69_41:                              ; =>This Inner Loop Header: Depth=1
	ds_read_b64 v[4:5], v0
	s_add_i32 s22, s22, -1
	v_add_u32_e32 v0, 32, v0
	s_cmp_lg_u32 s22, 0
	s_waitcnt lgkmcnt(0)
	flat_store_dwordx2 v[2:3], v[4:5]
	v_lshl_add_u64 v[2:3], v[2:3], 0, 8
	s_cbranch_scc1 .LBB69_41
.LBB69_42:
	s_endpgm
	.section	.rodata,"a",@progbits
	.p2align	6, 0x0
	.amdhsa_kernel _ZL38rocblas_trsm_small_left_device_sharedBILi4ELi4ELb1EddPKPKdPKPdEv13rocblas_fill_18rocblas_operation_17rocblas_diagonal_iiT3_T4_lilT5_lili
		.amdhsa_group_segment_fixed_size 256
		.amdhsa_private_segment_fixed_size 0
		.amdhsa_kernarg_size 360
		.amdhsa_user_sgpr_count 2
		.amdhsa_user_sgpr_dispatch_ptr 0
		.amdhsa_user_sgpr_queue_ptr 0
		.amdhsa_user_sgpr_kernarg_segment_ptr 1
		.amdhsa_user_sgpr_dispatch_id 0
		.amdhsa_user_sgpr_kernarg_preload_length 0
		.amdhsa_user_sgpr_kernarg_preload_offset 0
		.amdhsa_user_sgpr_private_segment_size 0
		.amdhsa_uses_dynamic_stack 0
		.amdhsa_enable_private_segment 0
		.amdhsa_system_sgpr_workgroup_id_x 1
		.amdhsa_system_sgpr_workgroup_id_y 0
		.amdhsa_system_sgpr_workgroup_id_z 1
		.amdhsa_system_sgpr_workgroup_info 0
		.amdhsa_system_vgpr_workitem_id 0
		.amdhsa_next_free_vgpr 27
		.amdhsa_next_free_sgpr 26
		.amdhsa_accum_offset 28
		.amdhsa_reserve_vcc 1
		.amdhsa_float_round_mode_32 0
		.amdhsa_float_round_mode_16_64 0
		.amdhsa_float_denorm_mode_32 3
		.amdhsa_float_denorm_mode_16_64 3
		.amdhsa_dx10_clamp 1
		.amdhsa_ieee_mode 1
		.amdhsa_fp16_overflow 0
		.amdhsa_tg_split 0
		.amdhsa_exception_fp_ieee_invalid_op 0
		.amdhsa_exception_fp_denorm_src 0
		.amdhsa_exception_fp_ieee_div_zero 0
		.amdhsa_exception_fp_ieee_overflow 0
		.amdhsa_exception_fp_ieee_underflow 0
		.amdhsa_exception_fp_ieee_inexact 0
		.amdhsa_exception_int_div_zero 0
	.end_amdhsa_kernel
	.section	.text._ZL38rocblas_trsm_small_left_device_sharedBILi4ELi4ELb1EddPKPKdPKPdEv13rocblas_fill_18rocblas_operation_17rocblas_diagonal_iiT3_T4_lilT5_lili,"axG",@progbits,_ZL38rocblas_trsm_small_left_device_sharedBILi4ELi4ELb1EddPKPKdPKPdEv13rocblas_fill_18rocblas_operation_17rocblas_diagonal_iiT3_T4_lilT5_lili,comdat
.Lfunc_end69:
	.size	_ZL38rocblas_trsm_small_left_device_sharedBILi4ELi4ELb1EddPKPKdPKPdEv13rocblas_fill_18rocblas_operation_17rocblas_diagonal_iiT3_T4_lilT5_lili, .Lfunc_end69-_ZL38rocblas_trsm_small_left_device_sharedBILi4ELi4ELb1EddPKPKdPKPdEv13rocblas_fill_18rocblas_operation_17rocblas_diagonal_iiT3_T4_lilT5_lili
                                        ; -- End function
	.set _ZL38rocblas_trsm_small_left_device_sharedBILi4ELi4ELb1EddPKPKdPKPdEv13rocblas_fill_18rocblas_operation_17rocblas_diagonal_iiT3_T4_lilT5_lili.num_vgpr, 27
	.set _ZL38rocblas_trsm_small_left_device_sharedBILi4ELi4ELb1EddPKPKdPKPdEv13rocblas_fill_18rocblas_operation_17rocblas_diagonal_iiT3_T4_lilT5_lili.num_agpr, 0
	.set _ZL38rocblas_trsm_small_left_device_sharedBILi4ELi4ELb1EddPKPKdPKPdEv13rocblas_fill_18rocblas_operation_17rocblas_diagonal_iiT3_T4_lilT5_lili.numbered_sgpr, 26
	.set _ZL38rocblas_trsm_small_left_device_sharedBILi4ELi4ELb1EddPKPKdPKPdEv13rocblas_fill_18rocblas_operation_17rocblas_diagonal_iiT3_T4_lilT5_lili.num_named_barrier, 0
	.set _ZL38rocblas_trsm_small_left_device_sharedBILi4ELi4ELb1EddPKPKdPKPdEv13rocblas_fill_18rocblas_operation_17rocblas_diagonal_iiT3_T4_lilT5_lili.private_seg_size, 0
	.set _ZL38rocblas_trsm_small_left_device_sharedBILi4ELi4ELb1EddPKPKdPKPdEv13rocblas_fill_18rocblas_operation_17rocblas_diagonal_iiT3_T4_lilT5_lili.uses_vcc, 1
	.set _ZL38rocblas_trsm_small_left_device_sharedBILi4ELi4ELb1EddPKPKdPKPdEv13rocblas_fill_18rocblas_operation_17rocblas_diagonal_iiT3_T4_lilT5_lili.uses_flat_scratch, 0
	.set _ZL38rocblas_trsm_small_left_device_sharedBILi4ELi4ELb1EddPKPKdPKPdEv13rocblas_fill_18rocblas_operation_17rocblas_diagonal_iiT3_T4_lilT5_lili.has_dyn_sized_stack, 0
	.set _ZL38rocblas_trsm_small_left_device_sharedBILi4ELi4ELb1EddPKPKdPKPdEv13rocblas_fill_18rocblas_operation_17rocblas_diagonal_iiT3_T4_lilT5_lili.has_recursion, 0
	.set _ZL38rocblas_trsm_small_left_device_sharedBILi4ELi4ELb1EddPKPKdPKPdEv13rocblas_fill_18rocblas_operation_17rocblas_diagonal_iiT3_T4_lilT5_lili.has_indirect_call, 0
	.section	.AMDGPU.csdata,"",@progbits
; Kernel info:
; codeLenInByte = 2068
; TotalNumSgprs: 32
; NumVgprs: 27
; NumAgprs: 0
; TotalNumVgprs: 27
; ScratchSize: 0
; MemoryBound: 0
; FloatMode: 240
; IeeeMode: 1
; LDSByteSize: 256 bytes/workgroup (compile time only)
; SGPRBlocks: 3
; VGPRBlocks: 3
; NumSGPRsForWavesPerEU: 32
; NumVGPRsForWavesPerEU: 27
; AccumOffset: 28
; Occupancy: 8
; WaveLimiterHint : 0
; COMPUTE_PGM_RSRC2:SCRATCH_EN: 0
; COMPUTE_PGM_RSRC2:USER_SGPR: 2
; COMPUTE_PGM_RSRC2:TRAP_HANDLER: 0
; COMPUTE_PGM_RSRC2:TGID_X_EN: 1
; COMPUTE_PGM_RSRC2:TGID_Y_EN: 0
; COMPUTE_PGM_RSRC2:TGID_Z_EN: 1
; COMPUTE_PGM_RSRC2:TIDIG_COMP_CNT: 0
; COMPUTE_PGM_RSRC3_GFX90A:ACCUM_OFFSET: 6
; COMPUTE_PGM_RSRC3_GFX90A:TG_SPLIT: 0
	.section	.text._ZL30rocblas_trsm_small_left_deviceILi4ELi4ELb1EddPKPKdPKPdEv13rocblas_fill_18rocblas_operation_17rocblas_diagonal_iiT3_T4_lilT5_lili,"axG",@progbits,_ZL30rocblas_trsm_small_left_deviceILi4ELi4ELb1EddPKPKdPKPdEv13rocblas_fill_18rocblas_operation_17rocblas_diagonal_iiT3_T4_lilT5_lili,comdat
	.globl	_ZL30rocblas_trsm_small_left_deviceILi4ELi4ELb1EddPKPKdPKPdEv13rocblas_fill_18rocblas_operation_17rocblas_diagonal_iiT3_T4_lilT5_lili ; -- Begin function _ZL30rocblas_trsm_small_left_deviceILi4ELi4ELb1EddPKPKdPKPdEv13rocblas_fill_18rocblas_operation_17rocblas_diagonal_iiT3_T4_lilT5_lili
	.p2align	8
	.type	_ZL30rocblas_trsm_small_left_deviceILi4ELi4ELb1EddPKPKdPKPdEv13rocblas_fill_18rocblas_operation_17rocblas_diagonal_iiT3_T4_lilT5_lili,@function
_ZL30rocblas_trsm_small_left_deviceILi4ELi4ELb1EddPKPKdPKPdEv13rocblas_fill_18rocblas_operation_17rocblas_diagonal_iiT3_T4_lilT5_lili: ; @_ZL30rocblas_trsm_small_left_deviceILi4ELi4ELb1EddPKPKdPKPdEv13rocblas_fill_18rocblas_operation_17rocblas_diagonal_iiT3_T4_lilT5_lili
; %bb.0:
	s_load_dwordx2 s[18:19], s[0:1], 0x28
	s_load_dwordx4 s[12:15], s[0:1], 0x40
	s_load_dwordx4 s[8:11], s[0:1], 0x4
	;; [unrolled: 1-line block ×3, first 2 shown]
	s_mov_b32 s16, s3
	s_mov_b32 s17, 0
	s_lshl_b64 s[20:21], s[16:17], 3
	s_waitcnt lgkmcnt(0)
	s_add_u32 s12, s12, s20
	s_addc_u32 s13, s13, s21
	s_load_dwordx2 s[12:13], s[12:13], 0x0
	s_min_i32 s22, s10, 4
	v_cmp_gt_i32_e32 vcc, s22, v0
	s_and_saveexec_b64 s[16:17], vcc
	s_cbranch_execz .LBB70_6
; %bb.1:
	s_load_dword s24, s[0:1], 0x30
	v_lshlrev_b32_e32 v2, 3, v0
	v_mov_b32_e32 v3, 0
	v_mov_b32_e32 v1, v2
	s_mov_b32 s3, s22
	s_waitcnt lgkmcnt(0)
	s_ashr_i32 s25, s24, 31
	s_add_u32 s6, s6, s20
	s_addc_u32 s7, s7, s21
	s_load_dwordx2 s[6:7], s[6:7], 0x0
	s_lshl_b64 s[18:19], s[18:19], 3
	s_waitcnt lgkmcnt(0)
	s_add_u32 s18, s6, s18
	s_addc_u32 s19, s7, s19
	s_lshl_b64 s[6:7], s[24:25], 3
	v_lshl_add_u64 v[4:5], s[18:19], 0, v[2:3]
.LBB70_2:                               ; =>This Inner Loop Header: Depth=1
	flat_load_dwordx2 v[6:7], v[4:5]
	s_add_i32 s3, s3, -1
	v_lshl_add_u64 v[4:5], v[4:5], 0, s[6:7]
	s_cmp_eq_u32 s3, 0
	s_waitcnt vmcnt(0) lgkmcnt(0)
	ds_write_b64 v1, v[6:7]
	v_add_u32_e32 v1, 32, v1
	s_cbranch_scc0 .LBB70_2
; %bb.3:
	v_lshlrev_b32_e32 v1, 5, v0
	s_cmpk_lg_i32 s9, 0x84
	v_mov_b64_e32 v[4:5], 1.0
	v_add_u32_e32 v1, v2, v1
	s_cbranch_scc0 .LBB70_5
; %bb.4:
	ds_read_b64 v[2:3], v1
	s_waitcnt lgkmcnt(0)
	v_div_scale_f64 v[4:5], s[6:7], v[2:3], v[2:3], 1.0
	v_rcp_f64_e32 v[6:7], v[4:5]
	v_div_scale_f64 v[8:9], vcc, 1.0, v[2:3], 1.0
	v_fma_f64 v[10:11], -v[4:5], v[6:7], 1.0
	v_fmac_f64_e32 v[6:7], v[6:7], v[10:11]
	v_fma_f64 v[10:11], -v[4:5], v[6:7], 1.0
	v_fmac_f64_e32 v[6:7], v[6:7], v[10:11]
	v_mul_f64 v[10:11], v[8:9], v[6:7]
	v_fma_f64 v[4:5], -v[4:5], v[10:11], v[8:9]
	v_div_fmas_f64 v[4:5], v[4:5], v[6:7], v[10:11]
	v_div_fixup_f64 v[4:5], v[4:5], v[2:3], 1.0
.LBB70_5:
	ds_write_b64 v1, v[4:5]
.LBB70_6:
	s_or_b64 exec, exec, s[16:17]
	s_load_dword s3, s[0:1], 0x68
	s_waitcnt lgkmcnt(0)
	; wave barrier
	s_add_i32 s6, s3, -1
	s_lshl_b32 s3, s2, 2
	s_sub_i32 s7, s11, s3
	s_cmp_ge_u32 s2, s6
	s_cselect_b32 s2, s7, 4
	v_cmp_gt_i32_e32 vcc, s2, v0
	s_and_saveexec_b64 s[6:7], vcc
	s_cbranch_execz .LBB70_36
; %bb.7:
	s_load_dword s2, s[0:1], 0x50
	s_lshl_b64 s[0:1], s[14:15], 3
	s_add_u32 s0, s12, s0
	v_add_u32_e32 v0, s3, v0
	s_addc_u32 s1, s13, s1
	s_waitcnt lgkmcnt(0)
	v_mad_i64_i32 v[0:1], s[2:3], s2, v0, 0
	v_lshl_add_u64 v[0:1], v[0:1], 3, s[0:1]
	s_cmpk_eq_i32 s8, 0x6f
	s_mov_b64 s[0:1], -1
	s_cbranch_scc1 .LBB70_28
; %bb.8:
	s_add_i32 s8, s22, -1
	s_cmp_gt_i32 s10, 3
	s_mov_b32 s6, -1
	s_cbranch_scc0 .LBB70_10
; %bb.9:
	flat_load_dwordx4 v[2:5], v[0:1] offset:16
	flat_load_dwordx4 v[6:9], v[0:1]
	v_mov_b32_e32 v18, 0
	ds_read_b64 v[10:11], v18 offset:120
	s_waitcnt vmcnt(0) lgkmcnt(0)
	v_mul_f64 v[4:5], s[4:5], v[4:5]
	v_mul_f64 v[14:15], v[4:5], v[10:11]
	flat_store_dwordx2 v[0:1], v[14:15] offset:24
	ds_read_b128 v[10:13], v18 offset:80
	s_waitcnt lgkmcnt(0)
	v_mul_f64 v[4:5], v[14:15], v[12:13]
	v_fma_f64 v[2:3], s[4:5], v[2:3], -v[4:5]
	v_mul_f64 v[12:13], v[2:3], v[10:11]
	flat_store_dwordx2 v[0:1], v[12:13] offset:16
	ds_read_b64 v[10:11], v18 offset:56
	ds_read2_b64 v[2:5], v18 offset0:5 offset1:6
	s_waitcnt lgkmcnt(0)
	v_mul_f64 v[10:11], v[14:15], v[10:11]
	v_fma_f64 v[8:9], s[4:5], v[8:9], -v[10:11]
	v_fma_f64 v[4:5], -v[12:13], v[4:5], v[8:9]
	v_mul_f64 v[16:17], v[4:5], v[2:3]
	flat_store_dwordx2 v[0:1], v[16:17] offset:8
	ds_read_b128 v[2:5], v18 offset:16
	ds_read_b128 v[8:11], v18
	s_waitcnt lgkmcnt(0)
	v_mul_f64 v[4:5], v[14:15], v[4:5]
	v_fma_f64 v[4:5], s[4:5], v[6:7], -v[4:5]
	v_fma_f64 v[2:3], -v[12:13], v[2:3], v[4:5]
	v_fma_f64 v[2:3], -v[16:17], v[10:11], v[2:3]
	v_mul_f64 v[2:3], v[2:3], v[8:9]
	flat_store_dwordx2 v[0:1], v[2:3]
	s_cmp_lt_i32 s6, 0
	s_cbranch_scc0 .LBB70_11
	s_branch .LBB70_27
.LBB70_10:
	s_mov_b32 s6, s8
	s_cmp_lt_i32 s6, 0
	s_cbranch_scc1 .LBB70_27
.LBB70_11:
	s_and_b32 s0, s6, 3
	s_cmp_eq_u32 s0, 3
	s_mov_b32 s0, s6
	s_cbranch_scc1 .LBB70_16
; %bb.12:
	s_add_i32 s0, s6, 1
	s_and_b32 s7, s0, 3
	s_lshl_b32 s0, s6, 5
	s_lshl_b32 s1, s22, 3
	s_add_i32 s0, s0, s1
	s_add_i32 s9, s0, -8
	s_mov_b32 s3, 0
	s_mov_b32 s0, s6
	;; [unrolled: 1-line block ×3, first 2 shown]
	s_branch .LBB70_14
.LBB70_13:                              ;   in Loop: Header=BB70_14 Depth=1
	s_mul_i32 s1, s0, 40
	v_mov_b32_e32 v6, s1
	ds_read_b64 v[6:7], v6
	s_add_i32 s0, s0, -1
	s_add_i32 s11, s11, 1
	s_sub_i32 s9, s9, 32
	s_cmp_lg_u32 s11, s7
	s_waitcnt lgkmcnt(0)
	v_mul_f64 v[4:5], v[4:5], v[6:7]
	flat_store_dwordx2 v[2:3], v[4:5]
	s_cbranch_scc0 .LBB70_16
.LBB70_14:                              ; =>This Loop Header: Depth=1
                                        ;     Child Loop BB70_15 Depth 2
	s_mov_b32 s1, s3
	v_lshl_add_u64 v[2:3], s[0:1], 3, v[0:1]
	flat_load_dwordx2 v[4:5], v[2:3]
	s_cmp_le_i32 s8, s0
	s_mov_b32 s1, s9
	s_mov_b32 s2, s8
	s_waitcnt vmcnt(0) lgkmcnt(0)
	v_mul_f64 v[4:5], s[4:5], v[4:5]
	s_cbranch_scc1 .LBB70_13
.LBB70_15:                              ;   Parent Loop BB70_14 Depth=1
                                        ; =>  This Inner Loop Header: Depth=2
	v_lshl_add_u64 v[6:7], s[2:3], 3, v[0:1]
	flat_load_dwordx2 v[6:7], v[6:7]
	v_mov_b32_e32 v8, s1
	ds_read_b64 v[8:9], v8
	s_add_i32 s2, s2, -1
	s_add_i32 s1, s1, -8
	s_cmp_gt_i32 s2, s0
	s_waitcnt vmcnt(0) lgkmcnt(0)
	v_fma_f64 v[4:5], -v[6:7], v[8:9], v[4:5]
	s_cbranch_scc1 .LBB70_15
	s_branch .LBB70_13
.LBB70_16:
	s_cmp_lt_u32 s6, 3
	s_cbranch_scc1 .LBB70_27
; %bb.17:
	s_lshl_b32 s1, s0, 5
	s_lshl_b32 s2, s22, 3
	s_add_i32 s1, s1, s2
	s_add_i32 s9, s1, -8
	s_sub_i32 s11, s1, 40
	s_add_i32 s12, s1, 0xffffffb8
	s_add_i32 s13, s1, 0xffffff98
	s_mov_b32 s3, 0
	s_branch .LBB70_19
.LBB70_18:                              ;   in Loop: Header=BB70_19 Depth=1
	s_sub_i32 s1, s1, 40
	v_mov_b32_e32 v6, s1
	ds_read_b64 v[6:7], v6
	s_add_i32 s1, s0, -4
	s_addk_i32 s9, 0xff80
	s_addk_i32 s11, 0xff80
	;; [unrolled: 1-line block ×4, first 2 shown]
	s_waitcnt lgkmcnt(0)
	v_mul_f64 v[4:5], v[4:5], v[6:7]
	s_cmp_lt_i32 s0, 4
	s_mov_b32 s0, s1
	flat_store_dwordx2 v[2:3], v[4:5]
	s_cbranch_scc1 .LBB70_27
.LBB70_19:                              ; =>This Loop Header: Depth=1
                                        ;     Child Loop BB70_20 Depth 2
                                        ;     Child Loop BB70_22 Depth 2
	;; [unrolled: 1-line block ×4, first 2 shown]
	s_mov_b32 s1, s3
	v_lshl_add_u64 v[4:5], s[0:1], 3, v[0:1]
	flat_load_dwordx2 v[2:3], v[4:5]
	s_cmp_le_i32 s8, s0
	s_mov_b32 s1, s9
	s_mov_b32 s2, s8
	s_waitcnt vmcnt(0) lgkmcnt(0)
	v_mul_f64 v[6:7], s[4:5], v[2:3]
	s_cbranch_scc1 .LBB70_21
.LBB70_20:                              ;   Parent Loop BB70_19 Depth=1
                                        ; =>  This Inner Loop Header: Depth=2
	v_lshl_add_u64 v[2:3], s[2:3], 3, v[0:1]
	flat_load_dwordx2 v[2:3], v[2:3]
	v_mov_b32_e32 v8, s1
	ds_read_b64 v[8:9], v8
	s_add_i32 s2, s2, -1
	s_add_i32 s1, s1, -8
	s_cmp_gt_i32 s2, s0
	s_waitcnt vmcnt(0) lgkmcnt(0)
	v_fma_f64 v[6:7], -v[2:3], v[8:9], v[6:7]
	s_cbranch_scc1 .LBB70_20
.LBB70_21:                              ;   in Loop: Header=BB70_19 Depth=1
	s_add_i32 s2, s0, -1
	v_lshl_add_u64 v[2:3], s[2:3], 3, v[0:1]
	flat_load_dwordx2 v[8:9], v[2:3]
	s_mul_i32 s1, s0, 40
	v_mov_b32_e32 v10, s1
	ds_read_b64 v[10:11], v10
	s_mov_b32 s6, s11
	s_cmp_le_i32 s22, s0
	s_mov_b32 s2, s22
	s_waitcnt lgkmcnt(0)
	v_mul_f64 v[6:7], v[6:7], v[10:11]
	flat_store_dwordx2 v[4:5], v[6:7]
	s_waitcnt vmcnt(0)
	v_mul_f64 v[6:7], s[4:5], v[8:9]
	s_cbranch_scc1 .LBB70_23
.LBB70_22:                              ;   Parent Loop BB70_19 Depth=1
                                        ; =>  This Inner Loop Header: Depth=2
	s_add_i32 s2, s2, -1
	v_lshl_add_u64 v[4:5], s[2:3], 3, v[0:1]
	flat_load_dwordx2 v[4:5], v[4:5]
	v_mov_b32_e32 v8, s6
	ds_read_b64 v[8:9], v8
	s_add_i32 s6, s6, -8
	s_cmp_gt_i32 s2, s0
	s_waitcnt vmcnt(0) lgkmcnt(0)
	v_fma_f64 v[6:7], -v[4:5], v[8:9], v[6:7]
	s_cbranch_scc1 .LBB70_22
.LBB70_23:                              ;   in Loop: Header=BB70_19 Depth=1
	s_add_i32 s6, s0, -2
	s_mov_b32 s7, s3
	v_lshl_add_u64 v[4:5], s[6:7], 3, v[0:1]
	flat_load_dwordx2 v[8:9], v[4:5]
	s_sub_i32 s1, s1, 40
	v_mov_b32_e32 v10, s1
	ds_read_b64 v[10:11], v10
	s_mov_b32 s7, s12
	s_cmp_le_i32 s8, s6
	s_mov_b32 s2, s8
	s_waitcnt lgkmcnt(0)
	v_mul_f64 v[6:7], v[6:7], v[10:11]
	flat_store_dwordx2 v[2:3], v[6:7]
	s_waitcnt vmcnt(0)
	v_mul_f64 v[6:7], s[4:5], v[8:9]
	s_cbranch_scc1 .LBB70_25
.LBB70_24:                              ;   Parent Loop BB70_19 Depth=1
                                        ; =>  This Inner Loop Header: Depth=2
	v_lshl_add_u64 v[2:3], s[2:3], 3, v[0:1]
	flat_load_dwordx2 v[2:3], v[2:3]
	v_mov_b32_e32 v8, s7
	ds_read_b64 v[8:9], v8
	s_add_i32 s2, s2, -1
	s_add_i32 s7, s7, -8
	s_cmp_gt_i32 s2, s6
	s_waitcnt vmcnt(0) lgkmcnt(0)
	v_fma_f64 v[6:7], -v[2:3], v[8:9], v[6:7]
	s_cbranch_scc1 .LBB70_24
.LBB70_25:                              ;   in Loop: Header=BB70_19 Depth=1
	s_add_i32 s6, s0, -3
	s_mov_b32 s7, s3
	v_lshl_add_u64 v[2:3], s[6:7], 3, v[0:1]
	flat_load_dwordx2 v[8:9], v[2:3]
	s_sub_i32 s1, s1, 40
	v_mov_b32_e32 v10, s1
	ds_read_b64 v[10:11], v10
	s_mov_b32 s7, s13
	s_cmp_le_i32 s8, s6
	s_mov_b32 s2, s8
	s_waitcnt lgkmcnt(0)
	v_mul_f64 v[6:7], v[6:7], v[10:11]
	flat_store_dwordx2 v[4:5], v[6:7]
	s_waitcnt vmcnt(0)
	v_mul_f64 v[4:5], s[4:5], v[8:9]
	s_cbranch_scc1 .LBB70_18
.LBB70_26:                              ;   Parent Loop BB70_19 Depth=1
                                        ; =>  This Inner Loop Header: Depth=2
	v_lshl_add_u64 v[6:7], s[2:3], 3, v[0:1]
	flat_load_dwordx2 v[6:7], v[6:7]
	v_mov_b32_e32 v8, s7
	ds_read_b64 v[8:9], v8
	s_add_i32 s2, s2, -1
	s_add_i32 s7, s7, -8
	s_cmp_gt_i32 s2, s6
	s_waitcnt vmcnt(0) lgkmcnt(0)
	v_fma_f64 v[4:5], -v[6:7], v[8:9], v[4:5]
	s_cbranch_scc1 .LBB70_26
	s_branch .LBB70_18
.LBB70_27:
	s_mov_b64 s[0:1], 0
.LBB70_28:
	s_and_b64 vcc, exec, s[0:1]
	s_cbranch_vccz .LBB70_36
; %bb.29:
	s_cmp_gt_i32 s10, 3
	s_cbranch_scc0 .LBB70_31
; %bb.30:
	flat_load_dwordx4 v[2:5], v[0:1]
	flat_load_dwordx4 v[6:9], v[0:1] offset:16
	v_mov_b32_e32 v18, 0
	ds_read_b64 v[10:11], v18
	s_mov_b32 s0, 4
	s_waitcnt vmcnt(0) lgkmcnt(0)
	v_mul_f64 v[2:3], s[4:5], v[2:3]
	v_mul_f64 v[10:11], v[2:3], v[10:11]
	flat_store_dwordx2 v[0:1], v[10:11]
	ds_read_b64 v[2:3], v18 offset:8
	ds_read_b64 v[12:13], v18 offset:40
	s_waitcnt lgkmcnt(0)
	v_mul_f64 v[2:3], v[10:11], v[2:3]
	v_fma_f64 v[2:3], s[4:5], v[4:5], -v[2:3]
	v_mul_f64 v[12:13], v[2:3], v[12:13]
	flat_store_dwordx2 v[0:1], v[12:13] offset:8
	ds_read_b64 v[2:3], v18 offset:16
	ds_read_b64 v[4:5], v18 offset:48
	;; [unrolled: 1-line block ×3, first 2 shown]
	s_waitcnt lgkmcnt(0)
	v_mul_f64 v[2:3], v[10:11], v[2:3]
	v_fma_f64 v[2:3], s[4:5], v[6:7], -v[2:3]
	v_fma_f64 v[2:3], -v[12:13], v[4:5], v[2:3]
	v_mul_f64 v[6:7], v[2:3], v[14:15]
	flat_store_dwordx2 v[0:1], v[6:7] offset:16
	ds_read_b64 v[14:15], v18 offset:24
	ds_read_b64 v[16:17], v18 offset:56
	ds_read2_b64 v[2:5], v18 offset0:11 offset1:15
	s_waitcnt lgkmcnt(0)
	v_mul_f64 v[10:11], v[10:11], v[14:15]
	v_fma_f64 v[8:9], s[4:5], v[8:9], -v[10:11]
	v_fma_f64 v[8:9], -v[12:13], v[16:17], v[8:9]
	v_fma_f64 v[2:3], -v[6:7], v[2:3], v[8:9]
	v_mul_f64 v[2:3], v[2:3], v[4:5]
	flat_store_dwordx2 v[0:1], v[2:3] offset:24
	s_cmp_ge_i32 s0, s22
	s_cbranch_scc0 .LBB70_32
	s_branch .LBB70_36
.LBB70_31:
	s_mov_b32 s0, 0
	s_cmp_ge_i32 s0, s22
	s_cbranch_scc1 .LBB70_36
.LBB70_32:
	s_lshl_b32 s2, s0, 3
	s_mov_b32 s1, 0
	s_branch .LBB70_34
.LBB70_33:                              ;   in Loop: Header=BB70_34 Depth=1
	s_mul_i32 s3, s0, 40
	v_mov_b32_e32 v6, s3
	ds_read_b64 v[6:7], v6
	s_add_i32 s0, s0, 1
	s_add_i32 s2, s2, 8
	s_cmp_ge_i32 s0, s22
	s_waitcnt lgkmcnt(0)
	v_mul_f64 v[4:5], v[4:5], v[6:7]
	flat_store_dwordx2 v[2:3], v[4:5]
	s_cbranch_scc1 .LBB70_36
.LBB70_34:                              ; =>This Loop Header: Depth=1
                                        ;     Child Loop BB70_35 Depth 2
	v_lshl_add_u64 v[2:3], s[0:1], 3, v[0:1]
	flat_load_dwordx2 v[4:5], v[2:3]
	s_cmp_eq_u32 s0, 0
	v_mov_b64_e32 v[6:7], v[0:1]
	s_mov_b32 s3, s2
	s_mov_b32 s6, s0
	s_waitcnt vmcnt(0) lgkmcnt(0)
	v_mul_f64 v[4:5], s[4:5], v[4:5]
	s_cbranch_scc1 .LBB70_33
.LBB70_35:                              ;   Parent Loop BB70_34 Depth=1
                                        ; =>  This Inner Loop Header: Depth=2
	flat_load_dwordx2 v[8:9], v[6:7]
	v_mov_b32_e32 v10, s3
	ds_read_b64 v[10:11], v10
	s_add_i32 s6, s6, -1
	s_add_i32 s3, s3, 32
	v_lshl_add_u64 v[6:7], v[6:7], 0, 8
	s_cmp_lg_u32 s6, 0
	s_waitcnt vmcnt(0) lgkmcnt(0)
	v_fma_f64 v[4:5], -v[8:9], v[10:11], v[4:5]
	s_cbranch_scc1 .LBB70_35
	s_branch .LBB70_33
.LBB70_36:
	s_endpgm
	.section	.rodata,"a",@progbits
	.p2align	6, 0x0
	.amdhsa_kernel _ZL30rocblas_trsm_small_left_deviceILi4ELi4ELb1EddPKPKdPKPdEv13rocblas_fill_18rocblas_operation_17rocblas_diagonal_iiT3_T4_lilT5_lili
		.amdhsa_group_segment_fixed_size 128
		.amdhsa_private_segment_fixed_size 0
		.amdhsa_kernarg_size 360
		.amdhsa_user_sgpr_count 2
		.amdhsa_user_sgpr_dispatch_ptr 0
		.amdhsa_user_sgpr_queue_ptr 0
		.amdhsa_user_sgpr_kernarg_segment_ptr 1
		.amdhsa_user_sgpr_dispatch_id 0
		.amdhsa_user_sgpr_kernarg_preload_length 0
		.amdhsa_user_sgpr_kernarg_preload_offset 0
		.amdhsa_user_sgpr_private_segment_size 0
		.amdhsa_uses_dynamic_stack 0
		.amdhsa_enable_private_segment 0
		.amdhsa_system_sgpr_workgroup_id_x 1
		.amdhsa_system_sgpr_workgroup_id_y 0
		.amdhsa_system_sgpr_workgroup_id_z 1
		.amdhsa_system_sgpr_workgroup_info 0
		.amdhsa_system_vgpr_workitem_id 0
		.amdhsa_next_free_vgpr 19
		.amdhsa_next_free_sgpr 26
		.amdhsa_accum_offset 20
		.amdhsa_reserve_vcc 1
		.amdhsa_float_round_mode_32 0
		.amdhsa_float_round_mode_16_64 0
		.amdhsa_float_denorm_mode_32 3
		.amdhsa_float_denorm_mode_16_64 3
		.amdhsa_dx10_clamp 1
		.amdhsa_ieee_mode 1
		.amdhsa_fp16_overflow 0
		.amdhsa_tg_split 0
		.amdhsa_exception_fp_ieee_invalid_op 0
		.amdhsa_exception_fp_denorm_src 0
		.amdhsa_exception_fp_ieee_div_zero 0
		.amdhsa_exception_fp_ieee_overflow 0
		.amdhsa_exception_fp_ieee_underflow 0
		.amdhsa_exception_fp_ieee_inexact 0
		.amdhsa_exception_int_div_zero 0
	.end_amdhsa_kernel
	.section	.text._ZL30rocblas_trsm_small_left_deviceILi4ELi4ELb1EddPKPKdPKPdEv13rocblas_fill_18rocblas_operation_17rocblas_diagonal_iiT3_T4_lilT5_lili,"axG",@progbits,_ZL30rocblas_trsm_small_left_deviceILi4ELi4ELb1EddPKPKdPKPdEv13rocblas_fill_18rocblas_operation_17rocblas_diagonal_iiT3_T4_lilT5_lili,comdat
.Lfunc_end70:
	.size	_ZL30rocblas_trsm_small_left_deviceILi4ELi4ELb1EddPKPKdPKPdEv13rocblas_fill_18rocblas_operation_17rocblas_diagonal_iiT3_T4_lilT5_lili, .Lfunc_end70-_ZL30rocblas_trsm_small_left_deviceILi4ELi4ELb1EddPKPKdPKPdEv13rocblas_fill_18rocblas_operation_17rocblas_diagonal_iiT3_T4_lilT5_lili
                                        ; -- End function
	.set _ZL30rocblas_trsm_small_left_deviceILi4ELi4ELb1EddPKPKdPKPdEv13rocblas_fill_18rocblas_operation_17rocblas_diagonal_iiT3_T4_lilT5_lili.num_vgpr, 19
	.set _ZL30rocblas_trsm_small_left_deviceILi4ELi4ELb1EddPKPKdPKPdEv13rocblas_fill_18rocblas_operation_17rocblas_diagonal_iiT3_T4_lilT5_lili.num_agpr, 0
	.set _ZL30rocblas_trsm_small_left_deviceILi4ELi4ELb1EddPKPKdPKPdEv13rocblas_fill_18rocblas_operation_17rocblas_diagonal_iiT3_T4_lilT5_lili.numbered_sgpr, 26
	.set _ZL30rocblas_trsm_small_left_deviceILi4ELi4ELb1EddPKPKdPKPdEv13rocblas_fill_18rocblas_operation_17rocblas_diagonal_iiT3_T4_lilT5_lili.num_named_barrier, 0
	.set _ZL30rocblas_trsm_small_left_deviceILi4ELi4ELb1EddPKPKdPKPdEv13rocblas_fill_18rocblas_operation_17rocblas_diagonal_iiT3_T4_lilT5_lili.private_seg_size, 0
	.set _ZL30rocblas_trsm_small_left_deviceILi4ELi4ELb1EddPKPKdPKPdEv13rocblas_fill_18rocblas_operation_17rocblas_diagonal_iiT3_T4_lilT5_lili.uses_vcc, 1
	.set _ZL30rocblas_trsm_small_left_deviceILi4ELi4ELb1EddPKPKdPKPdEv13rocblas_fill_18rocblas_operation_17rocblas_diagonal_iiT3_T4_lilT5_lili.uses_flat_scratch, 0
	.set _ZL30rocblas_trsm_small_left_deviceILi4ELi4ELb1EddPKPKdPKPdEv13rocblas_fill_18rocblas_operation_17rocblas_diagonal_iiT3_T4_lilT5_lili.has_dyn_sized_stack, 0
	.set _ZL30rocblas_trsm_small_left_deviceILi4ELi4ELb1EddPKPKdPKPdEv13rocblas_fill_18rocblas_operation_17rocblas_diagonal_iiT3_T4_lilT5_lili.has_recursion, 0
	.set _ZL30rocblas_trsm_small_left_deviceILi4ELi4ELb1EddPKPKdPKPdEv13rocblas_fill_18rocblas_operation_17rocblas_diagonal_iiT3_T4_lilT5_lili.has_indirect_call, 0
	.section	.AMDGPU.csdata,"",@progbits
; Kernel info:
; codeLenInByte = 2040
; TotalNumSgprs: 32
; NumVgprs: 19
; NumAgprs: 0
; TotalNumVgprs: 19
; ScratchSize: 0
; MemoryBound: 0
; FloatMode: 240
; IeeeMode: 1
; LDSByteSize: 128 bytes/workgroup (compile time only)
; SGPRBlocks: 3
; VGPRBlocks: 2
; NumSGPRsForWavesPerEU: 32
; NumVGPRsForWavesPerEU: 19
; AccumOffset: 20
; Occupancy: 8
; WaveLimiterHint : 1
; COMPUTE_PGM_RSRC2:SCRATCH_EN: 0
; COMPUTE_PGM_RSRC2:USER_SGPR: 2
; COMPUTE_PGM_RSRC2:TRAP_HANDLER: 0
; COMPUTE_PGM_RSRC2:TGID_X_EN: 1
; COMPUTE_PGM_RSRC2:TGID_Y_EN: 0
; COMPUTE_PGM_RSRC2:TGID_Z_EN: 1
; COMPUTE_PGM_RSRC2:TIDIG_COMP_CNT: 0
; COMPUTE_PGM_RSRC3_GFX90A:ACCUM_OFFSET: 4
; COMPUTE_PGM_RSRC3_GFX90A:TG_SPLIT: 0
	.section	.text._ZL31rocblas_trsm_small_right_deviceIddPKPKdPKPdLi4EEv13rocblas_fill_18rocblas_operation_17rocblas_diagonal_iiT0_T1_lilT2_lili,"axG",@progbits,_ZL31rocblas_trsm_small_right_deviceIddPKPKdPKPdLi4EEv13rocblas_fill_18rocblas_operation_17rocblas_diagonal_iiT0_T1_lilT2_lili,comdat
	.globl	_ZL31rocblas_trsm_small_right_deviceIddPKPKdPKPdLi4EEv13rocblas_fill_18rocblas_operation_17rocblas_diagonal_iiT0_T1_lilT2_lili ; -- Begin function _ZL31rocblas_trsm_small_right_deviceIddPKPKdPKPdLi4EEv13rocblas_fill_18rocblas_operation_17rocblas_diagonal_iiT0_T1_lilT2_lili
	.p2align	8
	.type	_ZL31rocblas_trsm_small_right_deviceIddPKPKdPKPdLi4EEv13rocblas_fill_18rocblas_operation_17rocblas_diagonal_iiT0_T1_lilT2_lili,@function
_ZL31rocblas_trsm_small_right_deviceIddPKPKdPKPdLi4EEv13rocblas_fill_18rocblas_operation_17rocblas_diagonal_iiT0_T1_lilT2_lili: ; @_ZL31rocblas_trsm_small_right_deviceIddPKPKdPKPdLi4EEv13rocblas_fill_18rocblas_operation_17rocblas_diagonal_iiT0_T1_lilT2_lili
; %bb.0:
	s_load_dwordx4 s[4:7], s[0:1], 0x0
	s_load_dword s22, s[0:1], 0x10
	s_load_dwordx4 s[12:15], s[0:1], 0x40
	s_load_dwordx4 s[8:11], s[0:1], 0x18
	s_load_dwordx2 s[18:19], s[0:1], 0x28
	s_mov_b32 s16, s3
	s_mov_b32 s17, 0
	s_lshl_b64 s[20:21], s[16:17], 3
	s_waitcnt lgkmcnt(0)
	s_add_u32 s12, s12, s20
	s_addc_u32 s13, s13, s21
	s_load_dwordx2 s[12:13], s[12:13], 0x0
	s_min_i32 s23, s22, 4
	v_cmp_gt_i32_e32 vcc, s23, v0
	s_and_saveexec_b64 s[16:17], vcc
	s_cbranch_execz .LBB71_5
; %bb.1:
	s_load_dword s24, s[0:1], 0x30
	v_lshlrev_b32_e32 v2, 3, v0
	v_mov_b32_e32 v3, 0
	v_mov_b32_e32 v1, v2
	s_mov_b32 s3, s23
	s_waitcnt lgkmcnt(0)
	s_ashr_i32 s25, s24, 31
	s_add_u32 s10, s10, s20
	s_addc_u32 s11, s11, s21
	s_load_dwordx2 s[10:11], s[10:11], 0x0
	s_lshl_b64 s[18:19], s[18:19], 3
	s_waitcnt lgkmcnt(0)
	s_add_u32 s18, s10, s18
	s_addc_u32 s19, s11, s19
	s_lshl_b64 s[10:11], s[24:25], 3
	v_lshl_add_u64 v[4:5], s[18:19], 0, v[2:3]
.LBB71_2:                               ; =>This Inner Loop Header: Depth=1
	flat_load_dwordx2 v[6:7], v[4:5]
	s_add_i32 s3, s3, -1
	v_lshl_add_u64 v[4:5], v[4:5], 0, s[10:11]
	s_cmp_eq_u32 s3, 0
	s_waitcnt vmcnt(0) lgkmcnt(0)
	ds_write_b64 v1, v[6:7]
	v_add_u32_e32 v1, 32, v1
	s_cbranch_scc0 .LBB71_2
; %bb.3:
	s_cmpk_eq_i32 s6, 0x84
	s_cbranch_scc0 .LBB71_5
; %bb.4:
	v_lshl_or_b32 v1, v0, 5, v2
	v_mov_b32_e32 v2, 0
	v_mov_b32_e32 v3, 0x3ff00000
	ds_write_b64 v1, v[2:3]
.LBB71_5:
	s_or_b64 exec, exec, s[16:17]
	s_load_dword s3, s[0:1], 0x68
	s_load_dword s6, s[0:1], 0x50
	s_lshl_b64 s[0:1], s[14:15], 3
	s_waitcnt lgkmcnt(0)
	s_add_u32 s10, s12, s0
	s_addc_u32 s11, s13, s1
	s_lshl_b32 s0, s2, 2
	s_add_i32 s3, s3, -1
	s_sub_i32 s0, s7, s0
	s_cmp_ge_u32 s2, s3
	s_cselect_b32 s7, s0, 4
	s_ashr_i32 s3, s2, 31
	s_lshl_b64 s[0:1], s[2:3], 5
	s_add_u32 s2, s10, s0
	s_addc_u32 s3, s11, s1
	v_cmp_gt_i32_e64 s[0:1], s7, v0
	s_and_saveexec_b64 s[10:11], s[0:1]
	s_cbranch_execz .LBB71_9
; %bb.6:
	s_cmp_lt_i32 s22, 1
	s_cbranch_scc1 .LBB71_9
; %bb.7:
	s_ashr_i32 s7, s6, 31
	v_lshlrev_b32_e32 v4, 3, v0
	v_mov_b32_e32 v5, 0
	v_lshl_add_u64 v[2:3], s[2:3], 0, v[4:5]
	s_lshl_b64 s[12:13], s[6:7], 3
	v_or_b32_e32 v1, 0x80, v4
	s_mov_b32 s7, s22
.LBB71_8:                               ; =>This Inner Loop Header: Depth=1
	flat_load_dwordx2 v[4:5], v[2:3]
	s_add_i32 s7, s7, -1
	v_lshl_add_u64 v[2:3], v[2:3], 0, s[12:13]
	s_cmp_lg_u32 s7, 0
	s_waitcnt vmcnt(0) lgkmcnt(0)
	v_mul_f64 v[4:5], s[8:9], v[4:5]
	ds_write_b64 v1, v[4:5]
	v_add_u32_e32 v1, 32, v1
	s_cbranch_scc1 .LBB71_8
.LBB71_9:
	s_or_b64 exec, exec, s[10:11]
	s_cmpk_eq_i32 s5, 0x6f
	s_cselect_b64 s[10:11], -1, 0
	s_cmpk_lg_i32 s4, 0x79
	s_cselect_b64 s[8:9], -1, 0
	s_cmpk_eq_i32 s4, 0x79
	s_cselect_b64 s[12:13], -1, 0
	s_and_b64 s[12:13], s[12:13], s[10:11]
	s_andn2_b64 vcc, exec, s[12:13]
	s_mov_b64 s[12:13], -1
	s_waitcnt lgkmcnt(0)
	; wave barrier
	s_cbranch_vccz .LBB71_54
; %bb.10:
	s_cmpk_lg_i32 s4, 0x7a
	s_cselect_b64 s[4:5], -1, 0
	s_xor_b64 s[10:11], s[10:11], -1
	s_add_i32 s7, s23, -1
	s_or_b64 s[10:11], s[4:5], s[10:11]
	v_mov_b32_e32 v1, 0x80
	s_cmp_gt_i32 s22, 3
	v_lshl_or_b32 v1, v0, 3, v1
	s_cselect_b64 s[4:5], -1, 0
	s_and_b64 vcc, exec, s[10:11]
	s_cbranch_vccz .LBB71_37
; %bb.11:
	s_andn2_b64 vcc, exec, s[8:9]
	s_mov_b64 s[8:9], -1
	s_cbranch_vccnz .LBB71_20
; %bb.12:
	s_mov_b32 s8, 0
	s_and_b64 vcc, exec, s[4:5]
	s_cbranch_vccz .LBB71_14
; %bb.13:
	v_mov_b32_e32 v30, 0
	ds_read2_b64 v[2:5], v1 offset1:4
	ds_read_b128 v[6:9], v30
	ds_read_b128 v[10:13], v30 offset:16
	ds_read2_b64 v[14:17], v30 offset0:5 offset1:6
	s_waitcnt lgkmcnt(2)
	v_div_scale_f64 v[18:19], s[8:9], v[6:7], v[6:7], v[2:3]
	v_rcp_f64_e32 v[20:21], v[18:19]
	v_div_scale_f64 v[22:23], vcc, v[2:3], v[6:7], v[2:3]
	v_fma_f64 v[24:25], -v[18:19], v[20:21], 1.0
	v_fmac_f64_e32 v[20:21], v[20:21], v[24:25]
	v_fma_f64 v[24:25], -v[18:19], v[20:21], 1.0
	v_fmac_f64_e32 v[20:21], v[20:21], v[24:25]
	v_mul_f64 v[24:25], v[22:23], v[20:21]
	v_fma_f64 v[18:19], -v[18:19], v[24:25], v[22:23]
	v_div_fmas_f64 v[18:19], v[18:19], v[20:21], v[24:25]
	v_div_fixup_f64 v[18:19], v[18:19], v[6:7], v[2:3]
	v_fma_f64 v[20:21], -v[18:19], v[8:9], v[4:5]
	ds_read_b128 v[2:5], v30 offset:80
	s_waitcnt lgkmcnt(1)
	v_div_scale_f64 v[22:23], s[8:9], v[14:15], v[14:15], v[20:21]
	v_rcp_f64_e32 v[24:25], v[22:23]
	ds_read2_b64 v[6:9], v1 offset0:8 offset1:12
	v_fma_f64 v[26:27], -v[22:23], v[24:25], 1.0
	v_fmac_f64_e32 v[24:25], v[24:25], v[26:27]
	v_fma_f64 v[26:27], -v[22:23], v[24:25], 1.0
	v_fmac_f64_e32 v[24:25], v[24:25], v[26:27]
	v_div_scale_f64 v[26:27], vcc, v[20:21], v[14:15], v[20:21]
	v_mul_f64 v[28:29], v[26:27], v[24:25]
	v_fma_f64 v[22:23], -v[22:23], v[28:29], v[26:27]
	s_waitcnt lgkmcnt(0)
	v_fma_f64 v[6:7], -v[18:19], v[10:11], v[6:7]
	v_div_fmas_f64 v[22:23], v[22:23], v[24:25], v[28:29]
	v_div_fixup_f64 v[20:21], v[22:23], v[14:15], v[20:21]
	v_fma_f64 v[6:7], -v[20:21], v[16:17], v[6:7]
	v_div_scale_f64 v[10:11], s[8:9], v[2:3], v[2:3], v[6:7]
	v_rcp_f64_e32 v[22:23], v[10:11]
	ds_read2_b64 v[14:17], v30 offset0:7 offset1:15
	ds_write2_b64 v1, v[18:19], v[20:21] offset1:4
	v_fma_f64 v[24:25], -v[10:11], v[22:23], 1.0
	v_fmac_f64_e32 v[22:23], v[22:23], v[24:25]
	v_fma_f64 v[24:25], -v[10:11], v[22:23], 1.0
	v_fmac_f64_e32 v[22:23], v[22:23], v[24:25]
	v_div_scale_f64 v[24:25], vcc, v[6:7], v[2:3], v[6:7]
	v_mul_f64 v[26:27], v[24:25], v[22:23]
	v_fma_f64 v[10:11], -v[10:11], v[26:27], v[24:25]
	s_nop 1
	v_div_fmas_f64 v[10:11], v[10:11], v[22:23], v[26:27]
	v_div_fixup_f64 v[2:3], v[10:11], v[2:3], v[6:7]
	v_fma_f64 v[6:7], -v[18:19], v[12:13], v[8:9]
	s_waitcnt lgkmcnt(1)
	v_fma_f64 v[6:7], -v[20:21], v[14:15], v[6:7]
	v_fma_f64 v[4:5], -v[2:3], v[4:5], v[6:7]
	v_div_scale_f64 v[6:7], s[8:9], v[16:17], v[16:17], v[4:5]
	v_rcp_f64_e32 v[8:9], v[6:7]
	s_mov_b32 s8, 4
	v_fma_f64 v[10:11], -v[6:7], v[8:9], 1.0
	v_fmac_f64_e32 v[8:9], v[8:9], v[10:11]
	v_fma_f64 v[10:11], -v[6:7], v[8:9], 1.0
	v_fmac_f64_e32 v[8:9], v[8:9], v[10:11]
	v_div_scale_f64 v[10:11], vcc, v[4:5], v[16:17], v[4:5]
	v_mul_f64 v[12:13], v[10:11], v[8:9]
	v_fma_f64 v[6:7], -v[6:7], v[12:13], v[10:11]
	s_nop 1
	v_div_fmas_f64 v[6:7], v[6:7], v[8:9], v[12:13]
	v_div_fixup_f64 v[4:5], v[6:7], v[16:17], v[4:5]
	ds_write2_b64 v1, v[2:3], v[4:5] offset0:8 offset1:12
.LBB71_14:
	s_cmp_ge_i32 s8, s23
	s_cbranch_scc1 .LBB71_19
; %bb.15:
	v_mov_b32_e32 v2, 0x80
	s_lshl_b32 s9, s8, 3
	v_lshl_or_b32 v4, v0, 3, v2
	s_branch .LBB71_17
.LBB71_16:                              ;   in Loop: Header=BB71_17 Depth=1
	s_lshl_b32 s11, s8, 3
	s_add_i32 s10, s11, s10
	v_mov_b32_e32 v6, s10
	ds_read_b64 v[6:7], v6
	s_add_i32 s8, s8, 1
	s_add_i32 s9, s9, 8
	s_cmp_ge_i32 s8, s23
	s_waitcnt lgkmcnt(0)
	v_div_scale_f64 v[8:9], s[10:11], v[6:7], v[6:7], v[2:3]
	v_rcp_f64_e32 v[10:11], v[8:9]
	v_div_scale_f64 v[12:13], vcc, v[2:3], v[6:7], v[2:3]
	v_fma_f64 v[14:15], -v[8:9], v[10:11], 1.0
	v_fmac_f64_e32 v[10:11], v[10:11], v[14:15]
	v_fma_f64 v[14:15], -v[8:9], v[10:11], 1.0
	v_fmac_f64_e32 v[10:11], v[10:11], v[14:15]
	v_mul_f64 v[14:15], v[12:13], v[10:11]
	v_fma_f64 v[8:9], -v[8:9], v[14:15], v[12:13]
	v_div_fmas_f64 v[8:9], v[8:9], v[10:11], v[14:15]
	v_div_fixup_f64 v[2:3], v[8:9], v[6:7], v[2:3]
	ds_write_b64 v5, v[2:3]
	s_cbranch_scc1 .LBB71_19
.LBB71_17:                              ; =>This Loop Header: Depth=1
                                        ;     Child Loop BB71_18 Depth 2
	s_lshl_b32 s10, s8, 5
	v_add_u32_e32 v5, s10, v1
	ds_read_b64 v[2:3], v5
	s_cmp_eq_u32 s8, 0
	v_mov_b32_e32 v6, v4
	s_mov_b32 s11, s9
	s_mov_b32 s12, s8
	s_cbranch_scc1 .LBB71_16
.LBB71_18:                              ;   Parent Loop BB71_17 Depth=1
                                        ; =>  This Inner Loop Header: Depth=2
	v_mov_b32_e32 v7, s11
	ds_read_b64 v[8:9], v6
	ds_read_b64 v[10:11], v7
	s_add_i32 s12, s12, -1
	s_add_i32 s11, s11, 32
	v_add_u32_e32 v6, 32, v6
	s_cmp_eq_u32 s12, 0
	s_waitcnt lgkmcnt(0)
	v_fma_f64 v[2:3], -v[8:9], v[10:11], v[2:3]
	s_cbranch_scc0 .LBB71_18
	s_branch .LBB71_16
.LBB71_19:
	s_mov_b64 s[8:9], 0
.LBB71_20:
	s_and_b64 vcc, exec, s[8:9]
	s_cbranch_vccz .LBB71_36
; %bb.21:
	s_and_b64 vcc, exec, s[4:5]
	s_mov_b32 s9, s7
	s_cbranch_vccz .LBB71_23
; %bb.22:
	s_add_i32 s8, s23, -2
	s_mul_i32 s10, s7, 40
	s_lshl_b32 s9, s7, 3
	s_sub_i32 s9, s10, s9
	s_lshl_b32 s11, s8, 3
	v_lshl_add_u32 v29, s8, 5, v1
	v_lshl_add_u32 v2, s23, 5, v1
	s_add_i32 s8, s9, s11
	v_lshl_add_u32 v28, s7, 5, v1
	v_add_u32_e32 v30, 0xffffffa0, v2
	v_add_u32_e32 v31, 0xffffff80, v2
	v_mov_b32_e32 v2, s8
	ds_read_b64 v[6:7], v28
	ds_read_b64 v[8:9], v29
	;; [unrolled: 1-line block ×4, first 2 shown]
	ds_read2_b64 v[2:5], v2 offset1:1
	s_sub_i32 s12, s10, 40
	v_mov_b32_e32 v14, s12
	ds_read_b64 v[14:15], v14
	s_waitcnt lgkmcnt(1)
	v_div_scale_f64 v[16:17], s[8:9], v[4:5], v[4:5], v[6:7]
	v_rcp_f64_e32 v[18:19], v[16:17]
	s_nop 0
	v_fma_f64 v[20:21], -v[16:17], v[18:19], 1.0
	v_fmac_f64_e32 v[18:19], v[18:19], v[20:21]
	v_fma_f64 v[20:21], -v[16:17], v[18:19], 1.0
	v_fmac_f64_e32 v[18:19], v[18:19], v[20:21]
	v_div_scale_f64 v[20:21], vcc, v[6:7], v[4:5], v[6:7]
	v_mul_f64 v[22:23], v[20:21], v[18:19]
	v_fma_f64 v[16:17], -v[16:17], v[22:23], v[20:21]
	s_nop 1
	v_div_fmas_f64 v[16:17], v[16:17], v[18:19], v[22:23]
	v_div_fixup_f64 v[16:17], v[16:17], v[4:5], v[6:7]
	v_fma_f64 v[18:19], -v[16:17], v[2:3], v[8:9]
	s_waitcnt lgkmcnt(0)
	v_div_scale_f64 v[2:3], s[8:9], v[14:15], v[14:15], v[18:19]
	v_rcp_f64_e32 v[20:21], v[2:3]
	s_sub_i32 s8, s12, s11
	s_lshl_b32 s9, s23, 3
	s_add_i32 s8, s8, s9
	v_fma_f64 v[4:5], -v[2:3], v[20:21], 1.0
	v_fmac_f64_e32 v[20:21], v[20:21], v[4:5]
	v_fma_f64 v[4:5], -v[2:3], v[20:21], 1.0
	v_fmac_f64_e32 v[20:21], v[20:21], v[4:5]
	v_div_scale_f64 v[4:5], vcc, v[18:19], v[14:15], v[18:19]
	v_mul_f64 v[22:23], v[4:5], v[20:21]
	s_sub_i32 s9, s8, 32
	v_fma_f64 v[24:25], -v[2:3], v[22:23], v[4:5]
	v_mov_b32_e32 v2, s8
	v_mov_b32_e32 v6, s9
	ds_read2_b64 v[2:5], v2 offset1:1
	ds_read2_b64 v[6:9], v6 offset1:1
	v_div_fmas_f64 v[20:21], v[24:25], v[20:21], v[22:23]
	v_div_fixup_f64 v[14:15], v[20:21], v[14:15], v[18:19]
	s_sub_i32 s8, s8, 64
	s_waitcnt lgkmcnt(1)
	v_fma_f64 v[4:5], -v[16:17], v[4:5], v[10:11]
	s_waitcnt lgkmcnt(0)
	v_fma_f64 v[4:5], -v[14:15], v[8:9], v[4:5]
	v_mov_b32_e32 v8, s8
	ds_read2_b64 v[8:11], v8 offset1:1
	s_add_i32 s8, s10, 0xffffff88
	v_mov_b32_e32 v18, s8
	ds_read_b64 v[18:19], v18
	v_fma_f64 v[2:3], -v[16:17], v[2:3], v[12:13]
	s_waitcnt lgkmcnt(1)
	v_div_scale_f64 v[20:21], s[8:9], v[10:11], v[10:11], v[4:5]
	v_rcp_f64_e32 v[22:23], v[20:21]
	v_fma_f64 v[2:3], -v[14:15], v[6:7], v[2:3]
	v_fma_f64 v[24:25], -v[20:21], v[22:23], 1.0
	v_fmac_f64_e32 v[22:23], v[22:23], v[24:25]
	v_fma_f64 v[24:25], -v[20:21], v[22:23], 1.0
	v_fmac_f64_e32 v[22:23], v[22:23], v[24:25]
	v_div_scale_f64 v[24:25], vcc, v[4:5], v[10:11], v[4:5]
	v_mul_f64 v[26:27], v[24:25], v[22:23]
	v_fma_f64 v[20:21], -v[20:21], v[26:27], v[24:25]
	s_nop 1
	v_div_fmas_f64 v[20:21], v[20:21], v[22:23], v[26:27]
	v_div_fixup_f64 v[4:5], v[20:21], v[10:11], v[4:5]
	v_fma_f64 v[2:3], -v[4:5], v[8:9], v[2:3]
	s_waitcnt lgkmcnt(0)
	v_div_scale_f64 v[6:7], s[8:9], v[18:19], v[18:19], v[2:3]
	v_rcp_f64_e32 v[8:9], v[6:7]
	ds_write_b64 v28, v[16:17]
	ds_write_b64 v29, v[14:15]
	;; [unrolled: 1-line block ×3, first 2 shown]
	s_add_i32 s9, s23, -5
	v_fma_f64 v[4:5], -v[6:7], v[8:9], 1.0
	v_fmac_f64_e32 v[8:9], v[8:9], v[4:5]
	v_fma_f64 v[4:5], -v[6:7], v[8:9], 1.0
	v_fmac_f64_e32 v[8:9], v[8:9], v[4:5]
	v_div_scale_f64 v[4:5], vcc, v[2:3], v[18:19], v[2:3]
	v_mul_f64 v[10:11], v[4:5], v[8:9]
	v_fma_f64 v[4:5], -v[6:7], v[10:11], v[4:5]
	s_nop 1
	v_div_fmas_f64 v[4:5], v[4:5], v[8:9], v[10:11]
	v_div_fixup_f64 v[2:3], v[4:5], v[18:19], v[2:3]
	ds_write_b64 v31, v[2:3]
.LBB71_23:
	s_cmp_lt_i32 s9, 0
	s_cbranch_scc1 .LBB71_36
; %bb.24:
	s_bitcmp1_b32 s9, 0
	s_cselect_b64 s[10:11], -1, 0
	s_and_b64 vcc, exec, s[10:11]
	s_mov_b32 s8, s9
	s_cbranch_vccnz .LBB71_29
; %bb.25:
	s_lshl_b32 s8, s9, 5
	v_add_u32_e32 v4, s8, v1
	ds_read_b64 v[2:3], v4
	s_cmp_le_i32 s7, s9
	s_cbranch_scc1 .LBB71_28
; %bb.26:
	s_lshl_b32 s11, s23, 5
	s_lshl_b32 s10, s9, 3
	s_add_i32 s10, s11, s10
	v_lshl_or_b32 v5, v0, 3, s11
	s_sub_i32 s10, s10, 32
	v_add_u32_e32 v5, 0x60, v5
	s_mov_b32 s11, s7
.LBB71_27:                              ; =>This Inner Loop Header: Depth=1
	v_mov_b32_e32 v8, s10
	ds_read_b64 v[6:7], v5
	ds_read_b64 v[8:9], v8
	s_add_i32 s11, s11, -1
	s_sub_i32 s10, s10, 32
	v_subrev_u32_e32 v5, 32, v5
	s_cmp_gt_u32 s11, s9
	s_waitcnt lgkmcnt(0)
	v_fma_f64 v[2:3], -v[6:7], v[8:9], v[2:3]
	s_cbranch_scc1 .LBB71_27
.LBB71_28:
	s_lshl_b32 s10, s9, 3
	s_add_i32 s8, s10, s8
	v_mov_b32_e32 v5, s8
	ds_read_b64 v[6:7], v5
	s_add_i32 s8, s9, -1
	s_waitcnt lgkmcnt(0)
	v_div_scale_f64 v[8:9], s[10:11], v[6:7], v[6:7], v[2:3]
	v_rcp_f64_e32 v[10:11], v[8:9]
	v_div_scale_f64 v[12:13], vcc, v[2:3], v[6:7], v[2:3]
	v_fma_f64 v[14:15], -v[8:9], v[10:11], 1.0
	v_fmac_f64_e32 v[10:11], v[10:11], v[14:15]
	v_fma_f64 v[14:15], -v[8:9], v[10:11], 1.0
	v_fmac_f64_e32 v[10:11], v[10:11], v[14:15]
	v_mul_f64 v[14:15], v[12:13], v[10:11]
	v_fma_f64 v[8:9], -v[8:9], v[14:15], v[12:13]
	v_div_fmas_f64 v[8:9], v[8:9], v[10:11], v[14:15]
	v_div_fixup_f64 v[2:3], v[8:9], v[6:7], v[2:3]
	ds_write_b64 v4, v[2:3]
.LBB71_29:
	s_cmp_eq_u32 s9, 0
	s_cbranch_scc1 .LBB71_36
; %bb.30:
	s_lshl_b32 s10, s23, 5
	s_lshl_b32 s9, s8, 3
	s_add_i32 s11, s10, s9
	v_lshl_or_b32 v2, v0, 3, s10
	s_sub_i32 s9, s11, 32
	v_add_u32_e32 v6, 0x60, v2
	s_sub_i32 s10, s11, 40
	s_branch .LBB71_32
.LBB71_31:                              ;   in Loop: Header=BB71_32 Depth=1
	s_add_i32 s12, s12, s13
	s_add_i32 s12, s12, -8
	v_mov_b32_e32 v4, s12
	ds_read_b64 v[4:5], v4
	s_add_i32 s8, s8, -2
	s_add_i32 s9, s9, -16
	s_add_i32 s10, s10, -16
	s_cmp_eq_u32 s11, 0
	s_waitcnt lgkmcnt(0)
	v_div_scale_f64 v[8:9], s[12:13], v[4:5], v[4:5], v[2:3]
	v_rcp_f64_e32 v[10:11], v[8:9]
	v_div_scale_f64 v[12:13], vcc, v[2:3], v[4:5], v[2:3]
	v_fma_f64 v[14:15], -v[8:9], v[10:11], 1.0
	v_fmac_f64_e32 v[10:11], v[10:11], v[14:15]
	v_fma_f64 v[14:15], -v[8:9], v[10:11], 1.0
	v_fmac_f64_e32 v[10:11], v[10:11], v[14:15]
	v_mul_f64 v[14:15], v[12:13], v[10:11]
	v_fma_f64 v[8:9], -v[8:9], v[14:15], v[12:13]
	v_div_fmas_f64 v[8:9], v[8:9], v[10:11], v[14:15]
	v_div_fixup_f64 v[2:3], v[8:9], v[4:5], v[2:3]
	ds_write_b64 v7, v[2:3]
	s_cbranch_scc1 .LBB71_36
.LBB71_32:                              ; =>This Loop Header: Depth=1
                                        ;     Child Loop BB71_33 Depth 2
                                        ;     Child Loop BB71_35 Depth 2
	s_lshl_b32 s11, s8, 5
	v_add_u32_e32 v8, s11, v1
	ds_read_b64 v[4:5], v8
	s_cmp_le_i32 s7, s8
	v_mov_b32_e32 v2, v6
	s_mov_b32 s12, s9
	s_mov_b32 s13, s7
	s_cbranch_scc1 .LBB71_34
.LBB71_33:                              ;   Parent Loop BB71_32 Depth=1
                                        ; =>  This Inner Loop Header: Depth=2
	v_mov_b32_e32 v3, s12
	ds_read_b64 v[10:11], v2
	ds_read_b64 v[12:13], v3
	s_add_i32 s13, s13, -1
	s_sub_i32 s12, s12, 32
	v_subrev_u32_e32 v2, 32, v2
	s_cmp_le_u32 s13, s8
	s_waitcnt lgkmcnt(0)
	v_fma_f64 v[4:5], -v[10:11], v[12:13], v[4:5]
	s_cbranch_scc0 .LBB71_33
.LBB71_34:                              ;   in Loop: Header=BB71_32 Depth=1
	s_lshl_b32 s12, s8, 3
	s_add_i32 s11, s12, s11
	v_mov_b32_e32 v2, s11
	ds_read_b64 v[10:11], v2
	s_add_i32 s11, s8, -1
	s_lshl_b32 s13, s11, 5
	v_add_u32_e32 v7, s13, v1
	ds_read_b64 v[2:3], v7
	s_waitcnt lgkmcnt(1)
	v_div_scale_f64 v[12:13], s[14:15], v[10:11], v[10:11], v[4:5]
	v_rcp_f64_e32 v[14:15], v[12:13]
	v_div_scale_f64 v[16:17], vcc, v[4:5], v[10:11], v[4:5]
	s_cmp_le_i32 s23, s8
	v_fma_f64 v[18:19], -v[12:13], v[14:15], 1.0
	v_fmac_f64_e32 v[14:15], v[14:15], v[18:19]
	v_fma_f64 v[18:19], -v[12:13], v[14:15], 1.0
	v_fmac_f64_e32 v[14:15], v[14:15], v[18:19]
	v_mul_f64 v[18:19], v[16:17], v[14:15]
	v_fma_f64 v[12:13], -v[12:13], v[18:19], v[16:17]
	v_div_fmas_f64 v[12:13], v[12:13], v[14:15], v[18:19]
	v_div_fixup_f64 v[4:5], v[12:13], v[10:11], v[4:5]
	ds_write_b64 v8, v[4:5]
	v_mov_b32_e32 v4, v6
	s_mov_b32 s14, s10
	s_mov_b32 s15, s7
	s_cbranch_scc1 .LBB71_31
.LBB71_35:                              ;   Parent Loop BB71_32 Depth=1
                                        ; =>  This Inner Loop Header: Depth=2
	v_mov_b32_e32 v5, s14
	ds_read_b64 v[8:9], v4
	ds_read_b64 v[10:11], v5
	s_add_i32 s15, s15, -1
	s_sub_i32 s14, s14, 32
	v_subrev_u32_e32 v4, 32, v4
	s_cmp_gt_u32 s15, s11
	s_waitcnt lgkmcnt(0)
	v_fma_f64 v[2:3], -v[8:9], v[10:11], v[2:3]
	s_cbranch_scc1 .LBB71_35
	s_branch .LBB71_31
.LBB71_36:
	s_mov_b64 s[12:13], 0
.LBB71_37:
	s_andn2_b64 vcc, exec, s[12:13]
	s_cbranch_vccnz .LBB71_53
; %bb.38:
	s_and_b64 vcc, exec, s[4:5]
	s_mov_b32 s5, s7
	s_cbranch_vccz .LBB71_40
; %bb.39:
	s_add_i32 s4, s23, -2
	s_add_i32 s8, s23, -3
	;; [unrolled: 1-line block ×3, first 2 shown]
	s_mul_i32 s12, s7, 40
	v_lshl_add_u32 v26, s7, 5, v1
	s_lshl_b32 s5, s4, 5
	s_lshl_b32 s9, s8, 5
	;; [unrolled: 1-line block ×3, first 2 shown]
	v_mov_b32_e32 v2, s12
	v_add_u32_e32 v27, s5, v1
	v_add_u32_e32 v28, s9, v1
	;; [unrolled: 1-line block ×3, first 2 shown]
	ds_read_b64 v[6:7], v26
	ds_read_b64 v[8:9], v27
	;; [unrolled: 1-line block ×5, first 2 shown]
	s_lshl_b32 s12, s4, 3
	s_add_i32 s4, s5, s12
	v_mov_b32_e32 v2, s4
	ds_read2_b64 v[2:5], v2 offset1:1
	s_waitcnt lgkmcnt(1)
	v_div_scale_f64 v[16:17], s[4:5], v[12:13], v[12:13], v[6:7]
	v_rcp_f64_e32 v[18:19], v[16:17]
	s_nop 0
	v_fma_f64 v[20:21], -v[16:17], v[18:19], 1.0
	v_fmac_f64_e32 v[18:19], v[18:19], v[20:21]
	v_fma_f64 v[20:21], -v[16:17], v[18:19], 1.0
	v_fmac_f64_e32 v[18:19], v[18:19], v[20:21]
	v_div_scale_f64 v[20:21], vcc, v[6:7], v[12:13], v[6:7]
	v_mul_f64 v[22:23], v[20:21], v[18:19]
	v_fma_f64 v[16:17], -v[16:17], v[22:23], v[20:21]
	s_nop 1
	v_div_fmas_f64 v[16:17], v[16:17], v[18:19], v[22:23]
	v_div_fixup_f64 v[16:17], v[16:17], v[12:13], v[6:7]
	s_waitcnt lgkmcnt(0)
	v_fma_f64 v[8:9], -v[16:17], v[4:5], v[8:9]
	v_div_scale_f64 v[4:5], s[4:5], v[2:3], v[2:3], v[8:9]
	v_rcp_f64_e32 v[12:13], v[4:5]
	s_lshl_b32 s4, s7, 3
	s_add_i32 s4, s9, s4
	v_fma_f64 v[6:7], -v[4:5], v[12:13], 1.0
	v_fmac_f64_e32 v[12:13], v[12:13], v[6:7]
	v_fma_f64 v[6:7], -v[4:5], v[12:13], 1.0
	v_fmac_f64_e32 v[12:13], v[12:13], v[6:7]
	v_div_scale_f64 v[6:7], vcc, v[8:9], v[2:3], v[8:9]
	v_mul_f64 v[18:19], v[6:7], v[12:13]
	v_fma_f64 v[20:21], -v[4:5], v[18:19], v[6:7]
	v_mov_b32_e32 v4, s4
	s_lshl_b32 s4, s8, 3
	s_add_i32 s4, s9, s4
	v_mov_b32_e32 v5, s4
	ds_read_b64 v[22:23], v4
	ds_read2_b64 v[4:7], v5 offset1:1
	v_div_fmas_f64 v[12:13], v[20:21], v[12:13], v[18:19]
	v_div_fixup_f64 v[2:3], v[12:13], v[2:3], v[8:9]
	s_waitcnt lgkmcnt(1)
	v_fma_f64 v[8:9], -v[16:17], v[22:23], v[10:11]
	s_waitcnt lgkmcnt(0)
	v_fma_f64 v[18:19], -v[2:3], v[6:7], v[8:9]
	v_div_scale_f64 v[6:7], s[4:5], v[4:5], v[4:5], v[18:19]
	v_rcp_f64_e32 v[20:21], v[6:7]
	s_add_i32 s4, s11, s12
	v_fma_f64 v[8:9], -v[6:7], v[20:21], 1.0
	v_fmac_f64_e32 v[20:21], v[20:21], v[8:9]
	v_fma_f64 v[8:9], -v[6:7], v[20:21], 1.0
	v_fmac_f64_e32 v[20:21], v[20:21], v[8:9]
	v_div_scale_f64 v[8:9], vcc, v[18:19], v[4:5], v[18:19]
	v_mul_f64 v[22:23], v[8:9], v[20:21]
	v_fma_f64 v[24:25], -v[6:7], v[22:23], v[8:9]
	v_mov_b32_e32 v6, s4
	s_lshl_b32 s4, s10, 3
	s_add_i32 s4, s11, s4
	v_mov_b32_e32 v10, s4
	ds_read2_b64 v[6:9], v6 offset1:1
	ds_read2_b64 v[10:13], v10 offset1:1
	v_div_fmas_f64 v[20:21], v[24:25], v[20:21], v[22:23]
	v_div_fixup_f64 v[4:5], v[20:21], v[4:5], v[18:19]
	ds_write_b64 v26, v[16:17]
	ds_write_b64 v27, v[2:3]
	;; [unrolled: 1-line block ×3, first 2 shown]
	s_waitcnt lgkmcnt(4)
	v_fma_f64 v[8:9], -v[16:17], v[8:9], v[14:15]
	v_fma_f64 v[6:7], -v[2:3], v[6:7], v[8:9]
	s_waitcnt lgkmcnt(3)
	v_fma_f64 v[6:7], -v[4:5], v[12:13], v[6:7]
	v_div_scale_f64 v[8:9], s[4:5], v[10:11], v[10:11], v[6:7]
	v_rcp_f64_e32 v[12:13], v[8:9]
	s_add_i32 s5, s23, -5
	v_fma_f64 v[2:3], -v[8:9], v[12:13], 1.0
	v_fmac_f64_e32 v[12:13], v[12:13], v[2:3]
	v_fma_f64 v[2:3], -v[8:9], v[12:13], 1.0
	v_fmac_f64_e32 v[12:13], v[12:13], v[2:3]
	v_div_scale_f64 v[2:3], vcc, v[6:7], v[10:11], v[6:7]
	v_mul_f64 v[4:5], v[2:3], v[12:13]
	v_fma_f64 v[2:3], -v[8:9], v[4:5], v[2:3]
	s_nop 1
	v_div_fmas_f64 v[2:3], v[2:3], v[12:13], v[4:5]
	v_div_fixup_f64 v[2:3], v[2:3], v[10:11], v[6:7]
	ds_write_b64 v29, v[2:3]
.LBB71_40:
	s_cmp_lt_i32 s5, 0
	s_cbranch_scc1 .LBB71_53
; %bb.41:
	s_bitcmp1_b32 s5, 0
	s_cselect_b64 s[8:9], -1, 0
	s_and_b64 vcc, exec, s[8:9]
	s_mov_b32 s4, s5
	s_cbranch_vccnz .LBB71_46
; %bb.42:
	v_lshl_add_u32 v4, s5, 5, v1
	ds_read_b64 v[2:3], v4
	s_cmp_le_i32 s7, s5
	s_cbranch_scc1 .LBB71_45
; %bb.43:
	s_lshl_b32 s4, s5, 5
	s_lshl_b32 s8, s23, 3
	v_lshlrev_b32_e32 v5, 3, v0
	s_add_i32 s4, s4, s8
	v_lshl_or_b32 v5, s23, 5, v5
	s_add_i32 s4, s4, -8
	v_add_u32_e32 v5, 0x60, v5
	s_mov_b32 s8, s7
.LBB71_44:                              ; =>This Inner Loop Header: Depth=1
	v_mov_b32_e32 v8, s4
	ds_read_b64 v[6:7], v5
	ds_read_b64 v[8:9], v8
	s_add_i32 s8, s8, -1
	s_add_i32 s4, s4, -8
	v_subrev_u32_e32 v5, 32, v5
	s_cmp_gt_u32 s8, s5
	s_waitcnt lgkmcnt(0)
	v_fma_f64 v[2:3], -v[6:7], v[8:9], v[2:3]
	s_cbranch_scc1 .LBB71_44
.LBB71_45:
	s_mul_i32 s4, s5, 40
	v_mov_b32_e32 v5, s4
	ds_read_b64 v[6:7], v5
	s_add_i32 s4, s5, -1
	s_waitcnt lgkmcnt(0)
	v_div_scale_f64 v[8:9], s[8:9], v[6:7], v[6:7], v[2:3]
	v_rcp_f64_e32 v[10:11], v[8:9]
	v_div_scale_f64 v[12:13], vcc, v[2:3], v[6:7], v[2:3]
	v_fma_f64 v[14:15], -v[8:9], v[10:11], 1.0
	v_fmac_f64_e32 v[10:11], v[10:11], v[14:15]
	v_fma_f64 v[14:15], -v[8:9], v[10:11], 1.0
	v_fmac_f64_e32 v[10:11], v[10:11], v[14:15]
	v_mul_f64 v[14:15], v[12:13], v[10:11]
	v_fma_f64 v[8:9], -v[8:9], v[14:15], v[12:13]
	v_div_fmas_f64 v[8:9], v[8:9], v[10:11], v[14:15]
	v_div_fixup_f64 v[2:3], v[8:9], v[6:7], v[2:3]
	ds_write_b64 v4, v[2:3]
.LBB71_46:
	s_cmp_eq_u32 s5, 0
	s_cbranch_scc1 .LBB71_53
; %bb.47:
	v_lshlrev_b32_e32 v2, 3, v0
	s_lshl_b32 s5, s4, 5
	s_lshl_b32 s8, s23, 3
	v_lshl_or_b32 v2, s23, 5, v2
	s_add_i32 s8, s5, s8
	v_add_u32_e32 v6, 0x60, v2
	s_add_i32 s5, s8, -8
	s_sub_i32 s8, s8, 40
	s_branch .LBB71_49
.LBB71_48:                              ;   in Loop: Header=BB71_49 Depth=1
	s_sub_i32 s10, s10, 40
	v_mov_b32_e32 v4, s10
	ds_read_b64 v[4:5], v4
	s_add_i32 s4, s4, -2
	s_sub_i32 s5, s5, 64
	s_sub_i32 s8, s8, 64
	s_cmp_eq_u32 s9, 0
	s_waitcnt lgkmcnt(0)
	v_div_scale_f64 v[8:9], s[10:11], v[4:5], v[4:5], v[2:3]
	v_rcp_f64_e32 v[10:11], v[8:9]
	v_div_scale_f64 v[12:13], vcc, v[2:3], v[4:5], v[2:3]
	v_fma_f64 v[14:15], -v[8:9], v[10:11], 1.0
	v_fmac_f64_e32 v[10:11], v[10:11], v[14:15]
	v_fma_f64 v[14:15], -v[8:9], v[10:11], 1.0
	v_fmac_f64_e32 v[10:11], v[10:11], v[14:15]
	v_mul_f64 v[14:15], v[12:13], v[10:11]
	v_fma_f64 v[8:9], -v[8:9], v[14:15], v[12:13]
	v_div_fmas_f64 v[8:9], v[8:9], v[10:11], v[14:15]
	v_div_fixup_f64 v[2:3], v[8:9], v[4:5], v[2:3]
	ds_write_b64 v7, v[2:3]
	s_cbranch_scc1 .LBB71_53
.LBB71_49:                              ; =>This Loop Header: Depth=1
                                        ;     Child Loop BB71_50 Depth 2
                                        ;     Child Loop BB71_52 Depth 2
	v_lshl_add_u32 v8, s4, 5, v1
	ds_read_b64 v[4:5], v8
	s_cmp_le_i32 s7, s4
	s_mov_b32 s9, s5
	v_mov_b32_e32 v2, v6
	s_mov_b32 s10, s7
	s_cbranch_scc1 .LBB71_51
.LBB71_50:                              ;   Parent Loop BB71_49 Depth=1
                                        ; =>  This Inner Loop Header: Depth=2
	v_mov_b32_e32 v3, s9
	ds_read_b64 v[10:11], v2
	ds_read_b64 v[12:13], v3
	s_add_i32 s10, s10, -1
	s_add_i32 s9, s9, -8
	v_subrev_u32_e32 v2, 32, v2
	s_cmp_le_u32 s10, s4
	s_waitcnt lgkmcnt(0)
	v_fma_f64 v[4:5], -v[10:11], v[12:13], v[4:5]
	s_cbranch_scc0 .LBB71_50
.LBB71_51:                              ;   in Loop: Header=BB71_49 Depth=1
	s_mul_i32 s10, s4, 40
	v_mov_b32_e32 v2, s10
	ds_read_b64 v[10:11], v2
	s_add_i32 s9, s4, -1
	v_lshl_add_u32 v7, s9, 5, v1
	ds_read_b64 v[2:3], v7
	s_cmp_le_i32 s23, s4
	s_waitcnt lgkmcnt(1)
	v_div_scale_f64 v[12:13], s[12:13], v[10:11], v[10:11], v[4:5]
	v_rcp_f64_e32 v[14:15], v[12:13]
	v_div_scale_f64 v[16:17], vcc, v[4:5], v[10:11], v[4:5]
	s_mov_b32 s11, s8
	v_fma_f64 v[18:19], -v[12:13], v[14:15], 1.0
	v_fmac_f64_e32 v[14:15], v[14:15], v[18:19]
	v_fma_f64 v[18:19], -v[12:13], v[14:15], 1.0
	v_fmac_f64_e32 v[14:15], v[14:15], v[18:19]
	v_mul_f64 v[18:19], v[16:17], v[14:15]
	v_fma_f64 v[12:13], -v[12:13], v[18:19], v[16:17]
	v_div_fmas_f64 v[12:13], v[12:13], v[14:15], v[18:19]
	v_div_fixup_f64 v[4:5], v[12:13], v[10:11], v[4:5]
	ds_write_b64 v8, v[4:5]
	v_mov_b32_e32 v4, v6
	s_mov_b32 s12, s7
	s_cbranch_scc1 .LBB71_48
.LBB71_52:                              ;   Parent Loop BB71_49 Depth=1
                                        ; =>  This Inner Loop Header: Depth=2
	v_mov_b32_e32 v5, s11
	ds_read_b64 v[8:9], v4
	ds_read_b64 v[10:11], v5
	s_add_i32 s12, s12, -1
	s_add_i32 s11, s11, -8
	v_subrev_u32_e32 v4, 32, v4
	s_cmp_gt_u32 s12, s9
	s_waitcnt lgkmcnt(0)
	v_fma_f64 v[2:3], -v[8:9], v[10:11], v[2:3]
	s_cbranch_scc1 .LBB71_52
	s_branch .LBB71_48
.LBB71_53:
	s_mov_b64 s[12:13], 0
.LBB71_54:
	s_andn2_b64 vcc, exec, s[12:13]
	s_cbranch_vccnz .LBB71_62
; %bb.55:
	v_mov_b32_e32 v1, 0x80
	v_lshl_or_b32 v1, v0, 3, v1
	s_cmp_gt_i32 s22, 3
	s_mov_b32 s4, 0
	s_cbranch_scc0 .LBB71_57
; %bb.56:
	v_mov_b32_e32 v26, 0
	ds_read2_b64 v[2:5], v1 offset1:4
	ds_read2_b64 v[6:9], v26 offset1:10
	ds_read_b128 v[10:13], v26 offset:32
	s_waitcnt lgkmcnt(1)
	v_div_scale_f64 v[14:15], s[4:5], v[6:7], v[6:7], v[2:3]
	v_rcp_f64_e32 v[16:17], v[14:15]
	v_div_scale_f64 v[18:19], vcc, v[2:3], v[6:7], v[2:3]
	v_fma_f64 v[20:21], -v[14:15], v[16:17], 1.0
	v_fmac_f64_e32 v[16:17], v[16:17], v[20:21]
	v_fma_f64 v[20:21], -v[14:15], v[16:17], 1.0
	v_fmac_f64_e32 v[16:17], v[16:17], v[20:21]
	v_mul_f64 v[20:21], v[18:19], v[16:17]
	v_fma_f64 v[14:15], -v[14:15], v[20:21], v[18:19]
	v_div_fmas_f64 v[14:15], v[14:15], v[16:17], v[20:21]
	v_div_fixup_f64 v[6:7], v[14:15], v[6:7], v[2:3]
	s_waitcnt lgkmcnt(0)
	v_fma_f64 v[10:11], -v[6:7], v[10:11], v[4:5]
	v_div_scale_f64 v[18:19], s[4:5], v[12:13], v[12:13], v[10:11]
	v_rcp_f64_e32 v[20:21], v[18:19]
	ds_read_b128 v[2:5], v26 offset:64
	ds_read2_b64 v[14:17], v1 offset0:8 offset1:12
	v_fma_f64 v[22:23], -v[18:19], v[20:21], 1.0
	v_fmac_f64_e32 v[20:21], v[20:21], v[22:23]
	v_fma_f64 v[22:23], -v[18:19], v[20:21], 1.0
	v_fmac_f64_e32 v[20:21], v[20:21], v[22:23]
	v_div_scale_f64 v[22:23], vcc, v[10:11], v[12:13], v[10:11]
	v_mul_f64 v[24:25], v[22:23], v[20:21]
	v_fma_f64 v[18:19], -v[18:19], v[24:25], v[22:23]
	s_waitcnt lgkmcnt(0)
	v_fma_f64 v[2:3], -v[6:7], v[2:3], v[14:15]
	v_div_fmas_f64 v[18:19], v[18:19], v[20:21], v[24:25]
	v_div_fixup_f64 v[18:19], v[18:19], v[12:13], v[10:11]
	v_fma_f64 v[14:15], -v[18:19], v[4:5], v[2:3]
	v_div_scale_f64 v[2:3], s[4:5], v[8:9], v[8:9], v[14:15]
	v_rcp_f64_e32 v[20:21], v[2:3]
	s_nop 0
	v_fma_f64 v[4:5], -v[2:3], v[20:21], 1.0
	v_fmac_f64_e32 v[20:21], v[20:21], v[4:5]
	v_fma_f64 v[4:5], -v[2:3], v[20:21], 1.0
	v_fmac_f64_e32 v[20:21], v[20:21], v[4:5]
	v_div_scale_f64 v[4:5], vcc, v[14:15], v[8:9], v[14:15]
	v_mul_f64 v[22:23], v[4:5], v[20:21]
	v_fma_f64 v[24:25], -v[2:3], v[22:23], v[4:5]
	ds_read_b128 v[2:5], v26 offset:96
	ds_read_b128 v[10:13], v26 offset:112
	v_div_fmas_f64 v[20:21], v[24:25], v[20:21], v[22:23]
	v_div_fixup_f64 v[8:9], v[20:21], v[8:9], v[14:15]
	ds_write2_b64 v1, v[6:7], v[18:19] offset1:4
	s_waitcnt lgkmcnt(2)
	v_fma_f64 v[2:3], -v[6:7], v[2:3], v[16:17]
	v_fma_f64 v[2:3], -v[18:19], v[4:5], v[2:3]
	s_waitcnt lgkmcnt(1)
	v_fma_f64 v[2:3], -v[8:9], v[10:11], v[2:3]
	v_div_scale_f64 v[4:5], s[4:5], v[12:13], v[12:13], v[2:3]
	v_rcp_f64_e32 v[10:11], v[4:5]
	s_mov_b32 s4, 4
	v_fma_f64 v[6:7], -v[4:5], v[10:11], 1.0
	v_fmac_f64_e32 v[10:11], v[10:11], v[6:7]
	v_fma_f64 v[6:7], -v[4:5], v[10:11], 1.0
	v_fmac_f64_e32 v[10:11], v[10:11], v[6:7]
	v_div_scale_f64 v[6:7], vcc, v[2:3], v[12:13], v[2:3]
	v_mul_f64 v[14:15], v[6:7], v[10:11]
	v_fma_f64 v[4:5], -v[4:5], v[14:15], v[6:7]
	s_nop 1
	v_div_fmas_f64 v[4:5], v[4:5], v[10:11], v[14:15]
	v_div_fixup_f64 v[2:3], v[4:5], v[12:13], v[2:3]
	ds_write2_b64 v1, v[8:9], v[2:3] offset0:8 offset1:12
.LBB71_57:
	s_cmp_ge_i32 s4, s23
	s_cbranch_scc1 .LBB71_62
; %bb.58:
	v_mov_b32_e32 v2, 0x80
	v_lshl_or_b32 v4, v0, 3, v2
	s_lshl_b32 s5, s4, 5
	s_branch .LBB71_60
.LBB71_59:                              ;   in Loop: Header=BB71_60 Depth=1
	s_mul_i32 s7, s4, 40
	v_mov_b32_e32 v6, s7
	ds_read_b64 v[6:7], v6
	s_add_i32 s4, s4, 1
	s_add_i32 s5, s5, 32
	s_cmp_ge_i32 s4, s23
	s_waitcnt lgkmcnt(0)
	v_div_scale_f64 v[8:9], s[8:9], v[6:7], v[6:7], v[2:3]
	v_rcp_f64_e32 v[10:11], v[8:9]
	v_div_scale_f64 v[12:13], vcc, v[2:3], v[6:7], v[2:3]
	v_fma_f64 v[14:15], -v[8:9], v[10:11], 1.0
	v_fmac_f64_e32 v[10:11], v[10:11], v[14:15]
	v_fma_f64 v[14:15], -v[8:9], v[10:11], 1.0
	v_fmac_f64_e32 v[10:11], v[10:11], v[14:15]
	v_mul_f64 v[14:15], v[12:13], v[10:11]
	v_fma_f64 v[8:9], -v[8:9], v[14:15], v[12:13]
	v_div_fmas_f64 v[8:9], v[8:9], v[10:11], v[14:15]
	v_div_fixup_f64 v[2:3], v[8:9], v[6:7], v[2:3]
	ds_write_b64 v5, v[2:3]
	s_cbranch_scc1 .LBB71_62
.LBB71_60:                              ; =>This Loop Header: Depth=1
                                        ;     Child Loop BB71_61 Depth 2
	v_lshl_add_u32 v5, s4, 5, v1
	ds_read_b64 v[2:3], v5
	s_cmp_eq_u32 s4, 0
	s_mov_b32 s7, s5
	v_mov_b32_e32 v6, v4
	s_mov_b32 s8, s4
	s_cbranch_scc1 .LBB71_59
.LBB71_61:                              ;   Parent Loop BB71_60 Depth=1
                                        ; =>  This Inner Loop Header: Depth=2
	v_mov_b32_e32 v7, s7
	ds_read_b64 v[8:9], v6
	ds_read_b64 v[10:11], v7
	s_add_i32 s8, s8, -1
	s_add_i32 s7, s7, 8
	v_add_u32_e32 v6, 32, v6
	s_cmp_eq_u32 s8, 0
	s_waitcnt lgkmcnt(0)
	v_fma_f64 v[2:3], -v[8:9], v[10:11], v[2:3]
	s_cbranch_scc0 .LBB71_61
	s_branch .LBB71_59
.LBB71_62:
	s_and_saveexec_b64 s[4:5], s[0:1]
	s_cbranch_execz .LBB71_66
; %bb.63:
	s_cmp_lt_i32 s22, 1
	s_cbranch_scc1 .LBB71_66
; %bb.64:
	s_ashr_i32 s7, s6, 31
	v_lshlrev_b32_e32 v2, 3, v0
	v_mov_b32_e32 v3, 0
	v_lshl_add_u64 v[0:1], s[2:3], 0, v[2:3]
	s_lshl_b64 s[0:1], s[6:7], 3
	v_or_b32_e32 v2, 0x80, v2
.LBB71_65:                              ; =>This Inner Loop Header: Depth=1
	ds_read_b64 v[4:5], v2
	s_add_i32 s22, s22, -1
	v_add_u32_e32 v2, 32, v2
	s_cmp_lg_u32 s22, 0
	s_waitcnt lgkmcnt(0)
	flat_store_dwordx2 v[0:1], v[4:5]
	v_lshl_add_u64 v[0:1], v[0:1], 0, s[0:1]
	s_cbranch_scc1 .LBB71_65
.LBB71_66:
	s_endpgm
	.section	.rodata,"a",@progbits
	.p2align	6, 0x0
	.amdhsa_kernel _ZL31rocblas_trsm_small_right_deviceIddPKPKdPKPdLi4EEv13rocblas_fill_18rocblas_operation_17rocblas_diagonal_iiT0_T1_lilT2_lili
		.amdhsa_group_segment_fixed_size 256
		.amdhsa_private_segment_fixed_size 0
		.amdhsa_kernarg_size 360
		.amdhsa_user_sgpr_count 2
		.amdhsa_user_sgpr_dispatch_ptr 0
		.amdhsa_user_sgpr_queue_ptr 0
		.amdhsa_user_sgpr_kernarg_segment_ptr 1
		.amdhsa_user_sgpr_dispatch_id 0
		.amdhsa_user_sgpr_kernarg_preload_length 0
		.amdhsa_user_sgpr_kernarg_preload_offset 0
		.amdhsa_user_sgpr_private_segment_size 0
		.amdhsa_uses_dynamic_stack 0
		.amdhsa_enable_private_segment 0
		.amdhsa_system_sgpr_workgroup_id_x 1
		.amdhsa_system_sgpr_workgroup_id_y 0
		.amdhsa_system_sgpr_workgroup_id_z 1
		.amdhsa_system_sgpr_workgroup_info 0
		.amdhsa_system_vgpr_workitem_id 0
		.amdhsa_next_free_vgpr 32
		.amdhsa_next_free_sgpr 26
		.amdhsa_accum_offset 32
		.amdhsa_reserve_vcc 1
		.amdhsa_float_round_mode_32 0
		.amdhsa_float_round_mode_16_64 0
		.amdhsa_float_denorm_mode_32 3
		.amdhsa_float_denorm_mode_16_64 3
		.amdhsa_dx10_clamp 1
		.amdhsa_ieee_mode 1
		.amdhsa_fp16_overflow 0
		.amdhsa_tg_split 0
		.amdhsa_exception_fp_ieee_invalid_op 0
		.amdhsa_exception_fp_denorm_src 0
		.amdhsa_exception_fp_ieee_div_zero 0
		.amdhsa_exception_fp_ieee_overflow 0
		.amdhsa_exception_fp_ieee_underflow 0
		.amdhsa_exception_fp_ieee_inexact 0
		.amdhsa_exception_int_div_zero 0
	.end_amdhsa_kernel
	.section	.text._ZL31rocblas_trsm_small_right_deviceIddPKPKdPKPdLi4EEv13rocblas_fill_18rocblas_operation_17rocblas_diagonal_iiT0_T1_lilT2_lili,"axG",@progbits,_ZL31rocblas_trsm_small_right_deviceIddPKPKdPKPdLi4EEv13rocblas_fill_18rocblas_operation_17rocblas_diagonal_iiT0_T1_lilT2_lili,comdat
.Lfunc_end71:
	.size	_ZL31rocblas_trsm_small_right_deviceIddPKPKdPKPdLi4EEv13rocblas_fill_18rocblas_operation_17rocblas_diagonal_iiT0_T1_lilT2_lili, .Lfunc_end71-_ZL31rocblas_trsm_small_right_deviceIddPKPKdPKPdLi4EEv13rocblas_fill_18rocblas_operation_17rocblas_diagonal_iiT0_T1_lilT2_lili
                                        ; -- End function
	.set _ZL31rocblas_trsm_small_right_deviceIddPKPKdPKPdLi4EEv13rocblas_fill_18rocblas_operation_17rocblas_diagonal_iiT0_T1_lilT2_lili.num_vgpr, 32
	.set _ZL31rocblas_trsm_small_right_deviceIddPKPKdPKPdLi4EEv13rocblas_fill_18rocblas_operation_17rocblas_diagonal_iiT0_T1_lilT2_lili.num_agpr, 0
	.set _ZL31rocblas_trsm_small_right_deviceIddPKPKdPKPdLi4EEv13rocblas_fill_18rocblas_operation_17rocblas_diagonal_iiT0_T1_lilT2_lili.numbered_sgpr, 26
	.set _ZL31rocblas_trsm_small_right_deviceIddPKPKdPKPdLi4EEv13rocblas_fill_18rocblas_operation_17rocblas_diagonal_iiT0_T1_lilT2_lili.num_named_barrier, 0
	.set _ZL31rocblas_trsm_small_right_deviceIddPKPKdPKPdLi4EEv13rocblas_fill_18rocblas_operation_17rocblas_diagonal_iiT0_T1_lilT2_lili.private_seg_size, 0
	.set _ZL31rocblas_trsm_small_right_deviceIddPKPKdPKPdLi4EEv13rocblas_fill_18rocblas_operation_17rocblas_diagonal_iiT0_T1_lilT2_lili.uses_vcc, 1
	.set _ZL31rocblas_trsm_small_right_deviceIddPKPKdPKPdLi4EEv13rocblas_fill_18rocblas_operation_17rocblas_diagonal_iiT0_T1_lilT2_lili.uses_flat_scratch, 0
	.set _ZL31rocblas_trsm_small_right_deviceIddPKPKdPKPdLi4EEv13rocblas_fill_18rocblas_operation_17rocblas_diagonal_iiT0_T1_lilT2_lili.has_dyn_sized_stack, 0
	.set _ZL31rocblas_trsm_small_right_deviceIddPKPKdPKPdLi4EEv13rocblas_fill_18rocblas_operation_17rocblas_diagonal_iiT0_T1_lilT2_lili.has_recursion, 0
	.set _ZL31rocblas_trsm_small_right_deviceIddPKPKdPKPdLi4EEv13rocblas_fill_18rocblas_operation_17rocblas_diagonal_iiT0_T1_lilT2_lili.has_indirect_call, 0
	.section	.AMDGPU.csdata,"",@progbits
; Kernel info:
; codeLenInByte = 4820
; TotalNumSgprs: 32
; NumVgprs: 32
; NumAgprs: 0
; TotalNumVgprs: 32
; ScratchSize: 0
; MemoryBound: 0
; FloatMode: 240
; IeeeMode: 1
; LDSByteSize: 256 bytes/workgroup (compile time only)
; SGPRBlocks: 3
; VGPRBlocks: 3
; NumSGPRsForWavesPerEU: 32
; NumVGPRsForWavesPerEU: 32
; AccumOffset: 32
; Occupancy: 8
; WaveLimiterHint : 0
; COMPUTE_PGM_RSRC2:SCRATCH_EN: 0
; COMPUTE_PGM_RSRC2:USER_SGPR: 2
; COMPUTE_PGM_RSRC2:TRAP_HANDLER: 0
; COMPUTE_PGM_RSRC2:TGID_X_EN: 1
; COMPUTE_PGM_RSRC2:TGID_Y_EN: 0
; COMPUTE_PGM_RSRC2:TGID_Z_EN: 1
; COMPUTE_PGM_RSRC2:TIDIG_COMP_CNT: 0
; COMPUTE_PGM_RSRC3_GFX90A:ACCUM_OFFSET: 7
; COMPUTE_PGM_RSRC3_GFX90A:TG_SPLIT: 0
	.section	.text._ZL38rocblas_trsm_small_left_device_sharedBILi8ELi8ELb0EddPKPKdPKPdEv13rocblas_fill_18rocblas_operation_17rocblas_diagonal_iiT3_T4_lilT5_lili,"axG",@progbits,_ZL38rocblas_trsm_small_left_device_sharedBILi8ELi8ELb0EddPKPKdPKPdEv13rocblas_fill_18rocblas_operation_17rocblas_diagonal_iiT3_T4_lilT5_lili,comdat
	.globl	_ZL38rocblas_trsm_small_left_device_sharedBILi8ELi8ELb0EddPKPKdPKPdEv13rocblas_fill_18rocblas_operation_17rocblas_diagonal_iiT3_T4_lilT5_lili ; -- Begin function _ZL38rocblas_trsm_small_left_device_sharedBILi8ELi8ELb0EddPKPKdPKPdEv13rocblas_fill_18rocblas_operation_17rocblas_diagonal_iiT3_T4_lilT5_lili
	.p2align	8
	.type	_ZL38rocblas_trsm_small_left_device_sharedBILi8ELi8ELb0EddPKPKdPKPdEv13rocblas_fill_18rocblas_operation_17rocblas_diagonal_iiT3_T4_lilT5_lili,@function
_ZL38rocblas_trsm_small_left_device_sharedBILi8ELi8ELb0EddPKPKdPKPdEv13rocblas_fill_18rocblas_operation_17rocblas_diagonal_iiT3_T4_lilT5_lili: ; @_ZL38rocblas_trsm_small_left_device_sharedBILi8ELi8ELb0EddPKPKdPKPdEv13rocblas_fill_18rocblas_operation_17rocblas_diagonal_iiT3_T4_lilT5_lili
; %bb.0:
	s_load_dwordx2 s[18:19], s[0:1], 0x28
	s_load_dwordx4 s[12:15], s[0:1], 0x40
	s_load_dwordx4 s[4:7], s[0:1], 0x4
	;; [unrolled: 1-line block ×3, first 2 shown]
	s_mov_b32 s16, s3
	s_mov_b32 s17, 0
	s_lshl_b64 s[20:21], s[16:17], 3
	s_waitcnt lgkmcnt(0)
	s_add_u32 s12, s12, s20
	s_addc_u32 s13, s13, s21
	s_load_dwordx2 s[12:13], s[12:13], 0x0
	s_min_i32 s22, s6, 8
	v_cmp_gt_i32_e32 vcc, s22, v0
	s_and_saveexec_b64 s[16:17], vcc
	s_cbranch_execz .LBB72_6
; %bb.1:
	s_load_dword s24, s[0:1], 0x30
	v_lshlrev_b32_e32 v2, 3, v0
	v_mov_b32_e32 v3, 0
	v_mov_b32_e32 v1, v2
	s_mov_b32 s3, s22
	s_waitcnt lgkmcnt(0)
	s_ashr_i32 s25, s24, 31
	s_add_u32 s10, s10, s20
	s_addc_u32 s11, s11, s21
	s_load_dwordx2 s[10:11], s[10:11], 0x0
	s_lshl_b64 s[18:19], s[18:19], 3
	s_waitcnt lgkmcnt(0)
	s_add_u32 s18, s10, s18
	s_addc_u32 s19, s11, s19
	s_lshl_b64 s[10:11], s[24:25], 3
	v_lshl_add_u64 v[4:5], s[18:19], 0, v[2:3]
.LBB72_2:                               ; =>This Inner Loop Header: Depth=1
	flat_load_dwordx2 v[6:7], v[4:5]
	s_add_i32 s3, s3, -1
	v_lshl_add_u64 v[4:5], v[4:5], 0, s[10:11]
	s_cmp_eq_u32 s3, 0
	s_waitcnt vmcnt(0) lgkmcnt(0)
	ds_write_b64 v1, v[6:7]
	v_add_u32_e32 v1, 64, v1
	s_cbranch_scc0 .LBB72_2
; %bb.3:
	v_lshlrev_b32_e32 v1, 6, v0
	s_cmpk_lg_i32 s5, 0x84
	v_mov_b64_e32 v[4:5], 1.0
	v_add_u32_e32 v1, v2, v1
	s_cbranch_scc0 .LBB72_5
; %bb.4:
	ds_read_b64 v[2:3], v1
	s_waitcnt lgkmcnt(0)
	v_div_scale_f64 v[4:5], s[10:11], v[2:3], v[2:3], 1.0
	v_rcp_f64_e32 v[6:7], v[4:5]
	v_div_scale_f64 v[8:9], vcc, 1.0, v[2:3], 1.0
	v_fma_f64 v[10:11], -v[4:5], v[6:7], 1.0
	v_fmac_f64_e32 v[6:7], v[6:7], v[10:11]
	v_fma_f64 v[10:11], -v[4:5], v[6:7], 1.0
	v_fmac_f64_e32 v[6:7], v[6:7], v[10:11]
	v_mul_f64 v[10:11], v[8:9], v[6:7]
	v_fma_f64 v[4:5], -v[4:5], v[10:11], v[8:9]
	v_div_fmas_f64 v[4:5], v[4:5], v[6:7], v[10:11]
	v_div_fixup_f64 v[4:5], v[4:5], v[2:3], 1.0
.LBB72_5:
	ds_write_b64 v1, v[4:5]
.LBB72_6:
	s_or_b64 exec, exec, s[16:17]
	s_load_dword s3, s[0:1], 0x68
	s_load_dword s16, s[0:1], 0x50
	s_lshl_b64 s[0:1], s[14:15], 3
	s_waitcnt lgkmcnt(0)
	s_add_u32 s5, s12, s0
	s_addc_u32 s10, s13, s1
	s_lshl_b32 s0, s2, 3
	s_add_i32 s3, s3, -1
	s_sub_i32 s1, s7, s0
	s_cmp_ge_u32 s2, s3
	s_cselect_b32 s7, s1, 8
	s_mul_hi_i32 s1, s16, s0
	s_mul_i32 s0, s16, s0
	s_lshl_b64 s[0:1], s[0:1], 3
	s_add_u32 s2, s5, s0
	s_addc_u32 s3, s10, s1
	s_cmp_gt_i32 s6, 0
	v_cmp_gt_i32_e64 s[0:1], s7, v0
	s_cselect_b64 s[10:11], -1, 0
	s_and_b64 s[14:15], s[0:1], s[10:11]
	s_and_saveexec_b64 s[12:13], s[14:15]
	s_cbranch_execz .LBB72_9
; %bb.7:
	v_mad_i64_i32 v[2:3], s[14:15], s16, v0, 0
	v_mov_b32_e32 v1, 0x200
	v_lshl_add_u64 v[2:3], v[2:3], 3, s[2:3]
	v_lshl_or_b32 v1, v0, 3, v1
	s_mov_b32 s5, s22
.LBB72_8:                               ; =>This Inner Loop Header: Depth=1
	flat_load_dwordx2 v[4:5], v[2:3]
	s_add_i32 s5, s5, -1
	v_lshl_add_u64 v[2:3], v[2:3], 0, 8
	s_cmp_lg_u32 s5, 0
	s_waitcnt vmcnt(0) lgkmcnt(0)
	v_mul_f64 v[4:5], s[8:9], v[4:5]
	ds_write_b64 v1, v[4:5]
	v_add_u32_e32 v1, 64, v1
	s_cbranch_scc1 .LBB72_8
.LBB72_9:
	s_or_b64 exec, exec, s[12:13]
	v_mov_b32_e32 v1, 0x200
	s_cmpk_eq_i32 s4, 0x6f
	v_lshl_or_b32 v1, v0, 3, v1
	s_mov_b64 s[4:5], -1
	s_waitcnt lgkmcnt(0)
	; wave barrier
	s_cbranch_scc1 .LBB72_31
; %bb.10:
	s_cmp_gt_i32 s6, 7
	s_cbranch_scc0 .LBB72_12
; %bb.11:
	ds_read2_b64 v[2:5], v1 offset1:8
	v_mov_b32_e32 v34, 0
	ds_read2_b64 v[6:9], v34 offset1:18
	ds_read2_b64 v[10:13], v1 offset0:16 offset1:24
	ds_read_b128 v[14:17], v34 offset:64
	ds_read2_b64 v[18:21], v1 offset0:32 offset1:40
	ds_read2_b64 v[22:25], v1 offset0:48 offset1:56
	ds_read_b128 v[26:29], v34 offset:128
	s_mov_b32 s7, 8
	s_waitcnt lgkmcnt(5)
	v_mul_f64 v[30:31], v[2:3], v[6:7]
	s_waitcnt lgkmcnt(3)
	v_fma_f64 v[2:3], -v[30:31], v[14:15], v[4:5]
	v_mul_f64 v[32:33], v[2:3], v[16:17]
	ds_read_b128 v[2:5], v34 offset:192
	ds_read_b128 v[14:17], v34 offset:208
	s_waitcnt lgkmcnt(2)
	v_fma_f64 v[6:7], -v[30:31], v[26:27], v[10:11]
	v_fma_f64 v[6:7], -v[32:33], v[28:29], v[6:7]
	v_mul_f64 v[26:27], v[6:7], v[8:9]
	s_waitcnt lgkmcnt(1)
	v_fma_f64 v[2:3], -v[30:31], v[2:3], v[12:13]
	v_fma_f64 v[2:3], -v[32:33], v[4:5], v[2:3]
	s_waitcnt lgkmcnt(0)
	v_fma_f64 v[6:7], -v[26:27], v[14:15], v[2:3]
	ds_read_b128 v[2:5], v34 offset:256
	v_mul_f64 v[28:29], v[6:7], v[16:17]
	ds_read_b128 v[6:9], v34 offset:272
	ds_read2_b64 v[10:13], v34 offset0:36 offset1:54
	ds_write2_b64 v1, v[30:31], v[32:33] offset1:8
	s_waitcnt lgkmcnt(3)
	v_fma_f64 v[2:3], -v[30:31], v[2:3], v[18:19]
	v_fma_f64 v[2:3], -v[32:33], v[4:5], v[2:3]
	s_waitcnt lgkmcnt(2)
	v_fma_f64 v[6:7], -v[26:27], v[6:7], v[2:3]
	ds_read_b128 v[2:5], v34 offset:320
	v_fma_f64 v[14:15], -v[28:29], v[8:9], v[6:7]
	ds_read_b128 v[6:9], v34 offset:336
	s_waitcnt lgkmcnt(3)
	v_mul_f64 v[18:19], v[14:15], v[10:11]
	ds_read_b128 v[14:17], v34 offset:352
	s_waitcnt lgkmcnt(2)
	v_fma_f64 v[2:3], -v[30:31], v[2:3], v[20:21]
	v_fma_f64 v[2:3], -v[32:33], v[4:5], v[2:3]
	s_waitcnt lgkmcnt(1)
	v_fma_f64 v[2:3], -v[26:27], v[6:7], v[2:3]
	v_fma_f64 v[6:7], -v[28:29], v[8:9], v[2:3]
	ds_read_b128 v[2:5], v34 offset:384
	s_waitcnt lgkmcnt(1)
	v_fma_f64 v[6:7], -v[18:19], v[14:15], v[6:7]
	v_mul_f64 v[20:21], v[6:7], v[16:17]
	ds_read_b128 v[6:9], v34 offset:400
	ds_read_b128 v[14:17], v34 offset:416
	s_waitcnt lgkmcnt(2)
	v_fma_f64 v[2:3], -v[30:31], v[2:3], v[22:23]
	v_fma_f64 v[2:3], -v[32:33], v[4:5], v[2:3]
	ds_write2_b64 v1, v[26:27], v[28:29] offset0:16 offset1:24
	s_waitcnt lgkmcnt(2)
	v_fma_f64 v[2:3], -v[26:27], v[6:7], v[2:3]
	v_fma_f64 v[2:3], -v[28:29], v[8:9], v[2:3]
	s_waitcnt lgkmcnt(1)
	v_fma_f64 v[2:3], -v[18:19], v[14:15], v[2:3]
	v_fma_f64 v[6:7], -v[20:21], v[16:17], v[2:3]
	ds_read_b128 v[2:5], v34 offset:448
	ds_write2_b64 v1, v[18:19], v[20:21] offset0:32 offset1:40
	v_mul_f64 v[22:23], v[6:7], v[12:13]
	ds_read_b128 v[6:9], v34 offset:464
	ds_read_b128 v[10:13], v34 offset:480
	;; [unrolled: 1-line block ×3, first 2 shown]
	s_waitcnt lgkmcnt(4)
	v_fma_f64 v[2:3], -v[30:31], v[2:3], v[24:25]
	v_fma_f64 v[2:3], -v[32:33], v[4:5], v[2:3]
	s_waitcnt lgkmcnt(2)
	v_fma_f64 v[2:3], -v[26:27], v[6:7], v[2:3]
	v_fma_f64 v[2:3], -v[28:29], v[8:9], v[2:3]
	s_waitcnt lgkmcnt(1)
	v_fma_f64 v[2:3], -v[18:19], v[10:11], v[2:3]
	v_fma_f64 v[2:3], -v[20:21], v[12:13], v[2:3]
	s_waitcnt lgkmcnt(0)
	v_fma_f64 v[2:3], -v[22:23], v[14:15], v[2:3]
	v_mul_f64 v[2:3], v[2:3], v[16:17]
	ds_write2_b64 v1, v[22:23], v[2:3] offset0:48 offset1:56
	s_cmp_lt_i32 s7, s22
	s_cbranch_scc1 .LBB72_13
	s_branch .LBB72_30
.LBB72_12:
	s_mov_b32 s7, 0
	s_cmp_lt_i32 s7, s22
	s_cbranch_scc0 .LBB72_30
.LBB72_13:
	s_or_b32 s4, s7, 3
	s_cmp_ge_u32 s4, s22
	s_cbranch_scc1 .LBB72_24
; %bb.14:
	s_add_i32 s8, s7, -1
	s_lshl_b32 s9, s7, 6
	v_mov_b32_e32 v2, 0x200
	s_bitcmp1_b32 s7, 2
	v_lshl_or_b32 v10, v0, 3, v2
	s_mov_b32 s12, 0
	s_cselect_b64 s[4:5], -1, 0
.LBB72_15:                              ; =>This Loop Header: Depth=1
                                        ;     Child Loop BB72_18 Depth 2
                                        ;     Child Loop BB72_21 Depth 2
	s_lshl_b32 s13, s7, 6
	v_add_u32_e32 v11, s13, v1
	ds_read2_b64 v[6:9], v11 offset1:8
	ds_read2_b64 v[2:5], v11 offset0:16 offset1:24
	s_cmp_eq_u32 s7, 0
	s_cbranch_scc1 .LBB72_22
; %bb.16:                               ;   in Loop: Header=BB72_15 Depth=1
	s_lshl_b32 s14, s12, 2
	s_add_i32 s14, s8, s14
	s_cmp_lt_u32 s14, 7
	s_mov_b32 s14, 0
	s_cbranch_scc1 .LBB72_19
; %bb.17:                               ;   in Loop: Header=BB72_15 Depth=1
	s_and_b32 s14, s7, -8
	s_mov_b32 s15, 0
	v_mov_b32_e32 v12, v10
	s_mov_b32 s17, s9
.LBB72_18:                              ;   Parent Loop BB72_15 Depth=1
                                        ; =>  This Inner Loop Header: Depth=2
	ds_read2_b64 v[14:17], v12 offset1:8
	v_mov_b32_e32 v13, s17
	ds_read2_b64 v[18:21], v12 offset0:16 offset1:24
	ds_read2_b64 v[22:25], v12 offset0:32 offset1:40
	;; [unrolled: 1-line block ×3, first 2 shown]
	ds_read_b128 v[30:33], v13
	ds_read_b128 v[34:37], v13 offset:16
	ds_read_b128 v[38:41], v13 offset:32
	;; [unrolled: 1-line block ×7, first 2 shown]
	s_add_i32 s17, s17, 64
	s_waitcnt lgkmcnt(7)
	v_fma_f64 v[6:7], -v[14:15], v[30:31], v[6:7]
	v_fma_f64 v[62:63], -v[16:17], v[32:33], v[6:7]
	ds_read_b128 v[30:33], v13 offset:144
	s_waitcnt lgkmcnt(2)
	v_fma_f64 v[6:7], -v[14:15], v[54:55], v[8:9]
	v_fma_f64 v[54:55], -v[16:17], v[56:57], v[6:7]
	ds_read_b128 v[6:9], v13 offset:208
	v_fma_f64 v[2:3], -v[14:15], v[46:47], v[2:3]
	v_fma_f64 v[56:57], -v[16:17], v[48:49], v[2:3]
	;; [unrolled: 1-line block ×3, first 2 shown]
	ds_read_b128 v[46:49], v13 offset:96
	v_fma_f64 v[64:65], -v[16:17], v[52:53], v[2:3]
	ds_read_b128 v[2:5], v13 offset:160
	ds_read_b128 v[14:17], v13 offset:224
	v_fma_f64 v[34:35], -v[18:19], v[34:35], v[62:63]
	s_waitcnt lgkmcnt(5)
	v_fma_f64 v[50:51], -v[18:19], v[58:59], v[54:55]
	s_waitcnt lgkmcnt(4)
	v_fma_f64 v[30:31], -v[18:19], v[30:31], v[56:57]
	v_fma_f64 v[62:63], -v[20:21], v[36:37], v[34:35]
	ds_read_b128 v[34:37], v13 offset:112
	v_fma_f64 v[54:55], -v[20:21], v[60:61], v[50:51]
	ds_read_b128 v[50:53], v13 offset:176
	;; [unrolled: 2-line block ×3, first 2 shown]
	s_waitcnt lgkmcnt(6)
	v_fma_f64 v[6:7], -v[18:19], v[6:7], v[64:65]
	v_fma_f64 v[6:7], -v[20:21], v[8:9], v[6:7]
	;; [unrolled: 1-line block ×3, first 2 shown]
	s_waitcnt lgkmcnt(5)
	v_fma_f64 v[18:19], -v[22:23], v[46:47], v[54:55]
	s_waitcnt lgkmcnt(4)
	v_fma_f64 v[2:3], -v[22:23], v[2:3], v[56:57]
	s_waitcnt lgkmcnt(3)
	v_fma_f64 v[6:7], -v[22:23], v[14:15], v[6:7]
	v_fma_f64 v[8:9], -v[24:25], v[40:41], v[8:9]
	v_fma_f64 v[14:15], -v[24:25], v[48:49], v[18:19]
	;; [unrolled: 1-line block ×4, first 2 shown]
	s_add_i32 s15, s15, 8
	v_fma_f64 v[6:7], -v[26:27], v[42:43], v[8:9]
	s_waitcnt lgkmcnt(2)
	v_fma_f64 v[8:9], -v[26:27], v[34:35], v[14:15]
	s_waitcnt lgkmcnt(1)
	;; [unrolled: 2-line block ×3, first 2 shown]
	v_fma_f64 v[4:5], -v[26:27], v[30:31], v[4:5]
	v_add_u32_e32 v12, 0x200, v12
	s_cmp_lg_u32 s14, s15
	v_fma_f64 v[6:7], -v[28:29], v[44:45], v[6:7]
	v_fma_f64 v[8:9], -v[28:29], v[36:37], v[8:9]
	;; [unrolled: 1-line block ×4, first 2 shown]
	s_cbranch_scc1 .LBB72_18
.LBB72_19:                              ;   in Loop: Header=BB72_15 Depth=1
	s_bitcmp0_b32 s7, 2
	s_cbranch_scc1 .LBB72_22
; %bb.20:                               ;   in Loop: Header=BB72_15 Depth=1
	v_cndmask_b32_e64 v12, 0, 1, s[4:5]
	s_lshl_b32 s17, s14, 3
	v_readfirstlane_b32 s15, v12
	s_lshl_b32 s15, s15, 2
	v_lshl_add_u32 v12, s14, 6, v10
.LBB72_21:                              ;   Parent Loop BB72_15 Depth=1
                                        ; =>  This Inner Loop Header: Depth=2
	s_add_i32 s14, s9, s17
	v_mov_b32_e32 v13, s14
	ds_read_b64 v[22:23], v12
	ds_read2_b64 v[14:17], v13 offset1:8
	ds_read2_b64 v[18:21], v13 offset0:16 offset1:24
	s_add_i32 s17, s17, 8
	s_add_i32 s15, s15, -1
	v_add_u32_e32 v12, 64, v12
	s_cmp_lg_u32 s15, 0
	s_waitcnt lgkmcnt(1)
	v_fma_f64 v[6:7], -v[22:23], v[14:15], v[6:7]
	v_fma_f64 v[8:9], -v[22:23], v[16:17], v[8:9]
	s_waitcnt lgkmcnt(0)
	v_fma_f64 v[2:3], -v[22:23], v[18:19], v[2:3]
	v_fma_f64 v[4:5], -v[22:23], v[20:21], v[4:5]
	s_cbranch_scc1 .LBB72_21
.LBB72_22:                              ;   in Loop: Header=BB72_15 Depth=1
	s_lshl_b32 s14, s7, 3
	s_add_i32 s15, s14, s13
	v_mov_b32_e32 v12, s15
	ds_read2_b64 v[12:15], v12 offset1:18
	s_or_b32 s15, s13, 64
	s_add_i32 s17, s14, s15
	v_mov_b32_e32 v16, s17
	s_or_b32 s17, s13, 0x80
	ds_read_b128 v[16:19], v16
	s_add_i32 s18, s14, s17
	s_waitcnt lgkmcnt(1)
	v_mul_f64 v[24:25], v[6:7], v[12:13]
	v_mov_b32_e32 v6, s18
	ds_read_b128 v[20:23], v6
	s_or_b32 s13, s13, 0xc0
	s_waitcnt lgkmcnt(1)
	v_fma_f64 v[6:7], -v[24:25], v[16:17], v[8:9]
	s_add_i32 s14, s14, s13
	ds_write_b64 v11, v[24:25]
	v_mul_f64 v[16:17], v[6:7], v[18:19]
	v_add_u32_e32 v6, s15, v1
	v_mov_b32_e32 v11, s14
	ds_write_b64 v6, v[16:17]
	s_waitcnt lgkmcnt(2)
	v_fma_f64 v[2:3], -v[24:25], v[20:21], v[2:3]
	ds_read_b128 v[6:9], v11
	v_fma_f64 v[2:3], -v[16:17], v[22:23], v[2:3]
	v_mul_f64 v[2:3], v[2:3], v[14:15]
	ds_read_b128 v[12:15], v11 offset:16
	v_add_u32_e32 v11, s17, v1
	s_waitcnt lgkmcnt(1)
	v_fma_f64 v[4:5], -v[24:25], v[6:7], v[4:5]
	v_fma_f64 v[4:5], -v[16:17], v[8:9], v[4:5]
	ds_write_b64 v11, v[2:3]
	s_waitcnt lgkmcnt(1)
	v_fma_f64 v[2:3], -v[2:3], v[12:13], v[4:5]
	v_add_u32_e32 v4, s13, v1
	s_add_i32 s13, s7, 4
	s_add_i32 s7, s7, 7
	;; [unrolled: 1-line block ×3, first 2 shown]
	s_addk_i32 s9, 0x100
	s_xor_b64 s[4:5], s[4:5], -1
	v_mul_f64 v[2:3], v[2:3], v[14:15]
	s_cmp_lt_i32 s7, s22
	ds_write_b64 v4, v[2:3]
	s_cbranch_scc0 .LBB72_25
; %bb.23:                               ;   in Loop: Header=BB72_15 Depth=1
	s_mov_b32 s7, s13
	s_branch .LBB72_15
.LBB72_24:
	s_mov_b32 s13, s7
.LBB72_25:
	s_cmp_ge_i32 s13, s22
	s_cbranch_scc1 .LBB72_30
; %bb.26:
	v_mov_b32_e32 v2, 0x200
	s_lshl_b32 s4, s13, 6
	v_lshl_or_b32 v4, v0, 3, v2
	s_branch .LBB72_28
.LBB72_27:                              ;   in Loop: Header=BB72_28 Depth=1
	s_mul_i32 s5, s13, 0x48
	v_mov_b32_e32 v6, s5
	ds_read_b64 v[6:7], v6
	s_add_i32 s13, s13, 1
	s_add_i32 s4, s4, 64
	s_cmp_ge_i32 s13, s22
	s_waitcnt lgkmcnt(0)
	v_mul_f64 v[2:3], v[2:3], v[6:7]
	ds_write_b64 v5, v[2:3]
	s_cbranch_scc1 .LBB72_30
.LBB72_28:                              ; =>This Loop Header: Depth=1
                                        ;     Child Loop BB72_29 Depth 2
	s_lshl_b32 s5, s13, 6
	v_add_u32_e32 v5, s5, v1
	ds_read_b64 v[2:3], v5
	s_cmp_eq_u32 s13, 0
	v_mov_b32_e32 v6, v4
	s_mov_b32 s5, s13
	s_mov_b32 s7, s4
	s_cbranch_scc1 .LBB72_27
.LBB72_29:                              ;   Parent Loop BB72_28 Depth=1
                                        ; =>  This Inner Loop Header: Depth=2
	v_mov_b32_e32 v7, s7
	ds_read_b64 v[8:9], v6
	ds_read_b64 v[10:11], v7
	s_add_i32 s7, s7, 8
	s_add_i32 s5, s5, -1
	v_add_u32_e32 v6, 64, v6
	s_cmp_lg_u32 s5, 0
	s_waitcnt lgkmcnt(0)
	v_fma_f64 v[2:3], -v[8:9], v[10:11], v[2:3]
	s_cbranch_scc1 .LBB72_29
	s_branch .LBB72_27
.LBB72_30:
	s_mov_b64 s[4:5], 0
.LBB72_31:
	s_and_b64 vcc, exec, s[4:5]
	s_cbranch_vccz .LBB72_57
; %bb.32:
	s_add_i32 s4, s22, -1
	s_cmp_gt_i32 s6, 7
	s_mov_b32 s5, -1
	s_cbranch_scc0 .LBB72_34
; %bb.33:
	ds_read2_b64 v[2:5], v1 offset0:48 offset1:56
	ds_read2_b64 v[6:9], v1 offset0:32 offset1:40
	v_mov_b32_e32 v54, 0
	ds_read_b128 v[10:13], v54 offset:496
	ds_read2_b64 v[14:17], v1 offset0:16 offset1:24
	ds_read2_b64 v[18:21], v54 offset0:36 offset1:54
	ds_read2_b64 v[22:25], v1 offset1:8
	ds_read_b128 v[26:29], v54 offset:480
	ds_read_b128 v[32:35], v54 offset:384
	s_waitcnt lgkmcnt(5)
	v_mul_f64 v[48:49], v[4:5], v[12:13]
	v_fma_f64 v[2:3], -v[48:49], v[10:11], v[2:3]
	s_waitcnt lgkmcnt(3)
	v_mul_f64 v[50:51], v[2:3], v[20:21]
	ds_read_b128 v[2:5], v54 offset:416
	ds_read_b128 v[10:13], v54 offset:352
	s_waitcnt lgkmcnt(3)
	v_fma_f64 v[8:9], -v[48:49], v[28:29], v[8:9]
	ds_read_b128 v[28:31], v54 offset:400
	ds_write2_b64 v1, v[50:51], v[48:49] offset0:48 offset1:56
	s_waitcnt lgkmcnt(3)
	v_fma_f64 v[4:5], -v[50:51], v[4:5], v[8:9]
	s_waitcnt lgkmcnt(2)
	v_mul_f64 v[52:53], v[4:5], v[12:13]
	v_fma_f64 v[4:5], -v[48:49], v[26:27], v[6:7]
	v_fma_f64 v[6:7], -v[50:51], v[2:3], v[4:5]
	ds_read_b128 v[2:5], v54 offset:464
	v_fma_f64 v[6:7], -v[52:53], v[10:11], v[6:7]
	ds_read_b128 v[10:13], v54 offset:336
	v_mul_f64 v[26:27], v[6:7], v[18:19]
	ds_write2_b64 v1, v[26:27], v[52:53] offset0:32 offset1:40
	ds_read_b128 v[6:9], v54 offset:448
	s_waitcnt lgkmcnt(3)
	v_fma_f64 v[4:5], -v[48:49], v[4:5], v[16:17]
	ds_read_b128 v[16:19], v54 offset:272
	ds_read_b128 v[36:39], v54 offset:208
	;; [unrolled: 1-line block ×3, first 2 shown]
	v_fma_f64 v[4:5], -v[50:51], v[30:31], v[4:5]
	s_waitcnt lgkmcnt(5)
	v_fma_f64 v[4:5], -v[52:53], v[12:13], v[4:5]
	s_waitcnt lgkmcnt(2)
	;; [unrolled: 2-line block ×3, first 2 shown]
	v_mul_f64 v[30:31], v[4:5], v[38:39]
	v_fma_f64 v[12:13], -v[48:49], v[2:3], v[14:15]
	ds_read2_b64 v[2:5], v54 offset1:18
	v_fma_f64 v[12:13], -v[50:51], v[28:29], v[12:13]
	v_fma_f64 v[10:11], -v[52:53], v[10:11], v[12:13]
	;; [unrolled: 1-line block ×3, first 2 shown]
	ds_read_b128 v[44:47], v54 offset:256
	ds_read_b128 v[18:21], v54 offset:192
	v_fma_f64 v[10:11], -v[30:31], v[36:37], v[10:11]
	s_waitcnt lgkmcnt(2)
	v_mul_f64 v[4:5], v[10:11], v[4:5]
	ds_write2_b64 v1, v[4:5], v[30:31] offset0:16 offset1:24
	v_fma_f64 v[8:9], -v[48:49], v[8:9], v[24:25]
	v_fma_f64 v[16:17], -v[50:51], v[34:35], v[8:9]
	ds_read_b128 v[8:11], v54 offset:128
	ds_read_b128 v[12:15], v54 offset:64
	v_fma_f64 v[6:7], -v[48:49], v[6:7], v[22:23]
	v_fma_f64 v[16:17], -v[52:53], v[42:43], v[16:17]
	;; [unrolled: 1-line block ×3, first 2 shown]
	s_waitcnt lgkmcnt(4)
	v_fma_f64 v[16:17], -v[26:27], v[46:47], v[16:17]
	v_fma_f64 v[6:7], -v[52:53], v[40:41], v[6:7]
	s_waitcnt lgkmcnt(3)
	v_fma_f64 v[16:17], -v[30:31], v[20:21], v[16:17]
	v_fma_f64 v[6:7], -v[26:27], v[44:45], v[6:7]
	s_waitcnt lgkmcnt(1)
	v_fma_f64 v[10:11], -v[4:5], v[10:11], v[16:17]
	v_fma_f64 v[6:7], -v[30:31], v[18:19], v[6:7]
	s_waitcnt lgkmcnt(0)
	v_mul_f64 v[10:11], v[10:11], v[14:15]
	v_fma_f64 v[4:5], -v[4:5], v[8:9], v[6:7]
	v_fma_f64 v[4:5], -v[10:11], v[12:13], v[4:5]
	v_mul_f64 v[2:3], v[4:5], v[2:3]
	ds_write2_b64 v1, v[2:3], v[10:11] offset1:8
	s_cmp_gt_i32 s5, -1
	s_cbranch_scc1 .LBB72_35
	s_branch .LBB72_57
.LBB72_34:
	s_mov_b32 s5, s4
	s_cmp_gt_i32 s5, -1
	s_cbranch_scc0 .LBB72_57
.LBB72_35:
	s_cmp_lt_u32 s5, 3
	s_cbranch_scc1 .LBB72_40
; %bb.36:
	s_lshl_b32 s6, s5, 6
	v_add_u32_e32 v10, s6, v1
	v_subrev_u32_e32 v2, 64, v10
	v_add_u32_e32 v3, 0xffffff80, v10
	v_add_u32_e32 v11, 0xffffff40, v10
	ds_read_b64 v[8:9], v10
	ds_read_b64 v[6:7], v2
	;; [unrolled: 1-line block ×4, first 2 shown]
	s_cmp_le_i32 s4, s5
	s_cbranch_scc1 .LBB72_39
; %bb.37:
	s_lshl_b32 s7, s22, 6
	s_lshl_b32 s8, s5, 3
	v_lshl_or_b32 v11, v0, 3, s7
	s_add_i32 s7, s7, s8
	v_add_u32_e32 v11, 0x1c0, v11
	s_addk_i32 s7, 0xffa8
	s_mov_b32 s8, s4
.LBB72_38:                              ; =>This Inner Loop Header: Depth=1
	v_mov_b32_e32 v16, s7
	ds_read_b64 v[20:21], v11
	ds_read2_b64 v[12:15], v16 offset0:2 offset1:3
	ds_read2_b64 v[16:19], v16 offset1:1
	s_add_i32 s8, s8, -1
	s_sub_i32 s7, s7, 64
	v_subrev_u32_e32 v11, 64, v11
	s_cmp_gt_i32 s8, s5
	s_waitcnt lgkmcnt(1)
	v_fma_f64 v[8:9], -v[20:21], v[14:15], v[8:9]
	v_fma_f64 v[6:7], -v[20:21], v[12:13], v[6:7]
	s_waitcnt lgkmcnt(0)
	v_fma_f64 v[4:5], -v[20:21], v[18:19], v[4:5]
	v_fma_f64 v[2:3], -v[20:21], v[16:17], v[2:3]
	s_cbranch_scc1 .LBB72_38
.LBB72_39:
	s_add_i32 s7, s5, -1
	s_lshl_b32 s8, s7, 3
	s_add_i32 s9, s8, s6
	v_mov_b32_e32 v11, s9
	ds_read2_b64 v[12:15], v11 offset1:1
	s_lshl_b32 s7, s7, 6
	s_add_i32 s8, s8, s7
	v_mov_b32_e32 v11, s8
	s_add_i32 s8, s5, -3
	s_lshl_b32 s9, s8, 3
	s_waitcnt lgkmcnt(0)
	v_mul_f64 v[18:19], v[8:9], v[14:15]
	s_add_i32 s12, s9, s6
	ds_read_b64 v[16:17], v11
	v_fma_f64 v[14:15], -v[18:19], v[12:13], v[6:7]
	v_mov_b32_e32 v6, s12
	s_add_i32 s12, s9, s7
	ds_write_b64 v10, v[18:19]
	v_mov_b32_e32 v10, s12
	ds_read2_b64 v[6:9], v6 offset1:1
	ds_read2_b64 v[10:13], v10 offset1:1
	s_addk_i32 s6, 0xff80
	s_waitcnt lgkmcnt(3)
	v_mul_f64 v[16:17], v[14:15], v[16:17]
	v_add_u32_e32 v14, s7, v1
	s_add_i32 s7, s9, s6
	s_waitcnt lgkmcnt(1)
	v_fma_f64 v[4:5], -v[18:19], v[8:9], v[4:5]
	v_mov_b32_e32 v8, s7
	s_lshl_b32 s7, s8, 6
	ds_write_b64 v14, v[16:17]
	s_waitcnt lgkmcnt(1)
	v_fma_f64 v[4:5], -v[16:17], v[12:13], v[4:5]
	ds_read2_b64 v[12:15], v8 offset1:1
	s_add_i32 s8, s9, s7
	v_mov_b32_e32 v8, s8
	ds_read_b64 v[8:9], v8
	v_fma_f64 v[2:3], -v[18:19], v[6:7], v[2:3]
	s_waitcnt lgkmcnt(1)
	v_mul_f64 v[4:5], v[4:5], v[14:15]
	v_fma_f64 v[2:3], -v[16:17], v[10:11], v[2:3]
	v_add_u32_e32 v14, s6, v1
	v_fma_f64 v[2:3], -v[4:5], v[12:13], v[2:3]
	ds_write_b64 v14, v[4:5]
	s_waitcnt lgkmcnt(1)
	v_mul_f64 v[2:3], v[2:3], v[8:9]
	v_add_u32_e32 v4, s7, v1
	s_add_i32 s5, s5, -4
	ds_write_b64 v4, v[2:3]
.LBB72_40:
	s_cmp_lt_i32 s5, 0
	s_cbranch_scc1 .LBB72_57
; %bb.41:
	s_and_b32 s6, s5, 3
	s_cmp_eq_u32 s6, 3
	s_mov_b32 s6, s5
	s_cbranch_scc1 .LBB72_46
; %bb.42:
	s_add_i32 s6, s5, 1
	s_and_b32 s7, s6, 3
	s_lshl_b32 s6, s22, 6
	s_lshl_b32 s8, s5, 3
	s_add_i32 s8, s6, s8
	v_lshl_or_b32 v2, v0, 3, s6
	s_sub_i32 s8, s8, 64
	v_add_u32_e32 v4, 0x1c0, v2
	s_mov_b32 s9, 0
	s_mov_b32 s6, s5
	s_branch .LBB72_44
.LBB72_43:                              ;   in Loop: Header=BB72_44 Depth=1
	s_mul_i32 s12, s6, 0x48
	v_mov_b32_e32 v6, s12
	ds_read_b64 v[6:7], v6
	s_add_i32 s6, s6, -1
	s_add_i32 s9, s9, 1
	s_add_i32 s8, s8, -8
	s_cmp_lg_u32 s9, s7
	s_waitcnt lgkmcnt(0)
	v_mul_f64 v[2:3], v[2:3], v[6:7]
	ds_write_b64 v5, v[2:3]
	s_cbranch_scc0 .LBB72_46
.LBB72_44:                              ; =>This Loop Header: Depth=1
                                        ;     Child Loop BB72_45 Depth 2
	s_lshl_b32 s12, s6, 6
	v_add_u32_e32 v5, s12, v1
	ds_read_b64 v[2:3], v5
	s_cmp_le_i32 s4, s6
	v_mov_b32_e32 v6, v4
	s_mov_b32 s12, s8
	s_mov_b32 s13, s4
	s_cbranch_scc1 .LBB72_43
.LBB72_45:                              ;   Parent Loop BB72_44 Depth=1
                                        ; =>  This Inner Loop Header: Depth=2
	v_mov_b32_e32 v7, s12
	ds_read_b64 v[8:9], v6
	ds_read_b64 v[10:11], v7
	s_add_i32 s13, s13, -1
	s_sub_i32 s12, s12, 64
	v_subrev_u32_e32 v6, 64, v6
	s_cmp_gt_i32 s13, s6
	s_waitcnt lgkmcnt(0)
	v_fma_f64 v[2:3], -v[8:9], v[10:11], v[2:3]
	s_cbranch_scc1 .LBB72_45
	s_branch .LBB72_43
.LBB72_46:
	s_cmp_lt_u32 s5, 3
	s_cbranch_scc1 .LBB72_57
; %bb.47:
	s_lshl_b32 s7, s22, 6
	s_lshl_b32 s5, s6, 3
	s_add_i32 s9, s7, s5
	v_lshl_or_b32 v2, v0, 3, s7
	s_sub_i32 s5, s9, 64
	v_add_u32_e32 v6, 0x1c0, v2
	s_add_i32 s7, s9, 0xffffffb8
	s_add_i32 s8, s9, 0xffffffb0
	s_addk_i32 s9, 0xffa8
	s_branch .LBB72_49
.LBB72_48:                              ;   in Loop: Header=BB72_49 Depth=1
	s_addk_i32 s12, 0xffb8
	v_mov_b32_e32 v2, s12
	ds_read_b64 v[2:3], v2
	s_add_i32 s12, s6, -4
	s_sub_i32 s5, s5, 32
	s_sub_i32 s7, s7, 32
	s_sub_i32 s8, s8, 32
	s_sub_i32 s9, s9, 32
	s_waitcnt lgkmcnt(0)
	v_mul_f64 v[2:3], v[4:5], v[2:3]
	s_cmp_lt_i32 s6, 4
	s_mov_b32 s6, s12
	ds_write_b64 v8, v[2:3]
	s_cbranch_scc1 .LBB72_57
.LBB72_49:                              ; =>This Loop Header: Depth=1
                                        ;     Child Loop BB72_50 Depth 2
                                        ;     Child Loop BB72_52 Depth 2
	;; [unrolled: 1-line block ×4, first 2 shown]
	s_lshl_b32 s13, s6, 6
	v_add_u32_e32 v7, s13, v1
	ds_read_b64 v[2:3], v7
	s_cmp_le_i32 s4, s6
	v_mov_b32_e32 v4, v6
	s_mov_b32 s12, s5
	s_mov_b32 s14, s4
	s_cbranch_scc1 .LBB72_51
.LBB72_50:                              ;   Parent Loop BB72_49 Depth=1
                                        ; =>  This Inner Loop Header: Depth=2
	v_mov_b32_e32 v5, s12
	ds_read_b64 v[8:9], v4
	ds_read_b64 v[10:11], v5
	s_add_i32 s14, s14, -1
	s_sub_i32 s12, s12, 64
	v_subrev_u32_e32 v4, 64, v4
	s_cmp_gt_i32 s14, s6
	s_waitcnt lgkmcnt(0)
	v_fma_f64 v[2:3], -v[8:9], v[10:11], v[2:3]
	s_cbranch_scc1 .LBB72_50
.LBB72_51:                              ;   in Loop: Header=BB72_49 Depth=1
	s_mul_i32 s12, s6, 0x48
	v_mov_b32_e32 v4, s12
	ds_read_b64 v[10:11], v4
	s_sub_i32 s13, s13, 64
	v_add_u32_e32 v8, s13, v1
	ds_read_b64 v[4:5], v8
	s_cmp_le_i32 s22, s6
	s_waitcnt lgkmcnt(1)
	v_mul_f64 v[2:3], v[2:3], v[10:11]
	ds_write_b64 v7, v[2:3]
	v_mov_b32_e32 v2, v6
	s_mov_b32 s13, s7
	s_mov_b32 s14, s22
	s_cbranch_scc1 .LBB72_53
.LBB72_52:                              ;   Parent Loop BB72_49 Depth=1
                                        ; =>  This Inner Loop Header: Depth=2
	v_mov_b32_e32 v3, s13
	ds_read_b64 v[10:11], v2
	ds_read_b64 v[12:13], v3
	s_add_i32 s14, s14, -1
	s_sub_i32 s13, s13, 64
	v_subrev_u32_e32 v2, 64, v2
	s_cmp_gt_i32 s14, s6
	s_waitcnt lgkmcnt(0)
	v_fma_f64 v[4:5], -v[10:11], v[12:13], v[4:5]
	s_cbranch_scc1 .LBB72_52
.LBB72_53:                              ;   in Loop: Header=BB72_49 Depth=1
	s_addk_i32 s12, 0xffb8
	v_mov_b32_e32 v2, s12
	s_add_i32 s13, s6, -2
	ds_read_b64 v[10:11], v2
	s_lshl_b32 s14, s13, 6
	v_add_u32_e32 v7, s14, v1
	ds_read_b64 v[2:3], v7
	s_cmp_le_i32 s4, s13
	s_waitcnt lgkmcnt(1)
	v_mul_f64 v[4:5], v[4:5], v[10:11]
	ds_write_b64 v8, v[4:5]
	v_mov_b32_e32 v4, v6
	s_mov_b32 s14, s8
	s_mov_b32 s15, s4
	s_cbranch_scc1 .LBB72_55
.LBB72_54:                              ;   Parent Loop BB72_49 Depth=1
                                        ; =>  This Inner Loop Header: Depth=2
	v_mov_b32_e32 v5, s14
	ds_read_b64 v[8:9], v4
	ds_read_b64 v[10:11], v5
	s_add_i32 s15, s15, -1
	s_sub_i32 s14, s14, 64
	v_subrev_u32_e32 v4, 64, v4
	s_cmp_gt_i32 s15, s13
	s_waitcnt lgkmcnt(0)
	v_fma_f64 v[2:3], -v[8:9], v[10:11], v[2:3]
	s_cbranch_scc1 .LBB72_54
.LBB72_55:                              ;   in Loop: Header=BB72_49 Depth=1
	s_addk_i32 s12, 0xffb8
	v_mov_b32_e32 v4, s12
	s_add_i32 s13, s6, -3
	ds_read_b64 v[10:11], v4
	s_lshl_b32 s14, s13, 6
	v_add_u32_e32 v8, s14, v1
	ds_read_b64 v[4:5], v8
	s_cmp_le_i32 s4, s13
	s_waitcnt lgkmcnt(1)
	v_mul_f64 v[2:3], v[2:3], v[10:11]
	ds_write_b64 v7, v[2:3]
	v_mov_b32_e32 v2, v6
	s_mov_b32 s14, s9
	s_mov_b32 s15, s4
	s_cbranch_scc1 .LBB72_48
.LBB72_56:                              ;   Parent Loop BB72_49 Depth=1
                                        ; =>  This Inner Loop Header: Depth=2
	v_mov_b32_e32 v3, s14
	ds_read_b64 v[10:11], v2
	ds_read_b64 v[12:13], v3
	s_add_i32 s15, s15, -1
	s_sub_i32 s14, s14, 64
	v_subrev_u32_e32 v2, 64, v2
	s_cmp_gt_i32 s15, s13
	s_waitcnt lgkmcnt(0)
	v_fma_f64 v[4:5], -v[10:11], v[12:13], v[4:5]
	s_cbranch_scc1 .LBB72_56
	s_branch .LBB72_48
.LBB72_57:
	s_waitcnt lgkmcnt(0)
	; wave barrier
	s_and_saveexec_b64 s[4:5], s[0:1]
	s_cbranch_execz .LBB72_61
; %bb.58:
	s_andn2_b64 vcc, exec, s[10:11]
	s_cbranch_vccnz .LBB72_61
; %bb.59:
	v_mad_i64_i32 v[2:3], s[0:1], s16, v0, 0
	v_mov_b32_e32 v1, 0x200
	v_lshl_add_u64 v[2:3], v[2:3], 3, s[2:3]
	v_lshl_or_b32 v0, v0, 3, v1
.LBB72_60:                              ; =>This Inner Loop Header: Depth=1
	ds_read_b64 v[4:5], v0
	s_add_i32 s22, s22, -1
	v_add_u32_e32 v0, 64, v0
	s_cmp_lg_u32 s22, 0
	s_waitcnt lgkmcnt(0)
	flat_store_dwordx2 v[2:3], v[4:5]
	v_lshl_add_u64 v[2:3], v[2:3], 0, 8
	s_cbranch_scc1 .LBB72_60
.LBB72_61:
	s_endpgm
	.section	.rodata,"a",@progbits
	.p2align	6, 0x0
	.amdhsa_kernel _ZL38rocblas_trsm_small_left_device_sharedBILi8ELi8ELb0EddPKPKdPKPdEv13rocblas_fill_18rocblas_operation_17rocblas_diagonal_iiT3_T4_lilT5_lili
		.amdhsa_group_segment_fixed_size 1024
		.amdhsa_private_segment_fixed_size 0
		.amdhsa_kernarg_size 360
		.amdhsa_user_sgpr_count 2
		.amdhsa_user_sgpr_dispatch_ptr 0
		.amdhsa_user_sgpr_queue_ptr 0
		.amdhsa_user_sgpr_kernarg_segment_ptr 1
		.amdhsa_user_sgpr_dispatch_id 0
		.amdhsa_user_sgpr_kernarg_preload_length 0
		.amdhsa_user_sgpr_kernarg_preload_offset 0
		.amdhsa_user_sgpr_private_segment_size 0
		.amdhsa_uses_dynamic_stack 0
		.amdhsa_enable_private_segment 0
		.amdhsa_system_sgpr_workgroup_id_x 1
		.amdhsa_system_sgpr_workgroup_id_y 0
		.amdhsa_system_sgpr_workgroup_id_z 1
		.amdhsa_system_sgpr_workgroup_info 0
		.amdhsa_system_vgpr_workitem_id 0
		.amdhsa_next_free_vgpr 66
		.amdhsa_next_free_sgpr 26
		.amdhsa_accum_offset 68
		.amdhsa_reserve_vcc 1
		.amdhsa_float_round_mode_32 0
		.amdhsa_float_round_mode_16_64 0
		.amdhsa_float_denorm_mode_32 3
		.amdhsa_float_denorm_mode_16_64 3
		.amdhsa_dx10_clamp 1
		.amdhsa_ieee_mode 1
		.amdhsa_fp16_overflow 0
		.amdhsa_tg_split 0
		.amdhsa_exception_fp_ieee_invalid_op 0
		.amdhsa_exception_fp_denorm_src 0
		.amdhsa_exception_fp_ieee_div_zero 0
		.amdhsa_exception_fp_ieee_overflow 0
		.amdhsa_exception_fp_ieee_underflow 0
		.amdhsa_exception_fp_ieee_inexact 0
		.amdhsa_exception_int_div_zero 0
	.end_amdhsa_kernel
	.section	.text._ZL38rocblas_trsm_small_left_device_sharedBILi8ELi8ELb0EddPKPKdPKPdEv13rocblas_fill_18rocblas_operation_17rocblas_diagonal_iiT3_T4_lilT5_lili,"axG",@progbits,_ZL38rocblas_trsm_small_left_device_sharedBILi8ELi8ELb0EddPKPKdPKPdEv13rocblas_fill_18rocblas_operation_17rocblas_diagonal_iiT3_T4_lilT5_lili,comdat
.Lfunc_end72:
	.size	_ZL38rocblas_trsm_small_left_device_sharedBILi8ELi8ELb0EddPKPKdPKPdEv13rocblas_fill_18rocblas_operation_17rocblas_diagonal_iiT3_T4_lilT5_lili, .Lfunc_end72-_ZL38rocblas_trsm_small_left_device_sharedBILi8ELi8ELb0EddPKPKdPKPdEv13rocblas_fill_18rocblas_operation_17rocblas_diagonal_iiT3_T4_lilT5_lili
                                        ; -- End function
	.set _ZL38rocblas_trsm_small_left_device_sharedBILi8ELi8ELb0EddPKPKdPKPdEv13rocblas_fill_18rocblas_operation_17rocblas_diagonal_iiT3_T4_lilT5_lili.num_vgpr, 66
	.set _ZL38rocblas_trsm_small_left_device_sharedBILi8ELi8ELb0EddPKPKdPKPdEv13rocblas_fill_18rocblas_operation_17rocblas_diagonal_iiT3_T4_lilT5_lili.num_agpr, 0
	.set _ZL38rocblas_trsm_small_left_device_sharedBILi8ELi8ELb0EddPKPKdPKPdEv13rocblas_fill_18rocblas_operation_17rocblas_diagonal_iiT3_T4_lilT5_lili.numbered_sgpr, 26
	.set _ZL38rocblas_trsm_small_left_device_sharedBILi8ELi8ELb0EddPKPKdPKPdEv13rocblas_fill_18rocblas_operation_17rocblas_diagonal_iiT3_T4_lilT5_lili.num_named_barrier, 0
	.set _ZL38rocblas_trsm_small_left_device_sharedBILi8ELi8ELb0EddPKPKdPKPdEv13rocblas_fill_18rocblas_operation_17rocblas_diagonal_iiT3_T4_lilT5_lili.private_seg_size, 0
	.set _ZL38rocblas_trsm_small_left_device_sharedBILi8ELi8ELb0EddPKPKdPKPdEv13rocblas_fill_18rocblas_operation_17rocblas_diagonal_iiT3_T4_lilT5_lili.uses_vcc, 1
	.set _ZL38rocblas_trsm_small_left_device_sharedBILi8ELi8ELb0EddPKPKdPKPdEv13rocblas_fill_18rocblas_operation_17rocblas_diagonal_iiT3_T4_lilT5_lili.uses_flat_scratch, 0
	.set _ZL38rocblas_trsm_small_left_device_sharedBILi8ELi8ELb0EddPKPKdPKPdEv13rocblas_fill_18rocblas_operation_17rocblas_diagonal_iiT3_T4_lilT5_lili.has_dyn_sized_stack, 0
	.set _ZL38rocblas_trsm_small_left_device_sharedBILi8ELi8ELb0EddPKPKdPKPdEv13rocblas_fill_18rocblas_operation_17rocblas_diagonal_iiT3_T4_lilT5_lili.has_recursion, 0
	.set _ZL38rocblas_trsm_small_left_device_sharedBILi8ELi8ELb0EddPKPKdPKPdEv13rocblas_fill_18rocblas_operation_17rocblas_diagonal_iiT3_T4_lilT5_lili.has_indirect_call, 0
	.section	.AMDGPU.csdata,"",@progbits
; Kernel info:
; codeLenInByte = 4364
; TotalNumSgprs: 32
; NumVgprs: 66
; NumAgprs: 0
; TotalNumVgprs: 66
; ScratchSize: 0
; MemoryBound: 0
; FloatMode: 240
; IeeeMode: 1
; LDSByteSize: 1024 bytes/workgroup (compile time only)
; SGPRBlocks: 3
; VGPRBlocks: 8
; NumSGPRsForWavesPerEU: 32
; NumVGPRsForWavesPerEU: 66
; AccumOffset: 68
; Occupancy: 7
; WaveLimiterHint : 0
; COMPUTE_PGM_RSRC2:SCRATCH_EN: 0
; COMPUTE_PGM_RSRC2:USER_SGPR: 2
; COMPUTE_PGM_RSRC2:TRAP_HANDLER: 0
; COMPUTE_PGM_RSRC2:TGID_X_EN: 1
; COMPUTE_PGM_RSRC2:TGID_Y_EN: 0
; COMPUTE_PGM_RSRC2:TGID_Z_EN: 1
; COMPUTE_PGM_RSRC2:TIDIG_COMP_CNT: 0
; COMPUTE_PGM_RSRC3_GFX90A:ACCUM_OFFSET: 16
; COMPUTE_PGM_RSRC3_GFX90A:TG_SPLIT: 0
	.section	.text._ZL30rocblas_trsm_small_left_deviceILi8ELi8ELb0EddPKPKdPKPdEv13rocblas_fill_18rocblas_operation_17rocblas_diagonal_iiT3_T4_lilT5_lili,"axG",@progbits,_ZL30rocblas_trsm_small_left_deviceILi8ELi8ELb0EddPKPKdPKPdEv13rocblas_fill_18rocblas_operation_17rocblas_diagonal_iiT3_T4_lilT5_lili,comdat
	.globl	_ZL30rocblas_trsm_small_left_deviceILi8ELi8ELb0EddPKPKdPKPdEv13rocblas_fill_18rocblas_operation_17rocblas_diagonal_iiT3_T4_lilT5_lili ; -- Begin function _ZL30rocblas_trsm_small_left_deviceILi8ELi8ELb0EddPKPKdPKPdEv13rocblas_fill_18rocblas_operation_17rocblas_diagonal_iiT3_T4_lilT5_lili
	.p2align	8
	.type	_ZL30rocblas_trsm_small_left_deviceILi8ELi8ELb0EddPKPKdPKPdEv13rocblas_fill_18rocblas_operation_17rocblas_diagonal_iiT3_T4_lilT5_lili,@function
_ZL30rocblas_trsm_small_left_deviceILi8ELi8ELb0EddPKPKdPKPdEv13rocblas_fill_18rocblas_operation_17rocblas_diagonal_iiT3_T4_lilT5_lili: ; @_ZL30rocblas_trsm_small_left_deviceILi8ELi8ELb0EddPKPKdPKPdEv13rocblas_fill_18rocblas_operation_17rocblas_diagonal_iiT3_T4_lilT5_lili
; %bb.0:
	s_load_dwordx2 s[18:19], s[0:1], 0x28
	s_load_dwordx4 s[12:15], s[0:1], 0x40
	s_load_dwordx4 s[8:11], s[0:1], 0x4
	;; [unrolled: 1-line block ×3, first 2 shown]
	s_mov_b32 s16, s3
	s_mov_b32 s17, 0
	s_lshl_b64 s[20:21], s[16:17], 3
	s_waitcnt lgkmcnt(0)
	s_add_u32 s12, s12, s20
	s_addc_u32 s13, s13, s21
	s_load_dwordx2 s[12:13], s[12:13], 0x0
	s_min_i32 s22, s10, 8
	v_cmp_gt_i32_e32 vcc, s22, v0
	s_and_saveexec_b64 s[16:17], vcc
	s_cbranch_execz .LBB73_6
; %bb.1:
	s_load_dword s24, s[0:1], 0x30
	v_lshlrev_b32_e32 v2, 3, v0
	v_mov_b32_e32 v3, 0
	v_mov_b32_e32 v1, v2
	s_mov_b32 s3, s22
	s_waitcnt lgkmcnt(0)
	s_ashr_i32 s25, s24, 31
	s_add_u32 s6, s6, s20
	s_addc_u32 s7, s7, s21
	s_load_dwordx2 s[6:7], s[6:7], 0x0
	s_lshl_b64 s[18:19], s[18:19], 3
	s_waitcnt lgkmcnt(0)
	s_add_u32 s18, s6, s18
	s_addc_u32 s19, s7, s19
	s_lshl_b64 s[6:7], s[24:25], 3
	v_lshl_add_u64 v[4:5], s[18:19], 0, v[2:3]
.LBB73_2:                               ; =>This Inner Loop Header: Depth=1
	flat_load_dwordx2 v[6:7], v[4:5]
	s_add_i32 s3, s3, -1
	v_lshl_add_u64 v[4:5], v[4:5], 0, s[6:7]
	s_cmp_eq_u32 s3, 0
	s_waitcnt vmcnt(0) lgkmcnt(0)
	ds_write_b64 v1, v[6:7]
	v_add_u32_e32 v1, 64, v1
	s_cbranch_scc0 .LBB73_2
; %bb.3:
	v_lshlrev_b32_e32 v1, 6, v0
	s_cmpk_lg_i32 s9, 0x84
	v_mov_b64_e32 v[4:5], 1.0
	v_add_u32_e32 v1, v2, v1
	s_cbranch_scc0 .LBB73_5
; %bb.4:
	ds_read_b64 v[2:3], v1
	s_waitcnt lgkmcnt(0)
	v_div_scale_f64 v[4:5], s[6:7], v[2:3], v[2:3], 1.0
	v_rcp_f64_e32 v[6:7], v[4:5]
	v_div_scale_f64 v[8:9], vcc, 1.0, v[2:3], 1.0
	v_fma_f64 v[10:11], -v[4:5], v[6:7], 1.0
	v_fmac_f64_e32 v[6:7], v[6:7], v[10:11]
	v_fma_f64 v[10:11], -v[4:5], v[6:7], 1.0
	v_fmac_f64_e32 v[6:7], v[6:7], v[10:11]
	v_mul_f64 v[10:11], v[8:9], v[6:7]
	v_fma_f64 v[4:5], -v[4:5], v[10:11], v[8:9]
	v_div_fmas_f64 v[4:5], v[4:5], v[6:7], v[10:11]
	v_div_fixup_f64 v[4:5], v[4:5], v[2:3], 1.0
.LBB73_5:
	ds_write_b64 v1, v[4:5]
.LBB73_6:
	s_or_b64 exec, exec, s[16:17]
	s_load_dword s3, s[0:1], 0x68
	s_waitcnt lgkmcnt(0)
	; wave barrier
	s_add_i32 s6, s3, -1
	s_lshl_b32 s3, s2, 3
	s_sub_i32 s7, s11, s3
	s_cmp_ge_u32 s2, s6
	s_cselect_b32 s2, s7, 8
	v_cmp_gt_i32_e32 vcc, s2, v0
	s_and_saveexec_b64 s[6:7], vcc
	s_cbranch_execz .LBB73_57
; %bb.7:
	s_load_dword s2, s[0:1], 0x50
	s_lshl_b64 s[6:7], s[14:15], 3
	s_add_u32 s0, s12, s6
	v_add_u32_e32 v0, s3, v0
	s_addc_u32 s1, s13, s7
	s_waitcnt lgkmcnt(0)
	v_mad_i64_i32 v[2:3], s[2:3], s2, v0, 0
	v_lshl_add_u64 v[0:1], v[2:3], 3, s[0:1]
	s_cmpk_eq_i32 s8, 0x6f
	s_mov_b64 s[0:1], -1
	s_cbranch_scc1 .LBB73_31
; %bb.8:
	s_cmp_gt_i32 s10, 7
	s_cbranch_scc0 .LBB73_10
; %bb.9:
	flat_load_dwordx4 v[4:7], v[0:1]
	flat_load_dwordx4 v[8:11], v[0:1] offset:16
	flat_load_dwordx4 v[12:15], v[0:1] offset:32
	flat_load_dwordx4 v[16:19], v[0:1] offset:48
	v_mov_b32_e32 v36, 0
	ds_read_b64 v[20:21], v36
	s_mov_b32 s0, 8
	s_waitcnt vmcnt(0) lgkmcnt(0)
	v_mul_f64 v[4:5], s[4:5], v[4:5]
	v_mul_f64 v[24:25], v[4:5], v[20:21]
	flat_store_dwordx2 v[0:1], v[24:25]
	ds_read_b128 v[20:23], v36 offset:64
	s_waitcnt lgkmcnt(0)
	v_mul_f64 v[4:5], v[24:25], v[20:21]
	v_fma_f64 v[4:5], s[4:5], v[6:7], -v[4:5]
	v_mul_f64 v[26:27], v[4:5], v[22:23]
	flat_store_dwordx2 v[0:1], v[26:27] offset:8
	ds_read_b128 v[4:7], v36 offset:128
	ds_read_b64 v[20:21], v36 offset:144
	s_waitcnt lgkmcnt(0)
	v_mul_f64 v[4:5], v[24:25], v[4:5]
	v_fma_f64 v[4:5], s[4:5], v[8:9], -v[4:5]
	v_fma_f64 v[4:5], -v[26:27], v[6:7], v[4:5]
	v_mul_f64 v[28:29], v[4:5], v[20:21]
	flat_store_dwordx2 v[0:1], v[28:29] offset:16
	ds_read_b128 v[4:7], v36 offset:192
	ds_read_b128 v[20:23], v36 offset:208
	s_waitcnt lgkmcnt(0)
	v_mul_f64 v[4:5], v[24:25], v[4:5]
	v_fma_f64 v[4:5], s[4:5], v[10:11], -v[4:5]
	v_fma_f64 v[4:5], -v[26:27], v[6:7], v[4:5]
	v_fma_f64 v[4:5], -v[28:29], v[20:21], v[4:5]
	v_mul_f64 v[30:31], v[4:5], v[22:23]
	flat_store_dwordx2 v[0:1], v[30:31] offset:24
	ds_read_b128 v[4:7], v36 offset:256
	ds_read_b128 v[8:11], v36 offset:272
	ds_read_b64 v[20:21], v36 offset:288
	s_waitcnt lgkmcnt(0)
	v_mul_f64 v[4:5], v[24:25], v[4:5]
	v_fma_f64 v[4:5], s[4:5], v[12:13], -v[4:5]
	v_fma_f64 v[4:5], -v[26:27], v[6:7], v[4:5]
	v_fma_f64 v[4:5], -v[28:29], v[8:9], v[4:5]
	;; [unrolled: 1-line block ×3, first 2 shown]
	v_mul_f64 v[32:33], v[4:5], v[20:21]
	flat_store_dwordx2 v[0:1], v[32:33] offset:32
	ds_read_b128 v[4:7], v36 offset:320
	ds_read_b128 v[8:11], v36 offset:336
	;; [unrolled: 1-line block ×3, first 2 shown]
	s_waitcnt lgkmcnt(0)
	v_mul_f64 v[4:5], v[24:25], v[4:5]
	v_fma_f64 v[4:5], s[4:5], v[14:15], -v[4:5]
	v_fma_f64 v[4:5], -v[26:27], v[6:7], v[4:5]
	v_fma_f64 v[4:5], -v[28:29], v[8:9], v[4:5]
	;; [unrolled: 1-line block ×4, first 2 shown]
	v_mul_f64 v[34:35], v[4:5], v[22:23]
	flat_store_dwordx2 v[0:1], v[34:35] offset:40
	ds_read_b128 v[4:7], v36 offset:384
	ds_read_b128 v[8:11], v36 offset:400
	;; [unrolled: 1-line block ×3, first 2 shown]
	ds_read_b64 v[20:21], v36 offset:432
	s_waitcnt lgkmcnt(0)
	v_mul_f64 v[4:5], v[24:25], v[4:5]
	v_fma_f64 v[4:5], s[4:5], v[16:17], -v[4:5]
	v_fma_f64 v[4:5], -v[26:27], v[6:7], v[4:5]
	v_fma_f64 v[4:5], -v[28:29], v[8:9], v[4:5]
	;; [unrolled: 1-line block ×5, first 2 shown]
	v_mul_f64 v[16:17], v[4:5], v[20:21]
	flat_store_dwordx2 v[0:1], v[16:17] offset:48
	ds_read_b128 v[4:7], v36 offset:448
	ds_read_b128 v[8:11], v36 offset:464
	;; [unrolled: 1-line block ×4, first 2 shown]
	s_waitcnt lgkmcnt(0)
	v_mul_f64 v[4:5], v[24:25], v[4:5]
	v_fma_f64 v[4:5], s[4:5], v[18:19], -v[4:5]
	v_fma_f64 v[4:5], -v[26:27], v[6:7], v[4:5]
	v_fma_f64 v[4:5], -v[28:29], v[8:9], v[4:5]
	;; [unrolled: 1-line block ×6, first 2 shown]
	v_mul_f64 v[4:5], v[4:5], v[22:23]
	flat_store_dwordx2 v[0:1], v[4:5] offset:56
	s_cmp_lt_i32 s0, s22
	s_cbranch_scc1 .LBB73_11
	s_branch .LBB73_30
.LBB73_10:
	s_mov_b32 s0, 0
	s_cmp_lt_i32 s0, s22
	s_cbranch_scc0 .LBB73_30
.LBB73_11:
	s_or_b32 s1, s0, 3
	s_cmp_ge_u32 s1, s22
	s_cbranch_scc1 .LBB73_24
; %bb.12:
	s_add_i32 s8, s0, -1
	s_lshl_b32 s9, s0, 6
	s_bitcmp1_b32 s0, 2
	s_cselect_b64 s[2:3], -1, 0
	s_add_u32 s6, s12, s6
	s_addc_u32 s7, s13, s7
	v_lshl_add_u64 v[2:3], v[2:3], 3, s[6:7]
	s_mov_b32 s1, 0
	s_mov_b32 s11, 0
.LBB73_13:                              ; =>This Loop Header: Depth=1
                                        ;     Child Loop BB73_16 Depth 2
                                        ;     Child Loop BB73_19 Depth 2
	v_lshl_add_u64 v[4:5], s[0:1], 3, v[0:1]
	flat_load_dwordx4 v[6:9], v[4:5]
	flat_load_dwordx4 v[14:17], v[4:5] offset:16
	s_cmp_eq_u32 s0, 0
	s_waitcnt vmcnt(0) lgkmcnt(0)
	v_mul_f64 v[12:13], s[4:5], v[6:7]
	v_mul_f64 v[10:11], s[4:5], v[8:9]
	;; [unrolled: 1-line block ×4, first 2 shown]
	s_cbranch_scc1 .LBB73_21
; %bb.14:                               ;   in Loop: Header=BB73_13 Depth=1
	s_lshl_b32 s6, s11, 2
	s_add_i32 s6, s8, s6
	s_cmp_lt_u32 s6, 7
	s_mov_b32 s6, 0
	s_cbranch_scc1 .LBB73_17
; %bb.15:                               ;   in Loop: Header=BB73_13 Depth=1
	s_and_b32 s6, s0, -8
	s_mov_b32 s7, 0
	v_mov_b64_e32 v[14:15], v[0:1]
	s_mov_b32 s12, s9
.LBB73_16:                              ;   Parent Loop BB73_13 Depth=1
                                        ; =>  This Inner Loop Header: Depth=2
	flat_load_dwordx4 v[16:19], v[14:15]
	flat_load_dwordx4 v[20:23], v[14:15] offset:16
	flat_load_dwordx4 v[24:27], v[14:15] offset:32
	;; [unrolled: 1-line block ×3, first 2 shown]
	v_mov_b32_e32 v60, s12
	ds_read_b128 v[32:35], v60
	ds_read_b128 v[36:39], v60 offset:16
	ds_read_b128 v[40:43], v60 offset:32
	;; [unrolled: 1-line block ×5, first 2 shown]
	s_add_i32 s12, s12, 64
	s_add_i32 s7, s7, 8
	v_lshl_add_u64 v[14:15], v[14:15], 0, 64
	s_cmp_lg_u32 s6, s7
	s_waitcnt vmcnt(0) lgkmcnt(0)
	v_fma_f64 v[12:13], -v[16:17], v[32:33], v[12:13]
	v_fma_f64 v[56:57], -v[18:19], v[34:35], v[12:13]
	ds_read_b128 v[32:35], v60 offset:192
	v_fma_f64 v[10:11], -v[16:17], v[48:49], v[10:11]
	v_fma_f64 v[58:59], -v[18:19], v[50:51], v[10:11]
	ds_read_b128 v[10:13], v60 offset:80
	ds_read_b128 v[48:51], v60 offset:144
	v_fma_f64 v[8:9], -v[16:17], v[52:53], v[8:9]
	s_waitcnt lgkmcnt(2)
	v_fma_f64 v[6:7], -v[16:17], v[32:33], v[6:7]
	v_fma_f64 v[52:53], -v[18:19], v[54:55], v[8:9]
	v_fma_f64 v[54:55], -v[18:19], v[34:35], v[6:7]
	ds_read_b128 v[6:9], v60 offset:208
	ds_read_b128 v[16:19], v60 offset:96
	v_fma_f64 v[32:33], -v[20:21], v[36:37], v[56:57]
	s_waitcnt lgkmcnt(3)
	v_fma_f64 v[10:11], -v[20:21], v[10:11], v[58:59]
	v_fma_f64 v[56:57], -v[22:23], v[38:39], v[32:33]
	ds_read_b128 v[32:35], v60 offset:160
	v_fma_f64 v[58:59], -v[22:23], v[12:13], v[10:11]
	ds_read_b128 v[10:13], v60 offset:224
	s_waitcnt lgkmcnt(4)
	v_fma_f64 v[36:37], -v[20:21], v[48:49], v[52:53]
	s_waitcnt lgkmcnt(3)
	v_fma_f64 v[6:7], -v[20:21], v[6:7], v[54:55]
	v_fma_f64 v[48:49], -v[22:23], v[50:51], v[36:37]
	ds_read_b128 v[36:39], v60 offset:112
	v_fma_f64 v[50:51], -v[22:23], v[8:9], v[6:7]
	ds_read_b128 v[6:9], v60 offset:176
	ds_read_b128 v[20:23], v60 offset:240
	v_fma_f64 v[40:41], -v[24:25], v[40:41], v[56:57]
	s_waitcnt lgkmcnt(5)
	v_fma_f64 v[16:17], -v[24:25], v[16:17], v[58:59]
	s_waitcnt lgkmcnt(4)
	;; [unrolled: 2-line block ×3, first 2 shown]
	v_fma_f64 v[10:11], -v[24:25], v[10:11], v[50:51]
	v_fma_f64 v[24:25], -v[26:27], v[42:43], v[40:41]
	;; [unrolled: 1-line block ×6, first 2 shown]
	s_waitcnt lgkmcnt(2)
	v_fma_f64 v[16:17], -v[28:29], v[36:37], v[16:17]
	s_waitcnt lgkmcnt(1)
	v_fma_f64 v[6:7], -v[28:29], v[6:7], v[18:19]
	s_waitcnt lgkmcnt(0)
	v_fma_f64 v[18:19], -v[28:29], v[20:21], v[10:11]
	v_fma_f64 v[12:13], -v[30:31], v[46:47], v[12:13]
	v_fma_f64 v[10:11], -v[30:31], v[38:39], v[16:17]
	;; [unrolled: 1-line block ×4, first 2 shown]
	s_cbranch_scc1 .LBB73_16
.LBB73_17:                              ;   in Loop: Header=BB73_13 Depth=1
	s_bitcmp0_b32 s0, 2
	s_cbranch_scc1 .LBB73_20
; %bb.18:                               ;   in Loop: Header=BB73_13 Depth=1
	v_cndmask_b32_e64 v14, 0, 1, s[2:3]
	s_lshl_b32 s13, s6, 3
	v_readfirstlane_b32 s7, v14
	s_lshl_b32 s12, s7, 2
	s_mov_b32 s7, s1
	v_lshl_add_u64 v[14:15], s[6:7], 3, v[2:3]
.LBB73_19:                              ;   Parent Loop BB73_13 Depth=1
                                        ; =>  This Inner Loop Header: Depth=2
	flat_load_dwordx2 v[24:25], v[14:15]
	s_add_i32 s6, s9, s13
	v_mov_b32_e32 v20, s6
	ds_read2_b64 v[16:19], v20 offset1:8
	ds_read2_b64 v[20:23], v20 offset0:16 offset1:24
	s_add_i32 s13, s13, 8
	s_add_i32 s12, s12, -1
	v_lshl_add_u64 v[14:15], v[14:15], 0, 8
	s_cmp_lg_u32 s12, 0
	s_waitcnt vmcnt(0) lgkmcnt(0)
	v_fma_f64 v[12:13], -v[24:25], v[16:17], v[12:13]
	v_fma_f64 v[10:11], -v[24:25], v[18:19], v[10:11]
	;; [unrolled: 1-line block ×4, first 2 shown]
	s_cbranch_scc1 .LBB73_19
.LBB73_20:                              ;   in Loop: Header=BB73_13 Depth=1
	s_lshl_b32 s6, s0, 6
	s_branch .LBB73_22
.LBB73_21:                              ;   in Loop: Header=BB73_13 Depth=1
	s_mov_b32 s6, 0
.LBB73_22:                              ;   in Loop: Header=BB73_13 Depth=1
	s_lshl_b32 s7, s0, 3
	s_add_i32 s6, s7, s6
	v_mov_b32_e32 v20, s6
	ds_read_b64 v[14:15], v20
	s_lshl_b32 s6, s0, 6
	s_add_i32 s6, s7, s6
	v_mov_b32_e32 v21, s6
	s_add_i32 s6, s0, 4
	s_waitcnt lgkmcnt(0)
	v_mul_f64 v[14:15], v[12:13], v[14:15]
	flat_store_dwordx2 v[4:5], v[14:15]
	ds_read_b64 v[12:13], v21 offset:64
	ds_read_b64 v[16:17], v20 offset:72
	s_add_i32 s0, s0, 7
	s_add_i32 s11, s11, 1
	s_addk_i32 s9, 0x100
	s_waitcnt lgkmcnt(0)
	v_fma_f64 v[10:11], -v[14:15], v[12:13], v[10:11]
	v_mul_f64 v[16:17], v[10:11], v[16:17]
	flat_store_dwordx2 v[4:5], v[16:17] offset:8
	ds_read_b128 v[10:13], v21 offset:128
	ds_read_b64 v[18:19], v20 offset:144
	s_xor_b64 s[2:3], s[2:3], -1
	s_cmp_lt_i32 s0, s22
	s_waitcnt lgkmcnt(0)
	v_fma_f64 v[8:9], -v[14:15], v[10:11], v[8:9]
	v_fma_f64 v[8:9], -v[16:17], v[12:13], v[8:9]
	v_mul_f64 v[12:13], v[8:9], v[18:19]
	flat_store_dwordx2 v[4:5], v[12:13] offset:16
	ds_read_b128 v[8:11], v21 offset:192
	ds_read_b64 v[18:19], v21 offset:208
	ds_read_b64 v[20:21], v20 offset:216
	s_waitcnt lgkmcnt(0)
	v_fma_f64 v[6:7], -v[14:15], v[8:9], v[6:7]
	v_fma_f64 v[6:7], -v[16:17], v[10:11], v[6:7]
	;; [unrolled: 1-line block ×3, first 2 shown]
	v_mul_f64 v[6:7], v[6:7], v[20:21]
	flat_store_dwordx2 v[4:5], v[6:7] offset:24
	s_cbranch_scc0 .LBB73_25
; %bb.23:                               ;   in Loop: Header=BB73_13 Depth=1
	s_mov_b32 s0, s6
	s_branch .LBB73_13
.LBB73_24:
	s_mov_b32 s6, s0
.LBB73_25:
	s_cmp_ge_i32 s6, s22
	s_cbranch_scc1 .LBB73_30
; %bb.26:
	s_lshl_b32 s0, s6, 6
	s_branch .LBB73_28
.LBB73_27:                              ;   in Loop: Header=BB73_28 Depth=1
	s_mul_i32 s1, s6, 0x48
	v_mov_b32_e32 v6, s1
	ds_read_b64 v[6:7], v6
	s_add_i32 s6, s6, 1
	s_add_i32 s0, s0, 64
	s_cmp_ge_i32 s6, s22
	s_waitcnt lgkmcnt(0)
	v_mul_f64 v[4:5], v[4:5], v[6:7]
	flat_store_dwordx2 v[2:3], v[4:5]
	s_cbranch_scc1 .LBB73_30
.LBB73_28:                              ; =>This Loop Header: Depth=1
                                        ;     Child Loop BB73_29 Depth 2
	s_ashr_i32 s7, s6, 31
	v_lshl_add_u64 v[2:3], s[6:7], 3, v[0:1]
	flat_load_dwordx2 v[4:5], v[2:3]
	v_mov_b64_e32 v[6:7], v[0:1]
	s_mov_b32 s1, s6
	s_cmp_eq_u32 s6, 0
	s_mov_b32 s2, s0
	s_waitcnt vmcnt(0) lgkmcnt(0)
	v_mul_f64 v[4:5], s[4:5], v[4:5]
	s_cbranch_scc1 .LBB73_27
.LBB73_29:                              ;   Parent Loop BB73_28 Depth=1
                                        ; =>  This Inner Loop Header: Depth=2
	flat_load_dwordx2 v[8:9], v[6:7]
	v_mov_b32_e32 v10, s2
	ds_read_b64 v[10:11], v10
	s_add_i32 s2, s2, 8
	s_add_i32 s1, s1, -1
	v_lshl_add_u64 v[6:7], v[6:7], 0, 8
	s_cmp_lg_u32 s1, 0
	s_waitcnt vmcnt(0) lgkmcnt(0)
	v_fma_f64 v[4:5], -v[8:9], v[10:11], v[4:5]
	s_cbranch_scc1 .LBB73_29
	s_branch .LBB73_27
.LBB73_30:
	s_mov_b64 s[0:1], 0
.LBB73_31:
	s_and_b64 vcc, exec, s[0:1]
	s_cbranch_vccz .LBB73_57
; %bb.32:
	s_add_i32 s8, s22, -1
	s_cmp_gt_i32 s10, 7
	s_mov_b32 s0, -1
	s_cbranch_scc0 .LBB73_34
; %bb.33:
	flat_load_dwordx4 v[2:5], v[0:1] offset:48
	flat_load_dwordx4 v[6:9], v[0:1] offset:32
	;; [unrolled: 1-line block ×3, first 2 shown]
	flat_load_dwordx4 v[14:17], v[0:1]
	v_mov_b32_e32 v32, 0
	ds_read_b64 v[18:19], v32 offset:504
	s_waitcnt vmcnt(0) lgkmcnt(0)
	v_mul_f64 v[4:5], s[4:5], v[4:5]
	v_mul_f64 v[4:5], v[4:5], v[18:19]
	flat_store_dwordx2 v[0:1], v[4:5] offset:56
	ds_read_b64 v[18:19], v32 offset:496
	ds_read_b64 v[20:21], v32 offset:432
	s_waitcnt lgkmcnt(0)
	v_mul_f64 v[18:19], v[4:5], v[18:19]
	v_fma_f64 v[2:3], s[4:5], v[2:3], -v[18:19]
	v_mul_f64 v[2:3], v[2:3], v[20:21]
	flat_store_dwordx2 v[0:1], v[2:3] offset:48
	ds_read_b64 v[18:19], v32 offset:488
	ds_read_b64 v[20:21], v32 offset:424
	;; [unrolled: 1-line block ×3, first 2 shown]
	s_waitcnt lgkmcnt(0)
	v_mul_f64 v[18:19], v[4:5], v[18:19]
	v_fma_f64 v[8:9], s[4:5], v[8:9], -v[18:19]
	v_fma_f64 v[8:9], -v[2:3], v[20:21], v[8:9]
	v_mul_f64 v[8:9], v[8:9], v[22:23]
	flat_store_dwordx2 v[0:1], v[8:9] offset:40
	ds_read_b64 v[18:19], v32 offset:480
	ds_read_b64 v[20:21], v32 offset:416
	;; [unrolled: 1-line block ×4, first 2 shown]
	s_waitcnt lgkmcnt(0)
	v_mul_f64 v[18:19], v[4:5], v[18:19]
	v_fma_f64 v[6:7], s[4:5], v[6:7], -v[18:19]
	v_fma_f64 v[6:7], -v[2:3], v[20:21], v[6:7]
	v_fma_f64 v[6:7], -v[8:9], v[22:23], v[6:7]
	v_mul_f64 v[6:7], v[6:7], v[24:25]
	flat_store_dwordx2 v[0:1], v[6:7] offset:32
	ds_read_b64 v[18:19], v32 offset:472
	ds_read_b64 v[20:21], v32 offset:408
	;; [unrolled: 1-line block ×5, first 2 shown]
	s_waitcnt lgkmcnt(0)
	v_mul_f64 v[18:19], v[4:5], v[18:19]
	v_fma_f64 v[12:13], s[4:5], v[12:13], -v[18:19]
	v_fma_f64 v[12:13], -v[2:3], v[20:21], v[12:13]
	v_fma_f64 v[12:13], -v[8:9], v[22:23], v[12:13]
	;; [unrolled: 1-line block ×3, first 2 shown]
	v_mul_f64 v[12:13], v[12:13], v[26:27]
	flat_store_dwordx2 v[0:1], v[12:13] offset:24
	ds_read_b64 v[18:19], v32 offset:464
	ds_read_b64 v[20:21], v32 offset:400
	;; [unrolled: 1-line block ×6, first 2 shown]
	s_waitcnt lgkmcnt(0)
	v_mul_f64 v[18:19], v[4:5], v[18:19]
	v_fma_f64 v[10:11], s[4:5], v[10:11], -v[18:19]
	v_fma_f64 v[10:11], -v[2:3], v[20:21], v[10:11]
	v_fma_f64 v[10:11], -v[8:9], v[22:23], v[10:11]
	;; [unrolled: 1-line block ×4, first 2 shown]
	v_mul_f64 v[10:11], v[10:11], v[28:29]
	flat_store_dwordx2 v[0:1], v[10:11] offset:16
	ds_read_b64 v[18:19], v32 offset:456
	ds_read_b64 v[20:21], v32 offset:392
	ds_read_b64 v[22:23], v32 offset:328
	ds_read_b64 v[24:25], v32 offset:264
	ds_read_b64 v[26:27], v32 offset:200
	ds_read_b64 v[28:29], v32 offset:136
	ds_read_b64 v[30:31], v32 offset:72
	s_waitcnt lgkmcnt(0)
	v_mul_f64 v[18:19], v[4:5], v[18:19]
	v_fma_f64 v[16:17], s[4:5], v[16:17], -v[18:19]
	v_fma_f64 v[16:17], -v[2:3], v[20:21], v[16:17]
	v_fma_f64 v[16:17], -v[8:9], v[22:23], v[16:17]
	;; [unrolled: 1-line block ×5, first 2 shown]
	v_mul_f64 v[16:17], v[16:17], v[30:31]
	flat_store_dwordx2 v[0:1], v[16:17] offset:8
	ds_read_b64 v[18:19], v32 offset:448
	ds_read_b64 v[20:21], v32 offset:384
	;; [unrolled: 1-line block ×6, first 2 shown]
	s_waitcnt lgkmcnt(0)
	v_mul_f64 v[4:5], v[4:5], v[18:19]
	v_fma_f64 v[4:5], s[4:5], v[14:15], -v[4:5]
	v_fma_f64 v[14:15], -v[2:3], v[20:21], v[4:5]
	ds_read2_b64 v[2:5], v32 offset1:8
	v_fma_f64 v[8:9], -v[8:9], v[22:23], v[14:15]
	v_fma_f64 v[6:7], -v[6:7], v[24:25], v[8:9]
	;; [unrolled: 1-line block ×4, first 2 shown]
	s_waitcnt lgkmcnt(0)
	v_fma_f64 v[4:5], -v[16:17], v[4:5], v[6:7]
	v_mul_f64 v[2:3], v[4:5], v[2:3]
	flat_store_dwordx2 v[0:1], v[2:3]
	s_cmp_gt_i32 s0, -1
	s_cbranch_scc1 .LBB73_35
	s_branch .LBB73_57
.LBB73_34:
	s_mov_b32 s0, s8
	s_cmp_gt_i32 s0, -1
	s_cbranch_scc0 .LBB73_57
.LBB73_35:
	s_cmp_lt_u32 s0, 3
	s_cbranch_scc1 .LBB73_40
; %bb.36:
	s_mov_b32 s3, 0
	s_mov_b32 s1, s3
	v_lshl_add_u64 v[4:5], s[0:1], 3, v[0:1]
	v_add_co_u32_e32 v2, vcc, -8, v4
	s_cmp_le_i32 s8, s0
	s_nop 0
	v_addc_co_u32_e32 v3, vcc, -1, v5, vcc
	flat_load_dwordx4 v[6:9], v[2:3]
	v_add_co_u32_e32 v2, vcc, 0xffffffe8, v4
	s_waitcnt vmcnt(0) lgkmcnt(0)
	v_mul_f64 v[10:11], s[4:5], v[8:9]
	v_addc_co_u32_e32 v3, vcc, -1, v5, vcc
	flat_load_dwordx4 v[12:15], v[2:3]
	v_mul_f64 v[8:9], s[4:5], v[6:7]
	s_waitcnt vmcnt(0) lgkmcnt(0)
	v_mul_f64 v[6:7], s[4:5], v[14:15]
	v_mul_f64 v[2:3], s[4:5], v[12:13]
	s_cbranch_scc1 .LBB73_39
; %bb.37:
	s_lshl_b32 s1, s22, 6
	s_lshl_b32 s2, s0, 3
	s_add_i32 s1, s1, s2
	s_addk_i32 s1, 0xffa8
	s_mov_b32 s2, s8
.LBB73_38:                              ; =>This Inner Loop Header: Depth=1
	v_lshl_add_u64 v[12:13], s[2:3], 3, v[0:1]
	flat_load_dwordx2 v[20:21], v[12:13]
	v_mov_b32_e32 v16, s1
	ds_read2_b64 v[12:15], v16 offset0:2 offset1:3
	ds_read2_b64 v[16:19], v16 offset1:1
	s_add_i32 s2, s2, -1
	s_sub_i32 s1, s1, 64
	s_cmp_gt_i32 s2, s0
	s_waitcnt vmcnt(0) lgkmcnt(0)
	v_fma_f64 v[10:11], -v[20:21], v[14:15], v[10:11]
	v_fma_f64 v[8:9], -v[20:21], v[12:13], v[8:9]
	;; [unrolled: 1-line block ×4, first 2 shown]
	s_cbranch_scc1 .LBB73_38
.LBB73_39:
	s_mul_i32 s1, s0, 0x48
	v_mov_b32_e32 v12, s1
	ds_read_b64 v[12:13], v12
	s_add_i32 s2, s0, -1
	s_lshl_b32 s1, s0, 6
	s_lshl_b32 s3, s2, 3
	s_add_i32 s6, s3, s1
	s_waitcnt lgkmcnt(0)
	v_mul_f64 v[10:11], v[10:11], v[12:13]
	flat_store_dwordx2 v[4:5], v[10:11]
	v_mov_b32_e32 v4, s6
	s_lshl_b32 s6, s2, 6
	s_add_i32 s3, s3, s6
	v_mov_b32_e32 v12, s3
	ds_read_b64 v[4:5], v4
	ds_read_b64 v[12:13], v12
	s_mov_b32 s3, 0
	s_waitcnt lgkmcnt(0)
	v_fma_f64 v[4:5], -v[10:11], v[4:5], v[8:9]
	v_lshl_add_u64 v[8:9], s[2:3], 3, v[0:1]
	s_add_i32 s2, s0, -2
	s_lshl_b32 s7, s2, 3
	v_mul_f64 v[4:5], v[4:5], v[12:13]
	s_add_i32 s9, s7, s1
	flat_store_dwordx2 v[8:9], v[4:5]
	v_mov_b32_e32 v8, s9
	s_add_i32 s9, s7, s6
	v_mov_b32_e32 v12, s9
	s_lshl_b32 s9, s2, 6
	s_add_i32 s7, s7, s9
	v_mov_b32_e32 v14, s7
	ds_read_b64 v[8:9], v8
	ds_read_b64 v[12:13], v12
	;; [unrolled: 1-line block ×3, first 2 shown]
	s_waitcnt lgkmcnt(0)
	v_fma_f64 v[6:7], -v[10:11], v[8:9], v[6:7]
	v_lshl_add_u64 v[8:9], s[2:3], 3, v[0:1]
	s_add_i32 s2, s0, -3
	v_fma_f64 v[6:7], -v[4:5], v[12:13], v[6:7]
	s_lshl_b32 s7, s2, 3
	v_mul_f64 v[6:7], v[6:7], v[14:15]
	s_add_i32 s1, s7, s1
	flat_store_dwordx2 v[8:9], v[6:7]
	v_mov_b32_e32 v8, s1
	s_add_i32 s1, s7, s6
	v_mov_b32_e32 v12, s1
	s_add_i32 s1, s7, s9
	v_mov_b32_e32 v14, s1
	s_lshl_b32 s1, s2, 6
	s_add_i32 s1, s7, s1
	v_mov_b32_e32 v16, s1
	ds_read_b64 v[8:9], v8
	ds_read_b64 v[12:13], v12
	;; [unrolled: 1-line block ×4, first 2 shown]
	s_add_i32 s0, s0, -4
	s_waitcnt lgkmcnt(0)
	v_fma_f64 v[2:3], -v[10:11], v[8:9], v[2:3]
	v_fma_f64 v[2:3], -v[4:5], v[12:13], v[2:3]
	;; [unrolled: 1-line block ×3, first 2 shown]
	v_mul_f64 v[2:3], v[2:3], v[16:17]
	v_lshl_add_u64 v[4:5], s[2:3], 3, v[0:1]
	flat_store_dwordx2 v[4:5], v[2:3]
.LBB73_40:
	s_cmp_lt_i32 s0, 0
	s_cbranch_scc1 .LBB73_57
; %bb.41:
	s_and_b32 s1, s0, 3
	s_cmp_eq_u32 s1, 3
	s_mov_b32 s2, s0
	s_cbranch_scc1 .LBB73_46
; %bb.42:
	s_lshl_b32 s2, s22, 6
	s_lshl_b32 s3, s0, 3
	s_add_i32 s1, s0, 1
	s_add_i32 s2, s2, s3
	s_and_b32 s1, s1, 3
	s_sub_i32 s9, s2, 64
	s_mov_b32 s7, 0
	s_mov_b32 s2, s0
	;; [unrolled: 1-line block ×3, first 2 shown]
	s_branch .LBB73_44
.LBB73_43:                              ;   in Loop: Header=BB73_44 Depth=1
	s_mul_i32 s3, s2, 0x48
	v_mov_b32_e32 v6, s3
	ds_read_b64 v[6:7], v6
	s_add_i32 s2, s2, -1
	s_add_i32 s10, s10, 1
	s_add_i32 s9, s9, -8
	s_cmp_lg_u32 s10, s1
	s_waitcnt lgkmcnt(0)
	v_mul_f64 v[4:5], v[4:5], v[6:7]
	flat_store_dwordx2 v[2:3], v[4:5]
	s_cbranch_scc0 .LBB73_46
.LBB73_44:                              ; =>This Loop Header: Depth=1
                                        ;     Child Loop BB73_45 Depth 2
	s_mov_b32 s3, s7
	v_lshl_add_u64 v[2:3], s[2:3], 3, v[0:1]
	flat_load_dwordx2 v[4:5], v[2:3]
	s_cmp_le_i32 s8, s2
	s_mov_b32 s3, s9
	s_mov_b32 s6, s8
	s_waitcnt vmcnt(0) lgkmcnt(0)
	v_mul_f64 v[4:5], s[4:5], v[4:5]
	s_cbranch_scc1 .LBB73_43
.LBB73_45:                              ;   Parent Loop BB73_44 Depth=1
                                        ; =>  This Inner Loop Header: Depth=2
	v_lshl_add_u64 v[6:7], s[6:7], 3, v[0:1]
	flat_load_dwordx2 v[6:7], v[6:7]
	v_mov_b32_e32 v8, s3
	ds_read_b64 v[8:9], v8
	s_add_i32 s6, s6, -1
	s_sub_i32 s3, s3, 64
	s_cmp_gt_i32 s6, s2
	s_waitcnt vmcnt(0) lgkmcnt(0)
	v_fma_f64 v[4:5], -v[6:7], v[8:9], v[4:5]
	s_cbranch_scc1 .LBB73_45
	s_branch .LBB73_43
.LBB73_46:
	s_cmp_lt_u32 s0, 3
	s_cbranch_scc1 .LBB73_57
; %bb.47:
	s_lshl_b32 s0, s22, 6
	s_lshl_b32 s1, s2, 3
	s_add_i32 s0, s0, s1
	s_sub_i32 s9, s0, 64
	s_add_i32 s10, s0, 0xffffffb8
	s_add_i32 s11, s0, 0xffffffb0
	;; [unrolled: 1-line block ×3, first 2 shown]
	s_mov_b32 s1, 0
	s_branch .LBB73_49
.LBB73_48:                              ;   in Loop: Header=BB73_49 Depth=1
	s_add_i32 s0, s3, 0xffffffb8
	v_mov_b32_e32 v6, s0
	ds_read_b64 v[6:7], v6
	s_add_i32 s0, s2, -4
	s_sub_i32 s9, s9, 32
	s_sub_i32 s10, s10, 32
	;; [unrolled: 1-line block ×4, first 2 shown]
	s_waitcnt lgkmcnt(0)
	v_mul_f64 v[4:5], v[4:5], v[6:7]
	s_cmp_lt_i32 s2, 4
	s_mov_b32 s2, s0
	flat_store_dwordx2 v[2:3], v[4:5]
	s_cbranch_scc1 .LBB73_57
.LBB73_49:                              ; =>This Loop Header: Depth=1
                                        ;     Child Loop BB73_50 Depth 2
                                        ;     Child Loop BB73_52 Depth 2
	;; [unrolled: 1-line block ×4, first 2 shown]
	s_mov_b32 s3, s1
	v_lshl_add_u64 v[4:5], s[2:3], 3, v[0:1]
	flat_load_dwordx2 v[2:3], v[4:5]
	s_cmp_le_i32 s8, s2
	s_mov_b32 s3, s9
	s_mov_b32 s0, s8
	s_waitcnt vmcnt(0) lgkmcnt(0)
	v_mul_f64 v[6:7], s[4:5], v[2:3]
	s_cbranch_scc1 .LBB73_51
.LBB73_50:                              ;   Parent Loop BB73_49 Depth=1
                                        ; =>  This Inner Loop Header: Depth=2
	v_lshl_add_u64 v[2:3], s[0:1], 3, v[0:1]
	flat_load_dwordx2 v[2:3], v[2:3]
	v_mov_b32_e32 v8, s3
	ds_read_b64 v[8:9], v8
	s_add_i32 s0, s0, -1
	s_sub_i32 s3, s3, 64
	s_cmp_gt_i32 s0, s2
	s_waitcnt vmcnt(0) lgkmcnt(0)
	v_fma_f64 v[6:7], -v[2:3], v[8:9], v[6:7]
	s_cbranch_scc1 .LBB73_50
.LBB73_51:                              ;   in Loop: Header=BB73_49 Depth=1
	s_add_i32 s0, s2, -1
	v_lshl_add_u64 v[2:3], s[0:1], 3, v[0:1]
	flat_load_dwordx2 v[8:9], v[2:3]
	s_mul_i32 s3, s2, 0x48
	v_mov_b32_e32 v10, s3
	ds_read_b64 v[10:11], v10
	s_mov_b32 s6, s10
	s_cmp_le_i32 s22, s2
	s_mov_b32 s0, s22
	s_waitcnt lgkmcnt(0)
	v_mul_f64 v[6:7], v[6:7], v[10:11]
	flat_store_dwordx2 v[4:5], v[6:7]
	s_waitcnt vmcnt(0)
	v_mul_f64 v[6:7], s[4:5], v[8:9]
	s_cbranch_scc1 .LBB73_53
.LBB73_52:                              ;   Parent Loop BB73_49 Depth=1
                                        ; =>  This Inner Loop Header: Depth=2
	s_add_i32 s0, s0, -1
	v_lshl_add_u64 v[4:5], s[0:1], 3, v[0:1]
	flat_load_dwordx2 v[4:5], v[4:5]
	v_mov_b32_e32 v8, s6
	ds_read_b64 v[8:9], v8
	s_sub_i32 s6, s6, 64
	s_cmp_gt_i32 s0, s2
	s_waitcnt vmcnt(0) lgkmcnt(0)
	v_fma_f64 v[6:7], -v[4:5], v[8:9], v[6:7]
	s_cbranch_scc1 .LBB73_52
.LBB73_53:                              ;   in Loop: Header=BB73_49 Depth=1
	s_add_i32 s6, s2, -2
	s_mov_b32 s7, s1
	v_lshl_add_u64 v[4:5], s[6:7], 3, v[0:1]
	flat_load_dwordx2 v[8:9], v[4:5]
	s_addk_i32 s3, 0xffb8
	v_mov_b32_e32 v10, s3
	ds_read_b64 v[10:11], v10
	s_mov_b32 s7, s11
	s_cmp_le_i32 s8, s6
	s_mov_b32 s0, s8
	s_waitcnt lgkmcnt(0)
	v_mul_f64 v[6:7], v[6:7], v[10:11]
	flat_store_dwordx2 v[2:3], v[6:7]
	s_waitcnt vmcnt(0)
	v_mul_f64 v[6:7], s[4:5], v[8:9]
	s_cbranch_scc1 .LBB73_55
.LBB73_54:                              ;   Parent Loop BB73_49 Depth=1
                                        ; =>  This Inner Loop Header: Depth=2
	v_lshl_add_u64 v[2:3], s[0:1], 3, v[0:1]
	flat_load_dwordx2 v[2:3], v[2:3]
	v_mov_b32_e32 v8, s7
	ds_read_b64 v[8:9], v8
	s_add_i32 s0, s0, -1
	s_sub_i32 s7, s7, 64
	s_cmp_gt_i32 s0, s6
	s_waitcnt vmcnt(0) lgkmcnt(0)
	v_fma_f64 v[6:7], -v[2:3], v[8:9], v[6:7]
	s_cbranch_scc1 .LBB73_54
.LBB73_55:                              ;   in Loop: Header=BB73_49 Depth=1
	s_add_i32 s6, s2, -3
	s_mov_b32 s7, s1
	v_lshl_add_u64 v[2:3], s[6:7], 3, v[0:1]
	flat_load_dwordx2 v[8:9], v[2:3]
	s_addk_i32 s3, 0xffb8
	v_mov_b32_e32 v10, s3
	ds_read_b64 v[10:11], v10
	s_mov_b32 s7, s12
	s_cmp_le_i32 s8, s6
	s_mov_b32 s0, s8
	s_waitcnt lgkmcnt(0)
	v_mul_f64 v[6:7], v[6:7], v[10:11]
	flat_store_dwordx2 v[4:5], v[6:7]
	s_waitcnt vmcnt(0)
	v_mul_f64 v[4:5], s[4:5], v[8:9]
	s_cbranch_scc1 .LBB73_48
.LBB73_56:                              ;   Parent Loop BB73_49 Depth=1
                                        ; =>  This Inner Loop Header: Depth=2
	v_lshl_add_u64 v[6:7], s[0:1], 3, v[0:1]
	flat_load_dwordx2 v[6:7], v[6:7]
	v_mov_b32_e32 v8, s7
	ds_read_b64 v[8:9], v8
	s_add_i32 s0, s0, -1
	s_sub_i32 s7, s7, 64
	s_cmp_gt_i32 s0, s6
	s_waitcnt vmcnt(0) lgkmcnt(0)
	v_fma_f64 v[4:5], -v[6:7], v[8:9], v[4:5]
	s_cbranch_scc1 .LBB73_56
	s_branch .LBB73_48
.LBB73_57:
	s_endpgm
	.section	.rodata,"a",@progbits
	.p2align	6, 0x0
	.amdhsa_kernel _ZL30rocblas_trsm_small_left_deviceILi8ELi8ELb0EddPKPKdPKPdEv13rocblas_fill_18rocblas_operation_17rocblas_diagonal_iiT3_T4_lilT5_lili
		.amdhsa_group_segment_fixed_size 512
		.amdhsa_private_segment_fixed_size 0
		.amdhsa_kernarg_size 360
		.amdhsa_user_sgpr_count 2
		.amdhsa_user_sgpr_dispatch_ptr 0
		.amdhsa_user_sgpr_queue_ptr 0
		.amdhsa_user_sgpr_kernarg_segment_ptr 1
		.amdhsa_user_sgpr_dispatch_id 0
		.amdhsa_user_sgpr_kernarg_preload_length 0
		.amdhsa_user_sgpr_kernarg_preload_offset 0
		.amdhsa_user_sgpr_private_segment_size 0
		.amdhsa_uses_dynamic_stack 0
		.amdhsa_enable_private_segment 0
		.amdhsa_system_sgpr_workgroup_id_x 1
		.amdhsa_system_sgpr_workgroup_id_y 0
		.amdhsa_system_sgpr_workgroup_id_z 1
		.amdhsa_system_sgpr_workgroup_info 0
		.amdhsa_system_vgpr_workitem_id 0
		.amdhsa_next_free_vgpr 61
		.amdhsa_next_free_sgpr 26
		.amdhsa_accum_offset 64
		.amdhsa_reserve_vcc 1
		.amdhsa_float_round_mode_32 0
		.amdhsa_float_round_mode_16_64 0
		.amdhsa_float_denorm_mode_32 3
		.amdhsa_float_denorm_mode_16_64 3
		.amdhsa_dx10_clamp 1
		.amdhsa_ieee_mode 1
		.amdhsa_fp16_overflow 0
		.amdhsa_tg_split 0
		.amdhsa_exception_fp_ieee_invalid_op 0
		.amdhsa_exception_fp_denorm_src 0
		.amdhsa_exception_fp_ieee_div_zero 0
		.amdhsa_exception_fp_ieee_overflow 0
		.amdhsa_exception_fp_ieee_underflow 0
		.amdhsa_exception_fp_ieee_inexact 0
		.amdhsa_exception_int_div_zero 0
	.end_amdhsa_kernel
	.section	.text._ZL30rocblas_trsm_small_left_deviceILi8ELi8ELb0EddPKPKdPKPdEv13rocblas_fill_18rocblas_operation_17rocblas_diagonal_iiT3_T4_lilT5_lili,"axG",@progbits,_ZL30rocblas_trsm_small_left_deviceILi8ELi8ELb0EddPKPKdPKPdEv13rocblas_fill_18rocblas_operation_17rocblas_diagonal_iiT3_T4_lilT5_lili,comdat
.Lfunc_end73:
	.size	_ZL30rocblas_trsm_small_left_deviceILi8ELi8ELb0EddPKPKdPKPdEv13rocblas_fill_18rocblas_operation_17rocblas_diagonal_iiT3_T4_lilT5_lili, .Lfunc_end73-_ZL30rocblas_trsm_small_left_deviceILi8ELi8ELb0EddPKPKdPKPdEv13rocblas_fill_18rocblas_operation_17rocblas_diagonal_iiT3_T4_lilT5_lili
                                        ; -- End function
	.set _ZL30rocblas_trsm_small_left_deviceILi8ELi8ELb0EddPKPKdPKPdEv13rocblas_fill_18rocblas_operation_17rocblas_diagonal_iiT3_T4_lilT5_lili.num_vgpr, 61
	.set _ZL30rocblas_trsm_small_left_deviceILi8ELi8ELb0EddPKPKdPKPdEv13rocblas_fill_18rocblas_operation_17rocblas_diagonal_iiT3_T4_lilT5_lili.num_agpr, 0
	.set _ZL30rocblas_trsm_small_left_deviceILi8ELi8ELb0EddPKPKdPKPdEv13rocblas_fill_18rocblas_operation_17rocblas_diagonal_iiT3_T4_lilT5_lili.numbered_sgpr, 26
	.set _ZL30rocblas_trsm_small_left_deviceILi8ELi8ELb0EddPKPKdPKPdEv13rocblas_fill_18rocblas_operation_17rocblas_diagonal_iiT3_T4_lilT5_lili.num_named_barrier, 0
	.set _ZL30rocblas_trsm_small_left_deviceILi8ELi8ELb0EddPKPKdPKPdEv13rocblas_fill_18rocblas_operation_17rocblas_diagonal_iiT3_T4_lilT5_lili.private_seg_size, 0
	.set _ZL30rocblas_trsm_small_left_deviceILi8ELi8ELb0EddPKPKdPKPdEv13rocblas_fill_18rocblas_operation_17rocblas_diagonal_iiT3_T4_lilT5_lili.uses_vcc, 1
	.set _ZL30rocblas_trsm_small_left_deviceILi8ELi8ELb0EddPKPKdPKPdEv13rocblas_fill_18rocblas_operation_17rocblas_diagonal_iiT3_T4_lilT5_lili.uses_flat_scratch, 0
	.set _ZL30rocblas_trsm_small_left_deviceILi8ELi8ELb0EddPKPKdPKPdEv13rocblas_fill_18rocblas_operation_17rocblas_diagonal_iiT3_T4_lilT5_lili.has_dyn_sized_stack, 0
	.set _ZL30rocblas_trsm_small_left_deviceILi8ELi8ELb0EddPKPKdPKPdEv13rocblas_fill_18rocblas_operation_17rocblas_diagonal_iiT3_T4_lilT5_lili.has_recursion, 0
	.set _ZL30rocblas_trsm_small_left_deviceILi8ELi8ELb0EddPKPKdPKPdEv13rocblas_fill_18rocblas_operation_17rocblas_diagonal_iiT3_T4_lilT5_lili.has_indirect_call, 0
	.section	.AMDGPU.csdata,"",@progbits
; Kernel info:
; codeLenInByte = 4636
; TotalNumSgprs: 32
; NumVgprs: 61
; NumAgprs: 0
; TotalNumVgprs: 61
; ScratchSize: 0
; MemoryBound: 0
; FloatMode: 240
; IeeeMode: 1
; LDSByteSize: 512 bytes/workgroup (compile time only)
; SGPRBlocks: 3
; VGPRBlocks: 7
; NumSGPRsForWavesPerEU: 32
; NumVGPRsForWavesPerEU: 61
; AccumOffset: 64
; Occupancy: 8
; WaveLimiterHint : 1
; COMPUTE_PGM_RSRC2:SCRATCH_EN: 0
; COMPUTE_PGM_RSRC2:USER_SGPR: 2
; COMPUTE_PGM_RSRC2:TRAP_HANDLER: 0
; COMPUTE_PGM_RSRC2:TGID_X_EN: 1
; COMPUTE_PGM_RSRC2:TGID_Y_EN: 0
; COMPUTE_PGM_RSRC2:TGID_Z_EN: 1
; COMPUTE_PGM_RSRC2:TIDIG_COMP_CNT: 0
; COMPUTE_PGM_RSRC3_GFX90A:ACCUM_OFFSET: 15
; COMPUTE_PGM_RSRC3_GFX90A:TG_SPLIT: 0
	.section	.text._ZL38rocblas_trsm_small_left_device_sharedBILi8ELi8ELb1EddPKPKdPKPdEv13rocblas_fill_18rocblas_operation_17rocblas_diagonal_iiT3_T4_lilT5_lili,"axG",@progbits,_ZL38rocblas_trsm_small_left_device_sharedBILi8ELi8ELb1EddPKPKdPKPdEv13rocblas_fill_18rocblas_operation_17rocblas_diagonal_iiT3_T4_lilT5_lili,comdat
	.globl	_ZL38rocblas_trsm_small_left_device_sharedBILi8ELi8ELb1EddPKPKdPKPdEv13rocblas_fill_18rocblas_operation_17rocblas_diagonal_iiT3_T4_lilT5_lili ; -- Begin function _ZL38rocblas_trsm_small_left_device_sharedBILi8ELi8ELb1EddPKPKdPKPdEv13rocblas_fill_18rocblas_operation_17rocblas_diagonal_iiT3_T4_lilT5_lili
	.p2align	8
	.type	_ZL38rocblas_trsm_small_left_device_sharedBILi8ELi8ELb1EddPKPKdPKPdEv13rocblas_fill_18rocblas_operation_17rocblas_diagonal_iiT3_T4_lilT5_lili,@function
_ZL38rocblas_trsm_small_left_device_sharedBILi8ELi8ELb1EddPKPKdPKPdEv13rocblas_fill_18rocblas_operation_17rocblas_diagonal_iiT3_T4_lilT5_lili: ; @_ZL38rocblas_trsm_small_left_device_sharedBILi8ELi8ELb1EddPKPKdPKPdEv13rocblas_fill_18rocblas_operation_17rocblas_diagonal_iiT3_T4_lilT5_lili
; %bb.0:
	s_load_dwordx2 s[18:19], s[0:1], 0x28
	s_load_dwordx4 s[12:15], s[0:1], 0x40
	s_load_dwordx4 s[4:7], s[0:1], 0x4
	;; [unrolled: 1-line block ×3, first 2 shown]
	s_mov_b32 s16, s3
	s_mov_b32 s17, 0
	s_lshl_b64 s[20:21], s[16:17], 3
	s_waitcnt lgkmcnt(0)
	s_add_u32 s12, s12, s20
	s_addc_u32 s13, s13, s21
	s_load_dwordx2 s[12:13], s[12:13], 0x0
	s_min_i32 s22, s6, 8
	v_cmp_gt_i32_e32 vcc, s22, v0
	s_and_saveexec_b64 s[16:17], vcc
	s_cbranch_execz .LBB74_6
; %bb.1:
	s_load_dword s24, s[0:1], 0x30
	v_lshlrev_b32_e32 v2, 3, v0
	v_mov_b32_e32 v3, 0
	v_mov_b32_e32 v1, v2
	s_mov_b32 s3, s22
	s_waitcnt lgkmcnt(0)
	s_ashr_i32 s25, s24, 31
	s_add_u32 s10, s10, s20
	s_addc_u32 s11, s11, s21
	s_load_dwordx2 s[10:11], s[10:11], 0x0
	s_lshl_b64 s[18:19], s[18:19], 3
	s_waitcnt lgkmcnt(0)
	s_add_u32 s18, s10, s18
	s_addc_u32 s19, s11, s19
	s_lshl_b64 s[10:11], s[24:25], 3
	v_lshl_add_u64 v[4:5], s[18:19], 0, v[2:3]
.LBB74_2:                               ; =>This Inner Loop Header: Depth=1
	flat_load_dwordx2 v[6:7], v[4:5]
	s_add_i32 s3, s3, -1
	v_lshl_add_u64 v[4:5], v[4:5], 0, s[10:11]
	s_cmp_eq_u32 s3, 0
	s_waitcnt vmcnt(0) lgkmcnt(0)
	ds_write_b64 v1, v[6:7]
	v_add_u32_e32 v1, 64, v1
	s_cbranch_scc0 .LBB74_2
; %bb.3:
	v_lshlrev_b32_e32 v1, 6, v0
	s_cmpk_lg_i32 s5, 0x84
	v_mov_b64_e32 v[4:5], 1.0
	v_add_u32_e32 v1, v2, v1
	s_cbranch_scc0 .LBB74_5
; %bb.4:
	ds_read_b64 v[2:3], v1
	s_waitcnt lgkmcnt(0)
	v_div_scale_f64 v[4:5], s[10:11], v[2:3], v[2:3], 1.0
	v_rcp_f64_e32 v[6:7], v[4:5]
	v_div_scale_f64 v[8:9], vcc, 1.0, v[2:3], 1.0
	v_fma_f64 v[10:11], -v[4:5], v[6:7], 1.0
	v_fmac_f64_e32 v[6:7], v[6:7], v[10:11]
	v_fma_f64 v[10:11], -v[4:5], v[6:7], 1.0
	v_fmac_f64_e32 v[6:7], v[6:7], v[10:11]
	v_mul_f64 v[10:11], v[8:9], v[6:7]
	v_fma_f64 v[4:5], -v[4:5], v[10:11], v[8:9]
	v_div_fmas_f64 v[4:5], v[4:5], v[6:7], v[10:11]
	v_div_fixup_f64 v[4:5], v[4:5], v[2:3], 1.0
.LBB74_5:
	ds_write_b64 v1, v[4:5]
.LBB74_6:
	s_or_b64 exec, exec, s[16:17]
	s_load_dword s3, s[0:1], 0x68
	s_load_dword s16, s[0:1], 0x50
	s_lshl_b64 s[0:1], s[14:15], 3
	s_waitcnt lgkmcnt(0)
	s_add_u32 s5, s12, s0
	s_addc_u32 s10, s13, s1
	s_lshl_b32 s0, s2, 3
	s_add_i32 s3, s3, -1
	s_sub_i32 s1, s7, s0
	s_cmp_ge_u32 s2, s3
	s_cselect_b32 s7, s1, 8
	s_mul_hi_i32 s1, s16, s0
	s_mul_i32 s0, s16, s0
	s_lshl_b64 s[0:1], s[0:1], 3
	s_add_u32 s2, s5, s0
	s_addc_u32 s3, s10, s1
	s_cmp_gt_i32 s6, 0
	v_cmp_gt_i32_e64 s[0:1], s7, v0
	s_cselect_b64 s[10:11], -1, 0
	s_and_b64 s[14:15], s[0:1], s[10:11]
	s_and_saveexec_b64 s[12:13], s[14:15]
	s_cbranch_execz .LBB74_9
; %bb.7:
	v_mad_i64_i32 v[2:3], s[14:15], s16, v0, 0
	v_mov_b32_e32 v1, 0x200
	v_lshl_add_u64 v[2:3], v[2:3], 3, s[2:3]
	v_lshl_or_b32 v1, v0, 3, v1
	s_mov_b32 s5, s22
.LBB74_8:                               ; =>This Inner Loop Header: Depth=1
	flat_load_dwordx2 v[4:5], v[2:3]
	s_add_i32 s5, s5, -1
	v_lshl_add_u64 v[2:3], v[2:3], 0, 8
	s_cmp_lg_u32 s5, 0
	s_waitcnt vmcnt(0) lgkmcnt(0)
	v_mul_f64 v[4:5], s[8:9], v[4:5]
	ds_write_b64 v1, v[4:5]
	v_add_u32_e32 v1, 64, v1
	s_cbranch_scc1 .LBB74_8
.LBB74_9:
	s_or_b64 exec, exec, s[12:13]
	v_mov_b32_e32 v1, 0x200
	s_cmpk_eq_i32 s4, 0x6f
	v_lshl_or_b32 v1, v0, 3, v1
	s_mov_b64 s[4:5], -1
	s_waitcnt lgkmcnt(0)
	; wave barrier
	s_cbranch_scc1 .LBB74_36
; %bb.10:
	s_add_i32 s4, s22, -1
	s_cmp_gt_i32 s6, 7
	s_mov_b32 s5, -1
	s_cbranch_scc0 .LBB74_12
; %bb.11:
	ds_read2_b64 v[2:5], v1 offset0:48 offset1:56
	v_mov_b32_e32 v38, 0
	ds_read2_b64 v[6:9], v38 offset0:47 offset1:63
	ds_read2_b64 v[10:13], v1 offset0:32 offset1:40
	ds_read_b128 v[14:17], v38 offset:432
	ds_read2_b64 v[18:21], v1 offset0:16 offset1:24
	ds_read2_b64 v[22:25], v1 offset1:8
	ds_read2_b64 v[26:29], v38 offset0:45 offset1:46
	s_waitcnt lgkmcnt(5)
	v_mul_f64 v[30:31], v[4:5], v[8:9]
	s_waitcnt lgkmcnt(3)
	v_fma_f64 v[2:3], -v[30:31], v[16:17], v[2:3]
	v_mul_f64 v[32:33], v[2:3], v[14:15]
	ds_read_b128 v[2:5], v38 offset:288
	ds_read_b128 v[14:17], v38 offset:304
	v_fma_f64 v[6:7], -v[30:31], v[6:7], v[12:13]
	s_waitcnt lgkmcnt(2)
	v_fma_f64 v[6:7], -v[32:33], v[28:29], v[6:7]
	v_mul_f64 v[34:35], v[6:7], v[26:27]
	ds_write2_b64 v1, v[32:33], v[30:31] offset0:48 offset1:56
	s_waitcnt lgkmcnt(1)
	v_fma_f64 v[6:7], -v[30:31], v[16:17], v[10:11]
	v_fma_f64 v[10:11], -v[32:33], v[14:15], v[6:7]
	ds_read2_b64 v[6:9], v38 offset0:15 offset1:31
	v_fma_f64 v[4:5], -v[34:35], v[4:5], v[10:11]
	ds_read2_b64 v[10:13], v38 offset0:29 offset1:30
	v_mul_f64 v[36:37], v[4:5], v[2:3]
	ds_read2_b64 v[2:5], v38 offset0:27 offset1:28
	ds_write2_b64 v1, v[36:37], v[34:35] offset0:32 offset1:40
	s_waitcnt lgkmcnt(3)
	v_fma_f64 v[8:9], -v[30:31], v[8:9], v[20:21]
	s_waitcnt lgkmcnt(2)
	v_fma_f64 v[8:9], -v[32:33], v[12:13], v[8:9]
	ds_read_b128 v[12:15], v38 offset:160
	ds_read_b128 v[26:29], v38 offset:176
	v_fma_f64 v[8:9], -v[34:35], v[10:11], v[8:9]
	s_waitcnt lgkmcnt(3)
	v_fma_f64 v[4:5], -v[36:37], v[4:5], v[8:9]
	v_mul_f64 v[20:21], v[4:5], v[2:3]
	ds_read_b128 v[2:5], v38 offset:144
	s_waitcnt lgkmcnt(1)
	v_fma_f64 v[8:9], -v[30:31], v[28:29], v[18:19]
	v_fma_f64 v[8:9], -v[32:33], v[26:27], v[8:9]
	v_fma_f64 v[8:9], -v[34:35], v[14:15], v[8:9]
	v_fma_f64 v[12:13], -v[36:37], v[12:13], v[8:9]
	ds_read2_b64 v[8:11], v38 offset0:13 offset1:14
	s_waitcnt lgkmcnt(1)
	v_fma_f64 v[4:5], -v[20:21], v[4:5], v[12:13]
	v_mul_f64 v[18:19], v[4:5], v[2:3]
	ds_read2_b64 v[2:5], v38 offset0:11 offset1:12
	v_fma_f64 v[6:7], -v[30:31], v[6:7], v[24:25]
	s_waitcnt lgkmcnt(1)
	v_fma_f64 v[6:7], -v[32:33], v[10:11], v[6:7]
	v_fma_f64 v[10:11], -v[34:35], v[8:9], v[6:7]
	ds_read2_b64 v[6:9], v38 offset0:9 offset1:10
	ds_write2_b64 v1, v[18:19], v[20:21] offset0:16 offset1:24
	s_waitcnt lgkmcnt(2)
	v_fma_f64 v[4:5], -v[36:37], v[4:5], v[10:11]
	v_fma_f64 v[14:15], -v[20:21], v[2:3], v[4:5]
	ds_read_b128 v[2:5], v38 offset:32
	ds_read_b128 v[10:13], v38 offset:48
	s_waitcnt lgkmcnt(3)
	v_fma_f64 v[8:9], -v[18:19], v[8:9], v[14:15]
	v_mul_f64 v[24:25], v[8:9], v[6:7]
	ds_read_b128 v[6:9], v38
	ds_read_b128 v[14:17], v38 offset:16
	s_waitcnt lgkmcnt(2)
	v_fma_f64 v[12:13], -v[30:31], v[12:13], v[22:23]
	v_fma_f64 v[10:11], -v[32:33], v[10:11], v[12:13]
	;; [unrolled: 1-line block ×4, first 2 shown]
	s_waitcnt lgkmcnt(0)
	v_fma_f64 v[2:3], -v[20:21], v[16:17], v[2:3]
	v_fma_f64 v[2:3], -v[18:19], v[14:15], v[2:3]
	;; [unrolled: 1-line block ×3, first 2 shown]
	v_mul_f64 v[2:3], v[2:3], v[6:7]
	ds_write2_b64 v1, v[2:3], v[24:25] offset1:8
	s_cmp_gt_i32 s5, -1
	s_cbranch_scc1 .LBB74_13
	s_branch .LBB74_35
.LBB74_12:
	s_mov_b32 s5, s4
	s_cmp_gt_i32 s5, -1
	s_cbranch_scc0 .LBB74_35
.LBB74_13:
	s_cmp_lt_u32 s5, 3
	s_cbranch_scc1 .LBB74_18
; %bb.14:
	s_lshl_b32 s7, s5, 6
	v_add_u32_e32 v10, s7, v1
	v_subrev_u32_e32 v2, 64, v10
	v_add_u32_e32 v3, 0xffffff80, v10
	v_add_u32_e32 v11, 0xffffff40, v10
	ds_read_b64 v[8:9], v10
	ds_read_b64 v[6:7], v2
	;; [unrolled: 1-line block ×4, first 2 shown]
	s_cmp_le_i32 s4, s5
	s_cbranch_scc1 .LBB74_17
; %bb.15:
	v_lshlrev_b32_e32 v11, 3, v0
	s_lshl_b32 s8, s22, 3
	v_lshl_or_b32 v11, s22, 6, v11
	s_add_i32 s7, s7, s8
	v_add_u32_e32 v11, 0x1c0, v11
	s_addk_i32 s7, 0xff38
	s_mov_b32 s8, s4
.LBB74_16:                              ; =>This Inner Loop Header: Depth=1
	v_mov_b32_e32 v16, s7
	ds_read_b64 v[20:21], v11
	ds_read2_b64 v[12:15], v16 offset0:16 offset1:24
	ds_read2_b64 v[16:19], v16 offset1:8
	s_add_i32 s8, s8, -1
	s_add_i32 s7, s7, -8
	v_subrev_u32_e32 v11, 64, v11
	s_cmp_gt_i32 s8, s5
	s_waitcnt lgkmcnt(1)
	v_fma_f64 v[8:9], -v[20:21], v[14:15], v[8:9]
	v_fma_f64 v[6:7], -v[20:21], v[12:13], v[6:7]
	s_waitcnt lgkmcnt(0)
	v_fma_f64 v[4:5], -v[20:21], v[18:19], v[4:5]
	v_fma_f64 v[2:3], -v[20:21], v[16:17], v[2:3]
	s_cbranch_scc1 .LBB74_16
.LBB74_17:
	s_mul_i32 s7, s5, 0x48
	v_mov_b32_e32 v11, s7
	s_add_i32 s7, s5, -1
	s_lshl_b32 s8, s7, 6
	s_lshl_b32 s7, s7, 3
	s_add_i32 s7, s8, s7
	ds_read_b64 v[16:17], v11
	v_mov_b32_e32 v11, s7
	ds_read2_b64 v[12:15], v11 offset1:1
	s_add_i32 s7, s5, -2
	s_lshl_b32 s9, s7, 6
	s_lshl_b32 s12, s5, 3
	;; [unrolled: 1-line block ×3, first 2 shown]
	s_waitcnt lgkmcnt(1)
	v_mul_f64 v[16:17], v[8:9], v[16:17]
	s_add_i32 s13, s9, s12
	s_add_i32 s7, s9, s7
	ds_write_b64 v10, v[16:17]
	s_waitcnt lgkmcnt(1)
	v_fma_f64 v[10:11], -v[16:17], v[14:15], v[6:7]
	v_mov_b32_e32 v6, s13
	v_mov_b32_e32 v7, s7
	ds_read_b64 v[14:15], v6
	ds_read2_b64 v[6:9], v7 offset1:1
	s_add_i32 s7, s5, -3
	v_mul_f64 v[12:13], v[10:11], v[12:13]
	v_add_u32_e32 v10, s8, v1
	s_lshl_b32 s8, s7, 6
	s_waitcnt lgkmcnt(1)
	v_fma_f64 v[4:5], -v[16:17], v[14:15], v[4:5]
	s_add_i32 s12, s8, s12
	s_waitcnt lgkmcnt(0)
	v_fma_f64 v[4:5], -v[12:13], v[8:9], v[4:5]
	s_add_i32 s12, s12, -8
	v_mul_f64 v[14:15], v[4:5], v[6:7]
	v_mov_b32_e32 v4, s12
	s_lshl_b32 s7, s7, 3
	ds_read2_b64 v[4:7], v4 offset1:1
	s_add_i32 s7, s8, s7
	v_mov_b32_e32 v8, s7
	ds_write_b64 v10, v[12:13]
	ds_read2_b64 v[8:11], v8 offset1:1
	s_waitcnt lgkmcnt(2)
	v_fma_f64 v[2:3], -v[16:17], v[6:7], v[2:3]
	v_fma_f64 v[2:3], -v[12:13], v[4:5], v[2:3]
	v_add_u32_e32 v18, s9, v1
	v_add_u32_e32 v4, s8, v1
	s_waitcnt lgkmcnt(0)
	v_fma_f64 v[2:3], -v[14:15], v[10:11], v[2:3]
	v_mul_f64 v[2:3], v[2:3], v[8:9]
	s_add_i32 s5, s5, -4
	ds_write_b64 v18, v[14:15]
	ds_write_b64 v4, v[2:3]
.LBB74_18:
	s_cmp_lt_i32 s5, 0
	s_cbranch_scc1 .LBB74_35
; %bb.19:
	s_and_b32 s7, s5, 3
	s_cmp_eq_u32 s7, 3
	v_lshlrev_b32_e32 v4, 3, v0
	s_mov_b32 s7, s5
	s_cbranch_scc1 .LBB74_24
; %bb.20:
	s_add_i32 s7, s5, 1
	s_and_b32 s8, s7, 3
	s_lshl_b32 s7, s5, 6
	s_lshl_b32 s9, s22, 3
	s_add_i32 s7, s7, s9
	v_lshl_or_b32 v2, s22, 6, v4
	s_add_i32 s9, s7, -8
	v_add_u32_e32 v5, 0x1c0, v2
	s_mov_b32 s12, 0
	s_mov_b32 s7, s5
	s_branch .LBB74_22
.LBB74_21:                              ;   in Loop: Header=BB74_22 Depth=1
	s_mul_i32 s13, s7, 0x48
	v_mov_b32_e32 v7, s13
	ds_read_b64 v[8:9], v7
	s_add_i32 s7, s7, -1
	s_add_i32 s12, s12, 1
	s_sub_i32 s9, s9, 64
	s_cmp_lg_u32 s12, s8
	s_waitcnt lgkmcnt(0)
	v_mul_f64 v[2:3], v[2:3], v[8:9]
	ds_write_b64 v6, v[2:3]
	s_cbranch_scc0 .LBB74_24
.LBB74_22:                              ; =>This Loop Header: Depth=1
                                        ;     Child Loop BB74_23 Depth 2
	s_lshl_b32 s13, s7, 6
	v_add_u32_e32 v6, s13, v1
	ds_read_b64 v[2:3], v6
	s_cmp_le_i32 s4, s7
	v_mov_b32_e32 v7, v5
	s_mov_b32 s13, s9
	s_mov_b32 s14, s4
	s_cbranch_scc1 .LBB74_21
.LBB74_23:                              ;   Parent Loop BB74_22 Depth=1
                                        ; =>  This Inner Loop Header: Depth=2
	v_mov_b32_e32 v10, s13
	ds_read_b64 v[8:9], v7
	ds_read_b64 v[10:11], v10
	s_add_i32 s14, s14, -1
	s_add_i32 s13, s13, -8
	v_subrev_u32_e32 v7, 64, v7
	s_cmp_gt_i32 s14, s7
	s_waitcnt lgkmcnt(0)
	v_fma_f64 v[2:3], -v[8:9], v[10:11], v[2:3]
	s_cbranch_scc1 .LBB74_23
	s_branch .LBB74_21
.LBB74_24:
	s_cmp_lt_u32 s5, 3
	s_cbranch_scc1 .LBB74_35
; %bb.25:
	s_lshl_b32 s5, s7, 6
	s_lshl_b32 s8, s22, 3
	s_add_i32 s12, s5, s8
	v_lshl_or_b32 v2, s22, 6, v4
	s_add_i32 s5, s12, -8
	v_add_u32_e32 v6, 0x1c0, v2
	s_add_i32 s8, s12, 0xffffffb8
	s_add_i32 s9, s12, 0xffffff78
	s_addk_i32 s12, 0xff38
	s_branch .LBB74_27
.LBB74_26:                              ;   in Loop: Header=BB74_27 Depth=1
	s_addk_i32 s13, 0xffb8
	v_mov_b32_e32 v2, s13
	ds_read_b64 v[2:3], v2
	s_add_i32 s13, s7, -4
	s_addk_i32 s5, 0xff00
	s_addk_i32 s8, 0xff00
	;; [unrolled: 1-line block ×4, first 2 shown]
	s_waitcnt lgkmcnt(0)
	v_mul_f64 v[2:3], v[4:5], v[2:3]
	s_cmp_lt_i32 s7, 4
	s_mov_b32 s7, s13
	ds_write_b64 v8, v[2:3]
	s_cbranch_scc1 .LBB74_35
.LBB74_27:                              ; =>This Loop Header: Depth=1
                                        ;     Child Loop BB74_28 Depth 2
                                        ;     Child Loop BB74_30 Depth 2
	;; [unrolled: 1-line block ×4, first 2 shown]
	s_lshl_b32 s14, s7, 6
	v_add_u32_e32 v7, s14, v1
	ds_read_b64 v[2:3], v7
	s_cmp_le_i32 s4, s7
	v_mov_b32_e32 v4, v6
	s_mov_b32 s13, s5
	s_mov_b32 s15, s4
	s_cbranch_scc1 .LBB74_29
.LBB74_28:                              ;   Parent Loop BB74_27 Depth=1
                                        ; =>  This Inner Loop Header: Depth=2
	v_mov_b32_e32 v5, s13
	ds_read_b64 v[8:9], v4
	ds_read_b64 v[10:11], v5
	s_add_i32 s15, s15, -1
	s_add_i32 s13, s13, -8
	v_subrev_u32_e32 v4, 64, v4
	s_cmp_gt_i32 s15, s7
	s_waitcnt lgkmcnt(0)
	v_fma_f64 v[2:3], -v[8:9], v[10:11], v[2:3]
	s_cbranch_scc1 .LBB74_28
.LBB74_29:                              ;   in Loop: Header=BB74_27 Depth=1
	s_mul_i32 s13, s7, 0x48
	v_mov_b32_e32 v4, s13
	ds_read_b64 v[10:11], v4
	s_sub_i32 s14, s14, 64
	v_add_u32_e32 v8, s14, v1
	ds_read_b64 v[4:5], v8
	s_cmp_le_i32 s22, s7
	s_waitcnt lgkmcnt(1)
	v_mul_f64 v[2:3], v[2:3], v[10:11]
	ds_write_b64 v7, v[2:3]
	v_mov_b32_e32 v2, v6
	s_mov_b32 s14, s8
	s_mov_b32 s15, s22
	s_cbranch_scc1 .LBB74_31
.LBB74_30:                              ;   Parent Loop BB74_27 Depth=1
                                        ; =>  This Inner Loop Header: Depth=2
	v_mov_b32_e32 v3, s14
	ds_read_b64 v[10:11], v2
	ds_read_b64 v[12:13], v3
	s_add_i32 s15, s15, -1
	s_add_i32 s14, s14, -8
	v_subrev_u32_e32 v2, 64, v2
	s_cmp_gt_i32 s15, s7
	s_waitcnt lgkmcnt(0)
	v_fma_f64 v[4:5], -v[10:11], v[12:13], v[4:5]
	s_cbranch_scc1 .LBB74_30
.LBB74_31:                              ;   in Loop: Header=BB74_27 Depth=1
	s_addk_i32 s13, 0xffb8
	v_mov_b32_e32 v2, s13
	s_add_i32 s14, s7, -2
	ds_read_b64 v[10:11], v2
	s_lshl_b32 s15, s14, 6
	v_add_u32_e32 v7, s15, v1
	ds_read_b64 v[2:3], v7
	s_cmp_le_i32 s4, s14
	s_waitcnt lgkmcnt(1)
	v_mul_f64 v[4:5], v[4:5], v[10:11]
	ds_write_b64 v8, v[4:5]
	v_mov_b32_e32 v4, v6
	s_mov_b32 s15, s9
	s_mov_b32 s17, s4
	s_cbranch_scc1 .LBB74_33
.LBB74_32:                              ;   Parent Loop BB74_27 Depth=1
                                        ; =>  This Inner Loop Header: Depth=2
	v_mov_b32_e32 v5, s15
	ds_read_b64 v[8:9], v4
	ds_read_b64 v[10:11], v5
	s_add_i32 s17, s17, -1
	s_add_i32 s15, s15, -8
	v_subrev_u32_e32 v4, 64, v4
	s_cmp_gt_i32 s17, s14
	s_waitcnt lgkmcnt(0)
	v_fma_f64 v[2:3], -v[8:9], v[10:11], v[2:3]
	s_cbranch_scc1 .LBB74_32
.LBB74_33:                              ;   in Loop: Header=BB74_27 Depth=1
	s_addk_i32 s13, 0xffb8
	v_mov_b32_e32 v4, s13
	s_add_i32 s14, s7, -3
	ds_read_b64 v[10:11], v4
	s_lshl_b32 s15, s14, 6
	v_add_u32_e32 v8, s15, v1
	ds_read_b64 v[4:5], v8
	s_cmp_le_i32 s4, s14
	s_waitcnt lgkmcnt(1)
	v_mul_f64 v[2:3], v[2:3], v[10:11]
	ds_write_b64 v7, v[2:3]
	v_mov_b32_e32 v2, v6
	s_mov_b32 s15, s12
	s_mov_b32 s17, s4
	s_cbranch_scc1 .LBB74_26
.LBB74_34:                              ;   Parent Loop BB74_27 Depth=1
                                        ; =>  This Inner Loop Header: Depth=2
	v_mov_b32_e32 v3, s15
	ds_read_b64 v[10:11], v2
	ds_read_b64 v[12:13], v3
	s_add_i32 s17, s17, -1
	s_add_i32 s15, s15, -8
	v_subrev_u32_e32 v2, 64, v2
	s_cmp_gt_i32 s17, s14
	s_waitcnt lgkmcnt(0)
	v_fma_f64 v[4:5], -v[10:11], v[12:13], v[4:5]
	s_cbranch_scc1 .LBB74_34
	s_branch .LBB74_26
.LBB74_35:
	s_mov_b64 s[4:5], 0
.LBB74_36:
	s_and_b64 vcc, exec, s[4:5]
	s_cbranch_vccz .LBB74_52
; %bb.37:
	s_cmp_gt_i32 s6, 7
	s_cbranch_scc0 .LBB74_39
; %bb.38:
	ds_read2_b64 v[2:5], v1 offset1:8
	ds_read2_b64 v[6:9], v1 offset0:16 offset1:24
	v_mov_b32_e32 v50, 0
	ds_read_b128 v[10:13], v50
	ds_read2_b64 v[14:17], v1 offset0:32 offset1:40
	ds_read2_b64 v[18:21], v1 offset0:48 offset1:56
	;; [unrolled: 1-line block ×3, first 2 shown]
	ds_read_b128 v[26:29], v50 offset:16
	s_mov_b32 s4, 8
	s_waitcnt lgkmcnt(4)
	v_mul_f64 v[42:43], v[2:3], v[10:11]
	v_fma_f64 v[10:11], -v[42:43], v[12:13], v[4:5]
	s_waitcnt lgkmcnt(1)
	v_mul_f64 v[44:45], v[10:11], v[22:23]
	ds_read_b128 v[10:13], v50 offset:144
	ds_read2_b64 v[2:5], v50 offset0:11 offset1:12
	s_waitcnt lgkmcnt(2)
	v_fma_f64 v[6:7], -v[42:43], v[26:27], v[6:7]
	v_fma_f64 v[6:7], -v[44:45], v[24:25], v[6:7]
	ds_write2_b64 v1, v[42:43], v[44:45] offset1:8
	s_waitcnt lgkmcnt(2)
	v_mul_f64 v[46:47], v[6:7], v[10:11]
	v_fma_f64 v[10:11], -v[42:43], v[28:29], v[8:9]
	ds_read2_b64 v[6:9], v50 offset0:27 offset1:28
	ds_read2_b64 v[22:25], v50 offset0:13 offset1:14
	s_waitcnt lgkmcnt(3)
	v_fma_f64 v[2:3], -v[44:45], v[2:3], v[10:11]
	v_fma_f64 v[2:3], -v[46:47], v[12:13], v[2:3]
	ds_read_b128 v[10:13], v50 offset:32
	ds_read2_b64 v[26:29], v50 offset0:29 offset1:30
	s_waitcnt lgkmcnt(3)
	v_mul_f64 v[48:49], v[2:3], v[6:7]
	ds_write2_b64 v1, v[46:47], v[48:49] offset0:16 offset1:24
	ds_read_b128 v[30:33], v50 offset:160
	ds_read_b128 v[34:37], v50 offset:48
	s_waitcnt lgkmcnt(4)
	v_fma_f64 v[2:3], -v[42:43], v[10:11], v[14:15]
	v_fma_f64 v[6:7], -v[44:45], v[4:5], v[2:3]
	ds_read_b128 v[2:5], v50 offset:288
	ds_read_b128 v[38:41], v50 offset:176
	s_waitcnt lgkmcnt(3)
	v_fma_f64 v[6:7], -v[46:47], v[30:31], v[6:7]
	v_fma_f64 v[10:11], -v[48:49], v[8:9], v[6:7]
	ds_read_b128 v[6:9], v50 offset:304
	s_waitcnt lgkmcnt(2)
	v_mul_f64 v[30:31], v[10:11], v[2:3]
	v_fma_f64 v[2:3], -v[42:43], v[12:13], v[16:17]
	ds_read2_b64 v[10:13], v50 offset0:45 offset1:46
	v_fma_f64 v[2:3], -v[44:45], v[22:23], v[2:3]
	v_fma_f64 v[2:3], -v[46:47], v[32:33], v[2:3]
	;; [unrolled: 1-line block ×4, first 2 shown]
	s_waitcnt lgkmcnt(0)
	v_mul_f64 v[22:23], v[14:15], v[10:11]
	v_fma_f64 v[10:11], -v[42:43], v[34:35], v[18:19]
	ds_read_b128 v[2:5], v50 offset:432
	v_fma_f64 v[10:11], -v[44:45], v[24:25], v[10:11]
	v_fma_f64 v[10:11], -v[46:47], v[38:39], v[10:11]
	ds_read2_b64 v[14:17], v50 offset0:15 offset1:31
	v_fma_f64 v[10:11], -v[48:49], v[28:29], v[10:11]
	v_fma_f64 v[6:7], -v[30:31], v[6:7], v[10:11]
	;; [unrolled: 1-line block ×3, first 2 shown]
	s_waitcnt lgkmcnt(1)
	v_mul_f64 v[2:3], v[6:7], v[2:3]
	v_fma_f64 v[6:7], -v[42:43], v[36:37], v[20:21]
	ds_read2_b64 v[10:13], v50 offset0:47 offset1:63
	s_waitcnt lgkmcnt(1)
	v_fma_f64 v[6:7], -v[44:45], v[14:15], v[6:7]
	v_fma_f64 v[6:7], -v[46:47], v[40:41], v[6:7]
	;; [unrolled: 1-line block ×4, first 2 shown]
	s_waitcnt lgkmcnt(0)
	v_fma_f64 v[6:7], -v[22:23], v[10:11], v[6:7]
	v_fma_f64 v[4:5], -v[2:3], v[4:5], v[6:7]
	v_mul_f64 v[4:5], v[4:5], v[12:13]
	ds_write2_b64 v1, v[30:31], v[22:23] offset0:32 offset1:40
	ds_write2_b64 v1, v[2:3], v[4:5] offset0:48 offset1:56
	s_cmp_lt_i32 s4, s22
	s_cbranch_scc1 .LBB74_40
	s_branch .LBB74_52
.LBB74_39:
	s_mov_b32 s4, 0
	s_cmp_lt_i32 s4, s22
	s_cbranch_scc0 .LBB74_52
.LBB74_40:
	s_or_b32 s5, s4, 3
	s_cmp_ge_u32 s5, s22
	s_cbranch_scc1 .LBB74_46
; %bb.41:
	v_mov_b32_e32 v2, 0x200
	s_lshl_b32 s5, s4, 3
	v_lshl_or_b32 v10, v0, 3, v2
.LBB74_42:                              ; =>This Loop Header: Depth=1
                                        ;     Child Loop BB74_43 Depth 2
	s_lshl_b32 s6, s4, 6
	v_add_u32_e32 v11, s6, v1
	ds_read2_b64 v[6:9], v11 offset1:8
	ds_read2_b64 v[2:5], v11 offset0:16 offset1:24
	s_cmp_eq_u32 s4, 0
	v_mov_b32_e32 v12, v10
	s_mov_b32 s7, s5
	s_mov_b32 s8, s4
	s_cbranch_scc1 .LBB74_44
.LBB74_43:                              ;   Parent Loop BB74_42 Depth=1
                                        ; =>  This Inner Loop Header: Depth=2
	v_mov_b32_e32 v13, s7
	ds_read_b64 v[22:23], v12
	ds_read_b128 v[14:17], v13
	ds_read_b128 v[18:21], v13 offset:16
	s_add_i32 s8, s8, -1
	s_add_i32 s7, s7, 64
	v_add_u32_e32 v12, 64, v12
	s_cmp_lg_u32 s8, 0
	s_waitcnt lgkmcnt(1)
	v_fma_f64 v[6:7], -v[22:23], v[14:15], v[6:7]
	v_fma_f64 v[8:9], -v[22:23], v[16:17], v[8:9]
	s_waitcnt lgkmcnt(0)
	v_fma_f64 v[2:3], -v[22:23], v[18:19], v[2:3]
	v_fma_f64 v[4:5], -v[22:23], v[20:21], v[4:5]
	s_cbranch_scc1 .LBB74_43
.LBB74_44:                              ;   in Loop: Header=BB74_42 Depth=1
	s_lshl_b32 s7, s4, 3
	s_add_i32 s8, s7, s6
	v_mov_b32_e32 v28, s8
	ds_read_b128 v[12:15], v28
	ds_read2_b64 v[16:19], v28 offset0:9 offset1:10
	ds_read_b128 v[20:23], v28 offset:16
	ds_read_b128 v[24:27], v28 offset:144
	s_or_b32 s6, s6, 64
	s_add_i32 s5, s5, 32
	s_waitcnt lgkmcnt(3)
	v_mul_f64 v[6:7], v[6:7], v[12:13]
	v_fma_f64 v[8:9], -v[6:7], v[14:15], v[8:9]
	s_waitcnt lgkmcnt(2)
	v_mul_f64 v[8:9], v[8:9], v[16:17]
	v_add_u32_e32 v12, s6, v1
	s_add_i32 s6, s7, s6
	ds_write_b64 v12, v[8:9]
	v_mov_b32_e32 v12, s6
	ds_read_b64 v[12:13], v12 offset:24
	ds_read_b64 v[14:15], v28 offset:216
	s_waitcnt lgkmcnt(4)
	v_fma_f64 v[2:3], -v[6:7], v[20:21], v[2:3]
	v_fma_f64 v[2:3], -v[8:9], v[18:19], v[2:3]
	;; [unrolled: 1-line block ×3, first 2 shown]
	s_waitcnt lgkmcnt(3)
	v_mul_f64 v[2:3], v[2:3], v[24:25]
	s_waitcnt lgkmcnt(1)
	v_fma_f64 v[4:5], -v[8:9], v[12:13], v[4:5]
	ds_write2_b64 v11, v[6:7], v[2:3] offset1:16
	v_fma_f64 v[2:3], -v[2:3], v[26:27], v[4:5]
	s_add_i32 s6, s4, 4
	s_add_i32 s4, s4, 7
	s_waitcnt lgkmcnt(1)
	v_mul_f64 v[2:3], v[2:3], v[14:15]
	s_cmp_lt_i32 s4, s22
	ds_write_b64 v11, v[2:3] offset:192
	s_cbranch_scc0 .LBB74_47
; %bb.45:                               ;   in Loop: Header=BB74_42 Depth=1
	s_mov_b32 s4, s6
	s_branch .LBB74_42
.LBB74_46:
	s_mov_b32 s6, s4
.LBB74_47:
	s_cmp_ge_i32 s6, s22
	s_cbranch_scc1 .LBB74_52
; %bb.48:
	v_mov_b32_e32 v2, 0x200
	s_lshl_b32 s4, s6, 3
	v_lshl_or_b32 v4, v0, 3, v2
	s_branch .LBB74_50
.LBB74_49:                              ;   in Loop: Header=BB74_50 Depth=1
	s_lshl_b32 s7, s6, 3
	s_add_i32 s5, s7, s5
	v_mov_b32_e32 v6, s5
	ds_read_b64 v[6:7], v6
	s_add_i32 s6, s6, 1
	s_add_i32 s4, s4, 8
	s_cmp_ge_i32 s6, s22
	s_waitcnt lgkmcnt(0)
	v_mul_f64 v[2:3], v[2:3], v[6:7]
	ds_write_b64 v5, v[2:3]
	s_cbranch_scc1 .LBB74_52
.LBB74_50:                              ; =>This Loop Header: Depth=1
                                        ;     Child Loop BB74_51 Depth 2
	s_lshl_b32 s5, s6, 6
	v_add_u32_e32 v5, s5, v1
	ds_read_b64 v[2:3], v5
	s_cmp_eq_u32 s6, 0
	v_mov_b32_e32 v6, v4
	s_mov_b32 s7, s4
	s_mov_b32 s8, s6
	s_cbranch_scc1 .LBB74_49
.LBB74_51:                              ;   Parent Loop BB74_50 Depth=1
                                        ; =>  This Inner Loop Header: Depth=2
	v_mov_b32_e32 v7, s7
	ds_read_b64 v[8:9], v6
	ds_read_b64 v[10:11], v7
	s_add_i32 s8, s8, -1
	s_add_i32 s7, s7, 64
	v_add_u32_e32 v6, 64, v6
	s_cmp_lg_u32 s8, 0
	s_waitcnt lgkmcnt(0)
	v_fma_f64 v[2:3], -v[8:9], v[10:11], v[2:3]
	s_cbranch_scc1 .LBB74_51
	s_branch .LBB74_49
.LBB74_52:
	s_waitcnt lgkmcnt(0)
	; wave barrier
	s_and_saveexec_b64 s[4:5], s[0:1]
	s_cbranch_execz .LBB74_56
; %bb.53:
	s_andn2_b64 vcc, exec, s[10:11]
	s_cbranch_vccnz .LBB74_56
; %bb.54:
	v_mad_i64_i32 v[2:3], s[0:1], s16, v0, 0
	v_mov_b32_e32 v1, 0x200
	v_lshl_add_u64 v[2:3], v[2:3], 3, s[2:3]
	v_lshl_or_b32 v0, v0, 3, v1
.LBB74_55:                              ; =>This Inner Loop Header: Depth=1
	ds_read_b64 v[4:5], v0
	s_add_i32 s22, s22, -1
	v_add_u32_e32 v0, 64, v0
	s_cmp_lg_u32 s22, 0
	s_waitcnt lgkmcnt(0)
	flat_store_dwordx2 v[2:3], v[4:5]
	v_lshl_add_u64 v[2:3], v[2:3], 0, 8
	s_cbranch_scc1 .LBB74_55
.LBB74_56:
	s_endpgm
	.section	.rodata,"a",@progbits
	.p2align	6, 0x0
	.amdhsa_kernel _ZL38rocblas_trsm_small_left_device_sharedBILi8ELi8ELb1EddPKPKdPKPdEv13rocblas_fill_18rocblas_operation_17rocblas_diagonal_iiT3_T4_lilT5_lili
		.amdhsa_group_segment_fixed_size 1024
		.amdhsa_private_segment_fixed_size 0
		.amdhsa_kernarg_size 360
		.amdhsa_user_sgpr_count 2
		.amdhsa_user_sgpr_dispatch_ptr 0
		.amdhsa_user_sgpr_queue_ptr 0
		.amdhsa_user_sgpr_kernarg_segment_ptr 1
		.amdhsa_user_sgpr_dispatch_id 0
		.amdhsa_user_sgpr_kernarg_preload_length 0
		.amdhsa_user_sgpr_kernarg_preload_offset 0
		.amdhsa_user_sgpr_private_segment_size 0
		.amdhsa_uses_dynamic_stack 0
		.amdhsa_enable_private_segment 0
		.amdhsa_system_sgpr_workgroup_id_x 1
		.amdhsa_system_sgpr_workgroup_id_y 0
		.amdhsa_system_sgpr_workgroup_id_z 1
		.amdhsa_system_sgpr_workgroup_info 0
		.amdhsa_system_vgpr_workitem_id 0
		.amdhsa_next_free_vgpr 51
		.amdhsa_next_free_sgpr 26
		.amdhsa_accum_offset 52
		.amdhsa_reserve_vcc 1
		.amdhsa_float_round_mode_32 0
		.amdhsa_float_round_mode_16_64 0
		.amdhsa_float_denorm_mode_32 3
		.amdhsa_float_denorm_mode_16_64 3
		.amdhsa_dx10_clamp 1
		.amdhsa_ieee_mode 1
		.amdhsa_fp16_overflow 0
		.amdhsa_tg_split 0
		.amdhsa_exception_fp_ieee_invalid_op 0
		.amdhsa_exception_fp_denorm_src 0
		.amdhsa_exception_fp_ieee_div_zero 0
		.amdhsa_exception_fp_ieee_overflow 0
		.amdhsa_exception_fp_ieee_underflow 0
		.amdhsa_exception_fp_ieee_inexact 0
		.amdhsa_exception_int_div_zero 0
	.end_amdhsa_kernel
	.section	.text._ZL38rocblas_trsm_small_left_device_sharedBILi8ELi8ELb1EddPKPKdPKPdEv13rocblas_fill_18rocblas_operation_17rocblas_diagonal_iiT3_T4_lilT5_lili,"axG",@progbits,_ZL38rocblas_trsm_small_left_device_sharedBILi8ELi8ELb1EddPKPKdPKPdEv13rocblas_fill_18rocblas_operation_17rocblas_diagonal_iiT3_T4_lilT5_lili,comdat
.Lfunc_end74:
	.size	_ZL38rocblas_trsm_small_left_device_sharedBILi8ELi8ELb1EddPKPKdPKPdEv13rocblas_fill_18rocblas_operation_17rocblas_diagonal_iiT3_T4_lilT5_lili, .Lfunc_end74-_ZL38rocblas_trsm_small_left_device_sharedBILi8ELi8ELb1EddPKPKdPKPdEv13rocblas_fill_18rocblas_operation_17rocblas_diagonal_iiT3_T4_lilT5_lili
                                        ; -- End function
	.set _ZL38rocblas_trsm_small_left_device_sharedBILi8ELi8ELb1EddPKPKdPKPdEv13rocblas_fill_18rocblas_operation_17rocblas_diagonal_iiT3_T4_lilT5_lili.num_vgpr, 51
	.set _ZL38rocblas_trsm_small_left_device_sharedBILi8ELi8ELb1EddPKPKdPKPdEv13rocblas_fill_18rocblas_operation_17rocblas_diagonal_iiT3_T4_lilT5_lili.num_agpr, 0
	.set _ZL38rocblas_trsm_small_left_device_sharedBILi8ELi8ELb1EddPKPKdPKPdEv13rocblas_fill_18rocblas_operation_17rocblas_diagonal_iiT3_T4_lilT5_lili.numbered_sgpr, 26
	.set _ZL38rocblas_trsm_small_left_device_sharedBILi8ELi8ELb1EddPKPKdPKPdEv13rocblas_fill_18rocblas_operation_17rocblas_diagonal_iiT3_T4_lilT5_lili.num_named_barrier, 0
	.set _ZL38rocblas_trsm_small_left_device_sharedBILi8ELi8ELb1EddPKPKdPKPdEv13rocblas_fill_18rocblas_operation_17rocblas_diagonal_iiT3_T4_lilT5_lili.private_seg_size, 0
	.set _ZL38rocblas_trsm_small_left_device_sharedBILi8ELi8ELb1EddPKPKdPKPdEv13rocblas_fill_18rocblas_operation_17rocblas_diagonal_iiT3_T4_lilT5_lili.uses_vcc, 1
	.set _ZL38rocblas_trsm_small_left_device_sharedBILi8ELi8ELb1EddPKPKdPKPdEv13rocblas_fill_18rocblas_operation_17rocblas_diagonal_iiT3_T4_lilT5_lili.uses_flat_scratch, 0
	.set _ZL38rocblas_trsm_small_left_device_sharedBILi8ELi8ELb1EddPKPKdPKPdEv13rocblas_fill_18rocblas_operation_17rocblas_diagonal_iiT3_T4_lilT5_lili.has_dyn_sized_stack, 0
	.set _ZL38rocblas_trsm_small_left_device_sharedBILi8ELi8ELb1EddPKPKdPKPdEv13rocblas_fill_18rocblas_operation_17rocblas_diagonal_iiT3_T4_lilT5_lili.has_recursion, 0
	.set _ZL38rocblas_trsm_small_left_device_sharedBILi8ELi8ELb1EddPKPKdPKPdEv13rocblas_fill_18rocblas_operation_17rocblas_diagonal_iiT3_T4_lilT5_lili.has_indirect_call, 0
	.section	.AMDGPU.csdata,"",@progbits
; Kernel info:
; codeLenInByte = 3756
; TotalNumSgprs: 32
; NumVgprs: 51
; NumAgprs: 0
; TotalNumVgprs: 51
; ScratchSize: 0
; MemoryBound: 0
; FloatMode: 240
; IeeeMode: 1
; LDSByteSize: 1024 bytes/workgroup (compile time only)
; SGPRBlocks: 3
; VGPRBlocks: 6
; NumSGPRsForWavesPerEU: 32
; NumVGPRsForWavesPerEU: 51
; AccumOffset: 52
; Occupancy: 8
; WaveLimiterHint : 0
; COMPUTE_PGM_RSRC2:SCRATCH_EN: 0
; COMPUTE_PGM_RSRC2:USER_SGPR: 2
; COMPUTE_PGM_RSRC2:TRAP_HANDLER: 0
; COMPUTE_PGM_RSRC2:TGID_X_EN: 1
; COMPUTE_PGM_RSRC2:TGID_Y_EN: 0
; COMPUTE_PGM_RSRC2:TGID_Z_EN: 1
; COMPUTE_PGM_RSRC2:TIDIG_COMP_CNT: 0
; COMPUTE_PGM_RSRC3_GFX90A:ACCUM_OFFSET: 12
; COMPUTE_PGM_RSRC3_GFX90A:TG_SPLIT: 0
	.section	.text._ZL30rocblas_trsm_small_left_deviceILi8ELi8ELb1EddPKPKdPKPdEv13rocblas_fill_18rocblas_operation_17rocblas_diagonal_iiT3_T4_lilT5_lili,"axG",@progbits,_ZL30rocblas_trsm_small_left_deviceILi8ELi8ELb1EddPKPKdPKPdEv13rocblas_fill_18rocblas_operation_17rocblas_diagonal_iiT3_T4_lilT5_lili,comdat
	.globl	_ZL30rocblas_trsm_small_left_deviceILi8ELi8ELb1EddPKPKdPKPdEv13rocblas_fill_18rocblas_operation_17rocblas_diagonal_iiT3_T4_lilT5_lili ; -- Begin function _ZL30rocblas_trsm_small_left_deviceILi8ELi8ELb1EddPKPKdPKPdEv13rocblas_fill_18rocblas_operation_17rocblas_diagonal_iiT3_T4_lilT5_lili
	.p2align	8
	.type	_ZL30rocblas_trsm_small_left_deviceILi8ELi8ELb1EddPKPKdPKPdEv13rocblas_fill_18rocblas_operation_17rocblas_diagonal_iiT3_T4_lilT5_lili,@function
_ZL30rocblas_trsm_small_left_deviceILi8ELi8ELb1EddPKPKdPKPdEv13rocblas_fill_18rocblas_operation_17rocblas_diagonal_iiT3_T4_lilT5_lili: ; @_ZL30rocblas_trsm_small_left_deviceILi8ELi8ELb1EddPKPKdPKPdEv13rocblas_fill_18rocblas_operation_17rocblas_diagonal_iiT3_T4_lilT5_lili
; %bb.0:
	s_load_dwordx2 s[18:19], s[0:1], 0x28
	s_load_dwordx4 s[12:15], s[0:1], 0x40
	s_load_dwordx4 s[8:11], s[0:1], 0x4
	;; [unrolled: 1-line block ×3, first 2 shown]
	s_mov_b32 s16, s3
	s_mov_b32 s17, 0
	s_lshl_b64 s[20:21], s[16:17], 3
	s_waitcnt lgkmcnt(0)
	s_add_u32 s12, s12, s20
	s_addc_u32 s13, s13, s21
	s_load_dwordx2 s[12:13], s[12:13], 0x0
	s_min_i32 s22, s10, 8
	v_cmp_gt_i32_e32 vcc, s22, v0
	s_and_saveexec_b64 s[16:17], vcc
	s_cbranch_execz .LBB75_6
; %bb.1:
	s_load_dword s24, s[0:1], 0x30
	v_lshlrev_b32_e32 v2, 3, v0
	v_mov_b32_e32 v3, 0
	v_mov_b32_e32 v1, v2
	s_mov_b32 s3, s22
	s_waitcnt lgkmcnt(0)
	s_ashr_i32 s25, s24, 31
	s_add_u32 s6, s6, s20
	s_addc_u32 s7, s7, s21
	s_load_dwordx2 s[6:7], s[6:7], 0x0
	s_lshl_b64 s[18:19], s[18:19], 3
	s_waitcnt lgkmcnt(0)
	s_add_u32 s18, s6, s18
	s_addc_u32 s19, s7, s19
	s_lshl_b64 s[6:7], s[24:25], 3
	v_lshl_add_u64 v[4:5], s[18:19], 0, v[2:3]
.LBB75_2:                               ; =>This Inner Loop Header: Depth=1
	flat_load_dwordx2 v[6:7], v[4:5]
	s_add_i32 s3, s3, -1
	v_lshl_add_u64 v[4:5], v[4:5], 0, s[6:7]
	s_cmp_eq_u32 s3, 0
	s_waitcnt vmcnt(0) lgkmcnt(0)
	ds_write_b64 v1, v[6:7]
	v_add_u32_e32 v1, 64, v1
	s_cbranch_scc0 .LBB75_2
; %bb.3:
	v_lshlrev_b32_e32 v1, 6, v0
	s_cmpk_lg_i32 s9, 0x84
	v_mov_b64_e32 v[4:5], 1.0
	v_add_u32_e32 v1, v2, v1
	s_cbranch_scc0 .LBB75_5
; %bb.4:
	ds_read_b64 v[2:3], v1
	s_waitcnt lgkmcnt(0)
	v_div_scale_f64 v[4:5], s[6:7], v[2:3], v[2:3], 1.0
	v_rcp_f64_e32 v[6:7], v[4:5]
	v_div_scale_f64 v[8:9], vcc, 1.0, v[2:3], 1.0
	v_fma_f64 v[10:11], -v[4:5], v[6:7], 1.0
	v_fmac_f64_e32 v[6:7], v[6:7], v[10:11]
	v_fma_f64 v[10:11], -v[4:5], v[6:7], 1.0
	v_fmac_f64_e32 v[6:7], v[6:7], v[10:11]
	v_mul_f64 v[10:11], v[8:9], v[6:7]
	v_fma_f64 v[4:5], -v[4:5], v[10:11], v[8:9]
	v_div_fmas_f64 v[4:5], v[4:5], v[6:7], v[10:11]
	v_div_fixup_f64 v[4:5], v[4:5], v[2:3], 1.0
.LBB75_5:
	ds_write_b64 v1, v[4:5]
.LBB75_6:
	s_or_b64 exec, exec, s[16:17]
	s_load_dword s3, s[0:1], 0x68
	s_waitcnt lgkmcnt(0)
	; wave barrier
	s_add_i32 s6, s3, -1
	s_lshl_b32 s3, s2, 3
	s_sub_i32 s7, s11, s3
	s_cmp_ge_u32 s2, s6
	s_cselect_b32 s2, s7, 8
	v_cmp_gt_i32_e32 vcc, s2, v0
	s_and_saveexec_b64 s[6:7], vcc
	s_cbranch_execz .LBB75_50
; %bb.7:
	s_load_dword s2, s[0:1], 0x50
	s_lshl_b64 s[0:1], s[14:15], 3
	s_add_u32 s0, s12, s0
	v_add_u32_e32 v0, s3, v0
	s_addc_u32 s1, s13, s1
	s_waitcnt lgkmcnt(0)
	v_mad_i64_i32 v[0:1], s[2:3], s2, v0, 0
	v_lshl_add_u64 v[0:1], v[0:1], 3, s[0:1]
	s_cmpk_eq_i32 s8, 0x6f
	s_mov_b64 s[0:1], -1
	s_cbranch_scc1 .LBB75_34
; %bb.8:
	s_add_i32 s8, s22, -1
	s_cmp_gt_i32 s10, 7
	s_mov_b32 s0, -1
	s_cbranch_scc0 .LBB75_10
; %bb.9:
	flat_load_dwordx4 v[2:5], v[0:1] offset:48
	flat_load_dwordx4 v[6:9], v[0:1] offset:32
	;; [unrolled: 1-line block ×3, first 2 shown]
	flat_load_dwordx4 v[14:17], v[0:1]
	v_mov_b32_e32 v34, 0
	ds_read_b64 v[18:19], v34 offset:504
	s_waitcnt vmcnt(0) lgkmcnt(0)
	v_mul_f64 v[4:5], s[4:5], v[4:5]
	v_mul_f64 v[22:23], v[4:5], v[18:19]
	flat_store_dwordx2 v[0:1], v[22:23] offset:56
	ds_read_b128 v[18:21], v34 offset:432
	s_waitcnt lgkmcnt(0)
	v_mul_f64 v[4:5], v[22:23], v[20:21]
	v_fma_f64 v[2:3], s[4:5], v[2:3], -v[4:5]
	v_mul_f64 v[24:25], v[2:3], v[18:19]
	flat_store_dwordx2 v[0:1], v[24:25] offset:48
	ds_read_b64 v[18:19], v34 offset:376
	ds_read2_b64 v[2:5], v34 offset0:45 offset1:46
	s_waitcnt lgkmcnt(0)
	v_mul_f64 v[18:19], v[22:23], v[18:19]
	v_fma_f64 v[8:9], s[4:5], v[8:9], -v[18:19]
	v_fma_f64 v[4:5], -v[24:25], v[4:5], v[8:9]
	v_mul_f64 v[26:27], v[4:5], v[2:3]
	flat_store_dwordx2 v[0:1], v[26:27] offset:40
	ds_read_b128 v[2:5], v34 offset:304
	ds_read_b128 v[18:21], v34 offset:288
	s_waitcnt lgkmcnt(0)
	v_mul_f64 v[4:5], v[22:23], v[4:5]
	v_fma_f64 v[4:5], s[4:5], v[6:7], -v[4:5]
	v_fma_f64 v[2:3], -v[24:25], v[2:3], v[4:5]
	v_fma_f64 v[2:3], -v[26:27], v[20:21], v[2:3]
	v_mul_f64 v[28:29], v[2:3], v[18:19]
	flat_store_dwordx2 v[0:1], v[28:29] offset:32
	ds_read_b64 v[18:19], v34 offset:248
	ds_read2_b64 v[2:5], v34 offset0:29 offset1:30
	ds_read2_b64 v[6:9], v34 offset0:27 offset1:28
	s_waitcnt lgkmcnt(0)
	v_mul_f64 v[18:19], v[22:23], v[18:19]
	v_fma_f64 v[12:13], s[4:5], v[12:13], -v[18:19]
	v_fma_f64 v[4:5], -v[24:25], v[4:5], v[12:13]
	v_fma_f64 v[2:3], -v[26:27], v[2:3], v[4:5]
	;; [unrolled: 1-line block ×3, first 2 shown]
	v_mul_f64 v[30:31], v[2:3], v[6:7]
	flat_store_dwordx2 v[0:1], v[30:31] offset:24
	ds_read_b128 v[2:5], v34 offset:176
	ds_read_b128 v[6:9], v34 offset:160
	;; [unrolled: 1-line block ×3, first 2 shown]
	s_waitcnt lgkmcnt(0)
	v_mul_f64 v[4:5], v[22:23], v[4:5]
	v_fma_f64 v[4:5], s[4:5], v[10:11], -v[4:5]
	v_fma_f64 v[2:3], -v[24:25], v[2:3], v[4:5]
	v_fma_f64 v[2:3], -v[26:27], v[8:9], v[2:3]
	v_fma_f64 v[2:3], -v[28:29], v[6:7], v[2:3]
	v_fma_f64 v[2:3], -v[30:31], v[20:21], v[2:3]
	v_mul_f64 v[20:21], v[2:3], v[18:19]
	flat_store_dwordx2 v[0:1], v[20:21] offset:16
	ds_read_b64 v[10:11], v34 offset:120
	ds_read2_b64 v[2:5], v34 offset0:13 offset1:14
	ds_read2_b64 v[6:9], v34 offset0:11 offset1:12
	s_waitcnt lgkmcnt(0)
	v_mul_f64 v[10:11], v[22:23], v[10:11]
	v_fma_f64 v[16:17], s[4:5], v[16:17], -v[10:11]
	ds_read2_b64 v[10:13], v34 offset0:9 offset1:10
	v_fma_f64 v[4:5], -v[24:25], v[4:5], v[16:17]
	v_fma_f64 v[2:3], -v[26:27], v[2:3], v[4:5]
	v_fma_f64 v[2:3], -v[28:29], v[8:9], v[2:3]
	v_fma_f64 v[2:3], -v[30:31], v[6:7], v[2:3]
	s_waitcnt lgkmcnt(0)
	v_fma_f64 v[2:3], -v[20:21], v[12:13], v[2:3]
	v_mul_f64 v[32:33], v[2:3], v[10:11]
	flat_store_dwordx2 v[0:1], v[32:33] offset:8
	ds_read_b128 v[2:5], v34 offset:48
	ds_read_b128 v[6:9], v34 offset:32
	ds_read_b128 v[10:13], v34
	ds_read_b128 v[16:19], v34 offset:16
	s_waitcnt lgkmcnt(0)
	v_mul_f64 v[4:5], v[22:23], v[4:5]
	v_fma_f64 v[4:5], s[4:5], v[14:15], -v[4:5]
	v_fma_f64 v[2:3], -v[24:25], v[2:3], v[4:5]
	v_fma_f64 v[2:3], -v[26:27], v[8:9], v[2:3]
	;; [unrolled: 1-line block ×6, first 2 shown]
	v_mul_f64 v[2:3], v[2:3], v[10:11]
	flat_store_dwordx2 v[0:1], v[2:3]
	s_cmp_gt_i32 s0, -1
	s_cbranch_scc1 .LBB75_11
	s_branch .LBB75_33
.LBB75_10:
	s_mov_b32 s0, s8
	s_cmp_gt_i32 s0, -1
	s_cbranch_scc0 .LBB75_33
.LBB75_11:
	s_cmp_lt_u32 s0, 3
	s_cbranch_scc1 .LBB75_16
; %bb.12:
	s_mov_b32 s3, 0
	s_mov_b32 s1, s3
	v_lshl_add_u64 v[4:5], s[0:1], 3, v[0:1]
	v_add_co_u32_e32 v2, vcc, -8, v4
	s_cmp_le_i32 s8, s0
	s_nop 0
	v_addc_co_u32_e32 v3, vcc, -1, v5, vcc
	flat_load_dwordx4 v[6:9], v[2:3]
	v_add_co_u32_e32 v2, vcc, 0xffffffe8, v4
	s_waitcnt vmcnt(0) lgkmcnt(0)
	v_mul_f64 v[10:11], s[4:5], v[8:9]
	v_addc_co_u32_e32 v3, vcc, -1, v5, vcc
	flat_load_dwordx4 v[12:15], v[2:3]
	v_mul_f64 v[8:9], s[4:5], v[6:7]
	s_waitcnt vmcnt(0) lgkmcnt(0)
	v_mul_f64 v[6:7], s[4:5], v[14:15]
	v_mul_f64 v[2:3], s[4:5], v[12:13]
	s_cbranch_scc1 .LBB75_15
; %bb.13:
	s_lshl_b32 s1, s0, 6
	s_lshl_b32 s2, s22, 3
	s_add_i32 s1, s1, s2
	s_addk_i32 s1, 0xff38
	s_mov_b32 s2, s8
.LBB75_14:                              ; =>This Inner Loop Header: Depth=1
	v_lshl_add_u64 v[12:13], s[2:3], 3, v[0:1]
	flat_load_dwordx2 v[20:21], v[12:13]
	v_mov_b32_e32 v16, s1
	ds_read2_b64 v[12:15], v16 offset0:16 offset1:24
	ds_read2_b64 v[16:19], v16 offset1:8
	s_add_i32 s2, s2, -1
	s_add_i32 s1, s1, -8
	s_cmp_gt_i32 s2, s0
	s_waitcnt vmcnt(0) lgkmcnt(0)
	v_fma_f64 v[10:11], -v[20:21], v[14:15], v[10:11]
	v_fma_f64 v[8:9], -v[20:21], v[12:13], v[8:9]
	;; [unrolled: 1-line block ×4, first 2 shown]
	s_cbranch_scc1 .LBB75_14
.LBB75_15:
	s_mul_i32 s1, s0, 0x48
	v_mov_b32_e32 v12, s1
	ds_read_b64 v[12:13], v12
	s_add_i32 s2, s0, -1
	s_lshl_b32 s1, s2, 6
	s_lshl_b32 s3, s2, 3
	s_add_i32 s1, s1, s3
	s_waitcnt lgkmcnt(0)
	v_mul_f64 v[14:15], v[10:11], v[12:13]
	flat_store_dwordx2 v[4:5], v[14:15]
	v_mov_b32_e32 v4, s1
	ds_read2_b64 v[10:13], v4 offset1:1
	s_mov_b32 s3, 0
	v_lshl_add_u64 v[4:5], s[2:3], 3, v[0:1]
	s_add_i32 s2, s0, -2
	s_lshl_b32 s1, s2, 6
	s_waitcnt lgkmcnt(0)
	v_fma_f64 v[8:9], -v[14:15], v[12:13], v[8:9]
	s_lshl_b32 s6, s0, 3
	v_mul_f64 v[12:13], v[8:9], v[10:11]
	s_add_i32 s7, s1, s6
	flat_store_dwordx2 v[4:5], v[12:13]
	v_mov_b32_e32 v4, s7
	s_lshl_b32 s7, s2, 3
	s_add_i32 s1, s1, s7
	v_mov_b32_e32 v8, s1
	ds_read_b64 v[4:5], v4
	ds_read2_b64 v[8:11], v8 offset1:1
	s_waitcnt lgkmcnt(0)
	v_fma_f64 v[4:5], -v[14:15], v[4:5], v[6:7]
	v_fma_f64 v[4:5], -v[12:13], v[10:11], v[4:5]
	v_mul_f64 v[16:17], v[4:5], v[8:9]
	v_lshl_add_u64 v[4:5], s[2:3], 3, v[0:1]
	s_add_i32 s2, s0, -3
	s_lshl_b32 s1, s2, 6
	s_add_i32 s6, s1, s6
	s_add_i32 s6, s6, -8
	flat_store_dwordx2 v[4:5], v[16:17]
	v_mov_b32_e32 v4, s6
	s_lshl_b32 s6, s2, 3
	ds_read2_b64 v[4:7], v4 offset1:1
	s_add_i32 s1, s1, s6
	v_mov_b32_e32 v8, s1
	ds_read2_b64 v[8:11], v8 offset1:1
	s_add_i32 s0, s0, -4
	s_waitcnt lgkmcnt(0)
	v_fma_f64 v[2:3], -v[14:15], v[6:7], v[2:3]
	v_fma_f64 v[2:3], -v[12:13], v[4:5], v[2:3]
	v_lshl_add_u64 v[4:5], s[2:3], 3, v[0:1]
	v_fma_f64 v[2:3], -v[16:17], v[10:11], v[2:3]
	v_mul_f64 v[2:3], v[2:3], v[8:9]
	flat_store_dwordx2 v[4:5], v[2:3]
.LBB75_16:
	s_cmp_lt_i32 s0, 0
	s_cbranch_scc1 .LBB75_33
; %bb.17:
	s_and_b32 s1, s0, 3
	s_cmp_eq_u32 s1, 3
	s_mov_b32 s2, s0
	s_cbranch_scc1 .LBB75_22
; %bb.18:
	s_lshl_b32 s2, s0, 6
	s_lshl_b32 s3, s22, 3
	s_add_i32 s1, s0, 1
	s_add_i32 s2, s2, s3
	s_and_b32 s1, s1, 3
	s_add_i32 s9, s2, -8
	s_mov_b32 s7, 0
	s_mov_b32 s2, s0
	;; [unrolled: 1-line block ×3, first 2 shown]
	s_branch .LBB75_20
.LBB75_19:                              ;   in Loop: Header=BB75_20 Depth=1
	s_mul_i32 s3, s2, 0x48
	v_mov_b32_e32 v6, s3
	ds_read_b64 v[6:7], v6
	s_add_i32 s2, s2, -1
	s_add_i32 s11, s11, 1
	s_sub_i32 s9, s9, 64
	s_cmp_lg_u32 s11, s1
	s_waitcnt lgkmcnt(0)
	v_mul_f64 v[4:5], v[4:5], v[6:7]
	flat_store_dwordx2 v[2:3], v[4:5]
	s_cbranch_scc0 .LBB75_22
.LBB75_20:                              ; =>This Loop Header: Depth=1
                                        ;     Child Loop BB75_21 Depth 2
	s_mov_b32 s3, s7
	v_lshl_add_u64 v[2:3], s[2:3], 3, v[0:1]
	flat_load_dwordx2 v[4:5], v[2:3]
	s_cmp_le_i32 s8, s2
	s_mov_b32 s3, s9
	s_mov_b32 s6, s8
	s_waitcnt vmcnt(0) lgkmcnt(0)
	v_mul_f64 v[4:5], s[4:5], v[4:5]
	s_cbranch_scc1 .LBB75_19
.LBB75_21:                              ;   Parent Loop BB75_20 Depth=1
                                        ; =>  This Inner Loop Header: Depth=2
	v_lshl_add_u64 v[6:7], s[6:7], 3, v[0:1]
	flat_load_dwordx2 v[6:7], v[6:7]
	v_mov_b32_e32 v8, s3
	ds_read_b64 v[8:9], v8
	s_add_i32 s6, s6, -1
	s_add_i32 s3, s3, -8
	s_cmp_gt_i32 s6, s2
	s_waitcnt vmcnt(0) lgkmcnt(0)
	v_fma_f64 v[4:5], -v[6:7], v[8:9], v[4:5]
	s_cbranch_scc1 .LBB75_21
	s_branch .LBB75_19
.LBB75_22:
	s_cmp_lt_u32 s0, 3
	s_cbranch_scc1 .LBB75_33
; %bb.23:
	s_lshl_b32 s0, s2, 6
	s_lshl_b32 s1, s22, 3
	s_add_i32 s0, s0, s1
	s_add_i32 s9, s0, -8
	s_add_i32 s11, s0, 0xffffffb8
	s_add_i32 s12, s0, 0xffffff78
	;; [unrolled: 1-line block ×3, first 2 shown]
	s_mov_b32 s1, 0
	s_branch .LBB75_25
.LBB75_24:                              ;   in Loop: Header=BB75_25 Depth=1
	s_add_i32 s0, s3, 0xffffffb8
	v_mov_b32_e32 v6, s0
	ds_read_b64 v[6:7], v6
	s_add_i32 s0, s2, -4
	s_addk_i32 s9, 0xff00
	s_addk_i32 s11, 0xff00
	s_addk_i32 s12, 0xff00
	s_addk_i32 s13, 0xff00
	s_waitcnt lgkmcnt(0)
	v_mul_f64 v[4:5], v[4:5], v[6:7]
	s_cmp_lt_i32 s2, 4
	s_mov_b32 s2, s0
	flat_store_dwordx2 v[2:3], v[4:5]
	s_cbranch_scc1 .LBB75_33
.LBB75_25:                              ; =>This Loop Header: Depth=1
                                        ;     Child Loop BB75_26 Depth 2
                                        ;     Child Loop BB75_28 Depth 2
	;; [unrolled: 1-line block ×4, first 2 shown]
	s_mov_b32 s3, s1
	v_lshl_add_u64 v[4:5], s[2:3], 3, v[0:1]
	flat_load_dwordx2 v[2:3], v[4:5]
	s_cmp_le_i32 s8, s2
	s_mov_b32 s3, s9
	s_mov_b32 s0, s8
	s_waitcnt vmcnt(0) lgkmcnt(0)
	v_mul_f64 v[6:7], s[4:5], v[2:3]
	s_cbranch_scc1 .LBB75_27
.LBB75_26:                              ;   Parent Loop BB75_25 Depth=1
                                        ; =>  This Inner Loop Header: Depth=2
	v_lshl_add_u64 v[2:3], s[0:1], 3, v[0:1]
	flat_load_dwordx2 v[2:3], v[2:3]
	v_mov_b32_e32 v8, s3
	ds_read_b64 v[8:9], v8
	s_add_i32 s0, s0, -1
	s_add_i32 s3, s3, -8
	s_cmp_gt_i32 s0, s2
	s_waitcnt vmcnt(0) lgkmcnt(0)
	v_fma_f64 v[6:7], -v[2:3], v[8:9], v[6:7]
	s_cbranch_scc1 .LBB75_26
.LBB75_27:                              ;   in Loop: Header=BB75_25 Depth=1
	s_add_i32 s0, s2, -1
	v_lshl_add_u64 v[2:3], s[0:1], 3, v[0:1]
	flat_load_dwordx2 v[8:9], v[2:3]
	s_mul_i32 s3, s2, 0x48
	v_mov_b32_e32 v10, s3
	ds_read_b64 v[10:11], v10
	s_mov_b32 s6, s11
	s_cmp_le_i32 s22, s2
	s_mov_b32 s0, s22
	s_waitcnt lgkmcnt(0)
	v_mul_f64 v[6:7], v[6:7], v[10:11]
	flat_store_dwordx2 v[4:5], v[6:7]
	s_waitcnt vmcnt(0)
	v_mul_f64 v[6:7], s[4:5], v[8:9]
	s_cbranch_scc1 .LBB75_29
.LBB75_28:                              ;   Parent Loop BB75_25 Depth=1
                                        ; =>  This Inner Loop Header: Depth=2
	s_add_i32 s0, s0, -1
	v_lshl_add_u64 v[4:5], s[0:1], 3, v[0:1]
	flat_load_dwordx2 v[4:5], v[4:5]
	v_mov_b32_e32 v8, s6
	ds_read_b64 v[8:9], v8
	s_add_i32 s6, s6, -8
	s_cmp_gt_i32 s0, s2
	s_waitcnt vmcnt(0) lgkmcnt(0)
	v_fma_f64 v[6:7], -v[4:5], v[8:9], v[6:7]
	s_cbranch_scc1 .LBB75_28
.LBB75_29:                              ;   in Loop: Header=BB75_25 Depth=1
	s_add_i32 s6, s2, -2
	s_mov_b32 s7, s1
	v_lshl_add_u64 v[4:5], s[6:7], 3, v[0:1]
	flat_load_dwordx2 v[8:9], v[4:5]
	s_addk_i32 s3, 0xffb8
	v_mov_b32_e32 v10, s3
	ds_read_b64 v[10:11], v10
	s_mov_b32 s7, s12
	s_cmp_le_i32 s8, s6
	s_mov_b32 s0, s8
	s_waitcnt lgkmcnt(0)
	v_mul_f64 v[6:7], v[6:7], v[10:11]
	flat_store_dwordx2 v[2:3], v[6:7]
	s_waitcnt vmcnt(0)
	v_mul_f64 v[6:7], s[4:5], v[8:9]
	s_cbranch_scc1 .LBB75_31
.LBB75_30:                              ;   Parent Loop BB75_25 Depth=1
                                        ; =>  This Inner Loop Header: Depth=2
	v_lshl_add_u64 v[2:3], s[0:1], 3, v[0:1]
	flat_load_dwordx2 v[2:3], v[2:3]
	v_mov_b32_e32 v8, s7
	ds_read_b64 v[8:9], v8
	s_add_i32 s0, s0, -1
	s_add_i32 s7, s7, -8
	s_cmp_gt_i32 s0, s6
	s_waitcnt vmcnt(0) lgkmcnt(0)
	v_fma_f64 v[6:7], -v[2:3], v[8:9], v[6:7]
	s_cbranch_scc1 .LBB75_30
.LBB75_31:                              ;   in Loop: Header=BB75_25 Depth=1
	s_add_i32 s6, s2, -3
	s_mov_b32 s7, s1
	v_lshl_add_u64 v[2:3], s[6:7], 3, v[0:1]
	flat_load_dwordx2 v[8:9], v[2:3]
	s_addk_i32 s3, 0xffb8
	v_mov_b32_e32 v10, s3
	ds_read_b64 v[10:11], v10
	s_mov_b32 s7, s13
	s_cmp_le_i32 s8, s6
	s_mov_b32 s0, s8
	s_waitcnt lgkmcnt(0)
	v_mul_f64 v[6:7], v[6:7], v[10:11]
	flat_store_dwordx2 v[4:5], v[6:7]
	s_waitcnt vmcnt(0)
	v_mul_f64 v[4:5], s[4:5], v[8:9]
	s_cbranch_scc1 .LBB75_24
.LBB75_32:                              ;   Parent Loop BB75_25 Depth=1
                                        ; =>  This Inner Loop Header: Depth=2
	v_lshl_add_u64 v[6:7], s[0:1], 3, v[0:1]
	flat_load_dwordx2 v[6:7], v[6:7]
	v_mov_b32_e32 v8, s7
	ds_read_b64 v[8:9], v8
	s_add_i32 s0, s0, -1
	s_add_i32 s7, s7, -8
	s_cmp_gt_i32 s0, s6
	s_waitcnt vmcnt(0) lgkmcnt(0)
	v_fma_f64 v[4:5], -v[6:7], v[8:9], v[4:5]
	s_cbranch_scc1 .LBB75_32
	s_branch .LBB75_24
.LBB75_33:
	s_mov_b64 s[0:1], 0
.LBB75_34:
	s_and_b64 vcc, exec, s[0:1]
	s_cbranch_vccz .LBB75_50
; %bb.35:
	s_cmp_gt_i32 s10, 7
	s_cbranch_scc0 .LBB75_37
; %bb.36:
	flat_load_dwordx4 v[2:5], v[0:1]
	flat_load_dwordx4 v[6:9], v[0:1] offset:16
	flat_load_dwordx4 v[10:13], v[0:1] offset:32
	;; [unrolled: 1-line block ×3, first 2 shown]
	v_mov_b32_e32 v34, 0
	ds_read_b64 v[18:19], v34
	s_mov_b32 s0, 8
	s_waitcnt vmcnt(0) lgkmcnt(0)
	v_mul_f64 v[2:3], s[4:5], v[2:3]
	v_mul_f64 v[18:19], v[2:3], v[18:19]
	flat_store_dwordx2 v[0:1], v[18:19]
	ds_read_b64 v[2:3], v34 offset:8
	ds_read_b64 v[20:21], v34 offset:72
	s_waitcnt lgkmcnt(0)
	v_mul_f64 v[2:3], v[18:19], v[2:3]
	v_fma_f64 v[2:3], s[4:5], v[4:5], -v[2:3]
	v_mul_f64 v[20:21], v[2:3], v[20:21]
	flat_store_dwordx2 v[0:1], v[20:21] offset:8
	ds_read_b64 v[2:3], v34 offset:16
	ds_read_b64 v[4:5], v34 offset:80
	;; [unrolled: 1-line block ×3, first 2 shown]
	s_waitcnt lgkmcnt(0)
	v_mul_f64 v[2:3], v[18:19], v[2:3]
	v_fma_f64 v[2:3], s[4:5], v[6:7], -v[2:3]
	v_fma_f64 v[2:3], -v[20:21], v[4:5], v[2:3]
	v_mul_f64 v[6:7], v[2:3], v[22:23]
	flat_store_dwordx2 v[0:1], v[6:7] offset:16
	ds_read_b64 v[2:3], v34 offset:24
	ds_read_b64 v[4:5], v34 offset:88
	;; [unrolled: 1-line block ×4, first 2 shown]
	s_waitcnt lgkmcnt(0)
	v_mul_f64 v[2:3], v[18:19], v[2:3]
	v_fma_f64 v[2:3], s[4:5], v[8:9], -v[2:3]
	v_fma_f64 v[2:3], -v[20:21], v[4:5], v[2:3]
	v_fma_f64 v[2:3], -v[6:7], v[22:23], v[2:3]
	v_mul_f64 v[8:9], v[2:3], v[24:25]
	flat_store_dwordx2 v[0:1], v[8:9] offset:24
	ds_read_b64 v[2:3], v34 offset:32
	ds_read_b64 v[4:5], v34 offset:96
	;; [unrolled: 1-line block ×5, first 2 shown]
	s_waitcnt lgkmcnt(0)
	v_mul_f64 v[2:3], v[18:19], v[2:3]
	v_fma_f64 v[2:3], s[4:5], v[10:11], -v[2:3]
	v_fma_f64 v[2:3], -v[20:21], v[4:5], v[2:3]
	v_fma_f64 v[2:3], -v[6:7], v[22:23], v[2:3]
	;; [unrolled: 1-line block ×3, first 2 shown]
	v_mul_f64 v[10:11], v[2:3], v[26:27]
	flat_store_dwordx2 v[0:1], v[10:11] offset:32
	ds_read_b64 v[2:3], v34 offset:40
	ds_read_b64 v[4:5], v34 offset:104
	;; [unrolled: 1-line block ×6, first 2 shown]
	s_waitcnt lgkmcnt(0)
	v_mul_f64 v[2:3], v[18:19], v[2:3]
	v_fma_f64 v[2:3], s[4:5], v[12:13], -v[2:3]
	v_fma_f64 v[2:3], -v[20:21], v[4:5], v[2:3]
	v_fma_f64 v[2:3], -v[6:7], v[22:23], v[2:3]
	;; [unrolled: 1-line block ×4, first 2 shown]
	v_mul_f64 v[12:13], v[2:3], v[28:29]
	flat_store_dwordx2 v[0:1], v[12:13] offset:40
	ds_read_b64 v[2:3], v34 offset:48
	ds_read_b64 v[4:5], v34 offset:112
	;; [unrolled: 1-line block ×7, first 2 shown]
	s_waitcnt lgkmcnt(0)
	v_mul_f64 v[2:3], v[18:19], v[2:3]
	v_fma_f64 v[2:3], s[4:5], v[14:15], -v[2:3]
	v_fma_f64 v[2:3], -v[20:21], v[4:5], v[2:3]
	v_fma_f64 v[2:3], -v[6:7], v[22:23], v[2:3]
	;; [unrolled: 1-line block ×5, first 2 shown]
	v_mul_f64 v[14:15], v[2:3], v[30:31]
	flat_store_dwordx2 v[0:1], v[14:15] offset:48
	ds_read_b64 v[22:23], v34 offset:56
	ds_read_b64 v[24:25], v34 offset:120
	;; [unrolled: 1-line block ×6, first 2 shown]
	ds_read2_b64 v[2:5], v34 offset0:55 offset1:63
	s_waitcnt lgkmcnt(0)
	v_mul_f64 v[18:19], v[18:19], v[22:23]
	v_fma_f64 v[16:17], s[4:5], v[16:17], -v[18:19]
	v_fma_f64 v[16:17], -v[20:21], v[24:25], v[16:17]
	v_fma_f64 v[6:7], -v[6:7], v[26:27], v[16:17]
	;; [unrolled: 1-line block ×6, first 2 shown]
	v_mul_f64 v[2:3], v[2:3], v[4:5]
	flat_store_dwordx2 v[0:1], v[2:3] offset:56
	s_cmp_lt_i32 s0, s22
	s_cbranch_scc1 .LBB75_38
	s_branch .LBB75_50
.LBB75_37:
	s_mov_b32 s0, 0
	s_cmp_lt_i32 s0, s22
	s_cbranch_scc0 .LBB75_50
.LBB75_38:
	s_or_b32 s1, s0, 3
	s_cmp_ge_u32 s1, s22
	s_cbranch_scc1 .LBB75_44
; %bb.39:
	s_lshl_b32 s3, s0, 3
	s_mov_b32 s1, 0
.LBB75_40:                              ; =>This Loop Header: Depth=1
                                        ;     Child Loop BB75_41 Depth 2
	v_lshl_add_u64 v[2:3], s[0:1], 3, v[0:1]
	flat_load_dwordx4 v[4:7], v[2:3]
	flat_load_dwordx4 v[14:17], v[2:3] offset:16
	s_cmp_eq_u32 s0, 0
	v_mov_b64_e32 v[12:13], v[0:1]
	s_mov_b32 s2, s3
	s_mov_b32 s6, s0
	s_waitcnt vmcnt(0) lgkmcnt(0)
	v_mul_f64 v[10:11], s[4:5], v[4:5]
	v_mul_f64 v[8:9], s[4:5], v[6:7]
	;; [unrolled: 1-line block ×4, first 2 shown]
	s_cbranch_scc1 .LBB75_42
.LBB75_41:                              ;   Parent Loop BB75_40 Depth=1
                                        ; =>  This Inner Loop Header: Depth=2
	flat_load_dwordx2 v[22:23], v[12:13]
	v_mov_b32_e32 v18, s2
	ds_read_b128 v[14:17], v18
	ds_read_b128 v[18:21], v18 offset:16
	s_add_i32 s6, s6, -1
	s_add_i32 s2, s2, 64
	v_lshl_add_u64 v[12:13], v[12:13], 0, 8
	s_cmp_lg_u32 s6, 0
	s_waitcnt vmcnt(0) lgkmcnt(0)
	v_fma_f64 v[10:11], -v[22:23], v[14:15], v[10:11]
	v_fma_f64 v[8:9], -v[22:23], v[16:17], v[8:9]
	;; [unrolled: 1-line block ×4, first 2 shown]
	s_cbranch_scc1 .LBB75_41
.LBB75_42:                              ;   in Loop: Header=BB75_40 Depth=1
	s_lshl_b32 s2, s0, 3
	s_lshl_b32 s6, s0, 6
	s_add_i32 s2, s2, s6
	v_mov_b32_e32 v20, s2
	ds_read_b64 v[12:13], v20
	s_add_i32 s2, s0, 4
	s_add_i32 s0, s0, 7
	;; [unrolled: 1-line block ×3, first 2 shown]
	s_cmp_lt_i32 s0, s22
	s_waitcnt lgkmcnt(0)
	v_mul_f64 v[10:11], v[10:11], v[12:13]
	flat_store_dwordx2 v[2:3], v[10:11]
	ds_read_b64 v[12:13], v20 offset:8
	ds_read_b64 v[14:15], v20 offset:72
	s_waitcnt lgkmcnt(0)
	v_fma_f64 v[8:9], -v[10:11], v[12:13], v[8:9]
	v_mul_f64 v[12:13], v[8:9], v[14:15]
	flat_store_dwordx2 v[2:3], v[12:13] offset:8
	ds_read_b64 v[8:9], v20 offset:16
	ds_read_b64 v[14:15], v20 offset:80
	;; [unrolled: 1-line block ×3, first 2 shown]
	s_waitcnt lgkmcnt(0)
	v_fma_f64 v[6:7], -v[10:11], v[8:9], v[6:7]
	v_fma_f64 v[6:7], -v[12:13], v[14:15], v[6:7]
	v_mul_f64 v[14:15], v[6:7], v[16:17]
	flat_store_dwordx2 v[2:3], v[14:15] offset:16
	ds_read_b64 v[16:17], v20 offset:24
	ds_read_b64 v[18:19], v20 offset:88
	ds_read2_b64 v[6:9], v20 offset0:19 offset1:27
	s_waitcnt lgkmcnt(0)
	v_fma_f64 v[4:5], -v[10:11], v[16:17], v[4:5]
	v_fma_f64 v[4:5], -v[12:13], v[18:19], v[4:5]
	;; [unrolled: 1-line block ×3, first 2 shown]
	v_mul_f64 v[4:5], v[4:5], v[8:9]
	flat_store_dwordx2 v[2:3], v[4:5] offset:24
	s_cbranch_scc0 .LBB75_45
; %bb.43:                               ;   in Loop: Header=BB75_40 Depth=1
	s_mov_b32 s0, s2
	s_branch .LBB75_40
.LBB75_44:
	s_mov_b32 s2, s0
.LBB75_45:
	s_cmp_ge_i32 s2, s22
	s_cbranch_scc1 .LBB75_50
; %bb.46:
	s_lshl_b32 s0, s2, 3
	s_branch .LBB75_48
.LBB75_47:                              ;   in Loop: Header=BB75_48 Depth=1
	s_mul_i32 s1, s2, 0x48
	v_mov_b32_e32 v6, s1
	ds_read_b64 v[6:7], v6
	s_add_i32 s2, s2, 1
	s_add_i32 s0, s0, 8
	s_cmp_ge_i32 s2, s22
	s_waitcnt lgkmcnt(0)
	v_mul_f64 v[4:5], v[4:5], v[6:7]
	flat_store_dwordx2 v[2:3], v[4:5]
	s_cbranch_scc1 .LBB75_50
.LBB75_48:                              ; =>This Loop Header: Depth=1
                                        ;     Child Loop BB75_49 Depth 2
	s_ashr_i32 s3, s2, 31
	v_lshl_add_u64 v[2:3], s[2:3], 3, v[0:1]
	flat_load_dwordx2 v[4:5], v[2:3]
	v_mov_b64_e32 v[6:7], v[0:1]
	s_mov_b32 s1, s0
	s_cmp_eq_u32 s2, 0
	s_mov_b32 s3, s2
	s_waitcnt vmcnt(0) lgkmcnt(0)
	v_mul_f64 v[4:5], s[4:5], v[4:5]
	s_cbranch_scc1 .LBB75_47
.LBB75_49:                              ;   Parent Loop BB75_48 Depth=1
                                        ; =>  This Inner Loop Header: Depth=2
	flat_load_dwordx2 v[8:9], v[6:7]
	v_mov_b32_e32 v10, s1
	ds_read_b64 v[10:11], v10
	s_add_i32 s3, s3, -1
	s_add_i32 s1, s1, 64
	v_lshl_add_u64 v[6:7], v[6:7], 0, 8
	s_cmp_lg_u32 s3, 0
	s_waitcnt vmcnt(0) lgkmcnt(0)
	v_fma_f64 v[4:5], -v[8:9], v[10:11], v[4:5]
	s_cbranch_scc1 .LBB75_49
	s_branch .LBB75_47
.LBB75_50:
	s_endpgm
	.section	.rodata,"a",@progbits
	.p2align	6, 0x0
	.amdhsa_kernel _ZL30rocblas_trsm_small_left_deviceILi8ELi8ELb1EddPKPKdPKPdEv13rocblas_fill_18rocblas_operation_17rocblas_diagonal_iiT3_T4_lilT5_lili
		.amdhsa_group_segment_fixed_size 512
		.amdhsa_private_segment_fixed_size 0
		.amdhsa_kernarg_size 360
		.amdhsa_user_sgpr_count 2
		.amdhsa_user_sgpr_dispatch_ptr 0
		.amdhsa_user_sgpr_queue_ptr 0
		.amdhsa_user_sgpr_kernarg_segment_ptr 1
		.amdhsa_user_sgpr_dispatch_id 0
		.amdhsa_user_sgpr_kernarg_preload_length 0
		.amdhsa_user_sgpr_kernarg_preload_offset 0
		.amdhsa_user_sgpr_private_segment_size 0
		.amdhsa_uses_dynamic_stack 0
		.amdhsa_enable_private_segment 0
		.amdhsa_system_sgpr_workgroup_id_x 1
		.amdhsa_system_sgpr_workgroup_id_y 0
		.amdhsa_system_sgpr_workgroup_id_z 1
		.amdhsa_system_sgpr_workgroup_info 0
		.amdhsa_system_vgpr_workitem_id 0
		.amdhsa_next_free_vgpr 35
		.amdhsa_next_free_sgpr 26
		.amdhsa_accum_offset 36
		.amdhsa_reserve_vcc 1
		.amdhsa_float_round_mode_32 0
		.amdhsa_float_round_mode_16_64 0
		.amdhsa_float_denorm_mode_32 3
		.amdhsa_float_denorm_mode_16_64 3
		.amdhsa_dx10_clamp 1
		.amdhsa_ieee_mode 1
		.amdhsa_fp16_overflow 0
		.amdhsa_tg_split 0
		.amdhsa_exception_fp_ieee_invalid_op 0
		.amdhsa_exception_fp_denorm_src 0
		.amdhsa_exception_fp_ieee_div_zero 0
		.amdhsa_exception_fp_ieee_overflow 0
		.amdhsa_exception_fp_ieee_underflow 0
		.amdhsa_exception_fp_ieee_inexact 0
		.amdhsa_exception_int_div_zero 0
	.end_amdhsa_kernel
	.section	.text._ZL30rocblas_trsm_small_left_deviceILi8ELi8ELb1EddPKPKdPKPdEv13rocblas_fill_18rocblas_operation_17rocblas_diagonal_iiT3_T4_lilT5_lili,"axG",@progbits,_ZL30rocblas_trsm_small_left_deviceILi8ELi8ELb1EddPKPKdPKPdEv13rocblas_fill_18rocblas_operation_17rocblas_diagonal_iiT3_T4_lilT5_lili,comdat
.Lfunc_end75:
	.size	_ZL30rocblas_trsm_small_left_deviceILi8ELi8ELb1EddPKPKdPKPdEv13rocblas_fill_18rocblas_operation_17rocblas_diagonal_iiT3_T4_lilT5_lili, .Lfunc_end75-_ZL30rocblas_trsm_small_left_deviceILi8ELi8ELb1EddPKPKdPKPdEv13rocblas_fill_18rocblas_operation_17rocblas_diagonal_iiT3_T4_lilT5_lili
                                        ; -- End function
	.set _ZL30rocblas_trsm_small_left_deviceILi8ELi8ELb1EddPKPKdPKPdEv13rocblas_fill_18rocblas_operation_17rocblas_diagonal_iiT3_T4_lilT5_lili.num_vgpr, 35
	.set _ZL30rocblas_trsm_small_left_deviceILi8ELi8ELb1EddPKPKdPKPdEv13rocblas_fill_18rocblas_operation_17rocblas_diagonal_iiT3_T4_lilT5_lili.num_agpr, 0
	.set _ZL30rocblas_trsm_small_left_deviceILi8ELi8ELb1EddPKPKdPKPdEv13rocblas_fill_18rocblas_operation_17rocblas_diagonal_iiT3_T4_lilT5_lili.numbered_sgpr, 26
	.set _ZL30rocblas_trsm_small_left_deviceILi8ELi8ELb1EddPKPKdPKPdEv13rocblas_fill_18rocblas_operation_17rocblas_diagonal_iiT3_T4_lilT5_lili.num_named_barrier, 0
	.set _ZL30rocblas_trsm_small_left_deviceILi8ELi8ELb1EddPKPKdPKPdEv13rocblas_fill_18rocblas_operation_17rocblas_diagonal_iiT3_T4_lilT5_lili.private_seg_size, 0
	.set _ZL30rocblas_trsm_small_left_deviceILi8ELi8ELb1EddPKPKdPKPdEv13rocblas_fill_18rocblas_operation_17rocblas_diagonal_iiT3_T4_lilT5_lili.uses_vcc, 1
	.set _ZL30rocblas_trsm_small_left_deviceILi8ELi8ELb1EddPKPKdPKPdEv13rocblas_fill_18rocblas_operation_17rocblas_diagonal_iiT3_T4_lilT5_lili.uses_flat_scratch, 0
	.set _ZL30rocblas_trsm_small_left_deviceILi8ELi8ELb1EddPKPKdPKPdEv13rocblas_fill_18rocblas_operation_17rocblas_diagonal_iiT3_T4_lilT5_lili.has_dyn_sized_stack, 0
	.set _ZL30rocblas_trsm_small_left_deviceILi8ELi8ELb1EddPKPKdPKPdEv13rocblas_fill_18rocblas_operation_17rocblas_diagonal_iiT3_T4_lilT5_lili.has_recursion, 0
	.set _ZL30rocblas_trsm_small_left_deviceILi8ELi8ELb1EddPKPKdPKPdEv13rocblas_fill_18rocblas_operation_17rocblas_diagonal_iiT3_T4_lilT5_lili.has_indirect_call, 0
	.section	.AMDGPU.csdata,"",@progbits
; Kernel info:
; codeLenInByte = 3968
; TotalNumSgprs: 32
; NumVgprs: 35
; NumAgprs: 0
; TotalNumVgprs: 35
; ScratchSize: 0
; MemoryBound: 0
; FloatMode: 240
; IeeeMode: 1
; LDSByteSize: 512 bytes/workgroup (compile time only)
; SGPRBlocks: 3
; VGPRBlocks: 4
; NumSGPRsForWavesPerEU: 32
; NumVGPRsForWavesPerEU: 35
; AccumOffset: 36
; Occupancy: 8
; WaveLimiterHint : 1
; COMPUTE_PGM_RSRC2:SCRATCH_EN: 0
; COMPUTE_PGM_RSRC2:USER_SGPR: 2
; COMPUTE_PGM_RSRC2:TRAP_HANDLER: 0
; COMPUTE_PGM_RSRC2:TGID_X_EN: 1
; COMPUTE_PGM_RSRC2:TGID_Y_EN: 0
; COMPUTE_PGM_RSRC2:TGID_Z_EN: 1
; COMPUTE_PGM_RSRC2:TIDIG_COMP_CNT: 0
; COMPUTE_PGM_RSRC3_GFX90A:ACCUM_OFFSET: 8
; COMPUTE_PGM_RSRC3_GFX90A:TG_SPLIT: 0
	.section	.text._ZL31rocblas_trsm_small_right_deviceIddPKPKdPKPdLi8EEv13rocblas_fill_18rocblas_operation_17rocblas_diagonal_iiT0_T1_lilT2_lili,"axG",@progbits,_ZL31rocblas_trsm_small_right_deviceIddPKPKdPKPdLi8EEv13rocblas_fill_18rocblas_operation_17rocblas_diagonal_iiT0_T1_lilT2_lili,comdat
	.globl	_ZL31rocblas_trsm_small_right_deviceIddPKPKdPKPdLi8EEv13rocblas_fill_18rocblas_operation_17rocblas_diagonal_iiT0_T1_lilT2_lili ; -- Begin function _ZL31rocblas_trsm_small_right_deviceIddPKPKdPKPdLi8EEv13rocblas_fill_18rocblas_operation_17rocblas_diagonal_iiT0_T1_lilT2_lili
	.p2align	8
	.type	_ZL31rocblas_trsm_small_right_deviceIddPKPKdPKPdLi8EEv13rocblas_fill_18rocblas_operation_17rocblas_diagonal_iiT0_T1_lilT2_lili,@function
_ZL31rocblas_trsm_small_right_deviceIddPKPKdPKPdLi8EEv13rocblas_fill_18rocblas_operation_17rocblas_diagonal_iiT0_T1_lilT2_lili: ; @_ZL31rocblas_trsm_small_right_deviceIddPKPKdPKPdLi8EEv13rocblas_fill_18rocblas_operation_17rocblas_diagonal_iiT0_T1_lilT2_lili
; %bb.0:
	s_load_dwordx4 s[4:7], s[0:1], 0x0
	s_load_dword s22, s[0:1], 0x10
	s_load_dwordx4 s[12:15], s[0:1], 0x40
	s_load_dwordx4 s[8:11], s[0:1], 0x18
	s_load_dwordx2 s[18:19], s[0:1], 0x28
	s_mov_b32 s16, s3
	s_mov_b32 s17, 0
	s_lshl_b64 s[20:21], s[16:17], 3
	s_waitcnt lgkmcnt(0)
	s_add_u32 s12, s12, s20
	s_addc_u32 s13, s13, s21
	s_load_dwordx2 s[12:13], s[12:13], 0x0
	s_min_i32 s23, s22, 8
	v_cmp_gt_i32_e32 vcc, s23, v0
	s_and_saveexec_b64 s[16:17], vcc
	s_cbranch_execz .LBB76_5
; %bb.1:
	s_load_dword s24, s[0:1], 0x30
	v_lshlrev_b32_e32 v2, 3, v0
	v_mov_b32_e32 v3, 0
	v_mov_b32_e32 v1, v2
	s_mov_b32 s3, s23
	s_waitcnt lgkmcnt(0)
	s_ashr_i32 s25, s24, 31
	s_add_u32 s10, s10, s20
	s_addc_u32 s11, s11, s21
	s_load_dwordx2 s[10:11], s[10:11], 0x0
	s_lshl_b64 s[18:19], s[18:19], 3
	s_waitcnt lgkmcnt(0)
	s_add_u32 s18, s10, s18
	s_addc_u32 s19, s11, s19
	s_lshl_b64 s[10:11], s[24:25], 3
	v_lshl_add_u64 v[4:5], s[18:19], 0, v[2:3]
.LBB76_2:                               ; =>This Inner Loop Header: Depth=1
	flat_load_dwordx2 v[6:7], v[4:5]
	s_add_i32 s3, s3, -1
	v_lshl_add_u64 v[4:5], v[4:5], 0, s[10:11]
	s_cmp_eq_u32 s3, 0
	s_waitcnt vmcnt(0) lgkmcnt(0)
	ds_write_b64 v1, v[6:7]
	v_add_u32_e32 v1, 64, v1
	s_cbranch_scc0 .LBB76_2
; %bb.3:
	s_cmpk_eq_i32 s6, 0x84
	s_cbranch_scc0 .LBB76_5
; %bb.4:
	v_lshl_or_b32 v1, v0, 6, v2
	v_mov_b32_e32 v2, 0
	v_mov_b32_e32 v3, 0x3ff00000
	ds_write_b64 v1, v[2:3]
.LBB76_5:
	s_or_b64 exec, exec, s[16:17]
	s_load_dword s3, s[0:1], 0x68
	s_load_dword s6, s[0:1], 0x50
	s_lshl_b64 s[0:1], s[14:15], 3
	s_waitcnt lgkmcnt(0)
	s_add_u32 s10, s12, s0
	s_addc_u32 s11, s13, s1
	s_lshl_b32 s0, s2, 3
	s_add_i32 s3, s3, -1
	s_sub_i32 s0, s7, s0
	s_cmp_ge_u32 s2, s3
	s_cselect_b32 s7, s0, 8
	s_ashr_i32 s3, s2, 31
	s_lshl_b64 s[0:1], s[2:3], 6
	s_add_u32 s2, s10, s0
	s_addc_u32 s3, s11, s1
	v_cmp_gt_i32_e64 s[0:1], s7, v0
	s_and_saveexec_b64 s[10:11], s[0:1]
	s_cbranch_execz .LBB76_9
; %bb.6:
	s_cmp_lt_i32 s22, 1
	s_cbranch_scc1 .LBB76_9
; %bb.7:
	s_ashr_i32 s7, s6, 31
	v_lshlrev_b32_e32 v4, 3, v0
	v_mov_b32_e32 v5, 0
	v_lshl_add_u64 v[2:3], s[2:3], 0, v[4:5]
	s_lshl_b64 s[12:13], s[6:7], 3
	v_or_b32_e32 v1, 0x200, v4
	s_mov_b32 s7, s22
.LBB76_8:                               ; =>This Inner Loop Header: Depth=1
	flat_load_dwordx2 v[4:5], v[2:3]
	s_add_i32 s7, s7, -1
	v_lshl_add_u64 v[2:3], v[2:3], 0, s[12:13]
	s_cmp_lg_u32 s7, 0
	s_waitcnt vmcnt(0) lgkmcnt(0)
	v_mul_f64 v[4:5], s[8:9], v[4:5]
	ds_write_b64 v1, v[4:5]
	v_add_u32_e32 v1, 64, v1
	s_cbranch_scc1 .LBB76_8
.LBB76_9:
	s_or_b64 exec, exec, s[10:11]
	s_cmpk_eq_i32 s5, 0x6f
	s_cselect_b64 s[10:11], -1, 0
	s_cmpk_lg_i32 s4, 0x79
	s_cselect_b64 s[8:9], -1, 0
	s_cmpk_eq_i32 s4, 0x79
	s_cselect_b64 s[12:13], -1, 0
	s_and_b64 s[12:13], s[12:13], s[10:11]
	s_andn2_b64 vcc, exec, s[12:13]
	s_mov_b64 s[12:13], -1
	s_waitcnt lgkmcnt(0)
	; wave barrier
	s_cbranch_vccz .LBB76_66
; %bb.10:
	s_cmpk_lg_i32 s4, 0x7a
	s_cselect_b64 s[4:5], -1, 0
	s_xor_b64 s[10:11], s[10:11], -1
	s_add_i32 s7, s23, -1
	s_or_b64 s[10:11], s[4:5], s[10:11]
	v_mov_b32_e32 v1, 0x200
	s_cmp_gt_i32 s22, 3
	v_lshl_or_b32 v1, v0, 3, v1
	s_cselect_b64 s[4:5], -1, 0
	s_and_b64 vcc, exec, s[10:11]
	s_cbranch_vccz .LBB76_45
; %bb.11:
	s_andn2_b64 vcc, exec, s[8:9]
	s_mov_b64 s[8:9], -1
	s_cbranch_vccnz .LBB76_24
; %bb.12:
	s_andn2_b64 vcc, exec, s[4:5]
	s_mov_b32 s10, 0
	s_cbranch_vccnz .LBB76_18
; %bb.13:
	v_mov_b32_e32 v2, 0x200
	v_lshl_or_b32 v10, v0, 3, v2
	s_mov_b32 s8, 0
	s_mov_b32 s9, 0
.LBB76_14:                              ; =>This Loop Header: Depth=1
                                        ;     Child Loop BB76_15 Depth 2
	s_lshl_b32 s12, s9, 6
	s_or_b32 s11, s9, 1
	v_add_u32_e32 v12, s12, v1
	v_lshl_add_u32 v13, s11, 6, v1
	s_or_b32 s10, s12, 0xc0
	ds_read2_b64 v[2:5], v12 offset1:16
	v_add_u32_e32 v11, s10, v1
	ds_read_b64 v[8:9], v13
	ds_read_b64 v[6:7], v11
	s_cmp_eq_u32 s9, 0
	v_mov_b32_e32 v14, v10
	s_mov_b32 s10, s8
	s_mov_b32 s13, s9
	s_cbranch_scc1 .LBB76_16
.LBB76_15:                              ;   Parent Loop BB76_14 Depth=1
                                        ; =>  This Inner Loop Header: Depth=2
	v_mov_b32_e32 v15, s10
	ds_read_b64 v[24:25], v14
	ds_read_b128 v[16:19], v15
	ds_read_b128 v[20:23], v15 offset:16
	s_add_i32 s13, s13, -1
	s_add_i32 s10, s10, 64
	v_add_u32_e32 v14, 64, v14
	s_cmp_eq_u32 s13, 0
	s_waitcnt lgkmcnt(1)
	v_fma_f64 v[2:3], -v[24:25], v[16:17], v[2:3]
	v_fma_f64 v[8:9], -v[24:25], v[18:19], v[8:9]
	s_waitcnt lgkmcnt(0)
	v_fma_f64 v[4:5], -v[24:25], v[20:21], v[4:5]
	v_fma_f64 v[6:7], -v[24:25], v[22:23], v[6:7]
	s_cbranch_scc0 .LBB76_15
.LBB76_16:                              ;   in Loop: Header=BB76_14 Depth=1
	s_lshl_b32 s10, s9, 3
	s_add_i32 s12, s10, s12
	v_mov_b32_e32 v15, s12
	ds_read_b128 v[16:19], v15
	s_sub_i32 s12, s12, s10
	s_add_i32 s14, s12, s10
	v_mov_b32_e32 v15, s14
	ds_read_b128 v[20:23], v15 offset:16
	s_waitcnt lgkmcnt(1)
	v_div_scale_f64 v[24:25], s[12:13], v[16:17], v[16:17], v[2:3]
	v_rcp_f64_e32 v[26:27], v[24:25]
	v_div_scale_f64 v[28:29], vcc, v[2:3], v[16:17], v[2:3]
	s_lshl_b32 s11, s11, 3
	v_fma_f64 v[30:31], -v[24:25], v[26:27], 1.0
	v_fmac_f64_e32 v[26:27], v[26:27], v[30:31]
	v_fma_f64 v[30:31], -v[24:25], v[26:27], 1.0
	v_fmac_f64_e32 v[26:27], v[26:27], v[30:31]
	v_mul_f64 v[30:31], v[28:29], v[26:27]
	v_fma_f64 v[24:25], -v[24:25], v[30:31], v[28:29]
	v_div_fmas_f64 v[28:29], v[24:25], v[26:27], v[30:31]
	ds_read2_b64 v[24:27], v15 offset0:9 offset1:10
	v_div_fixup_f64 v[2:3], v[28:29], v[16:17], v[2:3]
	v_fma_f64 v[8:9], -v[2:3], v[18:19], v[8:9]
	ds_read_b128 v[16:19], v15 offset:144
	s_waitcnt lgkmcnt(2)
	v_fma_f64 v[4:5], -v[2:3], v[20:21], v[4:5]
	s_waitcnt lgkmcnt(1)
	v_div_scale_f64 v[28:29], s[12:13], v[24:25], v[24:25], v[8:9]
	v_rcp_f64_e32 v[30:31], v[28:29]
	s_addk_i32 s14, 0x48
	s_sub_i32 s11, s14, s11
	s_add_i32 s10, s11, s10
	v_fma_f64 v[32:33], -v[28:29], v[30:31], 1.0
	v_fmac_f64_e32 v[30:31], v[30:31], v[32:33]
	v_fma_f64 v[32:33], -v[28:29], v[30:31], 1.0
	v_fmac_f64_e32 v[30:31], v[30:31], v[32:33]
	v_div_scale_f64 v[32:33], vcc, v[8:9], v[24:25], v[8:9]
	v_mul_f64 v[34:35], v[32:33], v[30:31]
	v_fma_f64 v[28:29], -v[28:29], v[34:35], v[32:33]
	v_fma_f64 v[6:7], -v[2:3], v[22:23], v[6:7]
	s_nop 0
	v_div_fmas_f64 v[28:29], v[28:29], v[30:31], v[34:35]
	v_div_fixup_f64 v[8:9], v[28:29], v[24:25], v[8:9]
	v_fma_f64 v[4:5], -v[8:9], v[26:27], v[4:5]
	s_waitcnt lgkmcnt(0)
	v_div_scale_f64 v[20:21], s[12:13], v[16:17], v[16:17], v[4:5]
	v_rcp_f64_e32 v[24:25], v[20:21]
	v_add_u32_e32 v14, 0x80, v12
	s_add_i32 s8, s8, 32
	v_fma_f64 v[26:27], -v[20:21], v[24:25], 1.0
	v_fmac_f64_e32 v[24:25], v[24:25], v[26:27]
	v_fma_f64 v[26:27], -v[20:21], v[24:25], 1.0
	v_fmac_f64_e32 v[24:25], v[24:25], v[26:27]
	v_div_scale_f64 v[26:27], vcc, v[4:5], v[16:17], v[4:5]
	v_mul_f64 v[28:29], v[26:27], v[24:25]
	v_fma_f64 v[20:21], -v[20:21], v[28:29], v[26:27]
	v_mov_b32_e32 v26, s10
	ds_read_b64 v[26:27], v26 offset:24
	v_div_fmas_f64 v[20:21], v[20:21], v[24:25], v[28:29]
	v_div_fixup_f64 v[4:5], v[20:21], v[16:17], v[4:5]
	ds_read_b64 v[16:17], v15 offset:216
	ds_write_b64 v12, v[2:3]
	ds_write_b64 v13, v[8:9]
	;; [unrolled: 1-line block ×3, first 2 shown]
	s_waitcnt lgkmcnt(4)
	v_fma_f64 v[6:7], -v[8:9], v[26:27], v[6:7]
	v_fma_f64 v[6:7], -v[4:5], v[18:19], v[6:7]
	s_waitcnt lgkmcnt(3)
	v_div_scale_f64 v[18:19], s[10:11], v[16:17], v[16:17], v[6:7]
	v_rcp_f64_e32 v[20:21], v[18:19]
	s_add_i32 s10, s9, 4
	s_add_i32 s9, s9, 7
	s_cmp_ge_i32 s9, s23
	v_fma_f64 v[2:3], -v[18:19], v[20:21], 1.0
	v_fmac_f64_e32 v[20:21], v[20:21], v[2:3]
	v_fma_f64 v[2:3], -v[18:19], v[20:21], 1.0
	v_fmac_f64_e32 v[20:21], v[20:21], v[2:3]
	v_div_scale_f64 v[2:3], vcc, v[6:7], v[16:17], v[6:7]
	v_mul_f64 v[4:5], v[2:3], v[20:21]
	v_fma_f64 v[2:3], -v[18:19], v[4:5], v[2:3]
	s_nop 1
	v_div_fmas_f64 v[2:3], v[2:3], v[20:21], v[4:5]
	v_div_fixup_f64 v[2:3], v[2:3], v[16:17], v[6:7]
	ds_write_b64 v11, v[2:3]
	s_cbranch_scc1 .LBB76_18
; %bb.17:                               ;   in Loop: Header=BB76_14 Depth=1
	s_mov_b32 s9, s10
	s_branch .LBB76_14
.LBB76_18:
	s_cmp_ge_i32 s10, s23
	s_cbranch_scc1 .LBB76_23
; %bb.19:
	v_mov_b32_e32 v2, 0x200
	s_lshl_b32 s8, s10, 3
	v_lshl_or_b32 v4, v0, 3, v2
	s_branch .LBB76_21
.LBB76_20:                              ;   in Loop: Header=BB76_21 Depth=1
	s_lshl_b32 s11, s10, 3
	s_add_i32 s9, s11, s9
	v_mov_b32_e32 v6, s9
	ds_read_b64 v[6:7], v6
	s_add_i32 s10, s10, 1
	s_add_i32 s8, s8, 8
	s_cmp_ge_i32 s10, s23
	s_waitcnt lgkmcnt(0)
	v_div_scale_f64 v[8:9], s[12:13], v[6:7], v[6:7], v[2:3]
	v_rcp_f64_e32 v[10:11], v[8:9]
	v_div_scale_f64 v[12:13], vcc, v[2:3], v[6:7], v[2:3]
	v_fma_f64 v[14:15], -v[8:9], v[10:11], 1.0
	v_fmac_f64_e32 v[10:11], v[10:11], v[14:15]
	v_fma_f64 v[14:15], -v[8:9], v[10:11], 1.0
	v_fmac_f64_e32 v[10:11], v[10:11], v[14:15]
	v_mul_f64 v[14:15], v[12:13], v[10:11]
	v_fma_f64 v[8:9], -v[8:9], v[14:15], v[12:13]
	v_div_fmas_f64 v[8:9], v[8:9], v[10:11], v[14:15]
	v_div_fixup_f64 v[2:3], v[8:9], v[6:7], v[2:3]
	ds_write_b64 v5, v[2:3]
	s_cbranch_scc1 .LBB76_23
.LBB76_21:                              ; =>This Loop Header: Depth=1
                                        ;     Child Loop BB76_22 Depth 2
	s_lshl_b32 s9, s10, 6
	v_add_u32_e32 v5, s9, v1
	ds_read_b64 v[2:3], v5
	s_cmp_eq_u32 s10, 0
	v_mov_b32_e32 v6, v4
	s_mov_b32 s11, s8
	s_mov_b32 s12, s10
	s_cbranch_scc1 .LBB76_20
.LBB76_22:                              ;   Parent Loop BB76_21 Depth=1
                                        ; =>  This Inner Loop Header: Depth=2
	v_mov_b32_e32 v7, s11
	ds_read_b64 v[8:9], v6
	ds_read_b64 v[10:11], v7
	s_add_i32 s12, s12, -1
	s_add_i32 s11, s11, 64
	v_add_u32_e32 v6, 64, v6
	s_cmp_eq_u32 s12, 0
	s_waitcnt lgkmcnt(0)
	v_fma_f64 v[2:3], -v[8:9], v[10:11], v[2:3]
	s_cbranch_scc0 .LBB76_22
	s_branch .LBB76_20
.LBB76_23:
	s_mov_b64 s[8:9], 0
.LBB76_24:
	s_and_b64 vcc, exec, s[8:9]
	s_cbranch_vccz .LBB76_44
; %bb.25:
	s_andn2_b64 vcc, exec, s[4:5]
	s_mov_b32 s10, s7
	s_cbranch_vccnz .LBB76_31
; %bb.26:
	v_lshlrev_b32_e32 v2, 3, v0
	s_mul_i32 s8, s23, 0x48
	v_lshl_or_b32 v2, s23, 6, v2
	s_addk_i32 s8, 0xffa0
	v_add_u32_e32 v10, 0x1c0, v2
	s_mov_b32 s9, s7
.LBB76_27:                              ; =>This Loop Header: Depth=1
                                        ;     Child Loop BB76_28 Depth 2
	s_add_i32 s10, s9, -3
	v_lshl_add_u32 v12, s9, 6, v1
	s_add_i32 s14, s9, -1
	s_add_i32 s11, s9, -2
	s_lshl_b32 s12, s10, 6
	v_lshl_add_u32 v13, s14, 6, v1
	v_lshl_add_u32 v14, s11, 6, v1
	v_add_u32_e32 v11, s12, v1
	ds_read_b64 v[8:9], v12
	ds_read_b64 v[6:7], v13
	;; [unrolled: 1-line block ×4, first 2 shown]
	s_cmp_le_i32 s7, s9
	v_mov_b32_e32 v15, v10
	s_mov_b32 s13, s8
	s_mov_b32 s15, s7
	s_cbranch_scc1 .LBB76_29
.LBB76_28:                              ;   Parent Loop BB76_27 Depth=1
                                        ; =>  This Inner Loop Header: Depth=2
	v_mov_b32_e32 v20, s13
	ds_read_b64 v[24:25], v15
	ds_read2_b64 v[16:19], v20 offset0:2 offset1:3
	ds_read2_b64 v[20:23], v20 offset1:1
	s_add_i32 s15, s15, -1
	s_sub_i32 s13, s13, 64
	v_subrev_u32_e32 v15, 64, v15
	s_cmp_le_i32 s15, s9
	s_waitcnt lgkmcnt(1)
	v_fma_f64 v[8:9], -v[24:25], v[18:19], v[8:9]
	v_fma_f64 v[6:7], -v[24:25], v[16:17], v[6:7]
	s_waitcnt lgkmcnt(0)
	v_fma_f64 v[4:5], -v[24:25], v[22:23], v[4:5]
	v_fma_f64 v[2:3], -v[24:25], v[20:21], v[2:3]
	s_cbranch_scc0 .LBB76_28
.LBB76_29:                              ;   in Loop: Header=BB76_27 Depth=1
	s_lshl_b32 s18, s9, 3
	s_lshl_b32 s16, s9, 6
	s_add_i32 s19, s18, s16
	s_add_i32 s16, s19, -8
	v_mov_b32_e32 v15, s16
	ds_read2_b64 v[16:19], v15 offset1:1
	s_lshl_b32 s15, s14, 3
	s_lshl_b32 s14, s14, 6
	s_add_i32 s14, s18, s14
	s_add_i32 s14, s14, -8
	s_waitcnt lgkmcnt(0)
	v_div_scale_f64 v[22:23], s[16:17], v[18:19], v[18:19], v[8:9]
	v_rcp_f64_e32 v[24:25], v[22:23]
	v_mov_b32_e32 v15, s14
	ds_read_b64 v[20:21], v15
	s_lshl_b32 s13, s11, 3
	v_fma_f64 v[26:27], -v[22:23], v[24:25], 1.0
	v_fmac_f64_e32 v[24:25], v[24:25], v[26:27]
	v_fma_f64 v[26:27], -v[22:23], v[24:25], 1.0
	v_fmac_f64_e32 v[24:25], v[24:25], v[26:27]
	v_div_scale_f64 v[26:27], vcc, v[8:9], v[18:19], v[8:9]
	v_mul_f64 v[28:29], v[26:27], v[24:25]
	v_fma_f64 v[22:23], -v[22:23], v[28:29], v[26:27]
	s_lshl_b32 s11, s11, 6
	s_nop 0
	v_div_fmas_f64 v[22:23], v[22:23], v[24:25], v[28:29]
	v_div_fixup_f64 v[22:23], v[22:23], v[18:19], v[8:9]
	v_fma_f64 v[24:25], -v[22:23], v[16:17], v[6:7]
	s_waitcnt lgkmcnt(0)
	v_div_scale_f64 v[6:7], s[16:17], v[20:21], v[20:21], v[24:25]
	v_rcp_f64_e32 v[26:27], v[6:7]
	s_add_i32 s11, s18, s11
	s_add_i32 s18, s18, s12
	s_sub_i32 s12, s19, 24
	v_fma_f64 v[8:9], -v[6:7], v[26:27], 1.0
	v_fmac_f64_e32 v[26:27], v[26:27], v[8:9]
	v_fma_f64 v[8:9], -v[6:7], v[26:27], 1.0
	v_fmac_f64_e32 v[26:27], v[26:27], v[8:9]
	v_div_scale_f64 v[8:9], vcc, v[24:25], v[20:21], v[24:25]
	v_mul_f64 v[28:29], v[8:9], v[26:27]
	v_fma_f64 v[30:31], -v[6:7], v[28:29], v[8:9]
	v_mov_b32_e32 v6, s12
	s_sub_i32 s12, s14, s15
	s_lshl_b32 s10, s10, 3
	s_add_i32 s12, s12, s10
	v_mov_b32_e32 v15, s12
	ds_read2_b64 v[6:9], v6 offset1:1
	ds_read2_b64 v[16:19], v15 offset1:1
	s_sub_i32 s11, s11, s13
	s_add_i32 s10, s11, s10
	v_div_fmas_f64 v[26:27], v[30:31], v[26:27], v[28:29]
	s_add_i32 s10, s10, -16
	v_div_fixup_f64 v[24:25], v[26:27], v[20:21], v[24:25]
	s_waitcnt lgkmcnt(1)
	v_fma_f64 v[4:5], -v[22:23], v[8:9], v[4:5]
	v_mov_b32_e32 v8, s10
	s_waitcnt lgkmcnt(0)
	v_fma_f64 v[4:5], -v[24:25], v[18:19], v[4:5]
	ds_read2_b64 v[18:21], v8 offset1:1
	s_sub_i32 s10, s18, 24
	v_mov_b32_e32 v8, s10
	ds_read_b64 v[8:9], v8
	v_fma_f64 v[2:3], -v[22:23], v[6:7], v[2:3]
	s_waitcnt lgkmcnt(1)
	v_div_scale_f64 v[26:27], s[10:11], v[20:21], v[20:21], v[4:5]
	v_rcp_f64_e32 v[28:29], v[26:27]
	v_fma_f64 v[2:3], -v[24:25], v[16:17], v[2:3]
	s_sub_i32 s8, s8, 32
	v_fma_f64 v[30:31], -v[26:27], v[28:29], 1.0
	v_fmac_f64_e32 v[28:29], v[28:29], v[30:31]
	v_fma_f64 v[30:31], -v[26:27], v[28:29], 1.0
	v_fmac_f64_e32 v[28:29], v[28:29], v[30:31]
	v_div_scale_f64 v[30:31], vcc, v[4:5], v[20:21], v[4:5]
	v_mul_f64 v[32:33], v[30:31], v[28:29]
	v_fma_f64 v[26:27], -v[26:27], v[32:33], v[30:31]
	s_nop 1
	v_div_fmas_f64 v[26:27], v[26:27], v[28:29], v[32:33]
	v_div_fixup_f64 v[4:5], v[26:27], v[20:21], v[4:5]
	v_fma_f64 v[2:3], -v[4:5], v[18:19], v[2:3]
	s_waitcnt lgkmcnt(0)
	v_div_scale_f64 v[6:7], s[10:11], v[8:9], v[8:9], v[2:3]
	v_rcp_f64_e32 v[16:17], v[6:7]
	ds_write_b64 v12, v[22:23]
	ds_write_b64 v13, v[24:25]
	;; [unrolled: 1-line block ×3, first 2 shown]
	s_add_i32 s10, s9, -4
	s_cmp_lt_i32 s9, 7
	v_fma_f64 v[4:5], -v[6:7], v[16:17], 1.0
	v_fmac_f64_e32 v[16:17], v[16:17], v[4:5]
	v_fma_f64 v[4:5], -v[6:7], v[16:17], 1.0
	v_fmac_f64_e32 v[16:17], v[16:17], v[4:5]
	v_div_scale_f64 v[4:5], vcc, v[2:3], v[8:9], v[2:3]
	v_mul_f64 v[12:13], v[4:5], v[16:17]
	v_fma_f64 v[4:5], -v[6:7], v[12:13], v[4:5]
	s_nop 1
	v_div_fmas_f64 v[4:5], v[4:5], v[16:17], v[12:13]
	v_div_fixup_f64 v[2:3], v[4:5], v[8:9], v[2:3]
	ds_write_b64 v11, v[2:3]
	s_cbranch_scc1 .LBB76_31
; %bb.30:                               ;   in Loop: Header=BB76_27 Depth=1
	s_mov_b32 s9, s10
	s_branch .LBB76_27
.LBB76_31:
	s_cmp_lt_i32 s10, 0
	s_cbranch_scc1 .LBB76_44
; %bb.32:
	s_bitcmp1_b32 s10, 0
	s_cselect_b64 s[8:9], -1, 0
	s_and_b64 vcc, exec, s[8:9]
	s_mov_b32 s8, s10
	s_cbranch_vccnz .LBB76_37
; %bb.33:
	s_lshl_b32 s8, s10, 6
	v_add_u32_e32 v4, s8, v1
	ds_read_b64 v[2:3], v4
	s_cmp_le_i32 s7, s10
	s_cbranch_scc1 .LBB76_36
; %bb.34:
	s_lshl_b32 s11, s23, 6
	s_lshl_b32 s9, s10, 3
	s_add_i32 s9, s11, s9
	v_lshl_or_b32 v5, v0, 3, s11
	s_sub_i32 s9, s9, 64
	v_add_u32_e32 v5, 0x1c0, v5
	s_mov_b32 s11, s7
.LBB76_35:                              ; =>This Inner Loop Header: Depth=1
	v_mov_b32_e32 v8, s9
	ds_read_b64 v[6:7], v5
	ds_read_b64 v[8:9], v8
	s_add_i32 s11, s11, -1
	s_sub_i32 s9, s9, 64
	v_subrev_u32_e32 v5, 64, v5
	s_cmp_gt_u32 s11, s10
	s_waitcnt lgkmcnt(0)
	v_fma_f64 v[2:3], -v[6:7], v[8:9], v[2:3]
	s_cbranch_scc1 .LBB76_35
.LBB76_36:
	s_lshl_b32 s9, s10, 3
	s_add_i32 s8, s9, s8
	v_mov_b32_e32 v5, s8
	ds_read_b64 v[6:7], v5
	s_waitcnt lgkmcnt(0)
	v_div_scale_f64 v[8:9], s[8:9], v[6:7], v[6:7], v[2:3]
	v_rcp_f64_e32 v[10:11], v[8:9]
	v_div_scale_f64 v[12:13], vcc, v[2:3], v[6:7], v[2:3]
	s_add_i32 s8, s10, -1
	v_fma_f64 v[14:15], -v[8:9], v[10:11], 1.0
	v_fmac_f64_e32 v[10:11], v[10:11], v[14:15]
	v_fma_f64 v[14:15], -v[8:9], v[10:11], 1.0
	v_fmac_f64_e32 v[10:11], v[10:11], v[14:15]
	v_mul_f64 v[14:15], v[12:13], v[10:11]
	v_fma_f64 v[8:9], -v[8:9], v[14:15], v[12:13]
	v_div_fmas_f64 v[8:9], v[8:9], v[10:11], v[14:15]
	v_div_fixup_f64 v[2:3], v[8:9], v[6:7], v[2:3]
	ds_write_b64 v4, v[2:3]
.LBB76_37:
	s_cmp_eq_u32 s10, 0
	s_cbranch_scc1 .LBB76_44
; %bb.38:
	s_lshl_b32 s10, s23, 6
	s_lshl_b32 s9, s8, 3
	s_add_i32 s11, s10, s9
	v_lshl_or_b32 v2, v0, 3, s10
	s_sub_i32 s9, s11, 64
	v_add_u32_e32 v6, 0x1c0, v2
	s_add_i32 s10, s11, 0xffffffb8
	s_branch .LBB76_40
.LBB76_39:                              ;   in Loop: Header=BB76_40 Depth=1
	s_add_i32 s12, s12, s13
	s_add_i32 s12, s12, -8
	v_mov_b32_e32 v4, s12
	ds_read_b64 v[4:5], v4
	s_add_i32 s8, s8, -2
	s_add_i32 s9, s9, -16
	;; [unrolled: 1-line block ×3, first 2 shown]
	s_cmp_eq_u32 s11, 0
	s_waitcnt lgkmcnt(0)
	v_div_scale_f64 v[8:9], s[12:13], v[4:5], v[4:5], v[2:3]
	v_rcp_f64_e32 v[10:11], v[8:9]
	v_div_scale_f64 v[12:13], vcc, v[2:3], v[4:5], v[2:3]
	v_fma_f64 v[14:15], -v[8:9], v[10:11], 1.0
	v_fmac_f64_e32 v[10:11], v[10:11], v[14:15]
	v_fma_f64 v[14:15], -v[8:9], v[10:11], 1.0
	v_fmac_f64_e32 v[10:11], v[10:11], v[14:15]
	v_mul_f64 v[14:15], v[12:13], v[10:11]
	v_fma_f64 v[8:9], -v[8:9], v[14:15], v[12:13]
	v_div_fmas_f64 v[8:9], v[8:9], v[10:11], v[14:15]
	v_div_fixup_f64 v[2:3], v[8:9], v[4:5], v[2:3]
	ds_write_b64 v7, v[2:3]
	s_cbranch_scc1 .LBB76_44
.LBB76_40:                              ; =>This Loop Header: Depth=1
                                        ;     Child Loop BB76_41 Depth 2
                                        ;     Child Loop BB76_43 Depth 2
	s_lshl_b32 s11, s8, 6
	v_add_u32_e32 v8, s11, v1
	ds_read_b64 v[4:5], v8
	s_cmp_le_i32 s7, s8
	v_mov_b32_e32 v2, v6
	s_mov_b32 s12, s9
	s_mov_b32 s13, s7
	s_cbranch_scc1 .LBB76_42
.LBB76_41:                              ;   Parent Loop BB76_40 Depth=1
                                        ; =>  This Inner Loop Header: Depth=2
	v_mov_b32_e32 v3, s12
	ds_read_b64 v[10:11], v2
	ds_read_b64 v[12:13], v3
	s_add_i32 s13, s13, -1
	s_sub_i32 s12, s12, 64
	v_subrev_u32_e32 v2, 64, v2
	s_cmp_le_u32 s13, s8
	s_waitcnt lgkmcnt(0)
	v_fma_f64 v[4:5], -v[10:11], v[12:13], v[4:5]
	s_cbranch_scc0 .LBB76_41
.LBB76_42:                              ;   in Loop: Header=BB76_40 Depth=1
	s_lshl_b32 s12, s8, 3
	s_add_i32 s11, s12, s11
	v_mov_b32_e32 v2, s11
	ds_read_b64 v[10:11], v2
	s_add_i32 s11, s8, -1
	s_lshl_b32 s13, s11, 6
	v_add_u32_e32 v7, s13, v1
	ds_read_b64 v[2:3], v7
	s_waitcnt lgkmcnt(1)
	v_div_scale_f64 v[12:13], s[14:15], v[10:11], v[10:11], v[4:5]
	v_rcp_f64_e32 v[14:15], v[12:13]
	v_div_scale_f64 v[16:17], vcc, v[4:5], v[10:11], v[4:5]
	s_cmp_le_i32 s23, s8
	v_fma_f64 v[18:19], -v[12:13], v[14:15], 1.0
	v_fmac_f64_e32 v[14:15], v[14:15], v[18:19]
	v_fma_f64 v[18:19], -v[12:13], v[14:15], 1.0
	v_fmac_f64_e32 v[14:15], v[14:15], v[18:19]
	v_mul_f64 v[18:19], v[16:17], v[14:15]
	v_fma_f64 v[12:13], -v[12:13], v[18:19], v[16:17]
	v_div_fmas_f64 v[12:13], v[12:13], v[14:15], v[18:19]
	v_div_fixup_f64 v[4:5], v[12:13], v[10:11], v[4:5]
	ds_write_b64 v8, v[4:5]
	v_mov_b32_e32 v4, v6
	s_mov_b32 s14, s10
	s_mov_b32 s15, s7
	s_cbranch_scc1 .LBB76_39
.LBB76_43:                              ;   Parent Loop BB76_40 Depth=1
                                        ; =>  This Inner Loop Header: Depth=2
	v_mov_b32_e32 v5, s14
	ds_read_b64 v[8:9], v4
	ds_read_b64 v[10:11], v5
	s_add_i32 s15, s15, -1
	s_sub_i32 s14, s14, 64
	v_subrev_u32_e32 v4, 64, v4
	s_cmp_gt_u32 s15, s11
	s_waitcnt lgkmcnt(0)
	v_fma_f64 v[2:3], -v[8:9], v[10:11], v[2:3]
	s_cbranch_scc1 .LBB76_43
	s_branch .LBB76_39
.LBB76_44:
	s_mov_b64 s[12:13], 0
.LBB76_45:
	s_andn2_b64 vcc, exec, s[12:13]
	s_cbranch_vccnz .LBB76_65
; %bb.46:
	s_andn2_b64 vcc, exec, s[4:5]
	s_mov_b32 s8, s7
	s_cbranch_vccnz .LBB76_52
; %bb.47:
	v_lshlrev_b32_e32 v2, 3, v0
	v_lshl_or_b32 v2, s23, 6, v2
	s_mul_i32 s4, s23, 0x48
	v_add_u32_e32 v10, 0x1c0, v2
	s_addk_i32 s4, 0xfef8
	s_mov_b32 s5, s7
.LBB76_48:                              ; =>This Loop Header: Depth=1
                                        ;     Child Loop BB76_49 Depth 2
	v_lshl_add_u32 v12, s5, 6, v1
	s_add_i32 s8, s5, -1
	s_add_i32 s9, s5, -2
	;; [unrolled: 1-line block ×3, first 2 shown]
	v_lshl_add_u32 v13, s8, 6, v1
	v_lshl_add_u32 v14, s9, 6, v1
	;; [unrolled: 1-line block ×3, first 2 shown]
	ds_read_b64 v[8:9], v12
	ds_read_b64 v[6:7], v13
	;; [unrolled: 1-line block ×4, first 2 shown]
	s_cmp_le_i32 s7, s5
	s_mov_b32 s11, s4
	v_mov_b32_e32 v15, v10
	s_mov_b32 s12, s7
	s_cbranch_scc1 .LBB76_50
.LBB76_49:                              ;   Parent Loop BB76_48 Depth=1
                                        ; =>  This Inner Loop Header: Depth=2
	v_mov_b32_e32 v20, s11
	ds_read_b64 v[24:25], v15
	ds_read2_b64 v[16:19], v20 offset0:16 offset1:24
	ds_read2_b64 v[20:23], v20 offset1:8
	s_add_i32 s12, s12, -1
	s_add_i32 s11, s11, -8
	v_subrev_u32_e32 v15, 64, v15
	s_cmp_le_i32 s12, s5
	s_waitcnt lgkmcnt(1)
	v_fma_f64 v[8:9], -v[24:25], v[18:19], v[8:9]
	v_fma_f64 v[6:7], -v[24:25], v[16:17], v[6:7]
	s_waitcnt lgkmcnt(0)
	v_fma_f64 v[4:5], -v[24:25], v[22:23], v[4:5]
	v_fma_f64 v[2:3], -v[24:25], v[20:21], v[2:3]
	s_cbranch_scc0 .LBB76_49
.LBB76_50:                              ;   in Loop: Header=BB76_48 Depth=1
	s_lshl_b32 s11, s8, 3
	s_lshl_b32 s8, s10, 3
	s_mul_i32 s10, s5, 0x48
	v_mov_b32_e32 v15, s10
	ds_read_b64 v[20:21], v15
	s_lshl_b32 s10, s11, 3
	s_add_i32 s10, s10, s11
	v_mov_b32_e32 v15, s10
	ds_read2_b64 v[16:19], v15 offset1:1
	s_waitcnt lgkmcnt(1)
	v_div_scale_f64 v[22:23], s[10:11], v[20:21], v[20:21], v[8:9]
	v_rcp_f64_e32 v[24:25], v[22:23]
	v_div_scale_f64 v[26:27], vcc, v[8:9], v[20:21], v[8:9]
	s_lshl_b32 s9, s9, 3
	v_fma_f64 v[28:29], -v[22:23], v[24:25], 1.0
	v_fmac_f64_e32 v[24:25], v[24:25], v[28:29]
	v_fma_f64 v[28:29], -v[22:23], v[24:25], 1.0
	v_fmac_f64_e32 v[24:25], v[24:25], v[28:29]
	v_mul_f64 v[28:29], v[26:27], v[24:25]
	v_fma_f64 v[22:23], -v[22:23], v[28:29], v[26:27]
	v_div_fmas_f64 v[22:23], v[22:23], v[24:25], v[28:29]
	v_div_fixup_f64 v[24:25], v[22:23], v[20:21], v[8:9]
	s_waitcnt lgkmcnt(0)
	v_fma_f64 v[18:19], -v[24:25], v[18:19], v[6:7]
	v_div_scale_f64 v[6:7], s[10:11], v[16:17], v[16:17], v[18:19]
	v_rcp_f64_e32 v[20:21], v[6:7]
	s_lshl_b32 s10, s9, 3
	s_lshl_b32 s12, s5, 3
	s_add_i32 s11, s10, s12
	v_fma_f64 v[8:9], -v[6:7], v[20:21], 1.0
	v_fmac_f64_e32 v[20:21], v[20:21], v[8:9]
	v_fma_f64 v[8:9], -v[6:7], v[20:21], 1.0
	v_fmac_f64_e32 v[20:21], v[20:21], v[8:9]
	v_div_scale_f64 v[8:9], vcc, v[18:19], v[16:17], v[18:19]
	v_mul_f64 v[22:23], v[8:9], v[20:21]
	s_add_i32 s9, s10, s9
	v_fma_f64 v[26:27], -v[6:7], v[22:23], v[8:9]
	v_mov_b32_e32 v6, s11
	v_mov_b32_e32 v7, s9
	ds_read_b64 v[28:29], v6
	ds_read2_b64 v[6:9], v7 offset1:1
	v_div_fmas_f64 v[20:21], v[26:27], v[20:21], v[22:23]
	v_div_fixup_f64 v[26:27], v[20:21], v[16:17], v[18:19]
	s_lshl_b32 s9, s8, 3
	s_waitcnt lgkmcnt(1)
	v_fma_f64 v[4:5], -v[24:25], v[28:29], v[4:5]
	s_waitcnt lgkmcnt(0)
	v_fma_f64 v[4:5], -v[26:27], v[8:9], v[4:5]
	v_div_scale_f64 v[8:9], s[10:11], v[6:7], v[6:7], v[4:5]
	v_rcp_f64_e32 v[28:29], v[8:9]
	s_add_i32 s10, s9, s12
	s_add_i32 s10, s10, -8
	s_add_i32 s8, s9, s8
	v_fma_f64 v[16:17], -v[8:9], v[28:29], 1.0
	v_fmac_f64_e32 v[28:29], v[28:29], v[16:17]
	v_fma_f64 v[16:17], -v[8:9], v[28:29], 1.0
	v_fmac_f64_e32 v[28:29], v[28:29], v[16:17]
	v_div_scale_f64 v[16:17], vcc, v[4:5], v[6:7], v[4:5]
	v_mul_f64 v[30:31], v[16:17], v[28:29]
	v_mov_b32_e32 v15, s10
	v_mov_b32_e32 v20, s8
	v_fma_f64 v[8:9], -v[8:9], v[30:31], v[16:17]
	ds_read2_b64 v[16:19], v15 offset1:1
	ds_read2_b64 v[20:23], v20 offset1:1
	v_div_fmas_f64 v[8:9], v[8:9], v[28:29], v[30:31]
	v_div_fixup_f64 v[4:5], v[8:9], v[6:7], v[4:5]
	ds_write_b64 v12, v[24:25]
	ds_write_b64 v13, v[26:27]
	;; [unrolled: 1-line block ×3, first 2 shown]
	s_waitcnt lgkmcnt(4)
	v_fma_f64 v[2:3], -v[24:25], v[18:19], v[2:3]
	v_fma_f64 v[2:3], -v[26:27], v[16:17], v[2:3]
	s_waitcnt lgkmcnt(3)
	v_fma_f64 v[2:3], -v[4:5], v[22:23], v[2:3]
	v_div_scale_f64 v[6:7], s[8:9], v[20:21], v[20:21], v[2:3]
	v_rcp_f64_e32 v[8:9], v[6:7]
	s_add_i32 s8, s5, -4
	s_addk_i32 s4, 0xff00
	s_cmp_lt_i32 s5, 7
	v_fma_f64 v[4:5], -v[6:7], v[8:9], 1.0
	v_fmac_f64_e32 v[8:9], v[8:9], v[4:5]
	v_fma_f64 v[4:5], -v[6:7], v[8:9], 1.0
	v_fmac_f64_e32 v[8:9], v[8:9], v[4:5]
	v_div_scale_f64 v[4:5], vcc, v[2:3], v[20:21], v[2:3]
	v_mul_f64 v[12:13], v[4:5], v[8:9]
	v_fma_f64 v[4:5], -v[6:7], v[12:13], v[4:5]
	s_nop 1
	v_div_fmas_f64 v[4:5], v[4:5], v[8:9], v[12:13]
	v_div_fixup_f64 v[2:3], v[4:5], v[20:21], v[2:3]
	ds_write_b64 v11, v[2:3]
	s_cbranch_scc1 .LBB76_52
; %bb.51:                               ;   in Loop: Header=BB76_48 Depth=1
	s_mov_b32 s5, s8
	s_branch .LBB76_48
.LBB76_52:
	s_cmp_lt_i32 s8, 0
	s_cbranch_scc1 .LBB76_65
; %bb.53:
	s_bitcmp1_b32 s8, 0
	s_cselect_b64 s[4:5], -1, 0
	s_and_b64 vcc, exec, s[4:5]
	s_mov_b32 s4, s8
	s_cbranch_vccnz .LBB76_58
; %bb.54:
	v_lshl_add_u32 v4, s8, 6, v1
	ds_read_b64 v[2:3], v4
	s_cmp_le_i32 s7, s8
	s_cbranch_scc1 .LBB76_57
; %bb.55:
	s_lshl_b32 s4, s8, 6
	s_lshl_b32 s5, s23, 3
	v_lshlrev_b32_e32 v5, 3, v0
	s_add_i32 s4, s4, s5
	v_lshl_or_b32 v5, s23, 6, v5
	s_add_i32 s4, s4, -8
	v_add_u32_e32 v5, 0x1c0, v5
	s_mov_b32 s5, s7
.LBB76_56:                              ; =>This Inner Loop Header: Depth=1
	v_mov_b32_e32 v8, s4
	ds_read_b64 v[6:7], v5
	ds_read_b64 v[8:9], v8
	s_add_i32 s5, s5, -1
	s_add_i32 s4, s4, -8
	v_subrev_u32_e32 v5, 64, v5
	s_cmp_gt_u32 s5, s8
	s_waitcnt lgkmcnt(0)
	v_fma_f64 v[2:3], -v[6:7], v[8:9], v[2:3]
	s_cbranch_scc1 .LBB76_56
.LBB76_57:
	s_mul_i32 s4, s8, 0x48
	v_mov_b32_e32 v5, s4
	ds_read_b64 v[6:7], v5
	s_waitcnt lgkmcnt(0)
	v_div_scale_f64 v[8:9], s[4:5], v[6:7], v[6:7], v[2:3]
	v_rcp_f64_e32 v[10:11], v[8:9]
	v_div_scale_f64 v[12:13], vcc, v[2:3], v[6:7], v[2:3]
	s_add_i32 s4, s8, -1
	v_fma_f64 v[14:15], -v[8:9], v[10:11], 1.0
	v_fmac_f64_e32 v[10:11], v[10:11], v[14:15]
	v_fma_f64 v[14:15], -v[8:9], v[10:11], 1.0
	v_fmac_f64_e32 v[10:11], v[10:11], v[14:15]
	v_mul_f64 v[14:15], v[12:13], v[10:11]
	v_fma_f64 v[8:9], -v[8:9], v[14:15], v[12:13]
	v_div_fmas_f64 v[8:9], v[8:9], v[10:11], v[14:15]
	v_div_fixup_f64 v[2:3], v[8:9], v[6:7], v[2:3]
	ds_write_b64 v4, v[2:3]
.LBB76_58:
	s_cmp_eq_u32 s8, 0
	s_cbranch_scc1 .LBB76_65
; %bb.59:
	v_lshlrev_b32_e32 v2, 3, v0
	s_lshl_b32 s5, s4, 6
	s_lshl_b32 s8, s23, 3
	v_lshl_or_b32 v2, s23, 6, v2
	s_add_i32 s8, s5, s8
	v_add_u32_e32 v6, 0x1c0, v2
	s_add_i32 s5, s8, -8
	s_addk_i32 s8, 0xffb8
	s_branch .LBB76_61
.LBB76_60:                              ;   in Loop: Header=BB76_61 Depth=1
	s_addk_i32 s10, 0xffb8
	v_mov_b32_e32 v4, s10
	ds_read_b64 v[4:5], v4
	s_add_i32 s4, s4, -2
	s_addk_i32 s5, 0xff80
	s_addk_i32 s8, 0xff80
	s_cmp_eq_u32 s9, 0
	s_waitcnt lgkmcnt(0)
	v_div_scale_f64 v[8:9], s[10:11], v[4:5], v[4:5], v[2:3]
	v_rcp_f64_e32 v[10:11], v[8:9]
	v_div_scale_f64 v[12:13], vcc, v[2:3], v[4:5], v[2:3]
	v_fma_f64 v[14:15], -v[8:9], v[10:11], 1.0
	v_fmac_f64_e32 v[10:11], v[10:11], v[14:15]
	v_fma_f64 v[14:15], -v[8:9], v[10:11], 1.0
	v_fmac_f64_e32 v[10:11], v[10:11], v[14:15]
	v_mul_f64 v[14:15], v[12:13], v[10:11]
	v_fma_f64 v[8:9], -v[8:9], v[14:15], v[12:13]
	v_div_fmas_f64 v[8:9], v[8:9], v[10:11], v[14:15]
	v_div_fixup_f64 v[2:3], v[8:9], v[4:5], v[2:3]
	ds_write_b64 v7, v[2:3]
	s_cbranch_scc1 .LBB76_65
.LBB76_61:                              ; =>This Loop Header: Depth=1
                                        ;     Child Loop BB76_62 Depth 2
                                        ;     Child Loop BB76_64 Depth 2
	v_lshl_add_u32 v8, s4, 6, v1
	ds_read_b64 v[4:5], v8
	s_cmp_le_i32 s7, s4
	s_mov_b32 s9, s5
	v_mov_b32_e32 v2, v6
	s_mov_b32 s10, s7
	s_cbranch_scc1 .LBB76_63
.LBB76_62:                              ;   Parent Loop BB76_61 Depth=1
                                        ; =>  This Inner Loop Header: Depth=2
	v_mov_b32_e32 v3, s9
	ds_read_b64 v[10:11], v2
	ds_read_b64 v[12:13], v3
	s_add_i32 s10, s10, -1
	s_add_i32 s9, s9, -8
	v_subrev_u32_e32 v2, 64, v2
	s_cmp_le_u32 s10, s4
	s_waitcnt lgkmcnt(0)
	v_fma_f64 v[4:5], -v[10:11], v[12:13], v[4:5]
	s_cbranch_scc0 .LBB76_62
.LBB76_63:                              ;   in Loop: Header=BB76_61 Depth=1
	s_mul_i32 s10, s4, 0x48
	v_mov_b32_e32 v2, s10
	ds_read_b64 v[10:11], v2
	s_add_i32 s9, s4, -1
	v_lshl_add_u32 v7, s9, 6, v1
	ds_read_b64 v[2:3], v7
	s_cmp_le_i32 s23, s4
	s_waitcnt lgkmcnt(1)
	v_div_scale_f64 v[12:13], s[12:13], v[10:11], v[10:11], v[4:5]
	v_rcp_f64_e32 v[14:15], v[12:13]
	v_div_scale_f64 v[16:17], vcc, v[4:5], v[10:11], v[4:5]
	s_mov_b32 s11, s8
	v_fma_f64 v[18:19], -v[12:13], v[14:15], 1.0
	v_fmac_f64_e32 v[14:15], v[14:15], v[18:19]
	v_fma_f64 v[18:19], -v[12:13], v[14:15], 1.0
	v_fmac_f64_e32 v[14:15], v[14:15], v[18:19]
	v_mul_f64 v[18:19], v[16:17], v[14:15]
	v_fma_f64 v[12:13], -v[12:13], v[18:19], v[16:17]
	v_div_fmas_f64 v[12:13], v[12:13], v[14:15], v[18:19]
	v_div_fixup_f64 v[4:5], v[12:13], v[10:11], v[4:5]
	ds_write_b64 v8, v[4:5]
	v_mov_b32_e32 v4, v6
	s_mov_b32 s12, s7
	s_cbranch_scc1 .LBB76_60
.LBB76_64:                              ;   Parent Loop BB76_61 Depth=1
                                        ; =>  This Inner Loop Header: Depth=2
	v_mov_b32_e32 v5, s11
	ds_read_b64 v[8:9], v4
	ds_read_b64 v[10:11], v5
	s_add_i32 s12, s12, -1
	s_add_i32 s11, s11, -8
	v_subrev_u32_e32 v4, 64, v4
	s_cmp_gt_u32 s12, s9
	s_waitcnt lgkmcnt(0)
	v_fma_f64 v[2:3], -v[8:9], v[10:11], v[2:3]
	s_cbranch_scc1 .LBB76_64
	s_branch .LBB76_60
.LBB76_65:
	s_mov_b64 s[12:13], 0
.LBB76_66:
	s_andn2_b64 vcc, exec, s[12:13]
	s_cbranch_vccnz .LBB76_78
; %bb.67:
	v_mov_b32_e32 v1, 0x200
	v_lshl_or_b32 v1, v0, 3, v1
	s_cmp_lt_i32 s22, 4
	s_mov_b32 s7, 0
	s_cbranch_scc1 .LBB76_73
; %bb.68:
	s_mov_b32 s4, 0
	s_mov_b32 s5, 0
.LBB76_69:                              ; =>This Loop Header: Depth=1
                                        ;     Child Loop BB76_70 Depth 2
	s_or_b32 s7, s5, 3
	v_lshl_add_u32 v11, s5, 6, v1
	s_or_b32 s8, s5, 1
	s_or_b32 s9, s5, 2
	v_lshl_add_u32 v12, s8, 6, v1
	v_lshl_add_u32 v13, s9, 6, v1
	;; [unrolled: 1-line block ×3, first 2 shown]
	ds_read_b64 v[8:9], v11
	ds_read_b64 v[6:7], v12
	;; [unrolled: 1-line block ×4, first 2 shown]
	s_cmp_eq_u32 s5, 0
	s_mov_b32 s10, s4
	v_mov_b32_e32 v14, v1
	s_mov_b32 s11, s5
	s_cbranch_scc1 .LBB76_71
.LBB76_70:                              ;   Parent Loop BB76_69 Depth=1
                                        ; =>  This Inner Loop Header: Depth=2
	v_mov_b32_e32 v15, s10
	ds_read_b64 v[24:25], v14
	ds_read2_b64 v[16:19], v15 offset1:8
	ds_read2_b64 v[20:23], v15 offset0:16 offset1:24
	s_add_i32 s11, s11, -1
	s_add_i32 s10, s10, 8
	v_add_u32_e32 v14, 64, v14
	s_cmp_eq_u32 s11, 0
	s_waitcnt lgkmcnt(1)
	v_fma_f64 v[8:9], -v[24:25], v[16:17], v[8:9]
	v_fma_f64 v[6:7], -v[24:25], v[18:19], v[6:7]
	s_waitcnt lgkmcnt(0)
	v_fma_f64 v[4:5], -v[24:25], v[20:21], v[4:5]
	v_fma_f64 v[2:3], -v[24:25], v[22:23], v[2:3]
	s_cbranch_scc0 .LBB76_70
.LBB76_71:                              ;   in Loop: Header=BB76_69 Depth=1
	s_lshl_b32 s10, s8, 3
	s_lshl_b32 s8, s9, 3
	s_mul_i32 s9, s5, 0x48
	v_mov_b32_e32 v14, s9
	ds_read_b64 v[18:19], v14
	s_lshl_b32 s9, s10, 3
	s_lshl_b32 s12, s5, 3
	s_add_i32 s9, s9, s12
	v_mov_b32_e32 v14, s9
	s_waitcnt lgkmcnt(0)
	v_div_scale_f64 v[20:21], s[10:11], v[18:19], v[18:19], v[8:9]
	v_rcp_f64_e32 v[22:23], v[20:21]
	ds_read_b128 v[14:17], v14
	s_lshl_b32 s9, s8, 3
	s_add_i32 s8, s9, s8
	v_fma_f64 v[24:25], -v[20:21], v[22:23], 1.0
	v_fmac_f64_e32 v[22:23], v[22:23], v[24:25]
	v_fma_f64 v[24:25], -v[20:21], v[22:23], 1.0
	v_fmac_f64_e32 v[22:23], v[22:23], v[24:25]
	v_div_scale_f64 v[24:25], vcc, v[8:9], v[18:19], v[8:9]
	v_mul_f64 v[26:27], v[24:25], v[22:23]
	v_fma_f64 v[20:21], -v[20:21], v[26:27], v[24:25]
	s_lshl_b32 s7, s7, 3
	s_nop 0
	v_div_fmas_f64 v[20:21], v[20:21], v[22:23], v[26:27]
	v_div_fixup_f64 v[18:19], v[20:21], v[18:19], v[8:9]
	s_waitcnt lgkmcnt(0)
	v_fma_f64 v[14:15], -v[18:19], v[14:15], v[6:7]
	v_div_scale_f64 v[6:7], s[10:11], v[16:17], v[16:17], v[14:15]
	v_rcp_f64_e32 v[8:9], v[6:7]
	s_add_i32 s10, s9, s12
	s_lshl_b32 s7, s7, 3
	s_add_i32 s7, s7, s12
	v_fma_f64 v[20:21], -v[6:7], v[8:9], 1.0
	v_fmac_f64_e32 v[8:9], v[8:9], v[20:21]
	v_fma_f64 v[20:21], -v[6:7], v[8:9], 1.0
	v_fmac_f64_e32 v[8:9], v[8:9], v[20:21]
	v_div_scale_f64 v[20:21], vcc, v[14:15], v[16:17], v[14:15]
	v_mul_f64 v[22:23], v[20:21], v[8:9]
	v_fma_f64 v[6:7], -v[6:7], v[22:23], v[20:21]
	s_addk_i32 s4, 0x100
	s_nop 0
	v_div_fmas_f64 v[20:21], v[6:7], v[8:9], v[22:23]
	v_mov_b32_e32 v6, s10
	ds_read_b128 v[6:9], v6
	v_mov_b32_e32 v22, s8
	ds_read_b64 v[22:23], v22
	v_div_fixup_f64 v[20:21], v[20:21], v[16:17], v[14:15]
	v_mov_b32_e32 v14, s7
	s_waitcnt lgkmcnt(1)
	v_fma_f64 v[4:5], -v[18:19], v[6:7], v[4:5]
	v_fma_f64 v[8:9], -v[20:21], v[8:9], v[4:5]
	s_waitcnt lgkmcnt(0)
	v_div_scale_f64 v[4:5], s[8:9], v[22:23], v[22:23], v[8:9]
	v_rcp_f64_e32 v[24:25], v[4:5]
	s_add_i32 s7, s5, 4
	s_add_i32 s5, s5, 7
	s_cmp_ge_i32 s5, s23
	v_fma_f64 v[6:7], -v[4:5], v[24:25], 1.0
	v_fmac_f64_e32 v[24:25], v[24:25], v[6:7]
	v_fma_f64 v[6:7], -v[4:5], v[24:25], 1.0
	v_fmac_f64_e32 v[24:25], v[24:25], v[6:7]
	v_div_scale_f64 v[6:7], vcc, v[8:9], v[22:23], v[8:9]
	v_mul_f64 v[26:27], v[6:7], v[24:25]
	v_fma_f64 v[28:29], -v[4:5], v[26:27], v[6:7]
	ds_read_b128 v[4:7], v14
	ds_read_b128 v[14:17], v14 offset:16
	v_div_fmas_f64 v[24:25], v[28:29], v[24:25], v[26:27]
	v_div_fixup_f64 v[8:9], v[24:25], v[22:23], v[8:9]
	ds_write_b64 v11, v[18:19]
	ds_write_b64 v12, v[20:21]
	;; [unrolled: 1-line block ×3, first 2 shown]
	s_waitcnt lgkmcnt(4)
	v_fma_f64 v[2:3], -v[18:19], v[4:5], v[2:3]
	v_fma_f64 v[2:3], -v[20:21], v[6:7], v[2:3]
	s_waitcnt lgkmcnt(3)
	v_fma_f64 v[2:3], -v[8:9], v[14:15], v[2:3]
	v_div_scale_f64 v[4:5], s[8:9], v[16:17], v[16:17], v[2:3]
	v_rcp_f64_e32 v[6:7], v[4:5]
	s_nop 0
	v_fma_f64 v[8:9], -v[4:5], v[6:7], 1.0
	v_fmac_f64_e32 v[6:7], v[6:7], v[8:9]
	v_fma_f64 v[8:9], -v[4:5], v[6:7], 1.0
	v_fmac_f64_e32 v[6:7], v[6:7], v[8:9]
	v_div_scale_f64 v[8:9], vcc, v[2:3], v[16:17], v[2:3]
	v_mul_f64 v[12:13], v[8:9], v[6:7]
	v_fma_f64 v[4:5], -v[4:5], v[12:13], v[8:9]
	s_nop 1
	v_div_fmas_f64 v[4:5], v[4:5], v[6:7], v[12:13]
	v_div_fixup_f64 v[2:3], v[4:5], v[16:17], v[2:3]
	ds_write_b64 v10, v[2:3]
	s_cbranch_scc1 .LBB76_73
; %bb.72:                               ;   in Loop: Header=BB76_69 Depth=1
	s_mov_b32 s5, s7
	s_branch .LBB76_69
.LBB76_73:
	s_cmp_ge_i32 s7, s23
	s_cbranch_scc1 .LBB76_78
; %bb.74:
	v_mov_b32_e32 v2, 0x200
	v_lshl_or_b32 v4, v0, 3, v2
	s_lshl_b32 s4, s7, 6
	s_branch .LBB76_76
.LBB76_75:                              ;   in Loop: Header=BB76_76 Depth=1
	s_mul_i32 s5, s7, 0x48
	v_mov_b32_e32 v6, s5
	ds_read_b64 v[6:7], v6
	s_add_i32 s7, s7, 1
	s_add_i32 s4, s4, 64
	s_cmp_ge_i32 s7, s23
	s_waitcnt lgkmcnt(0)
	v_div_scale_f64 v[8:9], s[8:9], v[6:7], v[6:7], v[2:3]
	v_rcp_f64_e32 v[10:11], v[8:9]
	v_div_scale_f64 v[12:13], vcc, v[2:3], v[6:7], v[2:3]
	v_fma_f64 v[14:15], -v[8:9], v[10:11], 1.0
	v_fmac_f64_e32 v[10:11], v[10:11], v[14:15]
	v_fma_f64 v[14:15], -v[8:9], v[10:11], 1.0
	v_fmac_f64_e32 v[10:11], v[10:11], v[14:15]
	v_mul_f64 v[14:15], v[12:13], v[10:11]
	v_fma_f64 v[8:9], -v[8:9], v[14:15], v[12:13]
	v_div_fmas_f64 v[8:9], v[8:9], v[10:11], v[14:15]
	v_div_fixup_f64 v[2:3], v[8:9], v[6:7], v[2:3]
	ds_write_b64 v5, v[2:3]
	s_cbranch_scc1 .LBB76_78
.LBB76_76:                              ; =>This Loop Header: Depth=1
                                        ;     Child Loop BB76_77 Depth 2
	v_lshl_add_u32 v5, s7, 6, v1
	ds_read_b64 v[2:3], v5
	s_cmp_eq_u32 s7, 0
	s_mov_b32 s5, s4
	v_mov_b32_e32 v6, v4
	s_mov_b32 s8, s7
	s_cbranch_scc1 .LBB76_75
.LBB76_77:                              ;   Parent Loop BB76_76 Depth=1
                                        ; =>  This Inner Loop Header: Depth=2
	v_mov_b32_e32 v7, s5
	ds_read_b64 v[8:9], v6
	ds_read_b64 v[10:11], v7
	s_add_i32 s8, s8, -1
	s_add_i32 s5, s5, 8
	v_add_u32_e32 v6, 64, v6
	s_cmp_eq_u32 s8, 0
	s_waitcnt lgkmcnt(0)
	v_fma_f64 v[2:3], -v[8:9], v[10:11], v[2:3]
	s_cbranch_scc0 .LBB76_77
	s_branch .LBB76_75
.LBB76_78:
	s_and_saveexec_b64 s[4:5], s[0:1]
	s_cbranch_execz .LBB76_82
; %bb.79:
	s_cmp_lt_i32 s22, 1
	s_cbranch_scc1 .LBB76_82
; %bb.80:
	s_ashr_i32 s7, s6, 31
	v_lshlrev_b32_e32 v2, 3, v0
	v_mov_b32_e32 v3, 0
	v_lshl_add_u64 v[0:1], s[2:3], 0, v[2:3]
	s_lshl_b64 s[0:1], s[6:7], 3
	v_or_b32_e32 v2, 0x200, v2
.LBB76_81:                              ; =>This Inner Loop Header: Depth=1
	ds_read_b64 v[4:5], v2
	s_add_i32 s22, s22, -1
	v_add_u32_e32 v2, 64, v2
	s_cmp_lg_u32 s22, 0
	s_waitcnt lgkmcnt(0)
	flat_store_dwordx2 v[0:1], v[4:5]
	v_lshl_add_u64 v[0:1], v[0:1], 0, s[0:1]
	s_cbranch_scc1 .LBB76_81
.LBB76_82:
	s_endpgm
	.section	.rodata,"a",@progbits
	.p2align	6, 0x0
	.amdhsa_kernel _ZL31rocblas_trsm_small_right_deviceIddPKPKdPKPdLi8EEv13rocblas_fill_18rocblas_operation_17rocblas_diagonal_iiT0_T1_lilT2_lili
		.amdhsa_group_segment_fixed_size 1024
		.amdhsa_private_segment_fixed_size 0
		.amdhsa_kernarg_size 360
		.amdhsa_user_sgpr_count 2
		.amdhsa_user_sgpr_dispatch_ptr 0
		.amdhsa_user_sgpr_queue_ptr 0
		.amdhsa_user_sgpr_kernarg_segment_ptr 1
		.amdhsa_user_sgpr_dispatch_id 0
		.amdhsa_user_sgpr_kernarg_preload_length 0
		.amdhsa_user_sgpr_kernarg_preload_offset 0
		.amdhsa_user_sgpr_private_segment_size 0
		.amdhsa_uses_dynamic_stack 0
		.amdhsa_enable_private_segment 0
		.amdhsa_system_sgpr_workgroup_id_x 1
		.amdhsa_system_sgpr_workgroup_id_y 0
		.amdhsa_system_sgpr_workgroup_id_z 1
		.amdhsa_system_sgpr_workgroup_info 0
		.amdhsa_system_vgpr_workitem_id 0
		.amdhsa_next_free_vgpr 36
		.amdhsa_next_free_sgpr 26
		.amdhsa_accum_offset 36
		.amdhsa_reserve_vcc 1
		.amdhsa_float_round_mode_32 0
		.amdhsa_float_round_mode_16_64 0
		.amdhsa_float_denorm_mode_32 3
		.amdhsa_float_denorm_mode_16_64 3
		.amdhsa_dx10_clamp 1
		.amdhsa_ieee_mode 1
		.amdhsa_fp16_overflow 0
		.amdhsa_tg_split 0
		.amdhsa_exception_fp_ieee_invalid_op 0
		.amdhsa_exception_fp_denorm_src 0
		.amdhsa_exception_fp_ieee_div_zero 0
		.amdhsa_exception_fp_ieee_overflow 0
		.amdhsa_exception_fp_ieee_underflow 0
		.amdhsa_exception_fp_ieee_inexact 0
		.amdhsa_exception_int_div_zero 0
	.end_amdhsa_kernel
	.section	.text._ZL31rocblas_trsm_small_right_deviceIddPKPKdPKPdLi8EEv13rocblas_fill_18rocblas_operation_17rocblas_diagonal_iiT0_T1_lilT2_lili,"axG",@progbits,_ZL31rocblas_trsm_small_right_deviceIddPKPKdPKPdLi8EEv13rocblas_fill_18rocblas_operation_17rocblas_diagonal_iiT0_T1_lilT2_lili,comdat
.Lfunc_end76:
	.size	_ZL31rocblas_trsm_small_right_deviceIddPKPKdPKPdLi8EEv13rocblas_fill_18rocblas_operation_17rocblas_diagonal_iiT0_T1_lilT2_lili, .Lfunc_end76-_ZL31rocblas_trsm_small_right_deviceIddPKPKdPKPdLi8EEv13rocblas_fill_18rocblas_operation_17rocblas_diagonal_iiT0_T1_lilT2_lili
                                        ; -- End function
	.set _ZL31rocblas_trsm_small_right_deviceIddPKPKdPKPdLi8EEv13rocblas_fill_18rocblas_operation_17rocblas_diagonal_iiT0_T1_lilT2_lili.num_vgpr, 36
	.set _ZL31rocblas_trsm_small_right_deviceIddPKPKdPKPdLi8EEv13rocblas_fill_18rocblas_operation_17rocblas_diagonal_iiT0_T1_lilT2_lili.num_agpr, 0
	.set _ZL31rocblas_trsm_small_right_deviceIddPKPKdPKPdLi8EEv13rocblas_fill_18rocblas_operation_17rocblas_diagonal_iiT0_T1_lilT2_lili.numbered_sgpr, 26
	.set _ZL31rocblas_trsm_small_right_deviceIddPKPKdPKPdLi8EEv13rocblas_fill_18rocblas_operation_17rocblas_diagonal_iiT0_T1_lilT2_lili.num_named_barrier, 0
	.set _ZL31rocblas_trsm_small_right_deviceIddPKPKdPKPdLi8EEv13rocblas_fill_18rocblas_operation_17rocblas_diagonal_iiT0_T1_lilT2_lili.private_seg_size, 0
	.set _ZL31rocblas_trsm_small_right_deviceIddPKPKdPKPdLi8EEv13rocblas_fill_18rocblas_operation_17rocblas_diagonal_iiT0_T1_lilT2_lili.uses_vcc, 1
	.set _ZL31rocblas_trsm_small_right_deviceIddPKPKdPKPdLi8EEv13rocblas_fill_18rocblas_operation_17rocblas_diagonal_iiT0_T1_lilT2_lili.uses_flat_scratch, 0
	.set _ZL31rocblas_trsm_small_right_deviceIddPKPKdPKPdLi8EEv13rocblas_fill_18rocblas_operation_17rocblas_diagonal_iiT0_T1_lilT2_lili.has_dyn_sized_stack, 0
	.set _ZL31rocblas_trsm_small_right_deviceIddPKPKdPKPdLi8EEv13rocblas_fill_18rocblas_operation_17rocblas_diagonal_iiT0_T1_lilT2_lili.has_recursion, 0
	.set _ZL31rocblas_trsm_small_right_deviceIddPKPKdPKPdLi8EEv13rocblas_fill_18rocblas_operation_17rocblas_diagonal_iiT0_T1_lilT2_lili.has_indirect_call, 0
	.section	.AMDGPU.csdata,"",@progbits
; Kernel info:
; codeLenInByte = 5780
; TotalNumSgprs: 32
; NumVgprs: 36
; NumAgprs: 0
; TotalNumVgprs: 36
; ScratchSize: 0
; MemoryBound: 0
; FloatMode: 240
; IeeeMode: 1
; LDSByteSize: 1024 bytes/workgroup (compile time only)
; SGPRBlocks: 3
; VGPRBlocks: 4
; NumSGPRsForWavesPerEU: 32
; NumVGPRsForWavesPerEU: 36
; AccumOffset: 36
; Occupancy: 8
; WaveLimiterHint : 0
; COMPUTE_PGM_RSRC2:SCRATCH_EN: 0
; COMPUTE_PGM_RSRC2:USER_SGPR: 2
; COMPUTE_PGM_RSRC2:TRAP_HANDLER: 0
; COMPUTE_PGM_RSRC2:TGID_X_EN: 1
; COMPUTE_PGM_RSRC2:TGID_Y_EN: 0
; COMPUTE_PGM_RSRC2:TGID_Z_EN: 1
; COMPUTE_PGM_RSRC2:TIDIG_COMP_CNT: 0
; COMPUTE_PGM_RSRC3_GFX90A:ACCUM_OFFSET: 8
; COMPUTE_PGM_RSRC3_GFX90A:TG_SPLIT: 0
	.section	.text._ZL38rocblas_trsm_small_left_device_sharedBILi12ELi12ELb0EddPKPKdPKPdEv13rocblas_fill_18rocblas_operation_17rocblas_diagonal_iiT3_T4_lilT5_lili,"axG",@progbits,_ZL38rocblas_trsm_small_left_device_sharedBILi12ELi12ELb0EddPKPKdPKPdEv13rocblas_fill_18rocblas_operation_17rocblas_diagonal_iiT3_T4_lilT5_lili,comdat
	.globl	_ZL38rocblas_trsm_small_left_device_sharedBILi12ELi12ELb0EddPKPKdPKPdEv13rocblas_fill_18rocblas_operation_17rocblas_diagonal_iiT3_T4_lilT5_lili ; -- Begin function _ZL38rocblas_trsm_small_left_device_sharedBILi12ELi12ELb0EddPKPKdPKPdEv13rocblas_fill_18rocblas_operation_17rocblas_diagonal_iiT3_T4_lilT5_lili
	.p2align	8
	.type	_ZL38rocblas_trsm_small_left_device_sharedBILi12ELi12ELb0EddPKPKdPKPdEv13rocblas_fill_18rocblas_operation_17rocblas_diagonal_iiT3_T4_lilT5_lili,@function
_ZL38rocblas_trsm_small_left_device_sharedBILi12ELi12ELb0EddPKPKdPKPdEv13rocblas_fill_18rocblas_operation_17rocblas_diagonal_iiT3_T4_lilT5_lili: ; @_ZL38rocblas_trsm_small_left_device_sharedBILi12ELi12ELb0EddPKPKdPKPdEv13rocblas_fill_18rocblas_operation_17rocblas_diagonal_iiT3_T4_lilT5_lili
; %bb.0:
	s_load_dwordx2 s[18:19], s[0:1], 0x28
	s_load_dwordx4 s[12:15], s[0:1], 0x40
	s_load_dwordx4 s[4:7], s[0:1], 0x4
	;; [unrolled: 1-line block ×3, first 2 shown]
	s_mov_b32 s16, s3
	s_mov_b32 s17, 0
	s_lshl_b64 s[20:21], s[16:17], 3
	s_waitcnt lgkmcnt(0)
	s_add_u32 s12, s12, s20
	s_addc_u32 s13, s13, s21
	s_load_dwordx2 s[12:13], s[12:13], 0x0
	s_min_i32 s22, s6, 12
	v_cmp_gt_i32_e32 vcc, s22, v0
	s_and_saveexec_b64 s[16:17], vcc
	s_cbranch_execz .LBB77_6
; %bb.1:
	s_load_dword s24, s[0:1], 0x30
	v_lshlrev_b32_e32 v2, 3, v0
	v_mov_b32_e32 v3, 0
	v_mov_b32_e32 v1, v2
	s_mov_b32 s3, s22
	s_waitcnt lgkmcnt(0)
	s_ashr_i32 s25, s24, 31
	s_add_u32 s10, s10, s20
	s_addc_u32 s11, s11, s21
	s_load_dwordx2 s[10:11], s[10:11], 0x0
	s_lshl_b64 s[18:19], s[18:19], 3
	s_waitcnt lgkmcnt(0)
	s_add_u32 s18, s10, s18
	s_addc_u32 s19, s11, s19
	s_lshl_b64 s[10:11], s[24:25], 3
	v_lshl_add_u64 v[4:5], s[18:19], 0, v[2:3]
.LBB77_2:                               ; =>This Inner Loop Header: Depth=1
	flat_load_dwordx2 v[6:7], v[4:5]
	s_add_i32 s3, s3, -1
	v_lshl_add_u64 v[4:5], v[4:5], 0, s[10:11]
	s_cmp_eq_u32 s3, 0
	s_waitcnt vmcnt(0) lgkmcnt(0)
	ds_write_b64 v1, v[6:7]
	v_add_u32_e32 v1, 0x60, v1
	s_cbranch_scc0 .LBB77_2
; %bb.3:
	v_mul_u32_u24_e32 v1, 0x60, v0
	s_cmpk_lg_i32 s5, 0x84
	v_mov_b64_e32 v[4:5], 1.0
	v_add_u32_e32 v1, v2, v1
	s_cbranch_scc0 .LBB77_5
; %bb.4:
	ds_read_b64 v[2:3], v1
	s_waitcnt lgkmcnt(0)
	v_div_scale_f64 v[4:5], s[10:11], v[2:3], v[2:3], 1.0
	v_rcp_f64_e32 v[6:7], v[4:5]
	v_div_scale_f64 v[8:9], vcc, 1.0, v[2:3], 1.0
	v_fma_f64 v[10:11], -v[4:5], v[6:7], 1.0
	v_fmac_f64_e32 v[6:7], v[6:7], v[10:11]
	v_fma_f64 v[10:11], -v[4:5], v[6:7], 1.0
	v_fmac_f64_e32 v[6:7], v[6:7], v[10:11]
	v_mul_f64 v[10:11], v[8:9], v[6:7]
	v_fma_f64 v[4:5], -v[4:5], v[10:11], v[8:9]
	v_div_fmas_f64 v[4:5], v[4:5], v[6:7], v[10:11]
	v_div_fixup_f64 v[4:5], v[4:5], v[2:3], 1.0
.LBB77_5:
	ds_write_b64 v1, v[4:5]
.LBB77_6:
	s_or_b64 exec, exec, s[16:17]
	s_load_dword s3, s[0:1], 0x68
	s_load_dword s16, s[0:1], 0x50
	s_lshl_b64 s[0:1], s[14:15], 3
	s_waitcnt lgkmcnt(0)
	s_add_u32 s5, s12, s0
	s_mul_i32 s0, s2, -12
	s_addc_u32 s10, s13, s1
	s_add_i32 s3, s3, -1
	s_add_i32 s0, s7, s0
	s_cmp_ge_u32 s2, s3
	s_mul_i32 s2, s2, 12
	s_cselect_b32 s7, s0, 12
	s_mul_hi_i32 s1, s16, s2
	s_mul_i32 s0, s16, s2
	s_lshl_b64 s[0:1], s[0:1], 3
	s_add_u32 s2, s5, s0
	s_addc_u32 s3, s10, s1
	s_cmp_gt_i32 s6, 0
	v_cmp_gt_i32_e64 s[0:1], s7, v0
	s_cselect_b64 s[10:11], -1, 0
	s_and_b64 s[14:15], s[0:1], s[10:11]
	s_and_saveexec_b64 s[12:13], s[14:15]
	s_cbranch_execz .LBB77_9
; %bb.7:
	v_mad_i64_i32 v[2:3], s[14:15], s16, v0, 0
	v_mov_b32_e32 v1, 0x480
	v_lshl_add_u64 v[2:3], v[2:3], 3, s[2:3]
	v_lshl_or_b32 v1, v0, 3, v1
	s_mov_b32 s5, s22
.LBB77_8:                               ; =>This Inner Loop Header: Depth=1
	flat_load_dwordx2 v[4:5], v[2:3]
	s_add_i32 s5, s5, -1
	v_lshl_add_u64 v[2:3], v[2:3], 0, 8
	s_cmp_lg_u32 s5, 0
	s_waitcnt vmcnt(0) lgkmcnt(0)
	v_mul_f64 v[4:5], s[8:9], v[4:5]
	ds_write_b64 v1, v[4:5]
	v_add_u32_e32 v1, 0x60, v1
	s_cbranch_scc1 .LBB77_8
.LBB77_9:
	s_or_b64 exec, exec, s[12:13]
	v_mov_b32_e32 v1, 0x480
	s_cmpk_eq_i32 s4, 0x6f
	v_lshl_or_b32 v1, v0, 3, v1
	s_mov_b64 s[4:5], -1
	s_waitcnt lgkmcnt(0)
	; wave barrier
	s_cbranch_scc1 .LBB77_24
; %bb.10:
	s_cmp_gt_i32 s6, 11
	s_cselect_b64 s[4:5], -1, 0
	s_and_b64 vcc, exec, s[4:5]
	s_cbranch_vccz .LBB77_12
; %bb.11:
	ds_read2_b64 v[6:9], v1 offset1:12
	ds_read2_b64 v[10:13], v1 offset0:24 offset1:36
	ds_read2_b64 v[14:17], v1 offset0:48 offset1:60
	v_mov_b32_e32 v46, 0
	ds_read2_b64 v[18:21], v46 offset1:26
	ds_read2_b64 v[22:25], v1 offset0:72 offset1:84
	ds_read_b128 v[26:29], v46 offset:96
	ds_read2_b64 v[30:33], v1 offset0:96 offset1:108
	ds_read2_b64 v[2:5], v1 offset0:120 offset1:132
	ds_read_b128 v[34:37], v46 offset:192
	s_waitcnt lgkmcnt(5)
	v_mul_f64 v[6:7], v[6:7], v[18:19]
	s_waitcnt lgkmcnt(3)
	v_fma_f64 v[8:9], -v[6:7], v[26:27], v[8:9]
	v_mul_f64 v[38:39], v[8:9], v[28:29]
	ds_read_b128 v[26:29], v46 offset:288
	s_waitcnt lgkmcnt(1)
	v_fma_f64 v[18:19], -v[6:7], v[34:35], v[10:11]
	ds_read_b128 v[8:11], v46 offset:304
	v_fma_f64 v[18:19], -v[38:39], v[36:37], v[18:19]
	v_mul_f64 v[34:35], v[18:19], v[20:21]
	s_waitcnt lgkmcnt(1)
	v_fma_f64 v[12:13], -v[6:7], v[26:27], v[12:13]
	v_fma_f64 v[12:13], -v[38:39], v[28:29], v[12:13]
	ds_read_b128 v[18:21], v46 offset:384
	s_waitcnt lgkmcnt(1)
	v_fma_f64 v[8:9], -v[34:35], v[8:9], v[12:13]
	v_mul_f64 v[36:37], v[8:9], v[10:11]
	ds_read_b128 v[8:11], v46 offset:400
	ds_read2_b64 v[26:29], v46 offset0:52 offset1:78
	s_waitcnt lgkmcnt(2)
	v_fma_f64 v[12:13], -v[6:7], v[18:19], v[14:15]
	v_fma_f64 v[12:13], -v[38:39], v[20:21], v[12:13]
	ds_write2_b64 v1, v[6:7], v[38:39] offset1:12
	s_waitcnt lgkmcnt(2)
	v_fma_f64 v[8:9], -v[34:35], v[8:9], v[12:13]
	ds_read_b128 v[12:15], v46 offset:480
	v_fma_f64 v[18:19], -v[36:37], v[10:11], v[8:9]
	ds_read_b128 v[8:11], v46 offset:496
	s_waitcnt lgkmcnt(3)
	v_mul_f64 v[40:41], v[18:19], v[26:27]
	ds_read_b128 v[18:21], v46 offset:512
	s_waitcnt lgkmcnt(2)
	v_fma_f64 v[12:13], -v[6:7], v[12:13], v[16:17]
	v_fma_f64 v[12:13], -v[38:39], v[14:15], v[12:13]
	s_waitcnt lgkmcnt(1)
	v_fma_f64 v[8:9], -v[34:35], v[8:9], v[12:13]
	v_fma_f64 v[12:13], -v[36:37], v[10:11], v[8:9]
	ds_read_b128 v[8:11], v46 offset:576
	s_waitcnt lgkmcnt(1)
	v_fma_f64 v[12:13], -v[40:41], v[18:19], v[12:13]
	v_mul_f64 v[42:43], v[12:13], v[20:21]
	ds_read_b128 v[12:15], v46 offset:592
	ds_read_b128 v[16:19], v46 offset:608
	s_waitcnt lgkmcnt(2)
	v_fma_f64 v[8:9], -v[6:7], v[8:9], v[22:23]
	v_fma_f64 v[8:9], -v[38:39], v[10:11], v[8:9]
	ds_write2_b64 v1, v[34:35], v[36:37] offset0:24 offset1:36
	s_waitcnt lgkmcnt(2)
	v_fma_f64 v[8:9], -v[34:35], v[12:13], v[8:9]
	v_fma_f64 v[8:9], -v[36:37], v[14:15], v[8:9]
	s_waitcnt lgkmcnt(1)
	v_fma_f64 v[8:9], -v[40:41], v[16:17], v[8:9]
	v_fma_f64 v[12:13], -v[42:43], v[18:19], v[8:9]
	ds_read_b128 v[8:11], v46 offset:672
	ds_write2_b64 v1, v[40:41], v[42:43] offset0:48 offset1:60
	v_mul_f64 v[28:29], v[12:13], v[28:29]
	ds_read_b128 v[12:15], v46 offset:688
	ds_read_b128 v[16:19], v46 offset:704
	;; [unrolled: 1-line block ×3, first 2 shown]
	s_mov_b32 s7, 12
	s_waitcnt lgkmcnt(4)
	v_fma_f64 v[8:9], -v[6:7], v[8:9], v[24:25]
	v_fma_f64 v[8:9], -v[38:39], v[10:11], v[8:9]
	s_waitcnt lgkmcnt(2)
	v_fma_f64 v[8:9], -v[34:35], v[12:13], v[8:9]
	v_fma_f64 v[8:9], -v[36:37], v[14:15], v[8:9]
	;; [unrolled: 3-line block ×3, first 2 shown]
	s_waitcnt lgkmcnt(0)
	v_fma_f64 v[8:9], -v[28:29], v[20:21], v[8:9]
	v_mul_f64 v[44:45], v[8:9], v[22:23]
	ds_read_b128 v[8:11], v46 offset:768
	ds_write2_b64 v1, v[28:29], v[44:45] offset0:72 offset1:84
	ds_read_b128 v[12:15], v46 offset:784
	ds_read_b128 v[16:19], v46 offset:800
	;; [unrolled: 1-line block ×3, first 2 shown]
	s_waitcnt lgkmcnt(4)
	v_fma_f64 v[8:9], -v[6:7], v[8:9], v[30:31]
	v_fma_f64 v[8:9], -v[38:39], v[10:11], v[8:9]
	s_waitcnt lgkmcnt(2)
	v_fma_f64 v[8:9], -v[34:35], v[12:13], v[8:9]
	v_fma_f64 v[8:9], -v[36:37], v[14:15], v[8:9]
	;; [unrolled: 3-line block ×3, first 2 shown]
	ds_read2_b64 v[8:11], v46 offset0:104 offset1:130
	s_waitcnt lgkmcnt(1)
	v_fma_f64 v[12:13], -v[28:29], v[20:21], v[12:13]
	v_fma_f64 v[16:17], -v[44:45], v[22:23], v[12:13]
	ds_read_b128 v[12:15], v46 offset:864
	s_waitcnt lgkmcnt(1)
	v_mul_f64 v[30:31], v[16:17], v[8:9]
	ds_read_b128 v[16:19], v46 offset:880
	ds_read_b128 v[20:23], v46 offset:896
	;; [unrolled: 1-line block ×3, first 2 shown]
	s_waitcnt lgkmcnt(3)
	v_fma_f64 v[8:9], -v[6:7], v[12:13], v[32:33]
	v_fma_f64 v[8:9], -v[38:39], v[14:15], v[8:9]
	s_waitcnt lgkmcnt(2)
	v_fma_f64 v[8:9], -v[34:35], v[16:17], v[8:9]
	v_fma_f64 v[8:9], -v[36:37], v[18:19], v[8:9]
	ds_read_b128 v[12:15], v46 offset:928
	ds_read_b128 v[16:19], v46 offset:960
	s_waitcnt lgkmcnt(3)
	v_fma_f64 v[8:9], -v[40:41], v[20:21], v[8:9]
	v_fma_f64 v[8:9], -v[42:43], v[22:23], v[8:9]
	s_waitcnt lgkmcnt(2)
	v_fma_f64 v[8:9], -v[28:29], v[24:25], v[8:9]
	v_fma_f64 v[8:9], -v[44:45], v[26:27], v[8:9]
	s_waitcnt lgkmcnt(1)
	v_fma_f64 v[8:9], -v[30:31], v[12:13], v[8:9]
	v_mul_f64 v[32:33], v[8:9], v[14:15]
	ds_write2_b64 v1, v[30:31], v[32:33] offset0:96 offset1:108
	ds_read_b128 v[12:15], v46 offset:976
	ds_read_b128 v[20:23], v46 offset:992
	;; [unrolled: 1-line block ×3, first 2 shown]
	s_waitcnt lgkmcnt(4)
	v_fma_f64 v[2:3], -v[6:7], v[16:17], v[2:3]
	v_fma_f64 v[2:3], -v[38:39], v[18:19], v[2:3]
	s_waitcnt lgkmcnt(2)
	v_fma_f64 v[2:3], -v[34:35], v[12:13], v[2:3]
	v_fma_f64 v[2:3], -v[36:37], v[14:15], v[2:3]
	ds_read_b128 v[12:15], v46 offset:1024
	s_waitcnt lgkmcnt(2)
	v_fma_f64 v[2:3], -v[40:41], v[20:21], v[2:3]
	v_fma_f64 v[2:3], -v[42:43], v[22:23], v[2:3]
	s_waitcnt lgkmcnt(1)
	v_fma_f64 v[2:3], -v[28:29], v[24:25], v[2:3]
	v_fma_f64 v[2:3], -v[44:45], v[26:27], v[2:3]
	;; [unrolled: 3-line block ×3, first 2 shown]
	ds_read_b128 v[12:15], v46 offset:1056
	v_mul_f64 v[24:25], v[2:3], v[10:11]
	ds_read_b128 v[8:11], v46 offset:1072
	ds_read_b128 v[16:19], v46 offset:1088
	;; [unrolled: 1-line block ×3, first 2 shown]
	s_waitcnt lgkmcnt(3)
	v_fma_f64 v[2:3], -v[6:7], v[12:13], v[4:5]
	v_fma_f64 v[2:3], -v[38:39], v[14:15], v[2:3]
	s_waitcnt lgkmcnt(2)
	v_fma_f64 v[2:3], -v[34:35], v[8:9], v[2:3]
	v_fma_f64 v[2:3], -v[36:37], v[10:11], v[2:3]
	s_waitcnt lgkmcnt(1)
	v_fma_f64 v[6:7], -v[40:41], v[16:17], v[2:3]
	ds_read_b128 v[2:5], v46 offset:1120
	v_fma_f64 v[10:11], -v[42:43], v[18:19], v[6:7]
	ds_read_b128 v[6:9], v46 offset:1136
	s_waitcnt lgkmcnt(2)
	v_fma_f64 v[10:11], -v[28:29], v[20:21], v[10:11]
	v_fma_f64 v[10:11], -v[44:45], v[22:23], v[10:11]
	s_waitcnt lgkmcnt(1)
	v_fma_f64 v[2:3], -v[30:31], v[2:3], v[10:11]
	v_fma_f64 v[2:3], -v[32:33], v[4:5], v[2:3]
	s_waitcnt lgkmcnt(0)
	v_fma_f64 v[2:3], -v[24:25], v[6:7], v[2:3]
	v_mul_f64 v[2:3], v[2:3], v[8:9]
	ds_write2_b64 v1, v[24:25], v[2:3] offset0:120 offset1:132
	s_cmp_lt_i32 s7, s22
	s_cbranch_scc1 .LBB77_13
	s_branch .LBB77_23
.LBB77_12:
	s_mov_b32 s7, 0
	s_cmp_lt_i32 s7, s22
	s_cbranch_scc0 .LBB77_23
.LBB77_13:
	s_add_i32 s8, s7, 7
	s_cmp_ge_u32 s8, s22
	s_cbranch_scc1 .LBB77_18
; %bb.14:
	s_mul_i32 s8, s7, 0x60
	v_add_u32_e32 v18, s8, v1
	ds_read2_b64 v[14:17], v18 offset1:12
	ds_read2_b64 v[10:13], v18 offset0:24 offset1:36
	ds_read2_b64 v[6:9], v18 offset0:48 offset1:60
	;; [unrolled: 1-line block ×3, first 2 shown]
	s_andn2_b64 vcc, exec, s[4:5]
	s_cbranch_vccnz .LBB77_17
; %bb.15:
	v_mov_b32_e32 v19, 0x480
	v_lshl_or_b32 v19, v0, 3, v19
	s_mov_b32 s4, s7
	s_mov_b32 s5, s8
.LBB77_16:                              ; =>This Inner Loop Header: Depth=1
	ds_read2_b64 v[20:23], v19 offset1:12
	v_mov_b32_e32 v62, s5
	ds_read_b128 v[24:27], v62
	ds_read_b128 v[28:31], v62 offset:16
	ds_read_b128 v[32:35], v62 offset:96
	;; [unrolled: 1-line block ×8, first 2 shown]
	s_add_i32 s5, s5, 32
	s_add_i32 s4, s4, -4
	s_waitcnt lgkmcnt(8)
	v_fma_f64 v[14:15], -v[20:21], v[24:25], v[14:15]
	s_waitcnt lgkmcnt(1)
	v_fma_f64 v[2:3], -v[20:21], v[52:53], v[2:3]
	v_fma_f64 v[16:17], -v[20:21], v[32:33], v[16:17]
	;; [unrolled: 1-line block ×7, first 2 shown]
	s_waitcnt lgkmcnt(0)
	v_fma_f64 v[2:3], -v[20:21], v[56:57], v[4:5]
	v_fma_f64 v[14:15], -v[22:23], v[26:27], v[14:15]
	ds_read_b128 v[24:27], v62 offset:112
	v_fma_f64 v[16:17], -v[22:23], v[34:35], v[16:17]
	ds_read_b128 v[32:35], v62 offset:208
	;; [unrolled: 2-line block ×6, first 2 shown]
	ds_read_b128 v[52:55], v62 offset:688
	v_fma_f64 v[20:21], -v[22:23], v[58:59], v[2:3]
	ds_read2_b64 v[2:5], v19 offset0:24 offset1:36
	v_add_u32_e32 v19, 0x180, v19
	s_cmp_lg_u32 s4, 0
	s_waitcnt lgkmcnt(0)
	v_fma_f64 v[14:15], -v[2:3], v[28:29], v[14:15]
	v_fma_f64 v[16:17], -v[2:3], v[24:25], v[16:17]
	v_fma_f64 v[10:11], -v[2:3], v[32:33], v[10:11]
	v_fma_f64 v[12:13], -v[2:3], v[36:37], v[12:13]
	v_fma_f64 v[6:7], -v[2:3], v[40:41], v[6:7]
	v_fma_f64 v[8:9], -v[2:3], v[44:45], v[8:9]
	v_fma_f64 v[22:23], -v[2:3], v[48:49], v[60:61]
	v_fma_f64 v[20:21], -v[2:3], v[52:53], v[20:21]
	v_fma_f64 v[14:15], -v[4:5], v[30:31], v[14:15]
	v_fma_f64 v[16:17], -v[4:5], v[26:27], v[16:17]
	v_fma_f64 v[10:11], -v[4:5], v[34:35], v[10:11]
	v_fma_f64 v[12:13], -v[4:5], v[38:39], v[12:13]
	v_fma_f64 v[6:7], -v[4:5], v[42:43], v[6:7]
	v_fma_f64 v[8:9], -v[4:5], v[46:47], v[8:9]
	v_fma_f64 v[2:3], -v[4:5], v[50:51], v[22:23]
	v_fma_f64 v[4:5], -v[4:5], v[54:55], v[20:21]
	s_cbranch_scc1 .LBB77_16
.LBB77_17:
	s_lshl_b32 s4, s7, 3
	s_add_i32 s5, s4, s8
	v_mov_b32_e32 v34, s5
	ds_read2_b64 v[20:23], v34 offset1:26
	s_add_i32 s5, s8, 0x60
	s_add_i32 s9, s4, s5
	v_mov_b32_e32 v19, s9
	ds_read_b128 v[24:27], v19
	s_add_i32 s9, s8, 0xc0
	s_add_i32 s12, s4, s9
	s_waitcnt lgkmcnt(1)
	v_mul_f64 v[28:29], v[14:15], v[20:21]
	v_mov_b32_e32 v14, s12
	ds_write_b64 v18, v[28:29]
	ds_read_b128 v[18:21], v14
	s_waitcnt lgkmcnt(2)
	v_fma_f64 v[14:15], -v[28:29], v[24:25], v[16:17]
	v_mul_f64 v[26:27], v[14:15], v[26:27]
	v_add_u32_e32 v14, s5, v1
	s_add_i32 s5, s8, 0x120
	s_add_i32 s12, s4, s5
	s_waitcnt lgkmcnt(0)
	v_fma_f64 v[10:11], -v[28:29], v[18:19], v[10:11]
	v_mov_b32_e32 v18, s12
	ds_write_b64 v14, v[26:27]
	ds_read_b128 v[14:17], v18
	v_fma_f64 v[10:11], -v[26:27], v[20:21], v[10:11]
	ds_read_b128 v[18:21], v18 offset:16
	v_mul_f64 v[30:31], v[10:11], v[22:23]
	v_add_u32_e32 v10, s9, v1
	ds_write_b64 v10, v[30:31]
	s_waitcnt lgkmcnt(2)
	v_fma_f64 v[10:11], -v[28:29], v[14:15], v[12:13]
	s_add_i32 s9, s8, 0x180
	v_fma_f64 v[10:11], -v[26:27], v[16:17], v[10:11]
	s_add_i32 s12, s4, s9
	s_waitcnt lgkmcnt(1)
	v_fma_f64 v[10:11], -v[30:31], v[18:19], v[10:11]
	v_mov_b32_e32 v14, s12
	v_mul_f64 v[32:33], v[10:11], v[20:21]
	ds_read_b128 v[10:13], v14
	ds_read_b128 v[14:17], v14 offset:16
	v_add_u32_e32 v18, s5, v1
	ds_write_b64 v18, v[32:33]
	ds_read2_b64 v[18:21], v34 offset0:52 offset1:78
	s_waitcnt lgkmcnt(3)
	v_fma_f64 v[6:7], -v[28:29], v[10:11], v[6:7]
	v_fma_f64 v[6:7], -v[26:27], v[12:13], v[6:7]
	s_waitcnt lgkmcnt(2)
	v_fma_f64 v[6:7], -v[30:31], v[14:15], v[6:7]
	s_add_i32 s5, s8, 0x1e0
	v_fma_f64 v[6:7], -v[32:33], v[16:17], v[6:7]
	s_add_i32 s12, s4, s5
	s_waitcnt lgkmcnt(0)
	v_mul_f64 v[34:35], v[6:7], v[18:19]
	v_mov_b32_e32 v6, s12
	ds_read_b128 v[10:13], v6
	ds_read_b128 v[14:17], v6 offset:16
	v_add_u32_e32 v7, s9, v1
	ds_read_b128 v[22:25], v6 offset:32
	ds_write_b64 v7, v[34:35]
	s_waitcnt lgkmcnt(3)
	v_fma_f64 v[6:7], -v[28:29], v[10:11], v[8:9]
	s_add_i32 s9, s8, 0x240
	v_fma_f64 v[6:7], -v[26:27], v[12:13], v[6:7]
	s_add_i32 s12, s4, s9
	s_waitcnt lgkmcnt(2)
	v_fma_f64 v[6:7], -v[30:31], v[14:15], v[6:7]
	v_mov_b32_e32 v14, s12
	v_fma_f64 v[10:11], -v[32:33], v[16:17], v[6:7]
	ds_read_b128 v[6:9], v14
	s_waitcnt lgkmcnt(2)
	v_fma_f64 v[10:11], -v[34:35], v[22:23], v[10:11]
	v_mul_f64 v[22:23], v[10:11], v[24:25]
	ds_read_b128 v[10:13], v14 offset:16
	v_add_u32_e32 v15, s5, v1
	ds_write_b64 v15, v[22:23]
	ds_read_b128 v[14:17], v14 offset:32
	s_waitcnt lgkmcnt(3)
	v_fma_f64 v[2:3], -v[28:29], v[6:7], v[2:3]
	v_fma_f64 v[2:3], -v[26:27], v[8:9], v[2:3]
	s_addk_i32 s8, 0x2a0
	s_waitcnt lgkmcnt(2)
	v_fma_f64 v[2:3], -v[30:31], v[10:11], v[2:3]
	s_add_i32 s4, s4, s8
	v_fma_f64 v[2:3], -v[32:33], v[12:13], v[2:3]
	v_mov_b32_e32 v18, s4
	ds_read_b128 v[6:9], v18
	s_waitcnt lgkmcnt(1)
	v_fma_f64 v[2:3], -v[34:35], v[14:15], v[2:3]
	v_fma_f64 v[2:3], -v[22:23], v[16:17], v[2:3]
	v_mul_f64 v[2:3], v[2:3], v[20:21]
	v_add_u32_e32 v10, s9, v1
	ds_write_b64 v10, v[2:3]
	ds_read_b128 v[10:13], v18 offset:16
	ds_read_b128 v[14:17], v18 offset:32
	;; [unrolled: 1-line block ×3, first 2 shown]
	s_waitcnt lgkmcnt(4)
	v_fma_f64 v[4:5], -v[28:29], v[6:7], v[4:5]
	v_fma_f64 v[4:5], -v[26:27], v[8:9], v[4:5]
	s_waitcnt lgkmcnt(2)
	v_fma_f64 v[4:5], -v[30:31], v[10:11], v[4:5]
	v_fma_f64 v[4:5], -v[32:33], v[12:13], v[4:5]
	;; [unrolled: 3-line block ×3, first 2 shown]
	s_waitcnt lgkmcnt(0)
	v_fma_f64 v[2:3], -v[2:3], v[18:19], v[4:5]
	v_mul_f64 v[2:3], v[2:3], v[20:21]
	v_add_u32_e32 v4, s8, v1
	s_add_i32 s7, s7, 8
	ds_write_b64 v4, v[2:3]
.LBB77_18:
	s_cmp_ge_i32 s7, s22
	s_cbranch_scc1 .LBB77_23
; %bb.19:
	v_mov_b32_e32 v2, 0x480
	s_mul_i32 s4, s7, 0x60
	v_lshl_or_b32 v4, v0, 3, v2
	s_branch .LBB77_21
.LBB77_20:                              ;   in Loop: Header=BB77_21 Depth=1
	s_mul_i32 s5, s7, 0x68
	v_mov_b32_e32 v6, s5
	ds_read_b64 v[6:7], v6
	s_add_i32 s7, s7, 1
	s_addk_i32 s4, 0x60
	s_cmp_ge_i32 s7, s22
	s_waitcnt lgkmcnt(0)
	v_mul_f64 v[2:3], v[2:3], v[6:7]
	ds_write_b64 v5, v[2:3]
	s_cbranch_scc1 .LBB77_23
.LBB77_21:                              ; =>This Loop Header: Depth=1
                                        ;     Child Loop BB77_22 Depth 2
	s_mul_i32 s5, s7, 0x60
	v_add_u32_e32 v5, s5, v1
	ds_read_b64 v[2:3], v5
	s_cmp_eq_u32 s7, 0
	v_mov_b32_e32 v6, v4
	s_mov_b32 s5, s7
	s_mov_b32 s8, s4
	s_cbranch_scc1 .LBB77_20
.LBB77_22:                              ;   Parent Loop BB77_21 Depth=1
                                        ; =>  This Inner Loop Header: Depth=2
	v_mov_b32_e32 v7, s8
	ds_read_b64 v[8:9], v6
	ds_read_b64 v[10:11], v7
	s_add_i32 s8, s8, 8
	s_add_i32 s5, s5, -1
	v_add_u32_e32 v6, 0x60, v6
	s_cmp_lg_u32 s5, 0
	s_waitcnt lgkmcnt(0)
	v_fma_f64 v[2:3], -v[8:9], v[10:11], v[2:3]
	s_cbranch_scc1 .LBB77_22
	s_branch .LBB77_20
.LBB77_23:
	s_mov_b64 s[4:5], 0
.LBB77_24:
	s_and_b64 vcc, exec, s[4:5]
	s_cbranch_vccz .LBB77_50
; %bb.25:
	s_add_i32 s4, s22, -1
	s_cmp_gt_i32 s6, 11
	s_mov_b32 s5, -1
	s_cbranch_scc0 .LBB77_27
; %bb.26:
	ds_read2_b64 v[10:13], v1 offset0:120 offset1:132
	ds_read2_b64 v[14:17], v1 offset0:96 offset1:108
	;; [unrolled: 1-line block ×4, first 2 shown]
	v_mov_b32_e32 v62, 0
	ds_read_b128 v[26:29], v62 offset:1136
	ds_read2_b64 v[6:9], v1 offset0:24 offset1:36
	ds_read2_b64 v[30:33], v62 offset0:104 offset1:130
	ds_read2_b64 v[2:5], v1 offset1:12
	ds_read_b128 v[34:37], v62 offset:1120
	s_waitcnt lgkmcnt(4)
	v_mul_f64 v[12:13], v[12:13], v[28:29]
	v_fma_f64 v[10:11], -v[12:13], v[26:27], v[10:11]
	ds_read_b128 v[26:29], v62 offset:1024
	ds_read_b128 v[42:45], v62 offset:1008
	;; [unrolled: 1-line block ×4, first 2 shown]
	s_waitcnt lgkmcnt(6)
	v_mul_f64 v[10:11], v[10:11], v[32:33]
	s_waitcnt lgkmcnt(4)
	v_fma_f64 v[16:17], -v[12:13], v[36:37], v[16:17]
	s_waitcnt lgkmcnt(3)
	v_fma_f64 v[16:17], -v[10:11], v[28:29], v[16:17]
	v_fma_f64 v[14:15], -v[12:13], v[34:35], v[14:15]
	s_waitcnt lgkmcnt(1)
	v_mul_f64 v[54:55], v[16:17], v[40:41]
	v_fma_f64 v[26:27], -v[10:11], v[26:27], v[14:15]
	ds_read_b128 v[14:17], v62 offset:1104
	ds_write2_b64 v1, v[10:11], v[12:13] offset0:120 offset1:132
	v_fma_f64 v[26:27], -v[54:55], v[38:39], v[26:27]
	v_mul_f64 v[56:57], v[26:27], v[30:31]
	ds_read_b128 v[26:29], v62 offset:912
	ds_read_b128 v[30:33], v62 offset:1088
	;; [unrolled: 1-line block ×4, first 2 shown]
	s_waitcnt lgkmcnt(5)
	v_fma_f64 v[16:17], -v[12:13], v[16:17], v[20:21]
	v_fma_f64 v[16:17], -v[10:11], v[44:45], v[16:17]
	s_waitcnt lgkmcnt(3)
	v_fma_f64 v[16:17], -v[54:55], v[28:29], v[16:17]
	ds_read_b128 v[50:53], v62 offset:800
	s_waitcnt lgkmcnt(2)
	v_fma_f64 v[36:37], -v[56:57], v[36:37], v[16:17]
	v_fma_f64 v[18:19], -v[12:13], v[14:15], v[18:19]
	ds_read_b128 v[14:17], v62 offset:720
	v_fma_f64 v[18:19], -v[10:11], v[42:43], v[18:19]
	v_fma_f64 v[42:43], -v[54:55], v[26:27], v[18:19]
	ds_read2_b64 v[18:21], v62 offset0:52 offset1:78
	ds_read_b128 v[26:29], v62 offset:704
	s_waitcnt lgkmcnt(2)
	v_mul_f64 v[44:45], v[36:37], v[16:17]
	v_fma_f64 v[16:17], -v[56:57], v[34:35], v[42:43]
	ds_read_b128 v[34:37], v62 offset:992
	v_fma_f64 v[14:15], -v[44:45], v[14:15], v[16:17]
	s_waitcnt lgkmcnt(2)
	v_mul_f64 v[42:43], v[14:15], v[20:21]
	v_fma_f64 v[20:21], -v[12:13], v[32:33], v[24:25]
	ds_read_b128 v[14:17], v62 offset:976
	s_waitcnt lgkmcnt(1)
	v_fma_f64 v[20:21], -v[10:11], v[36:37], v[20:21]
	v_fma_f64 v[20:21], -v[54:55], v[40:41], v[20:21]
	;; [unrolled: 1-line block ×5, first 2 shown]
	ds_read_b128 v[20:23], v62 offset:608
	v_fma_f64 v[32:33], -v[10:11], v[34:35], v[28:29]
	ds_read_b128 v[28:31], v62 offset:512
	v_fma_f64 v[36:37], -v[54:55], v[38:39], v[32:33]
	ds_read_b128 v[32:35], v62 offset:592
	s_waitcnt lgkmcnt(2)
	v_fma_f64 v[38:39], -v[42:43], v[22:23], v[24:25]
	v_fma_f64 v[36:37], -v[56:57], v[50:51], v[36:37]
	ds_read_b128 v[22:25], v62 offset:576
	s_waitcnt lgkmcnt(2)
	v_mul_f64 v[50:51], v[38:39], v[30:31]
	v_fma_f64 v[26:27], -v[44:45], v[26:27], v[36:37]
	ds_read_b128 v[36:39], v62 offset:1072
	v_fma_f64 v[20:21], -v[42:43], v[20:21], v[26:27]
	v_fma_f64 v[20:21], -v[50:51], v[28:29], v[20:21]
	ds_read_b128 v[26:29], v62 offset:880
	v_mul_f64 v[52:53], v[20:21], v[18:19]
	ds_read_b128 v[18:21], v62 offset:1056
	s_waitcnt lgkmcnt(2)
	v_fma_f64 v[8:9], -v[12:13], v[38:39], v[8:9]
	ds_read_b128 v[38:41], v62 offset:784
	v_fma_f64 v[16:17], -v[10:11], v[16:17], v[8:9]
	v_fma_f64 v[30:31], -v[12:13], v[36:37], v[6:7]
	ds_read_b128 v[6:9], v62 offset:864
	s_waitcnt lgkmcnt(3)
	v_fma_f64 v[16:17], -v[54:55], v[28:29], v[16:17]
	s_waitcnt lgkmcnt(2)
	v_fma_f64 v[58:59], -v[12:13], v[20:21], v[4:5]
	v_fma_f64 v[60:61], -v[12:13], v[18:19], v[2:3]
	ds_read_b128 v[2:5], v62 offset:768
	s_waitcnt lgkmcnt(2)
	v_fma_f64 v[20:21], -v[56:57], v[40:41], v[16:17]
	ds_read_b128 v[16:19], v62 offset:688
	v_fma_f64 v[28:29], -v[10:11], v[14:15], v[30:31]
	ds_read_b128 v[12:15], v62 offset:496
	;; [unrolled: 2-line block ×3, first 2 shown]
	s_waitcnt lgkmcnt(2)
	v_fma_f64 v[18:19], -v[44:45], v[18:19], v[20:21]
	v_fma_f64 v[34:35], -v[42:43], v[34:35], v[18:19]
	;; [unrolled: 1-line block ×3, first 2 shown]
	ds_read_b128 v[18:21], v62 offset:480
	s_waitcnt lgkmcnt(2)
	v_fma_f64 v[38:39], -v[50:51], v[14:15], v[34:35]
	v_fma_f64 v[30:31], -v[44:45], v[16:17], v[30:31]
	ds_read_b128 v[14:17], v62 offset:400
	v_fma_f64 v[34:35], -v[42:43], v[32:33], v[30:31]
	ds_read_b128 v[30:33], v62 offset:304
	;; [unrolled: 2-line block ×3, first 2 shown]
	s_waitcnt lgkmcnt(2)
	v_fma_f64 v[16:17], -v[52:53], v[16:17], v[38:39]
	v_fma_f64 v[38:39], -v[52:53], v[14:15], v[12:13]
	ds_read_b128 v[12:15], v62 offset:288
	s_waitcnt lgkmcnt(2)
	v_mul_f64 v[16:17], v[16:17], v[32:33]
	v_fma_f64 v[38:39], -v[16:17], v[30:31], v[38:39]
	ds_read2_b64 v[30:33], v62 offset1:26
	ds_write2_b64 v1, v[56:57], v[54:55] offset0:96 offset1:108
	ds_write2_b64 v1, v[42:43], v[44:45] offset0:72 offset1:84
	;; [unrolled: 1-line block ×3, first 2 shown]
	s_waitcnt lgkmcnt(3)
	v_mul_f64 v[32:33], v[38:39], v[32:33]
	v_fma_f64 v[38:39], -v[10:11], v[48:49], v[58:59]
	v_fma_f64 v[8:9], -v[54:55], v[8:9], v[38:39]
	;; [unrolled: 1-line block ×7, first 2 shown]
	ds_write2_b64 v1, v[32:33], v[16:17] offset0:24 offset1:36
	v_fma_f64 v[2:3], -v[56:57], v[2:3], v[28:29]
	ds_read_b128 v[4:7], v62 offset:192
	ds_read_b128 v[8:11], v62 offset:96
	v_fma_f64 v[2:3], -v[44:45], v[26:27], v[2:3]
	v_fma_f64 v[20:21], -v[50:51], v[20:21], v[24:25]
	;; [unrolled: 1-line block ×7, first 2 shown]
	s_waitcnt lgkmcnt(1)
	v_fma_f64 v[6:7], -v[32:33], v[6:7], v[14:15]
	v_fma_f64 v[2:3], -v[16:17], v[12:13], v[2:3]
	s_waitcnt lgkmcnt(0)
	v_mul_f64 v[6:7], v[6:7], v[10:11]
	v_fma_f64 v[2:3], -v[32:33], v[4:5], v[2:3]
	v_fma_f64 v[2:3], -v[6:7], v[8:9], v[2:3]
	v_mul_f64 v[2:3], v[2:3], v[30:31]
	ds_write2_b64 v1, v[2:3], v[6:7] offset1:12
	s_cmp_gt_i32 s5, -1
	s_cbranch_scc1 .LBB77_28
	s_branch .LBB77_50
.LBB77_27:
	s_mov_b32 s5, s4
	s_cmp_gt_i32 s5, -1
	s_cbranch_scc0 .LBB77_50
.LBB77_28:
	s_cmp_lt_u32 s5, 7
	s_cbranch_scc1 .LBB77_33
; %bb.29:
	s_mul_i32 s6, s5, 0x60
	v_add_u32_e32 v18, s6, v1
	v_add_u32_e32 v2, 0xffffffa0, v18
	;; [unrolled: 1-line block ×4, first 2 shown]
	ds_read_b64 v[16:17], v18
	ds_read_b64 v[14:15], v2
	;; [unrolled: 1-line block ×4, first 2 shown]
	v_add_u32_e32 v2, 0xfffffe80, v18
	v_add_u32_e32 v3, 0xfffffe20, v18
	;; [unrolled: 1-line block ×4, first 2 shown]
	ds_read_b64 v[8:9], v2
	ds_read_b64 v[6:7], v3
	;; [unrolled: 1-line block ×4, first 2 shown]
	s_cmp_le_i32 s4, s5
	s_cbranch_scc1 .LBB77_32
; %bb.30:
	s_mul_i32 s7, s22, 0x60
	s_lshl_b32 s8, s5, 3
	v_lshl_add_u32 v19, v0, 3, s7
	s_add_i32 s7, s7, s8
	v_add_u32_e32 v19, 0x420, v19
	s_addk_i32 s7, 0xff68
	s_mov_b32 s8, s4
.LBB77_31:                              ; =>This Inner Loop Header: Depth=1
	v_mov_b32_e32 v32, s7
	ds_read_b64 v[36:37], v19
	ds_read2_b64 v[20:23], v32 offset0:6 offset1:7
	ds_read2_b64 v[24:27], v32 offset0:4 offset1:5
	;; [unrolled: 1-line block ×3, first 2 shown]
	ds_read2_b64 v[32:35], v32 offset1:1
	s_add_i32 s8, s8, -1
	s_addk_i32 s7, 0xffa0
	v_add_u32_e32 v19, 0xffffffa0, v19
	s_cmp_gt_i32 s8, s5
	s_waitcnt lgkmcnt(3)
	v_fma_f64 v[16:17], -v[36:37], v[22:23], v[16:17]
	v_fma_f64 v[14:15], -v[36:37], v[20:21], v[14:15]
	s_waitcnt lgkmcnt(2)
	v_fma_f64 v[12:13], -v[36:37], v[26:27], v[12:13]
	v_fma_f64 v[10:11], -v[36:37], v[24:25], v[10:11]
	;; [unrolled: 3-line block ×4, first 2 shown]
	s_cbranch_scc1 .LBB77_31
.LBB77_32:
	s_lshl_b32 s7, s5, 3
	s_add_i32 s8, s7, -8
	s_add_i32 s8, s8, s6
	v_mov_b32_e32 v19, s8
	ds_read2_b64 v[20:23], v19 offset1:1
	s_addk_i32 s8, 0xffa0
	v_mov_b32_e32 v19, s8
	ds_read_b64 v[24:25], v19
	s_sub_i32 s9, s7, 24
	s_waitcnt lgkmcnt(1)
	v_mul_f64 v[34:35], v[16:17], v[22:23]
	v_fma_f64 v[14:15], -v[34:35], v[20:21], v[14:15]
	s_add_i32 s12, s9, s6
	s_waitcnt lgkmcnt(0)
	v_mul_f64 v[36:37], v[14:15], v[24:25]
	v_mov_b32_e32 v14, s12
	ds_read2_b64 v[14:17], v14 offset1:1
	s_add_i32 s8, s6, 0xffffffa0
	ds_write_b64 v18, v[34:35]
	v_add_u32_e32 v18, s8, v1
	s_add_i32 s13, s9, s8
	ds_write_b64 v18, v[36:37]
	v_mov_b32_e32 v18, s13
	s_add_i32 s13, s6, 0xffffff40
	s_add_i32 s9, s9, s13
	ds_read2_b64 v[18:21], v18 offset1:1
	s_waitcnt lgkmcnt(3)
	v_fma_f64 v[12:13], -v[34:35], v[16:17], v[12:13]
	v_mov_b32_e32 v16, s9
	ds_read2_b64 v[22:25], v16 offset1:1
	s_add_i32 s9, s12, 0xfffffee0
	v_mov_b32_e32 v16, s9
	ds_read_b64 v[16:17], v16
	s_waitcnt lgkmcnt(2)
	v_fma_f64 v[12:13], -v[36:37], v[20:21], v[12:13]
	v_fma_f64 v[10:11], -v[34:35], v[14:15], v[10:11]
	s_waitcnt lgkmcnt(1)
	v_mul_f64 v[38:39], v[12:13], v[24:25]
	v_fma_f64 v[10:11], -v[36:37], v[18:19], v[10:11]
	s_sub_i32 s12, s7, 40
	v_fma_f64 v[10:11], -v[38:39], v[22:23], v[10:11]
	s_add_i32 s14, s12, s6
	v_add_u32_e32 v12, s13, v1
	s_waitcnt lgkmcnt(0)
	v_mul_f64 v[40:41], v[10:11], v[16:17]
	v_mov_b32_e32 v10, s14
	ds_write_b64 v12, v[38:39]
	ds_read2_b64 v[10:13], v10 offset1:1
	s_add_i32 s9, s6, 0xfffffee0
	v_add_u32_e32 v14, s9, v1
	s_add_i32 s15, s12, s8
	ds_write_b64 v14, v[40:41]
	v_mov_b32_e32 v14, s15
	s_add_i32 s15, s12, s13
	ds_read2_b64 v[14:17], v14 offset1:1
	s_waitcnt lgkmcnt(2)
	v_fma_f64 v[8:9], -v[34:35], v[12:13], v[8:9]
	v_mov_b32_e32 v12, s15
	s_add_i32 s15, s12, s9
	ds_read2_b64 v[18:21], v12 offset1:1
	v_mov_b32_e32 v12, s15
	s_add_i32 s15, s6, 0xfffffe80
	s_add_i32 s12, s12, s15
	ds_read2_b64 v[22:25], v12 offset1:1
	v_mov_b32_e32 v12, s12
	ds_read2_b64 v[26:29], v12 offset1:1
	s_add_i32 s12, s14, 0xfffffe20
	v_mov_b32_e32 v12, s12
	s_waitcnt lgkmcnt(3)
	v_fma_f64 v[8:9], -v[36:37], v[16:17], v[8:9]
	ds_read_b64 v[12:13], v12
	v_fma_f64 v[6:7], -v[34:35], v[10:11], v[6:7]
	s_waitcnt lgkmcnt(3)
	v_fma_f64 v[8:9], -v[38:39], v[20:21], v[8:9]
	v_fma_f64 v[6:7], -v[36:37], v[14:15], v[6:7]
	s_waitcnt lgkmcnt(2)
	v_fma_f64 v[8:9], -v[40:41], v[24:25], v[8:9]
	v_fma_f64 v[6:7], -v[38:39], v[18:19], v[6:7]
	s_waitcnt lgkmcnt(1)
	v_mul_f64 v[42:43], v[8:9], v[28:29]
	v_fma_f64 v[6:7], -v[40:41], v[22:23], v[6:7]
	s_sub_i32 s7, s7, 56
	v_fma_f64 v[6:7], -v[42:43], v[26:27], v[6:7]
	s_add_i32 s14, s7, s6
	v_add_u32_e32 v8, s15, v1
	s_waitcnt lgkmcnt(0)
	v_mul_f64 v[44:45], v[6:7], v[12:13]
	v_mov_b32_e32 v6, s14
	ds_write_b64 v8, v[42:43]
	ds_read2_b64 v[6:9], v6 offset1:1
	s_add_i32 s12, s6, 0xfffffe20
	v_add_u32_e32 v10, s12, v1
	s_add_i32 s8, s7, s8
	ds_write_b64 v10, v[44:45]
	v_mov_b32_e32 v10, s8
	s_add_i32 s8, s7, s13
	ds_read2_b64 v[10:13], v10 offset1:1
	s_waitcnt lgkmcnt(2)
	v_fma_f64 v[4:5], -v[34:35], v[8:9], v[4:5]
	v_mov_b32_e32 v8, s8
	s_add_i32 s8, s7, s9
	ds_read2_b64 v[14:17], v8 offset1:1
	v_mov_b32_e32 v8, s8
	s_add_i32 s8, s7, s15
	ds_read2_b64 v[18:21], v8 offset1:1
	v_mov_b32_e32 v8, s8
	s_add_i32 s8, s7, s12
	s_addk_i32 s6, 0xfdc0
	ds_read2_b64 v[22:25], v8 offset1:1
	v_mov_b32_e32 v8, s8
	s_add_i32 s7, s7, s6
	ds_read2_b64 v[26:29], v8 offset1:1
	v_mov_b32_e32 v8, s7
	s_waitcnt lgkmcnt(4)
	v_fma_f64 v[4:5], -v[36:37], v[12:13], v[4:5]
	ds_read2_b64 v[30:33], v8 offset1:1
	s_add_i32 s7, s14, 0xfffffd60
	v_fma_f64 v[2:3], -v[34:35], v[6:7], v[2:3]
	s_waitcnt lgkmcnt(4)
	v_fma_f64 v[4:5], -v[38:39], v[16:17], v[4:5]
	v_mov_b32_e32 v8, s7
	v_fma_f64 v[2:3], -v[36:37], v[10:11], v[2:3]
	s_waitcnt lgkmcnt(3)
	v_fma_f64 v[4:5], -v[40:41], v[20:21], v[4:5]
	ds_read_b64 v[8:9], v8
	v_fma_f64 v[2:3], -v[38:39], v[14:15], v[2:3]
	s_waitcnt lgkmcnt(3)
	v_fma_f64 v[4:5], -v[42:43], v[24:25], v[4:5]
	v_fma_f64 v[2:3], -v[40:41], v[18:19], v[2:3]
	s_waitcnt lgkmcnt(2)
	v_fma_f64 v[4:5], -v[44:45], v[28:29], v[4:5]
	v_fma_f64 v[2:3], -v[42:43], v[22:23], v[2:3]
	s_waitcnt lgkmcnt(1)
	v_mul_f64 v[4:5], v[4:5], v[32:33]
	v_fma_f64 v[2:3], -v[44:45], v[26:27], v[2:3]
	v_add_u32_e32 v12, s6, v1
	v_fma_f64 v[2:3], -v[4:5], v[30:31], v[2:3]
	ds_write_b64 v12, v[4:5]
	s_waitcnt lgkmcnt(1)
	v_mul_f64 v[2:3], v[2:3], v[8:9]
	v_add_u32_e32 v4, 0xffffffa0, v12
	s_add_i32 s5, s5, -8
	ds_write_b64 v4, v[2:3]
.LBB77_33:
	s_cmp_lt_i32 s5, 0
	s_cbranch_scc1 .LBB77_50
; %bb.34:
	s_and_b32 s6, s5, 3
	s_cmp_eq_u32 s6, 3
	s_mul_i32 s7, s22, 0x60
	s_mov_b32 s6, s5
	s_cbranch_scc1 .LBB77_39
; %bb.35:
	s_add_i32 s6, s5, 1
	s_and_b32 s8, s6, 3
	s_lshl_b32 s6, s5, 3
	s_add_i32 s6, s7, s6
	v_lshl_add_u32 v2, v0, 3, s7
	s_add_i32 s9, s6, 0xffffffa0
	v_add_u32_e32 v4, 0x420, v2
	s_mov_b32 s12, 0
	s_mov_b32 s6, s5
	s_branch .LBB77_37
.LBB77_36:                              ;   in Loop: Header=BB77_37 Depth=1
	s_mul_i32 s13, s6, 0x68
	v_mov_b32_e32 v6, s13
	ds_read_b64 v[6:7], v6
	s_add_i32 s6, s6, -1
	s_add_i32 s12, s12, 1
	s_add_i32 s9, s9, -8
	s_cmp_lg_u32 s12, s8
	s_waitcnt lgkmcnt(0)
	v_mul_f64 v[2:3], v[2:3], v[6:7]
	ds_write_b64 v5, v[2:3]
	s_cbranch_scc0 .LBB77_39
.LBB77_37:                              ; =>This Loop Header: Depth=1
                                        ;     Child Loop BB77_38 Depth 2
	s_mul_i32 s13, s6, 0x60
	v_add_u32_e32 v5, s13, v1
	ds_read_b64 v[2:3], v5
	s_cmp_le_i32 s4, s6
	v_mov_b32_e32 v6, v4
	s_mov_b32 s13, s9
	s_mov_b32 s14, s4
	s_cbranch_scc1 .LBB77_36
.LBB77_38:                              ;   Parent Loop BB77_37 Depth=1
                                        ; =>  This Inner Loop Header: Depth=2
	v_mov_b32_e32 v7, s13
	ds_read_b64 v[8:9], v6
	ds_read_b64 v[10:11], v7
	s_add_i32 s14, s14, -1
	s_addk_i32 s13, 0xffa0
	v_add_u32_e32 v6, 0xffffffa0, v6
	s_cmp_gt_i32 s14, s6
	s_waitcnt lgkmcnt(0)
	v_fma_f64 v[2:3], -v[8:9], v[10:11], v[2:3]
	s_cbranch_scc1 .LBB77_38
	s_branch .LBB77_36
.LBB77_39:
	s_cmp_lt_u32 s5, 3
	s_cbranch_scc1 .LBB77_50
; %bb.40:
	s_lshl_b32 s5, s6, 3
	s_add_i32 s9, s7, s5
	v_lshl_add_u32 v2, v0, 3, s7
	s_add_i32 s5, s9, 0xffffffa0
	v_add_u32_e32 v6, 0x420, v2
	s_add_i32 s7, s9, 0xffffff98
	s_add_i32 s8, s9, 0xffffff90
	s_addk_i32 s9, 0xff88
	s_branch .LBB77_42
.LBB77_41:                              ;   in Loop: Header=BB77_42 Depth=1
	s_add_i32 s12, s13, 0xffffff98
	v_mov_b32_e32 v2, s12
	ds_read_b64 v[2:3], v2
	s_add_i32 s12, s6, -4
	s_sub_i32 s5, s5, 32
	s_sub_i32 s7, s7, 32
	;; [unrolled: 1-line block ×4, first 2 shown]
	s_waitcnt lgkmcnt(0)
	v_mul_f64 v[2:3], v[4:5], v[2:3]
	s_cmp_lt_i32 s6, 4
	s_mov_b32 s6, s12
	ds_write_b64 v8, v[2:3]
	s_cbranch_scc1 .LBB77_50
.LBB77_42:                              ; =>This Loop Header: Depth=1
                                        ;     Child Loop BB77_43 Depth 2
                                        ;     Child Loop BB77_45 Depth 2
	;; [unrolled: 1-line block ×4, first 2 shown]
	s_mul_i32 s12, s6, 0x60
	v_add_u32_e32 v7, s12, v1
	ds_read_b64 v[2:3], v7
	s_cmp_le_i32 s4, s6
	v_mov_b32_e32 v4, v6
	s_mov_b32 s13, s5
	s_mov_b32 s14, s4
	s_cbranch_scc1 .LBB77_44
.LBB77_43:                              ;   Parent Loop BB77_42 Depth=1
                                        ; =>  This Inner Loop Header: Depth=2
	v_mov_b32_e32 v5, s13
	ds_read_b64 v[8:9], v4
	ds_read_b64 v[10:11], v5
	s_add_i32 s14, s14, -1
	s_addk_i32 s13, 0xffa0
	v_add_u32_e32 v4, 0xffffffa0, v4
	s_cmp_gt_i32 s14, s6
	s_waitcnt lgkmcnt(0)
	v_fma_f64 v[2:3], -v[8:9], v[10:11], v[2:3]
	s_cbranch_scc1 .LBB77_43
.LBB77_44:                              ;   in Loop: Header=BB77_42 Depth=1
	s_mul_i32 s13, s6, 0x68
	v_mov_b32_e32 v4, s13
	ds_read_b64 v[10:11], v4
	s_addk_i32 s12, 0xffa0
	v_add_u32_e32 v8, s12, v1
	ds_read_b64 v[4:5], v8
	s_cmp_le_i32 s22, s6
	s_waitcnt lgkmcnt(1)
	v_mul_f64 v[2:3], v[2:3], v[10:11]
	ds_write_b64 v7, v[2:3]
	v_mov_b32_e32 v2, v6
	s_mov_b32 s14, s7
	s_mov_b32 s15, s22
	s_cbranch_scc1 .LBB77_46
.LBB77_45:                              ;   Parent Loop BB77_42 Depth=1
                                        ; =>  This Inner Loop Header: Depth=2
	v_mov_b32_e32 v3, s14
	ds_read_b64 v[10:11], v2
	ds_read_b64 v[12:13], v3
	s_add_i32 s15, s15, -1
	s_addk_i32 s14, 0xffa0
	v_add_u32_e32 v2, 0xffffffa0, v2
	s_cmp_gt_i32 s15, s6
	s_waitcnt lgkmcnt(0)
	v_fma_f64 v[4:5], -v[10:11], v[12:13], v[4:5]
	s_cbranch_scc1 .LBB77_45
.LBB77_46:                              ;   in Loop: Header=BB77_42 Depth=1
	s_addk_i32 s13, 0xff98
	v_mov_b32_e32 v2, s13
	ds_read_b64 v[10:11], v2
	s_addk_i32 s12, 0xffa0
	v_add_u32_e32 v7, s12, v1
	ds_read_b64 v[2:3], v7
	s_add_i32 s14, s6, -2
	s_waitcnt lgkmcnt(1)
	v_mul_f64 v[4:5], v[4:5], v[10:11]
	ds_write_b64 v8, v[4:5]
	s_cmp_le_i32 s4, s14
	v_mov_b32_e32 v4, v6
	s_mov_b32 s15, s8
	s_mov_b32 s17, s4
	s_cbranch_scc1 .LBB77_48
.LBB77_47:                              ;   Parent Loop BB77_42 Depth=1
                                        ; =>  This Inner Loop Header: Depth=2
	v_mov_b32_e32 v5, s15
	ds_read_b64 v[8:9], v4
	ds_read_b64 v[10:11], v5
	s_add_i32 s17, s17, -1
	s_addk_i32 s15, 0xffa0
	v_add_u32_e32 v4, 0xffffffa0, v4
	s_cmp_gt_i32 s17, s14
	s_waitcnt lgkmcnt(0)
	v_fma_f64 v[2:3], -v[8:9], v[10:11], v[2:3]
	s_cbranch_scc1 .LBB77_47
.LBB77_48:                              ;   in Loop: Header=BB77_42 Depth=1
	s_addk_i32 s13, 0xff98
	v_mov_b32_e32 v4, s13
	ds_read_b64 v[10:11], v4
	s_addk_i32 s12, 0xffa0
	v_add_u32_e32 v8, s12, v1
	ds_read_b64 v[4:5], v8
	s_add_i32 s14, s6, -3
	s_waitcnt lgkmcnt(1)
	v_mul_f64 v[2:3], v[2:3], v[10:11]
	ds_write_b64 v7, v[2:3]
	s_cmp_le_i32 s4, s14
	v_mov_b32_e32 v2, v6
	s_mov_b32 s12, s9
	s_mov_b32 s15, s4
	s_cbranch_scc1 .LBB77_41
.LBB77_49:                              ;   Parent Loop BB77_42 Depth=1
                                        ; =>  This Inner Loop Header: Depth=2
	v_mov_b32_e32 v3, s12
	ds_read_b64 v[10:11], v2
	ds_read_b64 v[12:13], v3
	s_add_i32 s15, s15, -1
	s_addk_i32 s12, 0xffa0
	v_add_u32_e32 v2, 0xffffffa0, v2
	s_cmp_gt_i32 s15, s14
	s_waitcnt lgkmcnt(0)
	v_fma_f64 v[4:5], -v[10:11], v[12:13], v[4:5]
	s_cbranch_scc1 .LBB77_49
	s_branch .LBB77_41
.LBB77_50:
	s_waitcnt lgkmcnt(0)
	; wave barrier
	s_and_saveexec_b64 s[4:5], s[0:1]
	s_cbranch_execz .LBB77_54
; %bb.51:
	s_andn2_b64 vcc, exec, s[10:11]
	s_cbranch_vccnz .LBB77_54
; %bb.52:
	v_mad_i64_i32 v[2:3], s[0:1], s16, v0, 0
	v_mov_b32_e32 v1, 0x480
	v_lshl_add_u64 v[2:3], v[2:3], 3, s[2:3]
	v_lshl_or_b32 v0, v0, 3, v1
.LBB77_53:                              ; =>This Inner Loop Header: Depth=1
	ds_read_b64 v[4:5], v0
	s_add_i32 s22, s22, -1
	v_add_u32_e32 v0, 0x60, v0
	s_cmp_lg_u32 s22, 0
	s_waitcnt lgkmcnt(0)
	flat_store_dwordx2 v[2:3], v[4:5]
	v_lshl_add_u64 v[2:3], v[2:3], 0, 8
	s_cbranch_scc1 .LBB77_53
.LBB77_54:
	s_endpgm
	.section	.rodata,"a",@progbits
	.p2align	6, 0x0
	.amdhsa_kernel _ZL38rocblas_trsm_small_left_device_sharedBILi12ELi12ELb0EddPKPKdPKPdEv13rocblas_fill_18rocblas_operation_17rocblas_diagonal_iiT3_T4_lilT5_lili
		.amdhsa_group_segment_fixed_size 2304
		.amdhsa_private_segment_fixed_size 0
		.amdhsa_kernarg_size 360
		.amdhsa_user_sgpr_count 2
		.amdhsa_user_sgpr_dispatch_ptr 0
		.amdhsa_user_sgpr_queue_ptr 0
		.amdhsa_user_sgpr_kernarg_segment_ptr 1
		.amdhsa_user_sgpr_dispatch_id 0
		.amdhsa_user_sgpr_kernarg_preload_length 0
		.amdhsa_user_sgpr_kernarg_preload_offset 0
		.amdhsa_user_sgpr_private_segment_size 0
		.amdhsa_uses_dynamic_stack 0
		.amdhsa_enable_private_segment 0
		.amdhsa_system_sgpr_workgroup_id_x 1
		.amdhsa_system_sgpr_workgroup_id_y 0
		.amdhsa_system_sgpr_workgroup_id_z 1
		.amdhsa_system_sgpr_workgroup_info 0
		.amdhsa_system_vgpr_workitem_id 0
		.amdhsa_next_free_vgpr 63
		.amdhsa_next_free_sgpr 26
		.amdhsa_accum_offset 64
		.amdhsa_reserve_vcc 1
		.amdhsa_float_round_mode_32 0
		.amdhsa_float_round_mode_16_64 0
		.amdhsa_float_denorm_mode_32 3
		.amdhsa_float_denorm_mode_16_64 3
		.amdhsa_dx10_clamp 1
		.amdhsa_ieee_mode 1
		.amdhsa_fp16_overflow 0
		.amdhsa_tg_split 0
		.amdhsa_exception_fp_ieee_invalid_op 0
		.amdhsa_exception_fp_denorm_src 0
		.amdhsa_exception_fp_ieee_div_zero 0
		.amdhsa_exception_fp_ieee_overflow 0
		.amdhsa_exception_fp_ieee_underflow 0
		.amdhsa_exception_fp_ieee_inexact 0
		.amdhsa_exception_int_div_zero 0
	.end_amdhsa_kernel
	.section	.text._ZL38rocblas_trsm_small_left_device_sharedBILi12ELi12ELb0EddPKPKdPKPdEv13rocblas_fill_18rocblas_operation_17rocblas_diagonal_iiT3_T4_lilT5_lili,"axG",@progbits,_ZL38rocblas_trsm_small_left_device_sharedBILi12ELi12ELb0EddPKPKdPKPdEv13rocblas_fill_18rocblas_operation_17rocblas_diagonal_iiT3_T4_lilT5_lili,comdat
.Lfunc_end77:
	.size	_ZL38rocblas_trsm_small_left_device_sharedBILi12ELi12ELb0EddPKPKdPKPdEv13rocblas_fill_18rocblas_operation_17rocblas_diagonal_iiT3_T4_lilT5_lili, .Lfunc_end77-_ZL38rocblas_trsm_small_left_device_sharedBILi12ELi12ELb0EddPKPKdPKPdEv13rocblas_fill_18rocblas_operation_17rocblas_diagonal_iiT3_T4_lilT5_lili
                                        ; -- End function
	.set _ZL38rocblas_trsm_small_left_device_sharedBILi12ELi12ELb0EddPKPKdPKPdEv13rocblas_fill_18rocblas_operation_17rocblas_diagonal_iiT3_T4_lilT5_lili.num_vgpr, 63
	.set _ZL38rocblas_trsm_small_left_device_sharedBILi12ELi12ELb0EddPKPKdPKPdEv13rocblas_fill_18rocblas_operation_17rocblas_diagonal_iiT3_T4_lilT5_lili.num_agpr, 0
	.set _ZL38rocblas_trsm_small_left_device_sharedBILi12ELi12ELb0EddPKPKdPKPdEv13rocblas_fill_18rocblas_operation_17rocblas_diagonal_iiT3_T4_lilT5_lili.numbered_sgpr, 26
	.set _ZL38rocblas_trsm_small_left_device_sharedBILi12ELi12ELb0EddPKPKdPKPdEv13rocblas_fill_18rocblas_operation_17rocblas_diagonal_iiT3_T4_lilT5_lili.num_named_barrier, 0
	.set _ZL38rocblas_trsm_small_left_device_sharedBILi12ELi12ELb0EddPKPKdPKPdEv13rocblas_fill_18rocblas_operation_17rocblas_diagonal_iiT3_T4_lilT5_lili.private_seg_size, 0
	.set _ZL38rocblas_trsm_small_left_device_sharedBILi12ELi12ELb0EddPKPKdPKPdEv13rocblas_fill_18rocblas_operation_17rocblas_diagonal_iiT3_T4_lilT5_lili.uses_vcc, 1
	.set _ZL38rocblas_trsm_small_left_device_sharedBILi12ELi12ELb0EddPKPKdPKPdEv13rocblas_fill_18rocblas_operation_17rocblas_diagonal_iiT3_T4_lilT5_lili.uses_flat_scratch, 0
	.set _ZL38rocblas_trsm_small_left_device_sharedBILi12ELi12ELb0EddPKPKdPKPdEv13rocblas_fill_18rocblas_operation_17rocblas_diagonal_iiT3_T4_lilT5_lili.has_dyn_sized_stack, 0
	.set _ZL38rocblas_trsm_small_left_device_sharedBILi12ELi12ELb0EddPKPKdPKPdEv13rocblas_fill_18rocblas_operation_17rocblas_diagonal_iiT3_T4_lilT5_lili.has_recursion, 0
	.set _ZL38rocblas_trsm_small_left_device_sharedBILi12ELi12ELb0EddPKPKdPKPdEv13rocblas_fill_18rocblas_operation_17rocblas_diagonal_iiT3_T4_lilT5_lili.has_indirect_call, 0
	.section	.AMDGPU.csdata,"",@progbits
; Kernel info:
; codeLenInByte = 6604
; TotalNumSgprs: 32
; NumVgprs: 63
; NumAgprs: 0
; TotalNumVgprs: 63
; ScratchSize: 0
; MemoryBound: 0
; FloatMode: 240
; IeeeMode: 1
; LDSByteSize: 2304 bytes/workgroup (compile time only)
; SGPRBlocks: 3
; VGPRBlocks: 7
; NumSGPRsForWavesPerEU: 32
; NumVGPRsForWavesPerEU: 63
; AccumOffset: 64
; Occupancy: 8
; WaveLimiterHint : 0
; COMPUTE_PGM_RSRC2:SCRATCH_EN: 0
; COMPUTE_PGM_RSRC2:USER_SGPR: 2
; COMPUTE_PGM_RSRC2:TRAP_HANDLER: 0
; COMPUTE_PGM_RSRC2:TGID_X_EN: 1
; COMPUTE_PGM_RSRC2:TGID_Y_EN: 0
; COMPUTE_PGM_RSRC2:TGID_Z_EN: 1
; COMPUTE_PGM_RSRC2:TIDIG_COMP_CNT: 0
; COMPUTE_PGM_RSRC3_GFX90A:ACCUM_OFFSET: 15
; COMPUTE_PGM_RSRC3_GFX90A:TG_SPLIT: 0
	.section	.text._ZL30rocblas_trsm_small_left_deviceILi12ELi12ELb0EddPKPKdPKPdEv13rocblas_fill_18rocblas_operation_17rocblas_diagonal_iiT3_T4_lilT5_lili,"axG",@progbits,_ZL30rocblas_trsm_small_left_deviceILi12ELi12ELb0EddPKPKdPKPdEv13rocblas_fill_18rocblas_operation_17rocblas_diagonal_iiT3_T4_lilT5_lili,comdat
	.globl	_ZL30rocblas_trsm_small_left_deviceILi12ELi12ELb0EddPKPKdPKPdEv13rocblas_fill_18rocblas_operation_17rocblas_diagonal_iiT3_T4_lilT5_lili ; -- Begin function _ZL30rocblas_trsm_small_left_deviceILi12ELi12ELb0EddPKPKdPKPdEv13rocblas_fill_18rocblas_operation_17rocblas_diagonal_iiT3_T4_lilT5_lili
	.p2align	8
	.type	_ZL30rocblas_trsm_small_left_deviceILi12ELi12ELb0EddPKPKdPKPdEv13rocblas_fill_18rocblas_operation_17rocblas_diagonal_iiT3_T4_lilT5_lili,@function
_ZL30rocblas_trsm_small_left_deviceILi12ELi12ELb0EddPKPKdPKPdEv13rocblas_fill_18rocblas_operation_17rocblas_diagonal_iiT3_T4_lilT5_lili: ; @_ZL30rocblas_trsm_small_left_deviceILi12ELi12ELb0EddPKPKdPKPdEv13rocblas_fill_18rocblas_operation_17rocblas_diagonal_iiT3_T4_lilT5_lili
; %bb.0:
	s_load_dwordx2 s[18:19], s[0:1], 0x28
	s_load_dwordx4 s[12:15], s[0:1], 0x40
	s_load_dwordx4 s[8:11], s[0:1], 0x4
	;; [unrolled: 1-line block ×3, first 2 shown]
	s_mov_b32 s16, s3
	s_mov_b32 s17, 0
	s_lshl_b64 s[20:21], s[16:17], 3
	s_waitcnt lgkmcnt(0)
	s_add_u32 s12, s12, s20
	s_addc_u32 s13, s13, s21
	s_load_dwordx2 s[12:13], s[12:13], 0x0
	s_min_i32 s22, s10, 12
	v_cmp_gt_i32_e32 vcc, s22, v0
	s_and_saveexec_b64 s[16:17], vcc
	s_cbranch_execz .LBB78_6
; %bb.1:
	s_load_dword s24, s[0:1], 0x30
	v_lshlrev_b32_e32 v2, 3, v0
	v_mov_b32_e32 v3, 0
	v_mov_b32_e32 v1, v2
	s_mov_b32 s3, s22
	s_waitcnt lgkmcnt(0)
	s_ashr_i32 s25, s24, 31
	s_add_u32 s6, s6, s20
	s_addc_u32 s7, s7, s21
	s_load_dwordx2 s[6:7], s[6:7], 0x0
	s_lshl_b64 s[18:19], s[18:19], 3
	s_waitcnt lgkmcnt(0)
	s_add_u32 s18, s6, s18
	s_addc_u32 s19, s7, s19
	s_lshl_b64 s[6:7], s[24:25], 3
	v_lshl_add_u64 v[4:5], s[18:19], 0, v[2:3]
.LBB78_2:                               ; =>This Inner Loop Header: Depth=1
	flat_load_dwordx2 v[6:7], v[4:5]
	s_add_i32 s3, s3, -1
	v_lshl_add_u64 v[4:5], v[4:5], 0, s[6:7]
	s_cmp_eq_u32 s3, 0
	s_waitcnt vmcnt(0) lgkmcnt(0)
	ds_write_b64 v1, v[6:7]
	v_add_u32_e32 v1, 0x60, v1
	s_cbranch_scc0 .LBB78_2
; %bb.3:
	v_mul_u32_u24_e32 v1, 0x60, v0
	s_cmpk_lg_i32 s9, 0x84
	v_mov_b64_e32 v[4:5], 1.0
	v_add_u32_e32 v1, v2, v1
	s_cbranch_scc0 .LBB78_5
; %bb.4:
	ds_read_b64 v[2:3], v1
	s_waitcnt lgkmcnt(0)
	v_div_scale_f64 v[4:5], s[6:7], v[2:3], v[2:3], 1.0
	v_rcp_f64_e32 v[6:7], v[4:5]
	v_div_scale_f64 v[8:9], vcc, 1.0, v[2:3], 1.0
	v_fma_f64 v[10:11], -v[4:5], v[6:7], 1.0
	v_fmac_f64_e32 v[6:7], v[6:7], v[10:11]
	v_fma_f64 v[10:11], -v[4:5], v[6:7], 1.0
	v_fmac_f64_e32 v[6:7], v[6:7], v[10:11]
	v_mul_f64 v[10:11], v[8:9], v[6:7]
	v_fma_f64 v[4:5], -v[4:5], v[10:11], v[8:9]
	v_div_fmas_f64 v[4:5], v[4:5], v[6:7], v[10:11]
	v_div_fixup_f64 v[4:5], v[4:5], v[2:3], 1.0
.LBB78_5:
	ds_write_b64 v1, v[4:5]
.LBB78_6:
	s_or_b64 exec, exec, s[16:17]
	s_load_dword s3, s[0:1], 0x68
	s_mul_i32 s6, s2, -12
	s_add_i32 s6, s11, s6
	s_waitcnt lgkmcnt(0)
	; wave barrier
	s_add_i32 s3, s3, -1
	s_cmp_ge_u32 s2, s3
	s_cselect_b32 s3, s6, 12
	v_cmp_gt_i32_e32 vcc, s3, v0
	s_and_saveexec_b64 s[6:7], vcc
	s_cbranch_execz .LBB78_51
; %bb.7:
	s_load_dword s6, s[0:1], 0x50
	s_lshl_b64 s[0:1], s[14:15], 3
	s_add_u32 s0, s12, s0
	v_mad_u64_u32 v[0:1], s[2:3], s2, 12, v[0:1]
	s_addc_u32 s1, s13, s1
	s_waitcnt lgkmcnt(0)
	v_mad_i64_i32 v[0:1], s[2:3], s6, v0, 0
	v_lshl_add_u64 v[0:1], v[0:1], 3, s[0:1]
	s_cmpk_eq_i32 s8, 0x6f
	s_mov_b64 s[0:1], -1
	s_cbranch_scc1 .LBB78_25
; %bb.8:
	s_cmp_lt_i32 s10, 12
	s_cselect_b64 s[2:3], -1, 0
	s_cmp_gt_i32 s10, 11
	s_cbranch_scc0 .LBB78_10
; %bb.9:
	flat_load_dwordx4 v[2:5], v[0:1]
	flat_load_dwordx4 v[6:9], v[0:1] offset:16
	flat_load_dwordx4 v[10:13], v[0:1] offset:32
	flat_load_dwordx4 v[14:17], v[0:1] offset:48
	v_mov_b32_e32 v50, 0
	ds_read_b64 v[18:19], v50
	flat_load_dwordx4 v[22:25], v[0:1] offset:64
	s_mov_b32 s0, 12
	s_waitcnt vmcnt(0) lgkmcnt(0)
	v_mul_f64 v[2:3], s[4:5], v[2:3]
	v_mul_f64 v[2:3], v[2:3], v[18:19]
	flat_store_dwordx2 v[0:1], v[2:3]
	ds_read_b128 v[18:21], v50 offset:96
	s_waitcnt lgkmcnt(0)
	v_mul_f64 v[18:19], v[2:3], v[18:19]
	v_fma_f64 v[4:5], s[4:5], v[4:5], -v[18:19]
	v_mul_f64 v[4:5], v[4:5], v[20:21]
	flat_store_dwordx2 v[0:1], v[4:5] offset:8
	ds_read_b128 v[18:21], v50 offset:192
	ds_read_b64 v[26:27], v50 offset:208
	s_waitcnt lgkmcnt(0)
	v_mul_f64 v[18:19], v[2:3], v[18:19]
	v_fma_f64 v[6:7], s[4:5], v[6:7], -v[18:19]
	v_fma_f64 v[6:7], -v[4:5], v[20:21], v[6:7]
	v_mul_f64 v[6:7], v[6:7], v[26:27]
	flat_store_dwordx2 v[0:1], v[6:7] offset:16
	ds_read_b128 v[18:21], v50 offset:288
	ds_read_b128 v[26:29], v50 offset:304
	s_waitcnt lgkmcnt(0)
	v_mul_f64 v[18:19], v[2:3], v[18:19]
	v_fma_f64 v[8:9], s[4:5], v[8:9], -v[18:19]
	v_fma_f64 v[8:9], -v[4:5], v[20:21], v[8:9]
	v_fma_f64 v[8:9], -v[6:7], v[26:27], v[8:9]
	v_mul_f64 v[8:9], v[8:9], v[28:29]
	flat_store_dwordx2 v[0:1], v[8:9] offset:24
	ds_read_b128 v[18:21], v50 offset:384
	ds_read_b128 v[26:29], v50 offset:400
	ds_read_b64 v[30:31], v50 offset:416
	s_waitcnt lgkmcnt(0)
	v_mul_f64 v[18:19], v[2:3], v[18:19]
	v_fma_f64 v[10:11], s[4:5], v[10:11], -v[18:19]
	v_fma_f64 v[10:11], -v[4:5], v[20:21], v[10:11]
	v_fma_f64 v[10:11], -v[6:7], v[26:27], v[10:11]
	v_fma_f64 v[10:11], -v[8:9], v[28:29], v[10:11]
	flat_load_dwordx4 v[26:29], v[0:1] offset:80
	v_mul_f64 v[10:11], v[10:11], v[30:31]
	flat_store_dwordx2 v[0:1], v[10:11] offset:32
	ds_read_b128 v[18:21], v50 offset:480
	ds_read_b128 v[30:33], v50 offset:496
	;; [unrolled: 1-line block ×3, first 2 shown]
	s_waitcnt lgkmcnt(0)
	v_mul_f64 v[18:19], v[2:3], v[18:19]
	v_fma_f64 v[12:13], s[4:5], v[12:13], -v[18:19]
	v_fma_f64 v[12:13], -v[4:5], v[20:21], v[12:13]
	v_fma_f64 v[12:13], -v[6:7], v[30:31], v[12:13]
	;; [unrolled: 1-line block ×4, first 2 shown]
	v_mul_f64 v[38:39], v[12:13], v[36:37]
	flat_store_dwordx2 v[0:1], v[38:39] offset:40
	ds_read_b128 v[18:21], v50 offset:576
	ds_read_b128 v[30:33], v50 offset:592
	;; [unrolled: 1-line block ×3, first 2 shown]
	ds_read_b64 v[12:13], v50 offset:624
	s_waitcnt lgkmcnt(0)
	v_mul_f64 v[18:19], v[2:3], v[18:19]
	v_fma_f64 v[14:15], s[4:5], v[14:15], -v[18:19]
	v_fma_f64 v[14:15], -v[4:5], v[20:21], v[14:15]
	v_fma_f64 v[14:15], -v[6:7], v[30:31], v[14:15]
	;; [unrolled: 1-line block ×5, first 2 shown]
	v_mul_f64 v[40:41], v[14:15], v[12:13]
	flat_store_dwordx2 v[0:1], v[40:41] offset:48
	ds_read_b128 v[12:15], v50 offset:672
	ds_read_b128 v[18:21], v50 offset:688
	;; [unrolled: 1-line block ×4, first 2 shown]
	s_waitcnt lgkmcnt(0)
	v_mul_f64 v[12:13], v[2:3], v[12:13]
	v_fma_f64 v[12:13], s[4:5], v[16:17], -v[12:13]
	v_fma_f64 v[12:13], -v[4:5], v[14:15], v[12:13]
	v_fma_f64 v[12:13], -v[6:7], v[18:19], v[12:13]
	;; [unrolled: 1-line block ×6, first 2 shown]
	v_mul_f64 v[42:43], v[12:13], v[36:37]
	flat_store_dwordx2 v[0:1], v[42:43] offset:56
	ds_read_b128 v[12:15], v50 offset:768
	ds_read_b128 v[16:19], v50 offset:784
	;; [unrolled: 1-line block ×4, first 2 shown]
	ds_read_b64 v[20:21], v50 offset:832
	s_waitcnt lgkmcnt(0)
	v_mul_f64 v[12:13], v[2:3], v[12:13]
	v_fma_f64 v[12:13], s[4:5], v[22:23], -v[12:13]
	v_fma_f64 v[12:13], -v[4:5], v[14:15], v[12:13]
	v_fma_f64 v[12:13], -v[6:7], v[16:17], v[12:13]
	;; [unrolled: 1-line block ×7, first 2 shown]
	v_mul_f64 v[44:45], v[12:13], v[20:21]
	flat_store_dwordx2 v[0:1], v[44:45] offset:64
	ds_read_b128 v[12:15], v50 offset:864
	ds_read_b128 v[16:19], v50 offset:880
	;; [unrolled: 1-line block ×5, first 2 shown]
	s_waitcnt lgkmcnt(0)
	v_mul_f64 v[12:13], v[2:3], v[12:13]
	v_fma_f64 v[12:13], s[4:5], v[24:25], -v[12:13]
	v_fma_f64 v[12:13], -v[4:5], v[14:15], v[12:13]
	v_fma_f64 v[12:13], -v[6:7], v[16:17], v[12:13]
	v_fma_f64 v[12:13], -v[8:9], v[18:19], v[12:13]
	v_fma_f64 v[12:13], -v[10:11], v[20:21], v[12:13]
	v_fma_f64 v[12:13], -v[38:39], v[22:23], v[12:13]
	v_fma_f64 v[12:13], -v[40:41], v[30:31], v[12:13]
	v_fma_f64 v[12:13], -v[42:43], v[32:33], v[12:13]
	v_fma_f64 v[12:13], -v[44:45], v[34:35], v[12:13]
	v_mul_f64 v[46:47], v[12:13], v[36:37]
	flat_store_dwordx2 v[0:1], v[46:47] offset:72
	ds_read_b128 v[12:15], v50 offset:960
	ds_read_b128 v[16:19], v50 offset:976
	;; [unrolled: 1-line block ×5, first 2 shown]
	ds_read_b64 v[24:25], v50 offset:1040
	s_waitcnt lgkmcnt(0)
	v_mul_f64 v[12:13], v[2:3], v[12:13]
	s_waitcnt vmcnt(0)
	v_fma_f64 v[12:13], s[4:5], v[26:27], -v[12:13]
	v_fma_f64 v[12:13], -v[4:5], v[14:15], v[12:13]
	v_fma_f64 v[12:13], -v[6:7], v[16:17], v[12:13]
	;; [unrolled: 1-line block ×9, first 2 shown]
	v_mul_f64 v[48:49], v[12:13], v[24:25]
	flat_store_dwordx2 v[0:1], v[48:49] offset:80
	ds_read_b128 v[12:15], v50 offset:1056
	ds_read_b128 v[16:19], v50 offset:1072
	;; [unrolled: 1-line block ×6, first 2 shown]
	s_waitcnt lgkmcnt(0)
	v_mul_f64 v[2:3], v[2:3], v[12:13]
	v_fma_f64 v[2:3], s[4:5], v[28:29], -v[2:3]
	v_fma_f64 v[2:3], -v[4:5], v[14:15], v[2:3]
	v_fma_f64 v[2:3], -v[6:7], v[16:17], v[2:3]
	;; [unrolled: 1-line block ×10, first 2 shown]
	v_mul_f64 v[2:3], v[2:3], v[36:37]
	flat_store_dwordx2 v[0:1], v[2:3] offset:88
	s_cmp_lt_i32 s0, s22
	s_cbranch_scc1 .LBB78_11
	s_branch .LBB78_24
.LBB78_10:
	s_mov_b32 s0, 0
	s_cmp_lt_i32 s0, s22
	s_cbranch_scc0 .LBB78_24
.LBB78_11:
	s_add_i32 s1, s0, 7
	s_cmp_ge_u32 s1, s22
	s_cbranch_scc1 .LBB78_19
; %bb.12:
	s_lshl_b32 s6, s0, 3
	s_mov_b32 s7, 0
	v_lshl_add_u64 v[2:3], v[0:1], 0, s[6:7]
	flat_load_dwordx4 v[4:7], v[2:3]
	flat_load_dwordx4 v[8:11], v[2:3] offset:16
	flat_load_dwordx4 v[20:23], v[2:3] offset:32
	;; [unrolled: 1-line block ×3, first 2 shown]
	s_andn2_b64 vcc, exec, s[2:3]
	s_waitcnt vmcnt(0) lgkmcnt(0)
	v_mul_f64 v[16:17], s[4:5], v[4:5]
	v_mul_f64 v[18:19], s[4:5], v[6:7]
	v_mul_f64 v[14:15], s[4:5], v[8:9]
	v_mul_f64 v[12:13], s[4:5], v[10:11]
	v_mul_f64 v[10:11], s[4:5], v[20:21]
	v_mul_f64 v[8:9], s[4:5], v[22:23]
	v_mul_f64 v[6:7], s[4:5], v[24:25]
	v_mul_f64 v[4:5], s[4:5], v[26:27]
	s_cbranch_vccnz .LBB78_14
; %bb.13:
	s_mul_i32 s1, s0, 0x60
	s_mov_b64 s[2:3], 0
	s_branch .LBB78_15
.LBB78_14:
	s_mov_b64 s[2:3], -1
                                        ; implicit-def: $sgpr1
.LBB78_15:
	s_andn2_b64 vcc, exec, s[2:3]
	s_cbranch_vccnz .LBB78_18
; %bb.16:
	s_mul_i32 s1, s0, 0x60
	v_mov_b64_e32 v[20:21], v[0:1]
	s_mov_b32 s2, s0
	s_mov_b32 s3, s1
.LBB78_17:                              ; =>This Inner Loop Header: Depth=1
	flat_load_dwordx4 v[22:25], v[20:21]
	flat_load_dwordx4 v[26:29], v[20:21] offset:16
	v_mov_b32_e32 v60, s3
	ds_read_b128 v[30:33], v60
	ds_read_b128 v[34:37], v60 offset:16
	ds_read_b128 v[38:41], v60 offset:96
	;; [unrolled: 1-line block ×5, first 2 shown]
	s_add_i32 s3, s3, 32
	s_add_i32 s2, s2, -4
	v_lshl_add_u64 v[20:21], v[20:21], 0, 32
	s_cmp_lg_u32 s2, 0
	s_waitcnt vmcnt(0) lgkmcnt(0)
	v_fma_f64 v[16:17], -v[22:23], v[30:31], v[16:17]
	v_fma_f64 v[54:55], -v[24:25], v[32:33], v[16:17]
	;; [unrolled: 1-line block ×4, first 2 shown]
	ds_read_b128 v[30:33], v60 offset:480
	v_fma_f64 v[56:57], -v[24:25], v[40:41], v[16:17]
	ds_read_b128 v[16:19], v60 offset:576
	v_fma_f64 v[58:59], -v[24:25], v[44:45], v[14:15]
	;; [unrolled: 2-line block ×3, first 2 shown]
	v_fma_f64 v[10:11], -v[22:23], v[50:51], v[10:11]
	s_waitcnt lgkmcnt(2)
	v_fma_f64 v[8:9], -v[22:23], v[30:31], v[8:9]
	s_waitcnt lgkmcnt(1)
	;; [unrolled: 2-line block ×3, first 2 shown]
	v_fma_f64 v[4:5], -v[22:23], v[42:43], v[4:5]
	v_fma_f64 v[16:17], -v[26:27], v[34:35], v[54:55]
	ds_read_b128 v[38:41], v60 offset:112
	v_fma_f64 v[46:47], -v[24:25], v[48:49], v[12:13]
	ds_read_b128 v[12:15], v60 offset:208
	v_fma_f64 v[48:49], -v[24:25], v[52:53], v[10:11]
	v_fma_f64 v[50:51], -v[24:25], v[32:33], v[8:9]
	ds_read_b128 v[8:11], v60 offset:304
	ds_read_b128 v[30:33], v60 offset:400
	v_fma_f64 v[18:19], -v[24:25], v[18:19], v[6:7]
	v_fma_f64 v[42:43], -v[24:25], v[44:45], v[4:5]
	ds_read_b128 v[4:7], v60 offset:496
	ds_read_b128 v[22:25], v60 offset:592
	v_fma_f64 v[16:17], -v[28:29], v[36:37], v[16:17]
	ds_read_b128 v[34:37], v60 offset:688
	s_waitcnt lgkmcnt(6)
	v_fma_f64 v[38:39], -v[26:27], v[38:39], v[56:57]
	s_waitcnt lgkmcnt(5)
	v_fma_f64 v[12:13], -v[26:27], v[12:13], v[58:59]
	;; [unrolled: 2-line block ×7, first 2 shown]
	v_fma_f64 v[18:19], -v[28:29], v[40:41], v[38:39]
	v_fma_f64 v[14:15], -v[28:29], v[14:15], v[12:13]
	;; [unrolled: 1-line block ×7, first 2 shown]
	s_cbranch_scc1 .LBB78_17
.LBB78_18:
	s_add_i32 s1, s6, s1
	v_mov_b32_e32 v34, s1
	ds_read_b64 v[20:21], v34
	s_or_b32 s1, s0, 1
	s_mulk_i32 s1, 0x60
	s_add_i32 s1, s6, s1
	v_mov_b32_e32 v36, s1
	s_waitcnt lgkmcnt(0)
	v_mul_f64 v[24:25], v[16:17], v[20:21]
	flat_store_dwordx2 v[2:3], v[24:25]
	ds_read_b128 v[20:23], v36
	s_add_i32 s0, s0, 8
	s_waitcnt lgkmcnt(0)
	v_fma_f64 v[16:17], -v[24:25], v[20:21], v[18:19]
	v_mul_f64 v[22:23], v[16:17], v[22:23]
	flat_store_dwordx2 v[2:3], v[22:23] offset:8
	ds_read_b128 v[16:19], v36 offset:96
	ds_read_b64 v[20:21], v34 offset:208
	s_waitcnt lgkmcnt(0)
	v_fma_f64 v[14:15], -v[24:25], v[16:17], v[14:15]
	v_fma_f64 v[14:15], -v[22:23], v[18:19], v[14:15]
	v_mul_f64 v[26:27], v[14:15], v[20:21]
	flat_store_dwordx2 v[2:3], v[26:27] offset:16
	ds_read_b128 v[14:17], v36 offset:192
	ds_read_b128 v[18:21], v36 offset:208
	s_waitcnt lgkmcnt(0)
	v_fma_f64 v[12:13], -v[24:25], v[14:15], v[12:13]
	v_fma_f64 v[12:13], -v[22:23], v[16:17], v[12:13]
	;; [unrolled: 1-line block ×3, first 2 shown]
	v_mul_f64 v[28:29], v[12:13], v[20:21]
	flat_store_dwordx2 v[2:3], v[28:29] offset:24
	ds_read_b128 v[12:15], v36 offset:288
	ds_read_b128 v[16:19], v36 offset:304
	ds_read_b64 v[20:21], v34 offset:416
	s_waitcnt lgkmcnt(0)
	v_fma_f64 v[10:11], -v[24:25], v[12:13], v[10:11]
	v_fma_f64 v[10:11], -v[22:23], v[14:15], v[10:11]
	;; [unrolled: 1-line block ×4, first 2 shown]
	v_mul_f64 v[30:31], v[10:11], v[20:21]
	flat_store_dwordx2 v[2:3], v[30:31] offset:32
	ds_read_b128 v[10:13], v36 offset:384
	ds_read_b128 v[14:17], v36 offset:400
	;; [unrolled: 1-line block ×3, first 2 shown]
	s_waitcnt lgkmcnt(0)
	v_fma_f64 v[8:9], -v[24:25], v[10:11], v[8:9]
	v_fma_f64 v[8:9], -v[22:23], v[12:13], v[8:9]
	;; [unrolled: 1-line block ×5, first 2 shown]
	v_mul_f64 v[32:33], v[8:9], v[20:21]
	flat_store_dwordx2 v[2:3], v[32:33] offset:40
	ds_read_b128 v[8:11], v36 offset:480
	ds_read_b128 v[12:15], v36 offset:496
	;; [unrolled: 1-line block ×3, first 2 shown]
	ds_read_b64 v[20:21], v34 offset:624
	s_waitcnt lgkmcnt(0)
	v_fma_f64 v[6:7], -v[24:25], v[8:9], v[6:7]
	v_fma_f64 v[6:7], -v[22:23], v[10:11], v[6:7]
	v_fma_f64 v[6:7], -v[26:27], v[12:13], v[6:7]
	v_fma_f64 v[6:7], -v[28:29], v[14:15], v[6:7]
	v_fma_f64 v[6:7], -v[30:31], v[16:17], v[6:7]
	v_fma_f64 v[6:7], -v[32:33], v[18:19], v[6:7]
	v_mul_f64 v[34:35], v[6:7], v[20:21]
	flat_store_dwordx2 v[2:3], v[34:35] offset:48
	ds_read_b128 v[6:9], v36 offset:576
	ds_read_b128 v[10:13], v36 offset:592
	;; [unrolled: 1-line block ×4, first 2 shown]
	s_waitcnt lgkmcnt(0)
	v_fma_f64 v[4:5], -v[24:25], v[6:7], v[4:5]
	v_fma_f64 v[4:5], -v[22:23], v[8:9], v[4:5]
	;; [unrolled: 1-line block ×7, first 2 shown]
	v_mul_f64 v[4:5], v[4:5], v[20:21]
	flat_store_dwordx2 v[2:3], v[4:5] offset:56
.LBB78_19:
	s_cmp_ge_i32 s0, s22
	s_cbranch_scc1 .LBB78_24
; %bb.20:
	s_mul_i32 s2, s0, 0x60
	s_mov_b32 s1, 0
	s_branch .LBB78_22
.LBB78_21:                              ;   in Loop: Header=BB78_22 Depth=1
	s_mul_i32 s3, s0, 0x68
	v_mov_b32_e32 v6, s3
	ds_read_b64 v[6:7], v6
	s_add_i32 s0, s0, 1
	s_addk_i32 s2, 0x60
	s_cmp_ge_i32 s0, s22
	s_waitcnt lgkmcnt(0)
	v_mul_f64 v[4:5], v[4:5], v[6:7]
	flat_store_dwordx2 v[2:3], v[4:5]
	s_cbranch_scc1 .LBB78_24
.LBB78_22:                              ; =>This Loop Header: Depth=1
                                        ;     Child Loop BB78_23 Depth 2
	v_lshl_add_u64 v[2:3], s[0:1], 3, v[0:1]
	flat_load_dwordx2 v[4:5], v[2:3]
	s_cmp_eq_u32 s0, 0
	v_mov_b64_e32 v[6:7], v[0:1]
	s_mov_b32 s3, s0
	s_mov_b32 s6, s2
	s_waitcnt vmcnt(0) lgkmcnt(0)
	v_mul_f64 v[4:5], s[4:5], v[4:5]
	s_cbranch_scc1 .LBB78_21
.LBB78_23:                              ;   Parent Loop BB78_22 Depth=1
                                        ; =>  This Inner Loop Header: Depth=2
	flat_load_dwordx2 v[8:9], v[6:7]
	v_mov_b32_e32 v10, s6
	ds_read_b64 v[10:11], v10
	s_add_i32 s6, s6, 8
	s_add_i32 s3, s3, -1
	v_lshl_add_u64 v[6:7], v[6:7], 0, 8
	s_cmp_lg_u32 s3, 0
	s_waitcnt vmcnt(0) lgkmcnt(0)
	v_fma_f64 v[4:5], -v[8:9], v[10:11], v[4:5]
	s_cbranch_scc1 .LBB78_23
	s_branch .LBB78_21
.LBB78_24:
	s_mov_b64 s[0:1], 0
.LBB78_25:
	s_and_b64 vcc, exec, s[0:1]
	s_cbranch_vccz .LBB78_51
; %bb.26:
	s_add_i32 s8, s22, -1
	s_cmp_gt_i32 s10, 11
	s_mov_b32 s0, -1
	s_cbranch_scc0 .LBB78_28
; %bb.27:
	flat_load_dwordx4 v[2:5], v[0:1] offset:80
	flat_load_dwordx4 v[6:9], v[0:1] offset:64
	;; [unrolled: 1-line block ×4, first 2 shown]
	v_mov_b32_e32 v48, 0
	ds_read_b64 v[18:19], v48 offset:1144
	s_waitcnt vmcnt(0) lgkmcnt(0)
	v_mul_f64 v[4:5], s[4:5], v[4:5]
	v_mul_f64 v[22:23], v[4:5], v[18:19]
	flat_store_dwordx2 v[0:1], v[22:23] offset:88
	ds_read_b64 v[4:5], v48 offset:1136
	ds_read_b64 v[18:19], v48 offset:1040
	s_waitcnt lgkmcnt(0)
	v_mul_f64 v[4:5], v[22:23], v[4:5]
	v_fma_f64 v[2:3], s[4:5], v[2:3], -v[4:5]
	v_mul_f64 v[24:25], v[2:3], v[18:19]
	flat_store_dwordx2 v[0:1], v[24:25] offset:80
	ds_read_b64 v[2:3], v48 offset:1128
	ds_read_b64 v[4:5], v48 offset:1032
	;; [unrolled: 1-line block ×3, first 2 shown]
	s_waitcnt lgkmcnt(0)
	v_mul_f64 v[2:3], v[22:23], v[2:3]
	v_fma_f64 v[2:3], s[4:5], v[8:9], -v[2:3]
	v_fma_f64 v[2:3], -v[24:25], v[4:5], v[2:3]
	v_mul_f64 v[8:9], v[2:3], v[18:19]
	flat_store_dwordx2 v[0:1], v[8:9] offset:72
	ds_read_b64 v[26:27], v48 offset:1120
	flat_load_dwordx4 v[2:5], v[0:1] offset:16
	flat_load_dwordx4 v[18:21], v[0:1]
	ds_read_b64 v[28:29], v48 offset:1024
	ds_read_b64 v[30:31], v48 offset:928
	;; [unrolled: 1-line block ×3, first 2 shown]
	s_waitcnt lgkmcnt(0)
	v_mul_f64 v[26:27], v[22:23], v[26:27]
	v_fma_f64 v[6:7], s[4:5], v[6:7], -v[26:27]
	v_fma_f64 v[6:7], -v[24:25], v[28:29], v[6:7]
	v_fma_f64 v[6:7], -v[8:9], v[30:31], v[6:7]
	v_mul_f64 v[6:7], v[6:7], v[32:33]
	flat_store_dwordx2 v[0:1], v[6:7] offset:64
	ds_read_b64 v[26:27], v48 offset:1112
	ds_read_b64 v[28:29], v48 offset:1016
	;; [unrolled: 1-line block ×5, first 2 shown]
	s_waitcnt lgkmcnt(0)
	v_mul_f64 v[26:27], v[22:23], v[26:27]
	v_fma_f64 v[12:13], s[4:5], v[12:13], -v[26:27]
	v_fma_f64 v[12:13], -v[24:25], v[28:29], v[12:13]
	v_fma_f64 v[12:13], -v[8:9], v[30:31], v[12:13]
	;; [unrolled: 1-line block ×3, first 2 shown]
	v_mul_f64 v[12:13], v[12:13], v[34:35]
	flat_store_dwordx2 v[0:1], v[12:13] offset:56
	ds_read_b64 v[26:27], v48 offset:1104
	ds_read_b64 v[28:29], v48 offset:1008
	;; [unrolled: 1-line block ×6, first 2 shown]
	s_waitcnt lgkmcnt(0)
	v_mul_f64 v[26:27], v[22:23], v[26:27]
	v_fma_f64 v[10:11], s[4:5], v[10:11], -v[26:27]
	v_fma_f64 v[10:11], -v[24:25], v[28:29], v[10:11]
	v_fma_f64 v[10:11], -v[8:9], v[30:31], v[10:11]
	;; [unrolled: 1-line block ×4, first 2 shown]
	v_mul_f64 v[10:11], v[10:11], v[36:37]
	flat_store_dwordx2 v[0:1], v[10:11] offset:48
	ds_read_b64 v[26:27], v48 offset:1096
	ds_read_b64 v[28:29], v48 offset:1000
	ds_read_b64 v[30:31], v48 offset:904
	ds_read_b64 v[32:33], v48 offset:808
	ds_read_b64 v[34:35], v48 offset:712
	ds_read_b64 v[36:37], v48 offset:616
	ds_read_b64 v[38:39], v48 offset:520
	s_waitcnt lgkmcnt(0)
	v_mul_f64 v[26:27], v[22:23], v[26:27]
	v_fma_f64 v[16:17], s[4:5], v[16:17], -v[26:27]
	v_fma_f64 v[16:17], -v[24:25], v[28:29], v[16:17]
	v_fma_f64 v[16:17], -v[8:9], v[30:31], v[16:17]
	;; [unrolled: 1-line block ×5, first 2 shown]
	v_mul_f64 v[16:17], v[16:17], v[38:39]
	flat_store_dwordx2 v[0:1], v[16:17] offset:40
	ds_read_b64 v[26:27], v48 offset:1088
	ds_read_b64 v[28:29], v48 offset:992
	;; [unrolled: 1-line block ×8, first 2 shown]
	s_waitcnt lgkmcnt(0)
	v_mul_f64 v[26:27], v[22:23], v[26:27]
	v_fma_f64 v[14:15], s[4:5], v[14:15], -v[26:27]
	v_fma_f64 v[14:15], -v[24:25], v[28:29], v[14:15]
	v_fma_f64 v[14:15], -v[8:9], v[30:31], v[14:15]
	;; [unrolled: 1-line block ×6, first 2 shown]
	v_mul_f64 v[14:15], v[14:15], v[40:41]
	flat_store_dwordx2 v[0:1], v[14:15] offset:32
	ds_read_b64 v[26:27], v48 offset:1080
	ds_read_b64 v[28:29], v48 offset:984
	;; [unrolled: 1-line block ×9, first 2 shown]
	s_waitcnt lgkmcnt(0)
	v_mul_f64 v[26:27], v[22:23], v[26:27]
	s_waitcnt vmcnt(0)
	v_fma_f64 v[4:5], s[4:5], v[4:5], -v[26:27]
	v_fma_f64 v[4:5], -v[24:25], v[28:29], v[4:5]
	v_fma_f64 v[4:5], -v[8:9], v[30:31], v[4:5]
	;; [unrolled: 1-line block ×7, first 2 shown]
	v_mul_f64 v[26:27], v[4:5], v[42:43]
	flat_store_dwordx2 v[0:1], v[26:27] offset:24
	ds_read_b64 v[4:5], v48 offset:1072
	ds_read_b64 v[28:29], v48 offset:976
	;; [unrolled: 1-line block ×10, first 2 shown]
	s_waitcnt lgkmcnt(0)
	v_mul_f64 v[4:5], v[22:23], v[4:5]
	v_fma_f64 v[2:3], s[4:5], v[2:3], -v[4:5]
	v_fma_f64 v[2:3], -v[24:25], v[28:29], v[2:3]
	v_fma_f64 v[2:3], -v[8:9], v[30:31], v[2:3]
	;; [unrolled: 1-line block ×8, first 2 shown]
	v_mul_f64 v[28:29], v[2:3], v[44:45]
	flat_store_dwordx2 v[0:1], v[28:29] offset:16
	ds_read_b64 v[2:3], v48 offset:1064
	ds_read_b64 v[4:5], v48 offset:968
	;; [unrolled: 1-line block ×11, first 2 shown]
	s_waitcnt lgkmcnt(0)
	v_mul_f64 v[2:3], v[22:23], v[2:3]
	v_fma_f64 v[2:3], s[4:5], v[20:21], -v[2:3]
	v_fma_f64 v[2:3], -v[24:25], v[4:5], v[2:3]
	v_fma_f64 v[2:3], -v[8:9], v[30:31], v[2:3]
	;; [unrolled: 1-line block ×9, first 2 shown]
	v_mul_f64 v[20:21], v[2:3], v[46:47]
	flat_store_dwordx2 v[0:1], v[20:21] offset:8
	ds_read_b64 v[2:3], v48 offset:1056
	ds_read_b64 v[4:5], v48 offset:960
	;; [unrolled: 1-line block ×10, first 2 shown]
	s_waitcnt lgkmcnt(0)
	v_mul_f64 v[2:3], v[22:23], v[2:3]
	v_fma_f64 v[2:3], s[4:5], v[18:19], -v[2:3]
	v_fma_f64 v[2:3], -v[24:25], v[4:5], v[2:3]
	v_fma_f64 v[2:3], -v[8:9], v[30:31], v[2:3]
	;; [unrolled: 1-line block ×5, first 2 shown]
	ds_read2_b64 v[2:5], v48 offset1:12
	v_fma_f64 v[6:7], -v[16:17], v[38:39], v[6:7]
	v_fma_f64 v[6:7], -v[14:15], v[40:41], v[6:7]
	;; [unrolled: 1-line block ×4, first 2 shown]
	s_waitcnt lgkmcnt(0)
	v_fma_f64 v[4:5], -v[20:21], v[4:5], v[6:7]
	v_mul_f64 v[2:3], v[4:5], v[2:3]
	flat_store_dwordx2 v[0:1], v[2:3]
	s_cmp_gt_i32 s0, -1
	s_cbranch_scc1 .LBB78_29
	s_branch .LBB78_51
.LBB78_28:
	s_mov_b32 s0, s8
	s_cmp_gt_i32 s0, -1
	s_cbranch_scc0 .LBB78_51
.LBB78_29:
	s_cmp_lt_u32 s0, 7
	s_cbranch_scc1 .LBB78_34
; %bb.30:
	s_mov_b32 s3, 0
	s_mov_b32 s1, s3
	v_lshl_add_u64 v[10:11], s[0:1], 3, v[0:1]
	v_add_co_u32_e32 v12, vcc, -8, v10
	s_cmp_le_i32 s8, s0
	s_nop 0
	v_addc_co_u32_e32 v13, vcc, -1, v11, vcc
	v_add_co_u32_e32 v14, vcc, 0xffffffe8, v10
	s_nop 1
	v_addc_co_u32_e32 v15, vcc, -1, v11, vcc
	flat_load_dwordx4 v[2:5], v[12:13]
	flat_load_dwordx4 v[6:9], v[14:15]
	v_add_co_u32_e32 v12, vcc, 0xffffffd8, v10
	s_waitcnt vmcnt(0) lgkmcnt(0)
	v_mul_f64 v[18:19], s[4:5], v[4:5]
	v_addc_co_u32_e32 v13, vcc, -1, v11, vcc
	flat_load_dwordx4 v[20:23], v[12:13]
	v_add_co_u32_e32 v12, vcc, 0xffffffc8, v10
	v_mul_f64 v[16:17], s[4:5], v[2:3]
	s_nop 0
	v_addc_co_u32_e32 v13, vcc, -1, v11, vcc
	flat_load_dwordx4 v[24:27], v[12:13]
	v_mul_f64 v[14:15], s[4:5], v[8:9]
	v_mul_f64 v[12:13], s[4:5], v[6:7]
	s_waitcnt vmcnt(0) lgkmcnt(0)
	v_mul_f64 v[8:9], s[4:5], v[22:23]
	v_mul_f64 v[6:7], s[4:5], v[20:21]
	;; [unrolled: 1-line block ×4, first 2 shown]
	s_cbranch_scc1 .LBB78_33
; %bb.31:
	s_mul_i32 s1, s22, 0x60
	s_lshl_b32 s2, s0, 3
	s_add_i32 s1, s1, s2
	s_addk_i32 s1, 0xff68
	s_mov_b32 s2, s8
.LBB78_32:                              ; =>This Inner Loop Header: Depth=1
	v_lshl_add_u64 v[20:21], s[2:3], 3, v[0:1]
	flat_load_dwordx2 v[36:37], v[20:21]
	v_mov_b32_e32 v32, s1
	ds_read2_b64 v[20:23], v32 offset0:6 offset1:7
	ds_read2_b64 v[24:27], v32 offset0:4 offset1:5
	;; [unrolled: 1-line block ×3, first 2 shown]
	ds_read2_b64 v[32:35], v32 offset1:1
	s_add_i32 s2, s2, -1
	s_addk_i32 s1, 0xffa0
	s_cmp_gt_i32 s2, s0
	s_waitcnt vmcnt(0) lgkmcnt(0)
	v_fma_f64 v[18:19], -v[36:37], v[22:23], v[18:19]
	v_fma_f64 v[16:17], -v[36:37], v[20:21], v[16:17]
	;; [unrolled: 1-line block ×8, first 2 shown]
	s_cbranch_scc1 .LBB78_32
.LBB78_33:
	s_mul_i32 s1, s0, 0x68
	v_mov_b32_e32 v20, s1
	ds_read_b64 v[20:21], v20
	s_add_i32 s2, s0, -1
	s_mul_i32 s1, s0, 0x60
	s_lshl_b32 s3, s2, 3
	s_add_i32 s6, s3, s1
	s_waitcnt lgkmcnt(0)
	v_mul_f64 v[18:19], v[18:19], v[20:21]
	flat_store_dwordx2 v[10:11], v[18:19]
	v_mov_b32_e32 v10, s6
	s_add_i32 s6, s1, 0xffffffa0
	s_add_i32 s3, s3, s6
	v_mov_b32_e32 v20, s3
	ds_read_b64 v[10:11], v10
	ds_read_b64 v[20:21], v20
	s_mov_b32 s3, 0
	s_waitcnt lgkmcnt(0)
	v_fma_f64 v[10:11], -v[18:19], v[10:11], v[16:17]
	v_lshl_add_u64 v[16:17], s[2:3], 3, v[0:1]
	s_add_i32 s2, s0, -2
	s_lshl_b32 s7, s2, 3
	v_mul_f64 v[10:11], v[10:11], v[20:21]
	s_add_i32 s9, s7, s1
	flat_store_dwordx2 v[16:17], v[10:11]
	v_mov_b32_e32 v16, s9
	s_add_i32 s9, s7, s6
	v_mov_b32_e32 v20, s9
	s_add_i32 s9, s1, 0xffffff40
	s_add_i32 s7, s7, s9
	v_mov_b32_e32 v22, s7
	ds_read_b64 v[16:17], v16
	ds_read_b64 v[20:21], v20
	;; [unrolled: 1-line block ×3, first 2 shown]
	s_waitcnt lgkmcnt(0)
	v_fma_f64 v[14:15], -v[18:19], v[16:17], v[14:15]
	v_lshl_add_u64 v[16:17], s[2:3], 3, v[0:1]
	s_add_i32 s2, s0, -3
	v_fma_f64 v[14:15], -v[10:11], v[20:21], v[14:15]
	s_lshl_b32 s7, s2, 3
	v_mul_f64 v[14:15], v[14:15], v[22:23]
	s_add_i32 s10, s7, s1
	flat_store_dwordx2 v[16:17], v[14:15]
	v_mov_b32_e32 v16, s10
	s_add_i32 s10, s7, s6
	v_mov_b32_e32 v20, s10
	s_add_i32 s10, s7, s9
	v_mov_b32_e32 v22, s10
	s_add_i32 s10, s1, 0xfffffee0
	s_add_i32 s7, s7, s10
	v_mov_b32_e32 v24, s7
	ds_read_b64 v[16:17], v16
	ds_read_b64 v[20:21], v20
	;; [unrolled: 1-line block ×4, first 2 shown]
	s_waitcnt lgkmcnt(0)
	v_fma_f64 v[12:13], -v[18:19], v[16:17], v[12:13]
	v_fma_f64 v[12:13], -v[10:11], v[20:21], v[12:13]
	v_lshl_add_u64 v[16:17], s[2:3], 3, v[0:1]
	s_add_i32 s2, s0, -4
	v_fma_f64 v[12:13], -v[14:15], v[22:23], v[12:13]
	s_lshl_b32 s7, s2, 3
	v_mul_f64 v[12:13], v[12:13], v[24:25]
	s_add_i32 s11, s7, s1
	flat_store_dwordx2 v[16:17], v[12:13]
	v_mov_b32_e32 v16, s11
	s_add_i32 s11, s7, s6
	v_mov_b32_e32 v20, s11
	s_add_i32 s11, s7, s9
	;; [unrolled: 2-line block ×4, first 2 shown]
	s_add_i32 s7, s7, s11
	ds_read_b64 v[16:17], v16
	ds_read_b64 v[20:21], v20
	;; [unrolled: 1-line block ×4, first 2 shown]
	v_mov_b32_e32 v26, s7
	ds_read_b64 v[26:27], v26
	s_waitcnt lgkmcnt(0)
	v_fma_f64 v[8:9], -v[18:19], v[16:17], v[8:9]
	v_fma_f64 v[8:9], -v[10:11], v[20:21], v[8:9]
	;; [unrolled: 1-line block ×3, first 2 shown]
	v_lshl_add_u64 v[16:17], s[2:3], 3, v[0:1]
	s_add_i32 s2, s0, -5
	v_fma_f64 v[8:9], -v[12:13], v[24:25], v[8:9]
	s_lshl_b32 s7, s2, 3
	v_mul_f64 v[8:9], v[8:9], v[26:27]
	s_add_i32 s12, s7, s1
	flat_store_dwordx2 v[16:17], v[8:9]
	v_mov_b32_e32 v16, s12
	ds_read_b64 v[16:17], v16
	s_add_i32 s12, s7, s6
	v_mov_b32_e32 v20, s12
	s_add_i32 s12, s7, s9
	v_mov_b32_e32 v22, s12
	;; [unrolled: 2-line block ×3, first 2 shown]
	s_add_i32 s12, s7, s11
	s_waitcnt lgkmcnt(0)
	v_fma_f64 v[6:7], -v[18:19], v[16:17], v[6:7]
	v_mov_b32_e32 v16, s12
	s_add_i32 s12, s1, 0xfffffe20
	ds_read_b64 v[20:21], v20
	ds_read_b64 v[22:23], v22
	;; [unrolled: 1-line block ×3, first 2 shown]
	s_add_i32 s7, s7, s12
	v_mov_b32_e32 v26, s7
	ds_read_b64 v[16:17], v16
	ds_read_b64 v[26:27], v26
	s_waitcnt lgkmcnt(0)
	v_fma_f64 v[6:7], -v[10:11], v[20:21], v[6:7]
	v_fma_f64 v[6:7], -v[14:15], v[22:23], v[6:7]
	;; [unrolled: 1-line block ×4, first 2 shown]
	v_lshl_add_u64 v[16:17], s[2:3], 3, v[0:1]
	s_add_i32 s2, s0, -6
	s_lshl_b32 s7, s2, 3
	v_mul_f64 v[6:7], v[6:7], v[26:27]
	s_add_i32 s13, s7, s1
	s_add_i32 s14, s7, s6
	flat_store_dwordx2 v[16:17], v[6:7]
	v_mov_b32_e32 v16, s13
	v_mov_b32_e32 v20, s14
	ds_read_b64 v[16:17], v16
	ds_read_b64 v[20:21], v20
	s_add_i32 s14, s7, s9
	v_mov_b32_e32 v22, s14
	s_add_i32 s14, s7, s10
	v_mov_b32_e32 v24, s14
	ds_read_b64 v[22:23], v22
	ds_read_b64 v[24:25], v24
	s_waitcnt lgkmcnt(0)
	v_fma_f64 v[4:5], -v[18:19], v[16:17], v[4:5]
	s_add_i32 s14, s7, s11
	s_add_i32 s7, s7, s12
	v_fma_f64 v[4:5], -v[10:11], v[20:21], v[4:5]
	v_mov_b32_e32 v20, s7
	s_add_i32 s7, s13, 0xfffffdc0
	v_mov_b32_e32 v16, s14
	v_mov_b32_e32 v26, s7
	ds_read_b64 v[16:17], v16
	ds_read_b64 v[20:21], v20
	;; [unrolled: 1-line block ×3, first 2 shown]
	v_fma_f64 v[4:5], -v[14:15], v[22:23], v[4:5]
	v_fma_f64 v[4:5], -v[12:13], v[24:25], v[4:5]
	s_waitcnt lgkmcnt(0)
	v_fma_f64 v[4:5], -v[8:9], v[16:17], v[4:5]
	v_lshl_add_u64 v[16:17], s[2:3], 3, v[0:1]
	s_add_i32 s2, s0, -7
	s_lshl_b32 s7, s2, 3
	v_fma_f64 v[4:5], -v[6:7], v[20:21], v[4:5]
	s_add_i32 s6, s7, s6
	v_mul_f64 v[4:5], v[4:5], v[26:27]
	s_add_i32 s1, s7, s1
	v_mov_b32_e32 v20, s6
	s_add_i32 s6, s7, s9
	flat_store_dwordx2 v[16:17], v[4:5]
	v_mov_b32_e32 v16, s1
	v_mov_b32_e32 v22, s6
	ds_read_b64 v[16:17], v16
	ds_read_b64 v[20:21], v20
	;; [unrolled: 1-line block ×3, first 2 shown]
	s_add_i32 s6, s7, s10
	v_mov_b32_e32 v24, s6
	ds_read_b64 v[24:25], v24
	s_waitcnt lgkmcnt(0)
	v_fma_f64 v[2:3], -v[18:19], v[16:17], v[2:3]
	s_add_i32 s6, s7, s11
	v_fma_f64 v[2:3], -v[10:11], v[20:21], v[2:3]
	v_mov_b32_e32 v10, s6
	s_add_i32 s6, s7, s12
	v_fma_f64 v[2:3], -v[14:15], v[22:23], v[2:3]
	v_mov_b32_e32 v14, s6
	s_addk_i32 s6, 0xffa0
	s_addk_i32 s1, 0xfd60
	v_mov_b32_e32 v16, s6
	v_mov_b32_e32 v18, s1
	ds_read_b64 v[10:11], v10
	ds_read_b64 v[14:15], v14
	;; [unrolled: 1-line block ×4, first 2 shown]
	v_fma_f64 v[2:3], -v[12:13], v[24:25], v[2:3]
	s_waitcnt lgkmcnt(0)
	v_fma_f64 v[2:3], -v[8:9], v[10:11], v[2:3]
	v_fma_f64 v[2:3], -v[6:7], v[14:15], v[2:3]
	;; [unrolled: 1-line block ×3, first 2 shown]
	v_mul_f64 v[2:3], v[2:3], v[18:19]
	v_lshl_add_u64 v[4:5], s[2:3], 3, v[0:1]
	s_add_i32 s0, s0, -8
	flat_store_dwordx2 v[4:5], v[2:3]
.LBB78_34:
	s_cmp_lt_i32 s0, 0
	s_cbranch_scc1 .LBB78_51
; %bb.35:
	s_and_b32 s1, s0, 3
	s_cmp_eq_u32 s1, 3
	s_mul_i32 s1, s22, 0x60
	s_mov_b32 s2, s0
	s_cbranch_scc1 .LBB78_40
; %bb.36:
	s_add_i32 s2, s0, 1
	s_and_b32 s9, s2, 3
	s_lshl_b32 s2, s0, 3
	s_add_i32 s2, s1, s2
	s_add_i32 s10, s2, 0xffffffa0
	s_mov_b32 s7, 0
	s_mov_b32 s2, s0
	;; [unrolled: 1-line block ×3, first 2 shown]
	s_branch .LBB78_38
.LBB78_37:                              ;   in Loop: Header=BB78_38 Depth=1
	s_mul_i32 s3, s2, 0x68
	v_mov_b32_e32 v6, s3
	ds_read_b64 v[6:7], v6
	s_add_i32 s2, s2, -1
	s_add_i32 s11, s11, 1
	s_add_i32 s10, s10, -8
	s_cmp_lg_u32 s11, s9
	s_waitcnt lgkmcnt(0)
	v_mul_f64 v[4:5], v[4:5], v[6:7]
	flat_store_dwordx2 v[2:3], v[4:5]
	s_cbranch_scc0 .LBB78_40
.LBB78_38:                              ; =>This Loop Header: Depth=1
                                        ;     Child Loop BB78_39 Depth 2
	s_mov_b32 s3, s7
	v_lshl_add_u64 v[2:3], s[2:3], 3, v[0:1]
	flat_load_dwordx2 v[4:5], v[2:3]
	s_cmp_le_i32 s8, s2
	s_mov_b32 s3, s10
	s_mov_b32 s6, s8
	s_waitcnt vmcnt(0) lgkmcnt(0)
	v_mul_f64 v[4:5], s[4:5], v[4:5]
	s_cbranch_scc1 .LBB78_37
.LBB78_39:                              ;   Parent Loop BB78_38 Depth=1
                                        ; =>  This Inner Loop Header: Depth=2
	v_lshl_add_u64 v[6:7], s[6:7], 3, v[0:1]
	flat_load_dwordx2 v[6:7], v[6:7]
	v_mov_b32_e32 v8, s3
	ds_read_b64 v[8:9], v8
	s_add_i32 s6, s6, -1
	s_addk_i32 s3, 0xffa0
	s_cmp_gt_i32 s6, s2
	s_waitcnt vmcnt(0) lgkmcnt(0)
	v_fma_f64 v[4:5], -v[6:7], v[8:9], v[4:5]
	s_cbranch_scc1 .LBB78_39
	s_branch .LBB78_37
.LBB78_40:
	s_cmp_lt_u32 s0, 3
	s_cbranch_scc1 .LBB78_51
; %bb.41:
	s_lshl_b32 s0, s2, 3
	s_add_i32 s0, s1, s0
	s_add_i32 s9, s0, 0xffffffa0
	;; [unrolled: 1-line block ×5, first 2 shown]
	s_mov_b32 s1, 0
	s_branch .LBB78_43
.LBB78_42:                              ;   in Loop: Header=BB78_43 Depth=1
	s_add_i32 s0, s3, 0xffffff98
	v_mov_b32_e32 v6, s0
	ds_read_b64 v[6:7], v6
	s_add_i32 s0, s2, -4
	s_sub_i32 s9, s9, 32
	s_sub_i32 s10, s10, 32
	;; [unrolled: 1-line block ×4, first 2 shown]
	s_waitcnt lgkmcnt(0)
	v_mul_f64 v[4:5], v[4:5], v[6:7]
	s_cmp_lt_i32 s2, 4
	s_mov_b32 s2, s0
	flat_store_dwordx2 v[2:3], v[4:5]
	s_cbranch_scc1 .LBB78_51
.LBB78_43:                              ; =>This Loop Header: Depth=1
                                        ;     Child Loop BB78_44 Depth 2
                                        ;     Child Loop BB78_46 Depth 2
	;; [unrolled: 1-line block ×4, first 2 shown]
	s_mov_b32 s3, s1
	v_lshl_add_u64 v[4:5], s[2:3], 3, v[0:1]
	flat_load_dwordx2 v[2:3], v[4:5]
	s_cmp_le_i32 s8, s2
	s_mov_b32 s3, s9
	s_mov_b32 s0, s8
	s_waitcnt vmcnt(0) lgkmcnt(0)
	v_mul_f64 v[6:7], s[4:5], v[2:3]
	s_cbranch_scc1 .LBB78_45
.LBB78_44:                              ;   Parent Loop BB78_43 Depth=1
                                        ; =>  This Inner Loop Header: Depth=2
	v_lshl_add_u64 v[2:3], s[0:1], 3, v[0:1]
	flat_load_dwordx2 v[2:3], v[2:3]
	v_mov_b32_e32 v8, s3
	ds_read_b64 v[8:9], v8
	s_add_i32 s0, s0, -1
	s_addk_i32 s3, 0xffa0
	s_cmp_gt_i32 s0, s2
	s_waitcnt vmcnt(0) lgkmcnt(0)
	v_fma_f64 v[6:7], -v[2:3], v[8:9], v[6:7]
	s_cbranch_scc1 .LBB78_44
.LBB78_45:                              ;   in Loop: Header=BB78_43 Depth=1
	s_add_i32 s0, s2, -1
	v_lshl_add_u64 v[2:3], s[0:1], 3, v[0:1]
	flat_load_dwordx2 v[8:9], v[2:3]
	s_mul_i32 s3, s2, 0x68
	v_mov_b32_e32 v10, s3
	ds_read_b64 v[10:11], v10
	s_mov_b32 s6, s10
	s_cmp_le_i32 s22, s2
	s_mov_b32 s0, s22
	s_waitcnt lgkmcnt(0)
	v_mul_f64 v[6:7], v[6:7], v[10:11]
	flat_store_dwordx2 v[4:5], v[6:7]
	s_waitcnt vmcnt(0)
	v_mul_f64 v[6:7], s[4:5], v[8:9]
	s_cbranch_scc1 .LBB78_47
.LBB78_46:                              ;   Parent Loop BB78_43 Depth=1
                                        ; =>  This Inner Loop Header: Depth=2
	s_add_i32 s0, s0, -1
	v_lshl_add_u64 v[4:5], s[0:1], 3, v[0:1]
	flat_load_dwordx2 v[4:5], v[4:5]
	v_mov_b32_e32 v8, s6
	ds_read_b64 v[8:9], v8
	s_addk_i32 s6, 0xffa0
	s_cmp_gt_i32 s0, s2
	s_waitcnt vmcnt(0) lgkmcnt(0)
	v_fma_f64 v[6:7], -v[4:5], v[8:9], v[6:7]
	s_cbranch_scc1 .LBB78_46
.LBB78_47:                              ;   in Loop: Header=BB78_43 Depth=1
	s_add_i32 s6, s2, -2
	s_mov_b32 s7, s1
	v_lshl_add_u64 v[4:5], s[6:7], 3, v[0:1]
	flat_load_dwordx2 v[8:9], v[4:5]
	s_addk_i32 s3, 0xff98
	v_mov_b32_e32 v10, s3
	ds_read_b64 v[10:11], v10
	s_mov_b32 s7, s11
	s_cmp_le_i32 s8, s6
	s_mov_b32 s0, s8
	s_waitcnt lgkmcnt(0)
	v_mul_f64 v[6:7], v[6:7], v[10:11]
	flat_store_dwordx2 v[2:3], v[6:7]
	s_waitcnt vmcnt(0)
	v_mul_f64 v[6:7], s[4:5], v[8:9]
	s_cbranch_scc1 .LBB78_49
.LBB78_48:                              ;   Parent Loop BB78_43 Depth=1
                                        ; =>  This Inner Loop Header: Depth=2
	v_lshl_add_u64 v[2:3], s[0:1], 3, v[0:1]
	flat_load_dwordx2 v[2:3], v[2:3]
	v_mov_b32_e32 v8, s7
	ds_read_b64 v[8:9], v8
	s_add_i32 s0, s0, -1
	s_addk_i32 s7, 0xffa0
	s_cmp_gt_i32 s0, s6
	s_waitcnt vmcnt(0) lgkmcnt(0)
	v_fma_f64 v[6:7], -v[2:3], v[8:9], v[6:7]
	s_cbranch_scc1 .LBB78_48
.LBB78_49:                              ;   in Loop: Header=BB78_43 Depth=1
	s_add_i32 s6, s2, -3
	s_mov_b32 s7, s1
	v_lshl_add_u64 v[2:3], s[6:7], 3, v[0:1]
	flat_load_dwordx2 v[8:9], v[2:3]
	s_addk_i32 s3, 0xff98
	v_mov_b32_e32 v10, s3
	ds_read_b64 v[10:11], v10
	s_mov_b32 s7, s12
	s_cmp_le_i32 s8, s6
	s_mov_b32 s0, s8
	s_waitcnt lgkmcnt(0)
	v_mul_f64 v[6:7], v[6:7], v[10:11]
	flat_store_dwordx2 v[4:5], v[6:7]
	s_waitcnt vmcnt(0)
	v_mul_f64 v[4:5], s[4:5], v[8:9]
	s_cbranch_scc1 .LBB78_42
.LBB78_50:                              ;   Parent Loop BB78_43 Depth=1
                                        ; =>  This Inner Loop Header: Depth=2
	v_lshl_add_u64 v[6:7], s[0:1], 3, v[0:1]
	flat_load_dwordx2 v[6:7], v[6:7]
	v_mov_b32_e32 v8, s7
	ds_read_b64 v[8:9], v8
	s_add_i32 s0, s0, -1
	s_addk_i32 s7, 0xffa0
	s_cmp_gt_i32 s0, s6
	s_waitcnt vmcnt(0) lgkmcnt(0)
	v_fma_f64 v[4:5], -v[6:7], v[8:9], v[4:5]
	s_cbranch_scc1 .LBB78_50
	s_branch .LBB78_42
.LBB78_51:
	s_endpgm
	.section	.rodata,"a",@progbits
	.p2align	6, 0x0
	.amdhsa_kernel _ZL30rocblas_trsm_small_left_deviceILi12ELi12ELb0EddPKPKdPKPdEv13rocblas_fill_18rocblas_operation_17rocblas_diagonal_iiT3_T4_lilT5_lili
		.amdhsa_group_segment_fixed_size 1152
		.amdhsa_private_segment_fixed_size 0
		.amdhsa_kernarg_size 360
		.amdhsa_user_sgpr_count 2
		.amdhsa_user_sgpr_dispatch_ptr 0
		.amdhsa_user_sgpr_queue_ptr 0
		.amdhsa_user_sgpr_kernarg_segment_ptr 1
		.amdhsa_user_sgpr_dispatch_id 0
		.amdhsa_user_sgpr_kernarg_preload_length 0
		.amdhsa_user_sgpr_kernarg_preload_offset 0
		.amdhsa_user_sgpr_private_segment_size 0
		.amdhsa_uses_dynamic_stack 0
		.amdhsa_enable_private_segment 0
		.amdhsa_system_sgpr_workgroup_id_x 1
		.amdhsa_system_sgpr_workgroup_id_y 0
		.amdhsa_system_sgpr_workgroup_id_z 1
		.amdhsa_system_sgpr_workgroup_info 0
		.amdhsa_system_vgpr_workitem_id 0
		.amdhsa_next_free_vgpr 61
		.amdhsa_next_free_sgpr 26
		.amdhsa_accum_offset 64
		.amdhsa_reserve_vcc 1
		.amdhsa_float_round_mode_32 0
		.amdhsa_float_round_mode_16_64 0
		.amdhsa_float_denorm_mode_32 3
		.amdhsa_float_denorm_mode_16_64 3
		.amdhsa_dx10_clamp 1
		.amdhsa_ieee_mode 1
		.amdhsa_fp16_overflow 0
		.amdhsa_tg_split 0
		.amdhsa_exception_fp_ieee_invalid_op 0
		.amdhsa_exception_fp_denorm_src 0
		.amdhsa_exception_fp_ieee_div_zero 0
		.amdhsa_exception_fp_ieee_overflow 0
		.amdhsa_exception_fp_ieee_underflow 0
		.amdhsa_exception_fp_ieee_inexact 0
		.amdhsa_exception_int_div_zero 0
	.end_amdhsa_kernel
	.section	.text._ZL30rocblas_trsm_small_left_deviceILi12ELi12ELb0EddPKPKdPKPdEv13rocblas_fill_18rocblas_operation_17rocblas_diagonal_iiT3_T4_lilT5_lili,"axG",@progbits,_ZL30rocblas_trsm_small_left_deviceILi12ELi12ELb0EddPKPKdPKPdEv13rocblas_fill_18rocblas_operation_17rocblas_diagonal_iiT3_T4_lilT5_lili,comdat
.Lfunc_end78:
	.size	_ZL30rocblas_trsm_small_left_deviceILi12ELi12ELb0EddPKPKdPKPdEv13rocblas_fill_18rocblas_operation_17rocblas_diagonal_iiT3_T4_lilT5_lili, .Lfunc_end78-_ZL30rocblas_trsm_small_left_deviceILi12ELi12ELb0EddPKPKdPKPdEv13rocblas_fill_18rocblas_operation_17rocblas_diagonal_iiT3_T4_lilT5_lili
                                        ; -- End function
	.set _ZL30rocblas_trsm_small_left_deviceILi12ELi12ELb0EddPKPKdPKPdEv13rocblas_fill_18rocblas_operation_17rocblas_diagonal_iiT3_T4_lilT5_lili.num_vgpr, 61
	.set _ZL30rocblas_trsm_small_left_deviceILi12ELi12ELb0EddPKPKdPKPdEv13rocblas_fill_18rocblas_operation_17rocblas_diagonal_iiT3_T4_lilT5_lili.num_agpr, 0
	.set _ZL30rocblas_trsm_small_left_deviceILi12ELi12ELb0EddPKPKdPKPdEv13rocblas_fill_18rocblas_operation_17rocblas_diagonal_iiT3_T4_lilT5_lili.numbered_sgpr, 26
	.set _ZL30rocblas_trsm_small_left_deviceILi12ELi12ELb0EddPKPKdPKPdEv13rocblas_fill_18rocblas_operation_17rocblas_diagonal_iiT3_T4_lilT5_lili.num_named_barrier, 0
	.set _ZL30rocblas_trsm_small_left_deviceILi12ELi12ELb0EddPKPKdPKPdEv13rocblas_fill_18rocblas_operation_17rocblas_diagonal_iiT3_T4_lilT5_lili.private_seg_size, 0
	.set _ZL30rocblas_trsm_small_left_deviceILi12ELi12ELb0EddPKPKdPKPdEv13rocblas_fill_18rocblas_operation_17rocblas_diagonal_iiT3_T4_lilT5_lili.uses_vcc, 1
	.set _ZL30rocblas_trsm_small_left_deviceILi12ELi12ELb0EddPKPKdPKPdEv13rocblas_fill_18rocblas_operation_17rocblas_diagonal_iiT3_T4_lilT5_lili.uses_flat_scratch, 0
	.set _ZL30rocblas_trsm_small_left_deviceILi12ELi12ELb0EddPKPKdPKPdEv13rocblas_fill_18rocblas_operation_17rocblas_diagonal_iiT3_T4_lilT5_lili.has_dyn_sized_stack, 0
	.set _ZL30rocblas_trsm_small_left_deviceILi12ELi12ELb0EddPKPKdPKPdEv13rocblas_fill_18rocblas_operation_17rocblas_diagonal_iiT3_T4_lilT5_lili.has_recursion, 0
	.set _ZL30rocblas_trsm_small_left_deviceILi12ELi12ELb0EddPKPKdPKPdEv13rocblas_fill_18rocblas_operation_17rocblas_diagonal_iiT3_T4_lilT5_lili.has_indirect_call, 0
	.section	.AMDGPU.csdata,"",@progbits
; Kernel info:
; codeLenInByte = 7152
; TotalNumSgprs: 32
; NumVgprs: 61
; NumAgprs: 0
; TotalNumVgprs: 61
; ScratchSize: 0
; MemoryBound: 0
; FloatMode: 240
; IeeeMode: 1
; LDSByteSize: 1152 bytes/workgroup (compile time only)
; SGPRBlocks: 3
; VGPRBlocks: 7
; NumSGPRsForWavesPerEU: 32
; NumVGPRsForWavesPerEU: 61
; AccumOffset: 64
; Occupancy: 8
; WaveLimiterHint : 1
; COMPUTE_PGM_RSRC2:SCRATCH_EN: 0
; COMPUTE_PGM_RSRC2:USER_SGPR: 2
; COMPUTE_PGM_RSRC2:TRAP_HANDLER: 0
; COMPUTE_PGM_RSRC2:TGID_X_EN: 1
; COMPUTE_PGM_RSRC2:TGID_Y_EN: 0
; COMPUTE_PGM_RSRC2:TGID_Z_EN: 1
; COMPUTE_PGM_RSRC2:TIDIG_COMP_CNT: 0
; COMPUTE_PGM_RSRC3_GFX90A:ACCUM_OFFSET: 15
; COMPUTE_PGM_RSRC3_GFX90A:TG_SPLIT: 0
	.section	.text._ZL38rocblas_trsm_small_left_device_sharedBILi12ELi12ELb1EddPKPKdPKPdEv13rocblas_fill_18rocblas_operation_17rocblas_diagonal_iiT3_T4_lilT5_lili,"axG",@progbits,_ZL38rocblas_trsm_small_left_device_sharedBILi12ELi12ELb1EddPKPKdPKPdEv13rocblas_fill_18rocblas_operation_17rocblas_diagonal_iiT3_T4_lilT5_lili,comdat
	.globl	_ZL38rocblas_trsm_small_left_device_sharedBILi12ELi12ELb1EddPKPKdPKPdEv13rocblas_fill_18rocblas_operation_17rocblas_diagonal_iiT3_T4_lilT5_lili ; -- Begin function _ZL38rocblas_trsm_small_left_device_sharedBILi12ELi12ELb1EddPKPKdPKPdEv13rocblas_fill_18rocblas_operation_17rocblas_diagonal_iiT3_T4_lilT5_lili
	.p2align	8
	.type	_ZL38rocblas_trsm_small_left_device_sharedBILi12ELi12ELb1EddPKPKdPKPdEv13rocblas_fill_18rocblas_operation_17rocblas_diagonal_iiT3_T4_lilT5_lili,@function
_ZL38rocblas_trsm_small_left_device_sharedBILi12ELi12ELb1EddPKPKdPKPdEv13rocblas_fill_18rocblas_operation_17rocblas_diagonal_iiT3_T4_lilT5_lili: ; @_ZL38rocblas_trsm_small_left_device_sharedBILi12ELi12ELb1EddPKPKdPKPdEv13rocblas_fill_18rocblas_operation_17rocblas_diagonal_iiT3_T4_lilT5_lili
; %bb.0:
	s_load_dwordx2 s[18:19], s[0:1], 0x28
	s_load_dwordx4 s[12:15], s[0:1], 0x40
	s_load_dwordx4 s[4:7], s[0:1], 0x4
	;; [unrolled: 1-line block ×3, first 2 shown]
	s_mov_b32 s16, s3
	s_mov_b32 s17, 0
	s_lshl_b64 s[20:21], s[16:17], 3
	s_waitcnt lgkmcnt(0)
	s_add_u32 s12, s12, s20
	s_addc_u32 s13, s13, s21
	s_load_dwordx2 s[12:13], s[12:13], 0x0
	s_min_i32 s22, s6, 12
	v_cmp_gt_i32_e32 vcc, s22, v0
	s_and_saveexec_b64 s[16:17], vcc
	s_cbranch_execz .LBB79_6
; %bb.1:
	s_load_dword s24, s[0:1], 0x30
	v_lshlrev_b32_e32 v2, 3, v0
	v_mov_b32_e32 v3, 0
	v_mov_b32_e32 v1, v2
	s_mov_b32 s3, s22
	s_waitcnt lgkmcnt(0)
	s_ashr_i32 s25, s24, 31
	s_add_u32 s10, s10, s20
	s_addc_u32 s11, s11, s21
	s_load_dwordx2 s[10:11], s[10:11], 0x0
	s_lshl_b64 s[18:19], s[18:19], 3
	s_waitcnt lgkmcnt(0)
	s_add_u32 s18, s10, s18
	s_addc_u32 s19, s11, s19
	s_lshl_b64 s[10:11], s[24:25], 3
	v_lshl_add_u64 v[4:5], s[18:19], 0, v[2:3]
.LBB79_2:                               ; =>This Inner Loop Header: Depth=1
	flat_load_dwordx2 v[6:7], v[4:5]
	s_add_i32 s3, s3, -1
	v_lshl_add_u64 v[4:5], v[4:5], 0, s[10:11]
	s_cmp_eq_u32 s3, 0
	s_waitcnt vmcnt(0) lgkmcnt(0)
	ds_write_b64 v1, v[6:7]
	v_add_u32_e32 v1, 0x60, v1
	s_cbranch_scc0 .LBB79_2
; %bb.3:
	v_mul_u32_u24_e32 v1, 0x60, v0
	s_cmpk_lg_i32 s5, 0x84
	v_mov_b64_e32 v[4:5], 1.0
	v_add_u32_e32 v1, v2, v1
	s_cbranch_scc0 .LBB79_5
; %bb.4:
	ds_read_b64 v[2:3], v1
	s_waitcnt lgkmcnt(0)
	v_div_scale_f64 v[4:5], s[10:11], v[2:3], v[2:3], 1.0
	v_rcp_f64_e32 v[6:7], v[4:5]
	v_div_scale_f64 v[8:9], vcc, 1.0, v[2:3], 1.0
	v_fma_f64 v[10:11], -v[4:5], v[6:7], 1.0
	v_fmac_f64_e32 v[6:7], v[6:7], v[10:11]
	v_fma_f64 v[10:11], -v[4:5], v[6:7], 1.0
	v_fmac_f64_e32 v[6:7], v[6:7], v[10:11]
	v_mul_f64 v[10:11], v[8:9], v[6:7]
	v_fma_f64 v[4:5], -v[4:5], v[10:11], v[8:9]
	v_div_fmas_f64 v[4:5], v[4:5], v[6:7], v[10:11]
	v_div_fixup_f64 v[4:5], v[4:5], v[2:3], 1.0
.LBB79_5:
	ds_write_b64 v1, v[4:5]
.LBB79_6:
	s_or_b64 exec, exec, s[16:17]
	s_load_dword s3, s[0:1], 0x68
	s_load_dword s16, s[0:1], 0x50
	s_lshl_b64 s[0:1], s[14:15], 3
	s_waitcnt lgkmcnt(0)
	s_add_u32 s5, s12, s0
	s_mul_i32 s0, s2, -12
	s_addc_u32 s10, s13, s1
	s_add_i32 s3, s3, -1
	s_add_i32 s0, s7, s0
	s_cmp_ge_u32 s2, s3
	s_mul_i32 s2, s2, 12
	s_cselect_b32 s7, s0, 12
	s_mul_hi_i32 s1, s16, s2
	s_mul_i32 s0, s16, s2
	s_lshl_b64 s[0:1], s[0:1], 3
	s_add_u32 s2, s5, s0
	s_addc_u32 s3, s10, s1
	s_cmp_gt_i32 s6, 0
	v_cmp_gt_i32_e64 s[0:1], s7, v0
	s_cselect_b64 s[10:11], -1, 0
	s_and_b64 s[14:15], s[0:1], s[10:11]
	s_and_saveexec_b64 s[12:13], s[14:15]
	s_cbranch_execz .LBB79_9
; %bb.7:
	v_mad_i64_i32 v[2:3], s[14:15], s16, v0, 0
	v_mov_b32_e32 v1, 0x480
	v_lshl_add_u64 v[2:3], v[2:3], 3, s[2:3]
	v_lshl_or_b32 v1, v0, 3, v1
	s_mov_b32 s5, s22
.LBB79_8:                               ; =>This Inner Loop Header: Depth=1
	flat_load_dwordx2 v[4:5], v[2:3]
	s_add_i32 s5, s5, -1
	v_lshl_add_u64 v[2:3], v[2:3], 0, 8
	s_cmp_lg_u32 s5, 0
	s_waitcnt vmcnt(0) lgkmcnt(0)
	v_mul_f64 v[4:5], s[8:9], v[4:5]
	ds_write_b64 v1, v[4:5]
	v_add_u32_e32 v1, 0x60, v1
	s_cbranch_scc1 .LBB79_8
.LBB79_9:
	s_or_b64 exec, exec, s[12:13]
	v_mov_b32_e32 v1, 0x480
	s_cmpk_eq_i32 s4, 0x6f
	v_lshl_or_b32 v1, v0, 3, v1
	s_mov_b64 s[4:5], -1
	s_waitcnt lgkmcnt(0)
	; wave barrier
	s_cbranch_scc1 .LBB79_32
; %bb.10:
	s_add_i32 s4, s22, -1
	s_cmp_gt_i32 s6, 11
	s_mov_b32 s5, -1
	s_cbranch_scc0 .LBB79_12
; %bb.11:
	ds_read2_b64 v[8:11], v1 offset0:120 offset1:132
	ds_read2_b64 v[12:15], v1 offset0:96 offset1:108
	;; [unrolled: 1-line block ×3, first 2 shown]
	v_mov_b32_e32 v48, 0
	ds_read2_b64 v[20:23], v48 offset0:119 offset1:143
	ds_read2_b64 v[24:27], v1 offset0:48 offset1:60
	ds_read_b128 v[28:31], v48 offset:1040
	ds_read2_b64 v[32:35], v1 offset0:24 offset1:36
	ds_read2_b64 v[2:5], v1 offset1:12
	s_waitcnt lgkmcnt(4)
	v_mul_f64 v[6:7], v[10:11], v[22:23]
	ds_read2_b64 v[36:39], v48 offset0:117 offset1:118
	s_waitcnt lgkmcnt(3)
	v_fma_f64 v[8:9], -v[6:7], v[30:31], v[8:9]
	v_mul_f64 v[8:9], v[8:9], v[28:29]
	ds_read_b128 v[28:31], v48 offset:832
	ds_read_b128 v[40:43], v48 offset:848
	v_fma_f64 v[10:11], -v[6:7], v[20:21], v[14:15]
	s_waitcnt lgkmcnt(2)
	v_fma_f64 v[10:11], -v[8:9], v[38:39], v[10:11]
	ds_read2_b64 v[20:23], v48 offset0:71 offset1:95
	v_mul_f64 v[10:11], v[10:11], v[36:37]
	s_waitcnt lgkmcnt(1)
	v_fma_f64 v[12:13], -v[6:7], v[42:43], v[12:13]
	ds_read2_b64 v[36:39], v48 offset0:93 offset1:94
	v_fma_f64 v[12:13], -v[8:9], v[40:41], v[12:13]
	v_fma_f64 v[12:13], -v[10:11], v[30:31], v[12:13]
	v_mul_f64 v[12:13], v[12:13], v[28:29]
	ds_read2_b64 v[28:31], v48 offset0:91 offset1:92
	ds_write2_b64 v1, v[8:9], v[6:7] offset0:120 offset1:132
	ds_write2_b64 v1, v[12:13], v[10:11] offset0:96 offset1:108
	s_waitcnt lgkmcnt(4)
	v_fma_f64 v[14:15], -v[6:7], v[22:23], v[18:19]
	s_waitcnt lgkmcnt(3)
	v_fma_f64 v[14:15], -v[8:9], v[38:39], v[14:15]
	ds_read_b128 v[38:41], v48 offset:640
	ds_read_b128 v[42:45], v48 offset:656
	v_fma_f64 v[14:15], -v[10:11], v[36:37], v[14:15]
	s_waitcnt lgkmcnt(4)
	v_fma_f64 v[14:15], -v[12:13], v[30:31], v[14:15]
	v_mul_f64 v[46:47], v[14:15], v[28:29]
	ds_read_b128 v[28:31], v48 offset:624
	s_waitcnt lgkmcnt(1)
	v_fma_f64 v[14:15], -v[6:7], v[44:45], v[16:17]
	v_fma_f64 v[14:15], -v[8:9], v[42:43], v[14:15]
	;; [unrolled: 1-line block ×4, first 2 shown]
	ds_read2_b64 v[14:17], v48 offset0:69 offset1:70
	s_waitcnt lgkmcnt(1)
	v_fma_f64 v[18:19], -v[46:47], v[30:31], v[18:19]
	v_mul_f64 v[40:41], v[18:19], v[28:29]
	ds_read2_b64 v[28:31], v48 offset0:67 offset1:68
	v_fma_f64 v[18:19], -v[6:7], v[20:21], v[26:27]
	s_waitcnt lgkmcnt(1)
	v_fma_f64 v[16:17], -v[8:9], v[16:17], v[18:19]
	v_fma_f64 v[18:19], -v[10:11], v[14:15], v[16:17]
	ds_read2_b64 v[14:17], v48 offset0:65 offset1:66
	ds_write2_b64 v1, v[40:41], v[46:47] offset0:72 offset1:84
	s_waitcnt lgkmcnt(2)
	v_fma_f64 v[18:19], -v[12:13], v[30:31], v[18:19]
	v_fma_f64 v[22:23], -v[46:47], v[28:29], v[18:19]
	ds_read_b128 v[18:21], v48 offset:448
	ds_read_b128 v[26:29], v48 offset:464
	s_waitcnt lgkmcnt(3)
	v_fma_f64 v[16:17], -v[40:41], v[16:17], v[22:23]
	v_mul_f64 v[42:43], v[16:17], v[14:15]
	ds_read_b128 v[14:17], v48 offset:416
	ds_read_b128 v[36:39], v48 offset:432
	s_waitcnt lgkmcnt(2)
	v_fma_f64 v[22:23], -v[6:7], v[28:29], v[24:25]
	v_fma_f64 v[22:23], -v[8:9], v[26:27], v[22:23]
	;; [unrolled: 1-line block ×4, first 2 shown]
	s_waitcnt lgkmcnt(0)
	v_fma_f64 v[18:19], -v[46:47], v[38:39], v[18:19]
	v_fma_f64 v[18:19], -v[40:41], v[36:37], v[18:19]
	;; [unrolled: 1-line block ×3, first 2 shown]
	ds_read2_b64 v[16:19], v48 offset0:23 offset1:47
	ds_read2_b64 v[20:23], v48 offset0:45 offset1:46
	v_mul_f64 v[36:37], v[24:25], v[14:15]
	ds_read2_b64 v[24:27], v48 offset0:43 offset1:44
	ds_read2_b64 v[28:31], v48 offset0:41 offset1:42
	s_waitcnt lgkmcnt(3)
	v_fma_f64 v[14:15], -v[6:7], v[18:19], v[34:35]
	s_waitcnt lgkmcnt(2)
	v_fma_f64 v[14:15], -v[8:9], v[22:23], v[14:15]
	v_fma_f64 v[14:15], -v[10:11], v[20:21], v[14:15]
	ds_read2_b64 v[18:21], v48 offset0:39 offset1:40
	s_waitcnt lgkmcnt(2)
	v_fma_f64 v[14:15], -v[12:13], v[26:27], v[14:15]
	v_fma_f64 v[14:15], -v[46:47], v[24:25], v[14:15]
	s_waitcnt lgkmcnt(1)
	v_fma_f64 v[14:15], -v[40:41], v[30:31], v[14:15]
	ds_read_b128 v[22:25], v48 offset:272
	v_fma_f64 v[14:15], -v[42:43], v[28:29], v[14:15]
	s_waitcnt lgkmcnt(1)
	v_fma_f64 v[14:15], -v[36:37], v[20:21], v[14:15]
	v_mul_f64 v[38:39], v[14:15], v[18:19]
	ds_read_b128 v[18:21], v48 offset:256
	ds_write2_b64 v1, v[36:37], v[42:43] offset0:48 offset1:60
	s_waitcnt lgkmcnt(2)
	v_fma_f64 v[14:15], -v[6:7], v[24:25], v[32:33]
	ds_read_b128 v[24:27], v48 offset:224
	ds_read_b128 v[28:31], v48 offset:240
	v_fma_f64 v[14:15], -v[8:9], v[22:23], v[14:15]
	s_waitcnt lgkmcnt(3)
	v_fma_f64 v[14:15], -v[10:11], v[20:21], v[14:15]
	ds_read_b128 v[32:35], v48 offset:208
	v_fma_f64 v[14:15], -v[12:13], v[18:19], v[14:15]
	s_waitcnt lgkmcnt(1)
	v_fma_f64 v[14:15], -v[46:47], v[30:31], v[14:15]
	v_fma_f64 v[14:15], -v[40:41], v[28:29], v[14:15]
	ds_read2_b64 v[18:21], v48 offset0:21 offset1:22
	v_fma_f64 v[14:15], -v[42:43], v[26:27], v[14:15]
	v_fma_f64 v[14:15], -v[36:37], v[24:25], v[14:15]
	ds_read2_b64 v[22:25], v48 offset0:19 offset1:20
	s_waitcnt lgkmcnt(2)
	v_fma_f64 v[14:15], -v[38:39], v[34:35], v[14:15]
	v_mul_f64 v[26:27], v[14:15], v[32:33]
	v_fma_f64 v[4:5], -v[6:7], v[16:17], v[4:5]
	ds_read2_b64 v[14:17], v48 offset0:17 offset1:18
	s_waitcnt lgkmcnt(2)
	v_fma_f64 v[4:5], -v[8:9], v[20:21], v[4:5]
	v_fma_f64 v[4:5], -v[10:11], v[18:19], v[4:5]
	s_waitcnt lgkmcnt(1)
	v_fma_f64 v[4:5], -v[12:13], v[24:25], v[4:5]
	ds_read2_b64 v[18:21], v48 offset0:15 offset1:16
	v_fma_f64 v[4:5], -v[46:47], v[22:23], v[4:5]
	s_waitcnt lgkmcnt(1)
	v_fma_f64 v[4:5], -v[40:41], v[16:17], v[4:5]
	ds_read2_b64 v[22:25], v48 offset0:13 offset1:14
	v_fma_f64 v[4:5], -v[42:43], v[14:15], v[4:5]
	ds_read_b128 v[14:17], v48 offset:80
	s_waitcnt lgkmcnt(2)
	v_fma_f64 v[4:5], -v[36:37], v[20:21], v[4:5]
	v_fma_f64 v[4:5], -v[38:39], v[18:19], v[4:5]
	ds_read_b128 v[18:21], v48 offset:64
	ds_write2_b64 v1, v[26:27], v[38:39] offset0:24 offset1:36
	s_waitcnt lgkmcnt(3)
	v_fma_f64 v[4:5], -v[26:27], v[24:25], v[4:5]
	s_waitcnt lgkmcnt(2)
	v_fma_f64 v[2:3], -v[6:7], v[16:17], v[2:3]
	v_mul_f64 v[22:23], v[4:5], v[22:23]
	v_fma_f64 v[14:15], -v[8:9], v[14:15], v[2:3]
	ds_read_b128 v[2:5], v48 offset:32
	ds_read_b128 v[6:9], v48 offset:48
	s_waitcnt lgkmcnt(3)
	v_fma_f64 v[10:11], -v[10:11], v[20:21], v[14:15]
	v_fma_f64 v[18:19], -v[12:13], v[18:19], v[10:11]
	ds_read_b128 v[10:13], v48
	ds_read_b128 v[14:17], v48 offset:16
	s_waitcnt lgkmcnt(2)
	v_fma_f64 v[8:9], -v[46:47], v[8:9], v[18:19]
	v_fma_f64 v[6:7], -v[40:41], v[6:7], v[8:9]
	;; [unrolled: 1-line block ×4, first 2 shown]
	s_waitcnt lgkmcnt(0)
	v_fma_f64 v[2:3], -v[38:39], v[16:17], v[2:3]
	v_fma_f64 v[2:3], -v[26:27], v[14:15], v[2:3]
	;; [unrolled: 1-line block ×3, first 2 shown]
	v_mul_f64 v[2:3], v[2:3], v[10:11]
	ds_write2_b64 v1, v[2:3], v[22:23] offset1:12
	s_cmp_gt_i32 s5, -1
	s_cbranch_scc1 .LBB79_13
	s_branch .LBB79_31
.LBB79_12:
	s_mov_b32 s5, s4
	s_cmp_gt_i32 s5, -1
	s_cbranch_scc0 .LBB79_31
.LBB79_13:
	s_cmp_lt_u32 s5, 7
	s_cbranch_scc1 .LBB79_18
; %bb.14:
	s_mul_i32 s7, s5, 0x60
	v_add_u32_e32 v18, s7, v1
	v_add_u32_e32 v2, 0xffffffa0, v18
	;; [unrolled: 1-line block ×4, first 2 shown]
	ds_read_b64 v[16:17], v18
	ds_read_b64 v[14:15], v2
	;; [unrolled: 1-line block ×4, first 2 shown]
	v_add_u32_e32 v2, 0xfffffe80, v18
	v_add_u32_e32 v3, 0xfffffe20, v18
	;; [unrolled: 1-line block ×4, first 2 shown]
	ds_read_b64 v[8:9], v2
	ds_read_b64 v[6:7], v3
	;; [unrolled: 1-line block ×4, first 2 shown]
	s_cmp_le_i32 s4, s5
	s_cbranch_scc1 .LBB79_17
; %bb.15:
	s_mul_i32 s8, s22, 0x60
	v_lshl_add_u32 v19, v0, 3, s8
	s_lshl_b32 s8, s22, 3
	s_add_i32 s8, s7, s8
	v_add_u32_e32 v19, 0x420, v19
	s_addk_i32 s8, 0xfd58
	s_mov_b32 s9, s4
.LBB79_16:                              ; =>This Inner Loop Header: Depth=1
	v_mov_b32_e32 v32, s8
	ds_read_b64 v[36:37], v19
	ds_read2_b64 v[20:23], v32 offset0:72 offset1:84
	ds_read2_b64 v[24:27], v32 offset0:48 offset1:60
	;; [unrolled: 1-line block ×3, first 2 shown]
	ds_read2_b64 v[32:35], v32 offset1:12
	s_add_i32 s9, s9, -1
	s_add_i32 s8, s8, -8
	v_add_u32_e32 v19, 0xffffffa0, v19
	s_cmp_gt_i32 s9, s5
	s_waitcnt lgkmcnt(3)
	v_fma_f64 v[16:17], -v[36:37], v[22:23], v[16:17]
	v_fma_f64 v[14:15], -v[36:37], v[20:21], v[14:15]
	s_waitcnt lgkmcnt(2)
	v_fma_f64 v[12:13], -v[36:37], v[26:27], v[12:13]
	v_fma_f64 v[10:11], -v[36:37], v[24:25], v[10:11]
	;; [unrolled: 3-line block ×4, first 2 shown]
	s_cbranch_scc1 .LBB79_16
.LBB79_17:
	s_mul_i32 s8, s5, 0x68
	v_mov_b32_e32 v19, s8
	s_add_i32 s8, s7, 0xffffffa0
	s_lshl_b32 s7, s5, 3
	s_add_i32 s7, s8, s7
	s_add_i32 s9, s7, -8
	ds_read_b64 v[24:25], v19
	v_mov_b32_e32 v19, s9
	ds_read2_b64 v[20:23], v19 offset1:1
	s_add_i32 s9, s7, 0xffffffa0
	v_add_u32_e32 v30, s8, v1
	s_waitcnt lgkmcnt(1)
	v_mul_f64 v[24:25], v[16:17], v[24:25]
	ds_write_b64 v18, v[24:25]
	s_waitcnt lgkmcnt(1)
	v_fma_f64 v[18:19], -v[24:25], v[22:23], v[14:15]
	v_mov_b32_e32 v14, s9
	s_add_i32 s9, s7, 0xffffff90
	v_mov_b32_e32 v15, s9
	ds_read_b64 v[22:23], v14
	ds_read2_b64 v[14:17], v15 offset1:1
	v_mul_f64 v[20:21], v[18:19], v[20:21]
	s_add_i32 s8, s7, 0xffffff38
	v_add_u32_e32 v26, 0xffffffa0, v30
	s_waitcnt lgkmcnt(1)
	v_fma_f64 v[12:13], -v[24:25], v[22:23], v[12:13]
	s_waitcnt lgkmcnt(0)
	v_fma_f64 v[12:13], -v[20:21], v[16:17], v[12:13]
	v_mul_f64 v[22:23], v[12:13], v[14:15]
	v_mov_b32_e32 v12, s8
	ds_read2_b64 v[12:15], v12 offset1:1
	s_add_i32 s8, s7, 0xffffff28
	v_mov_b32_e32 v16, s8
	ds_read2_b64 v[16:19], v16 offset1:1
	s_add_i32 s8, s7, 0xfffffee0
	s_waitcnt lgkmcnt(1)
	v_fma_f64 v[10:11], -v[24:25], v[14:15], v[10:11]
	v_fma_f64 v[10:11], -v[20:21], v[12:13], v[10:11]
	ds_write_b64 v30, v[20:21]
	s_waitcnt lgkmcnt(1)
	v_fma_f64 v[14:15], -v[22:23], v[18:19], v[10:11]
	v_mov_b32_e32 v10, s8
	s_add_i32 s8, s7, 0xfffffed0
	ds_write_b64 v26, v[22:23]
	v_mov_b32_e32 v11, s8
	ds_read_b64 v[18:19], v10
	ds_read2_b64 v[10:13], v11 offset1:1
	s_add_i32 s8, s7, 0xfffffec0
	v_mul_f64 v[26:27], v[14:15], v[16:17]
	v_add_u32_e32 v14, 0xffffff40, v30
	s_waitcnt lgkmcnt(1)
	v_fma_f64 v[8:9], -v[24:25], v[18:19], v[8:9]
	s_waitcnt lgkmcnt(0)
	v_fma_f64 v[8:9], -v[20:21], v[12:13], v[8:9]
	v_mov_b32_e32 v12, s8
	ds_write_b64 v14, v[26:27]
	ds_read2_b64 v[12:15], v12 offset1:1
	s_add_i32 s8, s7, 0xfffffe78
	v_fma_f64 v[16:17], -v[22:23], v[10:11], v[8:9]
	v_mov_b32_e32 v8, s8
	ds_read2_b64 v[8:11], v8 offset1:1
	s_waitcnt lgkmcnt(1)
	v_fma_f64 v[14:15], -v[26:27], v[14:15], v[16:17]
	v_mul_f64 v[28:29], v[14:15], v[12:13]
	v_add_u32_e32 v12, 0xfffffee0, v30
	s_add_i32 s8, s7, 0xfffffe68
	ds_write_b64 v12, v[28:29]
	v_mov_b32_e32 v12, s8
	ds_read2_b64 v[12:15], v12 offset1:1
	s_add_i32 s8, s7, 0xfffffe58
	v_mov_b32_e32 v16, s8
	ds_read2_b64 v[16:19], v16 offset1:1
	s_waitcnt lgkmcnt(3)
	v_fma_f64 v[6:7], -v[24:25], v[10:11], v[6:7]
	v_fma_f64 v[6:7], -v[20:21], v[8:9], v[6:7]
	s_waitcnt lgkmcnt(1)
	v_fma_f64 v[6:7], -v[22:23], v[14:15], v[6:7]
	v_fma_f64 v[6:7], -v[26:27], v[12:13], v[6:7]
	s_waitcnt lgkmcnt(0)
	v_fma_f64 v[6:7], -v[28:29], v[18:19], v[6:7]
	s_add_i32 s8, s7, 0xfffffe20
	v_mul_f64 v[18:19], v[6:7], v[16:17]
	v_mov_b32_e32 v7, s8
	ds_read_b64 v[10:11], v7
	v_add_u32_e32 v6, 0xfffffe80, v30
	s_add_i32 s8, s7, 0xfffffe10
	ds_write_b64 v6, v[18:19]
	v_mov_b32_e32 v6, s8
	ds_read2_b64 v[6:9], v6 offset1:1
	s_add_i32 s8, s7, 0xfffffe00
	s_waitcnt lgkmcnt(2)
	v_fma_f64 v[4:5], -v[24:25], v[10:11], v[4:5]
	v_mov_b32_e32 v10, s8
	ds_read2_b64 v[10:13], v10 offset1:1
	s_add_i32 s8, s7, 0xfffffdf0
	v_mov_b32_e32 v14, s8
	ds_read2_b64 v[14:17], v14 offset1:1
	s_waitcnt lgkmcnt(2)
	v_fma_f64 v[4:5], -v[20:21], v[8:9], v[4:5]
	v_fma_f64 v[4:5], -v[22:23], v[6:7], v[4:5]
	s_waitcnt lgkmcnt(1)
	v_fma_f64 v[4:5], -v[26:27], v[12:13], v[4:5]
	v_fma_f64 v[4:5], -v[28:29], v[10:11], v[4:5]
	s_waitcnt lgkmcnt(0)
	v_fma_f64 v[4:5], -v[18:19], v[16:17], v[4:5]
	s_add_i32 s8, s7, 0xfffffdb8
	v_mul_f64 v[16:17], v[4:5], v[14:15]
	v_mov_b32_e32 v4, s8
	ds_read2_b64 v[4:7], v4 offset1:1
	v_add_u32_e32 v8, 0xfffffe20, v30
	s_add_i32 s8, s7, 0xfffffda8
	ds_write_b64 v8, v[16:17]
	v_mov_b32_e32 v8, s8
	s_add_i32 s8, s7, 0xfffffd98
	s_addk_i32 s7, 0xfd88
	v_mov_b32_e32 v12, s7
	ds_read2_b64 v[8:11], v8 offset1:1
	ds_read2_b64 v[12:15], v12 offset1:1
	s_waitcnt lgkmcnt(3)
	v_fma_f64 v[2:3], -v[24:25], v[6:7], v[2:3]
	v_fma_f64 v[6:7], -v[20:21], v[4:5], v[2:3]
	v_mov_b32_e32 v2, s8
	ds_read2_b64 v[2:5], v2 offset1:1
	s_waitcnt lgkmcnt(2)
	v_fma_f64 v[6:7], -v[22:23], v[10:11], v[6:7]
	v_fma_f64 v[6:7], -v[26:27], v[8:9], v[6:7]
	s_add_i32 s5, s5, -8
	s_waitcnt lgkmcnt(0)
	v_fma_f64 v[4:5], -v[28:29], v[4:5], v[6:7]
	v_fma_f64 v[2:3], -v[18:19], v[2:3], v[4:5]
	;; [unrolled: 1-line block ×3, first 2 shown]
	v_mul_f64 v[2:3], v[2:3], v[12:13]
	v_add_u32_e32 v4, 0xfffffdc0, v30
	ds_write_b64 v4, v[2:3]
.LBB79_18:
	s_cmp_lt_i32 s5, 0
	s_cbranch_scc1 .LBB79_31
; %bb.19:
	s_bitcmp1_b32 s5, 0
	s_cselect_b64 s[8:9], -1, 0
	s_and_b64 vcc, exec, s[8:9]
	s_mov_b32 s7, s5
	s_cbranch_vccnz .LBB79_24
; %bb.20:
	s_mul_i32 s7, s5, 0x60
	v_add_u32_e32 v4, s7, v1
	ds_read_b64 v[2:3], v4
	s_cmp_le_i32 s4, s5
	s_cbranch_scc1 .LBB79_23
; %bb.21:
	s_lshl_b32 s8, s22, 3
	s_add_i32 s7, s7, s8
	s_mul_i32 s8, s22, 0x60
	v_lshl_add_u32 v5, v0, 3, s8
	s_add_i32 s7, s7, -8
	v_add_u32_e32 v5, 0x420, v5
	s_mov_b32 s8, s4
.LBB79_22:                              ; =>This Inner Loop Header: Depth=1
	v_mov_b32_e32 v8, s7
	ds_read_b64 v[6:7], v5
	ds_read_b64 v[8:9], v8
	s_add_i32 s8, s8, -1
	s_add_i32 s7, s7, -8
	v_add_u32_e32 v5, 0xffffffa0, v5
	s_cmp_gt_i32 s8, s5
	s_waitcnt lgkmcnt(0)
	v_fma_f64 v[2:3], -v[6:7], v[8:9], v[2:3]
	s_cbranch_scc1 .LBB79_22
.LBB79_23:
	s_mul_i32 s7, s5, 0x68
	v_mov_b32_e32 v5, s7
	ds_read_b64 v[6:7], v5
	s_add_i32 s7, s5, -1
	s_waitcnt lgkmcnt(0)
	v_mul_f64 v[2:3], v[2:3], v[6:7]
	ds_write_b64 v4, v[2:3]
.LBB79_24:
	s_cmp_eq_u32 s5, 0
	s_cbranch_scc1 .LBB79_31
; %bb.25:
	s_mul_i32 s5, s7, 0x60
	s_lshl_b32 s8, s22, 3
	s_mul_i32 s9, s22, 0x60
	s_add_i32 s8, s5, s8
	v_lshl_add_u32 v2, v0, 3, s9
	s_add_i32 s5, s8, -8
	v_add_u32_e32 v6, 0x420, v2
	s_addk_i32 s8, 0xff98
	s_branch .LBB79_27
.LBB79_26:                              ;   in Loop: Header=BB79_27 Depth=1
	s_addk_i32 s9, 0xff98
	v_mov_b32_e32 v2, s9
	ds_read_b64 v[2:3], v2
	s_add_i32 s9, s7, -2
	s_addk_i32 s5, 0xff40
	s_addk_i32 s8, 0xff40
	s_cmp_lt_i32 s7, 2
	s_waitcnt lgkmcnt(0)
	v_mul_f64 v[2:3], v[4:5], v[2:3]
	s_mov_b32 s7, s9
	ds_write_b64 v8, v[2:3]
	s_cbranch_scc1 .LBB79_31
.LBB79_27:                              ; =>This Loop Header: Depth=1
                                        ;     Child Loop BB79_28 Depth 2
                                        ;     Child Loop BB79_30 Depth 2
	s_mul_i32 s12, s7, 0x60
	v_add_u32_e32 v7, s12, v1
	ds_read_b64 v[2:3], v7
	s_cmp_le_i32 s4, s7
	v_mov_b32_e32 v4, v6
	s_mov_b32 s9, s5
	s_mov_b32 s13, s4
	s_cbranch_scc1 .LBB79_29
.LBB79_28:                              ;   Parent Loop BB79_27 Depth=1
                                        ; =>  This Inner Loop Header: Depth=2
	v_mov_b32_e32 v5, s9
	ds_read_b64 v[8:9], v4
	ds_read_b64 v[10:11], v5
	s_add_i32 s13, s13, -1
	s_add_i32 s9, s9, -8
	v_add_u32_e32 v4, 0xffffffa0, v4
	s_cmp_gt_i32 s13, s7
	s_waitcnt lgkmcnt(0)
	v_fma_f64 v[2:3], -v[8:9], v[10:11], v[2:3]
	s_cbranch_scc1 .LBB79_28
.LBB79_29:                              ;   in Loop: Header=BB79_27 Depth=1
	s_mul_i32 s9, s7, 0x68
	v_mov_b32_e32 v4, s9
	ds_read_b64 v[10:11], v4
	s_addk_i32 s12, 0xffa0
	v_add_u32_e32 v8, s12, v1
	ds_read_b64 v[4:5], v8
	s_cmp_le_i32 s22, s7
	s_waitcnt lgkmcnt(1)
	v_mul_f64 v[2:3], v[2:3], v[10:11]
	ds_write_b64 v7, v[2:3]
	v_mov_b32_e32 v2, v6
	s_mov_b32 s12, s8
	s_mov_b32 s13, s22
	s_cbranch_scc1 .LBB79_26
.LBB79_30:                              ;   Parent Loop BB79_27 Depth=1
                                        ; =>  This Inner Loop Header: Depth=2
	v_mov_b32_e32 v3, s12
	ds_read_b64 v[10:11], v2
	ds_read_b64 v[12:13], v3
	s_add_i32 s13, s13, -1
	s_add_i32 s12, s12, -8
	v_add_u32_e32 v2, 0xffffffa0, v2
	s_cmp_gt_i32 s13, s7
	s_waitcnt lgkmcnt(0)
	v_fma_f64 v[4:5], -v[10:11], v[12:13], v[4:5]
	s_cbranch_scc1 .LBB79_30
	s_branch .LBB79_26
.LBB79_31:
	s_mov_b64 s[4:5], 0
.LBB79_32:
	s_and_b64 vcc, exec, s[4:5]
	s_cbranch_vccz .LBB79_46
; %bb.33:
	s_cmp_gt_i32 s6, 11
	s_cselect_b64 s[4:5], -1, 0
	s_and_b64 vcc, exec, s[4:5]
	s_cbranch_vccz .LBB79_35
; %bb.34:
	v_mov_b32_e32 v46, 0
	ds_read2_b64 v[8:11], v1 offset1:12
	ds_read2_b64 v[12:15], v1 offset0:24 offset1:36
	ds_read2_b64 v[16:19], v1 offset0:48 offset1:60
	;; [unrolled: 1-line block ×5, first 2 shown]
	ds_read_b128 v[28:31], v46
	ds_read_b128 v[32:35], v46 offset:16
	s_mov_b32 s6, 12
	ds_read_b128 v[40:43], v46 offset:64
	ds_read_b128 v[36:39], v46 offset:48
	s_waitcnt lgkmcnt(3)
	v_mul_f64 v[8:9], v[8:9], v[28:29]
	v_fma_f64 v[6:7], -v[8:9], v[30:31], v[10:11]
	ds_read2_b64 v[28:31], v46 offset0:13 offset1:14
	s_waitcnt lgkmcnt(3)
	v_fma_f64 v[10:11], -v[8:9], v[32:33], v[12:13]
	v_fma_f64 v[14:15], -v[8:9], v[34:35], v[14:15]
	ds_read_b128 v[32:35], v46 offset:32
	s_waitcnt lgkmcnt(2)
	v_fma_f64 v[20:21], -v[8:9], v[36:37], v[20:21]
	s_waitcnt lgkmcnt(1)
	v_mul_f64 v[6:7], v[6:7], v[28:29]
	v_fma_f64 v[28:29], -v[6:7], v[30:31], v[10:11]
	ds_read_b128 v[10:13], v46 offset:208
	v_fma_f64 v[22:23], -v[8:9], v[38:39], v[22:23]
	ds_read2_b64 v[36:39], v46 offset0:19 offset1:20
	s_waitcnt lgkmcnt(2)
	v_fma_f64 v[16:17], -v[8:9], v[32:33], v[16:17]
	v_fma_f64 v[18:19], -v[8:9], v[34:35], v[18:19]
	s_waitcnt lgkmcnt(1)
	v_mul_f64 v[10:11], v[28:29], v[10:11]
	ds_read2_b64 v[28:31], v46 offset0:15 offset1:16
	ds_read2_b64 v[32:35], v46 offset0:17 offset1:18
	v_fma_f64 v[24:25], -v[8:9], v[40:41], v[24:25]
	s_waitcnt lgkmcnt(2)
	v_fma_f64 v[22:23], -v[6:7], v[36:37], v[22:23]
	v_fma_f64 v[24:25], -v[6:7], v[38:39], v[24:25]
	s_waitcnt lgkmcnt(1)
	v_fma_f64 v[14:15], -v[6:7], v[28:29], v[14:15]
	v_fma_f64 v[28:29], -v[10:11], v[12:13], v[14:15]
	ds_read2_b64 v[12:15], v46 offset0:39 offset1:40
	ds_read_b128 v[36:39], v46 offset:256
	v_fma_f64 v[16:17], -v[6:7], v[30:31], v[16:17]
	s_waitcnt lgkmcnt(2)
	v_fma_f64 v[18:19], -v[6:7], v[32:33], v[18:19]
	v_fma_f64 v[20:21], -v[6:7], v[34:35], v[20:21]
	s_waitcnt lgkmcnt(1)
	v_mul_f64 v[12:13], v[28:29], v[12:13]
	ds_read_b128 v[28:31], v46 offset:224
	ds_read_b128 v[32:35], v46 offset:240
	s_waitcnt lgkmcnt(2)
	v_fma_f64 v[24:25], -v[10:11], v[36:37], v[24:25]
	ds_write2_b64 v1, v[8:9], v[6:7] offset1:12
	ds_write2_b64 v1, v[10:11], v[12:13] offset0:24 offset1:36
	s_waitcnt lgkmcnt(3)
	v_fma_f64 v[16:17], -v[10:11], v[28:29], v[16:17]
	v_fma_f64 v[28:29], -v[12:13], v[14:15], v[16:17]
	ds_read_b128 v[14:17], v46 offset:416
	v_fma_f64 v[18:19], -v[10:11], v[30:31], v[18:19]
	s_waitcnt lgkmcnt(3)
	v_fma_f64 v[20:21], -v[10:11], v[32:33], v[20:21]
	v_fma_f64 v[22:23], -v[10:11], v[34:35], v[22:23]
	ds_read2_b64 v[32:35], v46 offset0:43 offset1:44
	s_waitcnt lgkmcnt(1)
	v_mul_f64 v[14:15], v[28:29], v[14:15]
	ds_read2_b64 v[28:31], v46 offset0:41 offset1:42
	s_waitcnt lgkmcnt(1)
	v_fma_f64 v[22:23], -v[12:13], v[32:33], v[22:23]
	v_fma_f64 v[24:25], -v[12:13], v[34:35], v[24:25]
	s_waitcnt lgkmcnt(0)
	v_fma_f64 v[18:19], -v[12:13], v[28:29], v[18:19]
	v_fma_f64 v[28:29], -v[14:15], v[16:17], v[18:19]
	ds_read2_b64 v[16:19], v46 offset0:65 offset1:66
	v_fma_f64 v[20:21], -v[12:13], v[30:31], v[20:21]
	ds_read_b128 v[32:35], v46 offset:448
	s_waitcnt lgkmcnt(1)
	v_mul_f64 v[16:17], v[28:29], v[16:17]
	ds_read_b128 v[28:31], v46 offset:432
	s_waitcnt lgkmcnt(1)
	v_fma_f64 v[24:25], -v[14:15], v[32:33], v[24:25]
	v_fma_f64 v[32:33], -v[8:9], v[42:43], v[26:27]
	ds_write2_b64 v1, v[14:15], v[16:17] offset0:48 offset1:60
	ds_read_b128 v[40:43], v46 offset:80
	s_waitcnt lgkmcnt(2)
	v_fma_f64 v[20:21], -v[14:15], v[28:29], v[20:21]
	v_fma_f64 v[28:29], -v[16:17], v[18:19], v[20:21]
	ds_read_b128 v[18:21], v46 offset:624
	v_fma_f64 v[22:23], -v[14:15], v[30:31], v[22:23]
	s_waitcnt lgkmcnt(1)
	v_fma_f64 v[2:3], -v[8:9], v[40:41], v[2:3]
	v_fma_f64 v[8:9], -v[8:9], v[42:43], v[4:5]
	s_waitcnt lgkmcnt(0)
	v_mul_f64 v[18:19], v[28:29], v[18:19]
	ds_read2_b64 v[28:31], v46 offset0:67 offset1:68
	s_waitcnt lgkmcnt(0)
	v_fma_f64 v[22:23], -v[16:17], v[28:29], v[22:23]
	v_fma_f64 v[28:29], -v[18:19], v[20:21], v[22:23]
	ds_read2_b64 v[20:23], v46 offset0:91 offset1:92
	v_fma_f64 v[24:25], -v[16:17], v[30:31], v[24:25]
	s_waitcnt lgkmcnt(0)
	v_mul_f64 v[20:21], v[28:29], v[20:21]
	ds_read_b128 v[28:31], v46 offset:640
	ds_write2_b64 v1, v[18:19], v[20:21] offset0:72 offset1:84
	s_waitcnt lgkmcnt(1)
	v_fma_f64 v[24:25], -v[18:19], v[28:29], v[24:25]
	v_fma_f64 v[28:29], -v[20:21], v[22:23], v[24:25]
	ds_read_b128 v[22:25], v46 offset:832
	s_waitcnt lgkmcnt(0)
	v_mul_f64 v[22:23], v[28:29], v[22:23]
	ds_read2_b64 v[26:29], v46 offset0:21 offset1:22
	s_waitcnt lgkmcnt(0)
	v_fma_f64 v[26:27], -v[6:7], v[26:27], v[32:33]
	v_fma_f64 v[26:27], -v[10:11], v[38:39], v[26:27]
	ds_read2_b64 v[36:39], v46 offset0:45 offset1:46
	v_fma_f64 v[2:3], -v[6:7], v[28:29], v[2:3]
	s_waitcnt lgkmcnt(0)
	v_fma_f64 v[26:27], -v[12:13], v[36:37], v[26:27]
	v_fma_f64 v[26:27], -v[14:15], v[34:35], v[26:27]
	ds_read2_b64 v[32:35], v46 offset0:69 offset1:70
	s_waitcnt lgkmcnt(0)
	v_fma_f64 v[26:27], -v[16:17], v[32:33], v[26:27]
	v_fma_f64 v[26:27], -v[18:19], v[30:31], v[26:27]
	ds_read2_b64 v[30:33], v46 offset0:93 offset1:94
	s_waitcnt lgkmcnt(0)
	v_fma_f64 v[26:27], -v[20:21], v[30:31], v[26:27]
	v_fma_f64 v[30:31], -v[22:23], v[24:25], v[26:27]
	ds_read2_b64 v[24:27], v46 offset0:117 offset1:118
	s_waitcnt lgkmcnt(0)
	v_mul_f64 v[44:45], v[30:31], v[24:25]
	ds_read_b128 v[28:31], v46 offset:272
	ds_write2_b64 v1, v[22:23], v[44:45] offset0:96 offset1:108
	s_waitcnt lgkmcnt(1)
	v_fma_f64 v[2:3], -v[10:11], v[28:29], v[2:3]
	v_fma_f64 v[2:3], -v[12:13], v[38:39], v[2:3]
	ds_read_b128 v[36:39], v46 offset:464
	s_waitcnt lgkmcnt(0)
	v_fma_f64 v[2:3], -v[14:15], v[36:37], v[2:3]
	v_fma_f64 v[2:3], -v[16:17], v[34:35], v[2:3]
	ds_read_b128 v[34:37], v46 offset:656
	;; [unrolled: 4-line block ×4, first 2 shown]
	s_waitcnt lgkmcnt(0)
	v_mul_f64 v[24:25], v[2:3], v[24:25]
	ds_read2_b64 v[2:5], v46 offset0:23 offset1:47
	s_waitcnt lgkmcnt(0)
	v_fma_f64 v[2:3], -v[6:7], v[2:3], v[8:9]
	v_fma_f64 v[2:3], -v[10:11], v[30:31], v[2:3]
	v_fma_f64 v[2:3], -v[12:13], v[4:5], v[2:3]
	v_fma_f64 v[6:7], -v[14:15], v[38:39], v[2:3]
	ds_read2_b64 v[2:5], v46 offset0:71 offset1:95
	s_waitcnt lgkmcnt(0)
	v_fma_f64 v[2:3], -v[16:17], v[2:3], v[6:7]
	v_fma_f64 v[2:3], -v[18:19], v[36:37], v[2:3]
	;; [unrolled: 1-line block ×4, first 2 shown]
	ds_read2_b64 v[2:5], v46 offset0:119 offset1:143
	s_waitcnt lgkmcnt(0)
	v_fma_f64 v[2:3], -v[44:45], v[2:3], v[6:7]
	v_fma_f64 v[2:3], -v[24:25], v[26:27], v[2:3]
	v_mul_f64 v[2:3], v[2:3], v[4:5]
	ds_write2_b64 v1, v[24:25], v[2:3] offset0:120 offset1:132
	s_cmp_lt_i32 s6, s22
	s_cbranch_scc1 .LBB79_36
	s_branch .LBB79_46
.LBB79_35:
	s_mov_b32 s6, 0
	s_cmp_lt_i32 s6, s22
	s_cbranch_scc0 .LBB79_46
.LBB79_36:
	s_add_i32 s7, s6, 7
	s_cmp_ge_u32 s7, s22
	s_cbranch_scc1 .LBB79_41
; %bb.37:
	s_mul_i32 s7, s6, 0x60
	v_add_u32_e32 v18, s7, v1
	ds_read2_b64 v[14:17], v18 offset1:12
	ds_read2_b64 v[10:13], v18 offset0:24 offset1:36
	ds_read2_b64 v[6:9], v18 offset0:48 offset1:60
	;; [unrolled: 1-line block ×3, first 2 shown]
	s_andn2_b64 vcc, exec, s[4:5]
	s_lshl_b32 s4, s6, 3
	s_cbranch_vccnz .LBB79_40
; %bb.38:
	v_mov_b32_e32 v19, 0x480
	v_lshl_or_b32 v19, v0, 3, v19
	s_mov_b32 s5, s4
	s_mov_b32 s8, s6
.LBB79_39:                              ; =>This Inner Loop Header: Depth=1
	v_mov_b32_e32 v32, s5
	ds_read_b64 v[36:37], v19
	ds_read_b128 v[20:23], v32
	ds_read_b128 v[24:27], v32 offset:16
	ds_read_b128 v[28:31], v32 offset:32
	;; [unrolled: 1-line block ×3, first 2 shown]
	s_add_i32 s8, s8, -1
	s_addk_i32 s5, 0x60
	v_add_u32_e32 v19, 0x60, v19
	s_cmp_lg_u32 s8, 0
	s_waitcnt lgkmcnt(3)
	v_fma_f64 v[14:15], -v[36:37], v[20:21], v[14:15]
	v_fma_f64 v[16:17], -v[36:37], v[22:23], v[16:17]
	s_waitcnt lgkmcnt(2)
	v_fma_f64 v[10:11], -v[36:37], v[24:25], v[10:11]
	v_fma_f64 v[12:13], -v[36:37], v[26:27], v[12:13]
	;; [unrolled: 3-line block ×4, first 2 shown]
	s_cbranch_scc1 .LBB79_39
.LBB79_40:
	s_add_i32 s5, s4, s7
	v_mov_b32_e32 v46, s5
	ds_read_b128 v[20:23], v46
	ds_read_b128 v[24:27], v46 offset:16
	ds_read_b128 v[28:31], v46 offset:32
	ds_read2_b64 v[32:35], v46 offset0:13 offset1:14
	s_add_i32 s5, s7, 0x60
	s_waitcnt lgkmcnt(3)
	v_mul_f64 v[36:37], v[14:15], v[20:21]
	ds_write_b64 v18, v[36:37]
	v_fma_f64 v[18:19], -v[36:37], v[22:23], v[16:17]
	ds_read_b128 v[14:17], v46 offset:208
	s_waitcnt lgkmcnt(2)
	v_mul_f64 v[38:39], v[18:19], v[32:33]
	v_add_u32_e32 v18, s5, v1
	s_add_i32 s5, s4, s5
	v_fma_f64 v[10:11], -v[36:37], v[24:25], v[10:11]
	v_mov_b32_e32 v44, s5
	ds_write_b64 v18, v[38:39]
	v_fma_f64 v[10:11], -v[38:39], v[34:35], v[10:11]
	s_add_i32 s8, s7, 0xc0
	ds_read2_b64 v[18:21], v44 offset0:3 offset1:4
	s_waitcnt lgkmcnt(2)
	v_mul_f64 v[40:41], v[10:11], v[14:15]
	v_add_u32_e32 v10, s8, v1
	ds_write_b64 v10, v[40:41]
	v_fma_f64 v[14:15], -v[36:37], v[26:27], v[12:13]
	ds_read2_b64 v[10:13], v46 offset0:39 offset1:40
	ds_read_b64 v[26:27], v46 offset:728
	s_waitcnt lgkmcnt(3)
	v_fma_f64 v[14:15], -v[38:39], v[18:19], v[14:15]
	s_add_i32 s5, s4, s8
	v_fma_f64 v[18:19], -v[40:41], v[16:17], v[14:15]
	s_add_i32 s8, s7, 0x120
	s_waitcnt lgkmcnt(1)
	v_mul_f64 v[42:43], v[18:19], v[10:11]
	v_add_u32_e32 v10, s8, v1
	ds_write_b64 v10, v[42:43]
	v_mov_b32_e32 v10, s5
	ds_read_b128 v[14:17], v46 offset:416
	ds_read_b128 v[22:25], v10 offset:32
	;; [unrolled: 1-line block ×3, first 2 shown]
	v_fma_f64 v[6:7], -v[36:37], v[28:29], v[6:7]
	v_fma_f64 v[6:7], -v[38:39], v[20:21], v[6:7]
	ds_read_b128 v[18:21], v10 offset:48
	s_waitcnt lgkmcnt(2)
	v_fma_f64 v[6:7], -v[40:41], v[22:23], v[6:7]
	s_add_i32 s5, s4, s8
	v_fma_f64 v[6:7], -v[42:43], v[12:13], v[6:7]
	s_add_i32 s8, s7, 0x180
	ds_read2_b64 v[10:13], v44 offset0:5 offset1:6
	v_mul_f64 v[28:29], v[6:7], v[14:15]
	v_add_u32_e32 v6, s8, v1
	ds_write_b64 v6, v[28:29]
	v_mov_b32_e32 v45, s5
	v_fma_f64 v[14:15], -v[36:37], v[30:31], v[8:9]
	ds_read2_b64 v[6:9], v45 offset0:5 offset1:6
	ds_read_b64 v[30:31], v44 offset:56
	s_waitcnt lgkmcnt(3)
	v_fma_f64 v[10:11], -v[38:39], v[10:11], v[14:15]
	v_fma_f64 v[10:11], -v[40:41], v[24:25], v[10:11]
	s_add_i32 s5, s4, s8
	v_fma_f64 v[2:3], -v[36:37], v[32:33], v[2:3]
	s_waitcnt lgkmcnt(1)
	v_fma_f64 v[6:7], -v[42:43], v[6:7], v[10:11]
	s_addk_i32 s7, 0x1e0
	v_fma_f64 v[2:3], -v[38:39], v[12:13], v[2:3]
	v_mov_b32_e32 v10, s5
	ds_read2_b64 v[22:25], v46 offset0:65 offset1:66
	ds_read_b64 v[44:45], v45 offset:56
	v_fma_f64 v[2:3], -v[40:41], v[18:19], v[2:3]
	ds_read_b128 v[10:13], v10 offset:48
	s_add_i32 s4, s4, s7
	v_fma_f64 v[2:3], -v[42:43], v[8:9], v[2:3]
	v_mov_b32_e32 v8, s4
	v_fma_f64 v[6:7], -v[28:29], v[16:17], v[6:7]
	ds_read_b128 v[14:17], v46 offset:624
	ds_read_b64 v[8:9], v8 offset:56
	v_fma_f64 v[4:5], -v[36:37], v[34:35], v[4:5]
	s_waitcnt lgkmcnt(5)
	v_fma_f64 v[4:5], -v[38:39], v[30:31], v[4:5]
	v_fma_f64 v[4:5], -v[40:41], v[20:21], v[4:5]
	s_waitcnt lgkmcnt(4)
	v_mul_f64 v[6:7], v[6:7], v[22:23]
	s_waitcnt lgkmcnt(2)
	v_fma_f64 v[2:3], -v[28:29], v[10:11], v[2:3]
	v_fma_f64 v[4:5], -v[42:43], v[44:45], v[4:5]
	;; [unrolled: 1-line block ×4, first 2 shown]
	v_add_u32_e32 v22, s7, v1
	s_waitcnt lgkmcnt(1)
	v_mul_f64 v[2:3], v[2:3], v[14:15]
	s_waitcnt lgkmcnt(0)
	v_fma_f64 v[4:5], -v[6:7], v[8:9], v[4:5]
	ds_write2_b64 v22, v[6:7], v[2:3] offset1:12
	v_fma_f64 v[2:3], -v[2:3], v[16:17], v[4:5]
	v_mul_f64 v[2:3], v[2:3], v[26:27]
	s_add_i32 s6, s6, 8
	ds_write_b64 v22, v[2:3] offset:192
.LBB79_41:
	s_cmp_ge_i32 s6, s22
	s_cbranch_scc1 .LBB79_46
; %bb.42:
	v_mov_b32_e32 v2, 0x480
	s_lshl_b32 s4, s6, 3
	v_lshl_or_b32 v4, v0, 3, v2
	s_branch .LBB79_44
.LBB79_43:                              ;   in Loop: Header=BB79_44 Depth=1
	s_lshl_b32 s7, s6, 3
	s_add_i32 s5, s7, s5
	v_mov_b32_e32 v6, s5
	ds_read_b64 v[6:7], v6
	s_add_i32 s6, s6, 1
	s_add_i32 s4, s4, 8
	s_cmp_ge_i32 s6, s22
	s_waitcnt lgkmcnt(0)
	v_mul_f64 v[2:3], v[2:3], v[6:7]
	ds_write_b64 v5, v[2:3]
	s_cbranch_scc1 .LBB79_46
.LBB79_44:                              ; =>This Loop Header: Depth=1
                                        ;     Child Loop BB79_45 Depth 2
	s_mul_i32 s5, s6, 0x60
	v_add_u32_e32 v5, s5, v1
	ds_read_b64 v[2:3], v5
	s_cmp_eq_u32 s6, 0
	v_mov_b32_e32 v6, v4
	s_mov_b32 s7, s4
	s_mov_b32 s8, s6
	s_cbranch_scc1 .LBB79_43
.LBB79_45:                              ;   Parent Loop BB79_44 Depth=1
                                        ; =>  This Inner Loop Header: Depth=2
	v_mov_b32_e32 v7, s7
	ds_read_b64 v[8:9], v6
	ds_read_b64 v[10:11], v7
	s_add_i32 s8, s8, -1
	s_addk_i32 s7, 0x60
	v_add_u32_e32 v6, 0x60, v6
	s_cmp_lg_u32 s8, 0
	s_waitcnt lgkmcnt(0)
	v_fma_f64 v[2:3], -v[8:9], v[10:11], v[2:3]
	s_cbranch_scc1 .LBB79_45
	s_branch .LBB79_43
.LBB79_46:
	s_waitcnt lgkmcnt(0)
	; wave barrier
	s_and_saveexec_b64 s[4:5], s[0:1]
	s_cbranch_execz .LBB79_50
; %bb.47:
	s_andn2_b64 vcc, exec, s[10:11]
	s_cbranch_vccnz .LBB79_50
; %bb.48:
	v_mad_i64_i32 v[2:3], s[0:1], s16, v0, 0
	v_mov_b32_e32 v1, 0x480
	v_lshl_add_u64 v[2:3], v[2:3], 3, s[2:3]
	v_lshl_or_b32 v0, v0, 3, v1
.LBB79_49:                              ; =>This Inner Loop Header: Depth=1
	ds_read_b64 v[4:5], v0
	s_add_i32 s22, s22, -1
	v_add_u32_e32 v0, 0x60, v0
	s_cmp_lg_u32 s22, 0
	s_waitcnt lgkmcnt(0)
	flat_store_dwordx2 v[2:3], v[4:5]
	v_lshl_add_u64 v[2:3], v[2:3], 0, 8
	s_cbranch_scc1 .LBB79_49
.LBB79_50:
	s_endpgm
	.section	.rodata,"a",@progbits
	.p2align	6, 0x0
	.amdhsa_kernel _ZL38rocblas_trsm_small_left_device_sharedBILi12ELi12ELb1EddPKPKdPKPdEv13rocblas_fill_18rocblas_operation_17rocblas_diagonal_iiT3_T4_lilT5_lili
		.amdhsa_group_segment_fixed_size 2304
		.amdhsa_private_segment_fixed_size 0
		.amdhsa_kernarg_size 360
		.amdhsa_user_sgpr_count 2
		.amdhsa_user_sgpr_dispatch_ptr 0
		.amdhsa_user_sgpr_queue_ptr 0
		.amdhsa_user_sgpr_kernarg_segment_ptr 1
		.amdhsa_user_sgpr_dispatch_id 0
		.amdhsa_user_sgpr_kernarg_preload_length 0
		.amdhsa_user_sgpr_kernarg_preload_offset 0
		.amdhsa_user_sgpr_private_segment_size 0
		.amdhsa_uses_dynamic_stack 0
		.amdhsa_enable_private_segment 0
		.amdhsa_system_sgpr_workgroup_id_x 1
		.amdhsa_system_sgpr_workgroup_id_y 0
		.amdhsa_system_sgpr_workgroup_id_z 1
		.amdhsa_system_sgpr_workgroup_info 0
		.amdhsa_system_vgpr_workitem_id 0
		.amdhsa_next_free_vgpr 49
		.amdhsa_next_free_sgpr 26
		.amdhsa_accum_offset 52
		.amdhsa_reserve_vcc 1
		.amdhsa_float_round_mode_32 0
		.amdhsa_float_round_mode_16_64 0
		.amdhsa_float_denorm_mode_32 3
		.amdhsa_float_denorm_mode_16_64 3
		.amdhsa_dx10_clamp 1
		.amdhsa_ieee_mode 1
		.amdhsa_fp16_overflow 0
		.amdhsa_tg_split 0
		.amdhsa_exception_fp_ieee_invalid_op 0
		.amdhsa_exception_fp_denorm_src 0
		.amdhsa_exception_fp_ieee_div_zero 0
		.amdhsa_exception_fp_ieee_overflow 0
		.amdhsa_exception_fp_ieee_underflow 0
		.amdhsa_exception_fp_ieee_inexact 0
		.amdhsa_exception_int_div_zero 0
	.end_amdhsa_kernel
	.section	.text._ZL38rocblas_trsm_small_left_device_sharedBILi12ELi12ELb1EddPKPKdPKPdEv13rocblas_fill_18rocblas_operation_17rocblas_diagonal_iiT3_T4_lilT5_lili,"axG",@progbits,_ZL38rocblas_trsm_small_left_device_sharedBILi12ELi12ELb1EddPKPKdPKPdEv13rocblas_fill_18rocblas_operation_17rocblas_diagonal_iiT3_T4_lilT5_lili,comdat
.Lfunc_end79:
	.size	_ZL38rocblas_trsm_small_left_device_sharedBILi12ELi12ELb1EddPKPKdPKPdEv13rocblas_fill_18rocblas_operation_17rocblas_diagonal_iiT3_T4_lilT5_lili, .Lfunc_end79-_ZL38rocblas_trsm_small_left_device_sharedBILi12ELi12ELb1EddPKPKdPKPdEv13rocblas_fill_18rocblas_operation_17rocblas_diagonal_iiT3_T4_lilT5_lili
                                        ; -- End function
	.set _ZL38rocblas_trsm_small_left_device_sharedBILi12ELi12ELb1EddPKPKdPKPdEv13rocblas_fill_18rocblas_operation_17rocblas_diagonal_iiT3_T4_lilT5_lili.num_vgpr, 49
	.set _ZL38rocblas_trsm_small_left_device_sharedBILi12ELi12ELb1EddPKPKdPKPdEv13rocblas_fill_18rocblas_operation_17rocblas_diagonal_iiT3_T4_lilT5_lili.num_agpr, 0
	.set _ZL38rocblas_trsm_small_left_device_sharedBILi12ELi12ELb1EddPKPKdPKPdEv13rocblas_fill_18rocblas_operation_17rocblas_diagonal_iiT3_T4_lilT5_lili.numbered_sgpr, 26
	.set _ZL38rocblas_trsm_small_left_device_sharedBILi12ELi12ELb1EddPKPKdPKPdEv13rocblas_fill_18rocblas_operation_17rocblas_diagonal_iiT3_T4_lilT5_lili.num_named_barrier, 0
	.set _ZL38rocblas_trsm_small_left_device_sharedBILi12ELi12ELb1EddPKPKdPKPdEv13rocblas_fill_18rocblas_operation_17rocblas_diagonal_iiT3_T4_lilT5_lili.private_seg_size, 0
	.set _ZL38rocblas_trsm_small_left_device_sharedBILi12ELi12ELb1EddPKPKdPKPdEv13rocblas_fill_18rocblas_operation_17rocblas_diagonal_iiT3_T4_lilT5_lili.uses_vcc, 1
	.set _ZL38rocblas_trsm_small_left_device_sharedBILi12ELi12ELb1EddPKPKdPKPdEv13rocblas_fill_18rocblas_operation_17rocblas_diagonal_iiT3_T4_lilT5_lili.uses_flat_scratch, 0
	.set _ZL38rocblas_trsm_small_left_device_sharedBILi12ELi12ELb1EddPKPKdPKPdEv13rocblas_fill_18rocblas_operation_17rocblas_diagonal_iiT3_T4_lilT5_lili.has_dyn_sized_stack, 0
	.set _ZL38rocblas_trsm_small_left_device_sharedBILi12ELi12ELb1EddPKPKdPKPdEv13rocblas_fill_18rocblas_operation_17rocblas_diagonal_iiT3_T4_lilT5_lili.has_recursion, 0
	.set _ZL38rocblas_trsm_small_left_device_sharedBILi12ELi12ELb1EddPKPKdPKPdEv13rocblas_fill_18rocblas_operation_17rocblas_diagonal_iiT3_T4_lilT5_lili.has_indirect_call, 0
	.section	.AMDGPU.csdata,"",@progbits
; Kernel info:
; codeLenInByte = 5980
; TotalNumSgprs: 32
; NumVgprs: 49
; NumAgprs: 0
; TotalNumVgprs: 49
; ScratchSize: 0
; MemoryBound: 0
; FloatMode: 240
; IeeeMode: 1
; LDSByteSize: 2304 bytes/workgroup (compile time only)
; SGPRBlocks: 3
; VGPRBlocks: 6
; NumSGPRsForWavesPerEU: 32
; NumVGPRsForWavesPerEU: 49
; AccumOffset: 52
; Occupancy: 8
; WaveLimiterHint : 0
; COMPUTE_PGM_RSRC2:SCRATCH_EN: 0
; COMPUTE_PGM_RSRC2:USER_SGPR: 2
; COMPUTE_PGM_RSRC2:TRAP_HANDLER: 0
; COMPUTE_PGM_RSRC2:TGID_X_EN: 1
; COMPUTE_PGM_RSRC2:TGID_Y_EN: 0
; COMPUTE_PGM_RSRC2:TGID_Z_EN: 1
; COMPUTE_PGM_RSRC2:TIDIG_COMP_CNT: 0
; COMPUTE_PGM_RSRC3_GFX90A:ACCUM_OFFSET: 12
; COMPUTE_PGM_RSRC3_GFX90A:TG_SPLIT: 0
	.section	.text._ZL30rocblas_trsm_small_left_deviceILi12ELi12ELb1EddPKPKdPKPdEv13rocblas_fill_18rocblas_operation_17rocblas_diagonal_iiT3_T4_lilT5_lili,"axG",@progbits,_ZL30rocblas_trsm_small_left_deviceILi12ELi12ELb1EddPKPKdPKPdEv13rocblas_fill_18rocblas_operation_17rocblas_diagonal_iiT3_T4_lilT5_lili,comdat
	.globl	_ZL30rocblas_trsm_small_left_deviceILi12ELi12ELb1EddPKPKdPKPdEv13rocblas_fill_18rocblas_operation_17rocblas_diagonal_iiT3_T4_lilT5_lili ; -- Begin function _ZL30rocblas_trsm_small_left_deviceILi12ELi12ELb1EddPKPKdPKPdEv13rocblas_fill_18rocblas_operation_17rocblas_diagonal_iiT3_T4_lilT5_lili
	.p2align	8
	.type	_ZL30rocblas_trsm_small_left_deviceILi12ELi12ELb1EddPKPKdPKPdEv13rocblas_fill_18rocblas_operation_17rocblas_diagonal_iiT3_T4_lilT5_lili,@function
_ZL30rocblas_trsm_small_left_deviceILi12ELi12ELb1EddPKPKdPKPdEv13rocblas_fill_18rocblas_operation_17rocblas_diagonal_iiT3_T4_lilT5_lili: ; @_ZL30rocblas_trsm_small_left_deviceILi12ELi12ELb1EddPKPKdPKPdEv13rocblas_fill_18rocblas_operation_17rocblas_diagonal_iiT3_T4_lilT5_lili
; %bb.0:
	s_load_dwordx2 s[18:19], s[0:1], 0x28
	s_load_dwordx4 s[12:15], s[0:1], 0x40
	s_load_dwordx4 s[8:11], s[0:1], 0x4
	;; [unrolled: 1-line block ×3, first 2 shown]
	s_mov_b32 s16, s3
	s_mov_b32 s17, 0
	s_lshl_b64 s[20:21], s[16:17], 3
	s_waitcnt lgkmcnt(0)
	s_add_u32 s12, s12, s20
	s_addc_u32 s13, s13, s21
	s_load_dwordx2 s[12:13], s[12:13], 0x0
	s_min_i32 s22, s10, 12
	v_cmp_gt_i32_e32 vcc, s22, v0
	s_and_saveexec_b64 s[16:17], vcc
	s_cbranch_execz .LBB80_6
; %bb.1:
	s_load_dword s24, s[0:1], 0x30
	v_lshlrev_b32_e32 v2, 3, v0
	v_mov_b32_e32 v3, 0
	v_mov_b32_e32 v1, v2
	s_mov_b32 s3, s22
	s_waitcnt lgkmcnt(0)
	s_ashr_i32 s25, s24, 31
	s_add_u32 s6, s6, s20
	s_addc_u32 s7, s7, s21
	s_load_dwordx2 s[6:7], s[6:7], 0x0
	s_lshl_b64 s[18:19], s[18:19], 3
	s_waitcnt lgkmcnt(0)
	s_add_u32 s18, s6, s18
	s_addc_u32 s19, s7, s19
	s_lshl_b64 s[6:7], s[24:25], 3
	v_lshl_add_u64 v[4:5], s[18:19], 0, v[2:3]
.LBB80_2:                               ; =>This Inner Loop Header: Depth=1
	flat_load_dwordx2 v[6:7], v[4:5]
	s_add_i32 s3, s3, -1
	v_lshl_add_u64 v[4:5], v[4:5], 0, s[6:7]
	s_cmp_eq_u32 s3, 0
	s_waitcnt vmcnt(0) lgkmcnt(0)
	ds_write_b64 v1, v[6:7]
	v_add_u32_e32 v1, 0x60, v1
	s_cbranch_scc0 .LBB80_2
; %bb.3:
	v_mul_u32_u24_e32 v1, 0x60, v0
	s_cmpk_lg_i32 s9, 0x84
	v_mov_b64_e32 v[4:5], 1.0
	v_add_u32_e32 v1, v2, v1
	s_cbranch_scc0 .LBB80_5
; %bb.4:
	ds_read_b64 v[2:3], v1
	s_waitcnt lgkmcnt(0)
	v_div_scale_f64 v[4:5], s[6:7], v[2:3], v[2:3], 1.0
	v_rcp_f64_e32 v[6:7], v[4:5]
	v_div_scale_f64 v[8:9], vcc, 1.0, v[2:3], 1.0
	v_fma_f64 v[10:11], -v[4:5], v[6:7], 1.0
	v_fmac_f64_e32 v[6:7], v[6:7], v[10:11]
	v_fma_f64 v[10:11], -v[4:5], v[6:7], 1.0
	v_fmac_f64_e32 v[6:7], v[6:7], v[10:11]
	v_mul_f64 v[10:11], v[8:9], v[6:7]
	v_fma_f64 v[4:5], -v[4:5], v[10:11], v[8:9]
	v_div_fmas_f64 v[4:5], v[4:5], v[6:7], v[10:11]
	v_div_fixup_f64 v[4:5], v[4:5], v[2:3], 1.0
.LBB80_5:
	ds_write_b64 v1, v[4:5]
.LBB80_6:
	s_or_b64 exec, exec, s[16:17]
	s_load_dword s3, s[0:1], 0x68
	s_mul_i32 s6, s2, -12
	s_add_i32 s6, s11, s6
	s_waitcnt lgkmcnt(0)
	; wave barrier
	s_add_i32 s3, s3, -1
	s_cmp_ge_u32 s2, s3
	s_cselect_b32 s3, s6, 12
	v_cmp_gt_i32_e32 vcc, s3, v0
	s_and_saveexec_b64 s[6:7], vcc
	s_cbranch_execz .LBB80_48
; %bb.7:
	s_load_dword s6, s[0:1], 0x50
	s_lshl_b64 s[0:1], s[14:15], 3
	s_add_u32 s0, s12, s0
	v_mad_u64_u32 v[0:1], s[2:3], s2, 12, v[0:1]
	s_addc_u32 s1, s13, s1
	s_waitcnt lgkmcnt(0)
	v_mad_i64_i32 v[0:1], s[2:3], s6, v0, 0
	v_lshl_add_u64 v[0:1], v[0:1], 3, s[0:1]
	s_cmpk_eq_i32 s8, 0x6f
	s_mov_b64 s[0:1], -1
	s_cbranch_scc1 .LBB80_34
; %bb.8:
	s_add_i32 s8, s22, -1
	s_cmp_gt_i32 s10, 11
	s_mov_b32 s0, -1
	s_cbranch_scc0 .LBB80_10
; %bb.9:
	flat_load_dwordx4 v[4:7], v[0:1] offset:80
	flat_load_dwordx4 v[8:11], v[0:1] offset:64
	;; [unrolled: 1-line block ×4, first 2 shown]
	v_mov_b32_e32 v48, 0
	ds_read_b64 v[2:3], v48 offset:1144
	s_waitcnt vmcnt(0) lgkmcnt(0)
	v_mul_f64 v[6:7], s[4:5], v[6:7]
	v_mul_f64 v[2:3], v[6:7], v[2:3]
	flat_store_dwordx2 v[0:1], v[2:3] offset:88
	ds_read_b128 v[20:23], v48 offset:1040
	s_waitcnt lgkmcnt(0)
	v_mul_f64 v[6:7], v[2:3], v[22:23]
	v_fma_f64 v[4:5], s[4:5], v[4:5], -v[6:7]
	v_mul_f64 v[4:5], v[4:5], v[20:21]
	flat_store_dwordx2 v[0:1], v[4:5] offset:80
	ds_read_b64 v[6:7], v48 offset:952
	ds_read2_b64 v[24:27], v48 offset0:117 offset1:118
	flat_load_dwordx4 v[20:23], v[0:1] offset:16
	s_waitcnt lgkmcnt(0)
	v_mul_f64 v[6:7], v[2:3], v[6:7]
	v_fma_f64 v[6:7], s[4:5], v[10:11], -v[6:7]
	v_fma_f64 v[6:7], -v[4:5], v[26:27], v[6:7]
	v_mul_f64 v[6:7], v[6:7], v[24:25]
	flat_store_dwordx2 v[0:1], v[6:7] offset:72
	ds_read_b128 v[24:27], v48 offset:848
	ds_read_b128 v[28:31], v48 offset:832
	s_waitcnt lgkmcnt(0)
	v_mul_f64 v[10:11], v[2:3], v[26:27]
	v_fma_f64 v[8:9], s[4:5], v[8:9], -v[10:11]
	v_fma_f64 v[8:9], -v[4:5], v[24:25], v[8:9]
	v_fma_f64 v[8:9], -v[6:7], v[30:31], v[8:9]
	v_mul_f64 v[8:9], v[8:9], v[28:29]
	flat_store_dwordx2 v[0:1], v[8:9] offset:64
	ds_read_b64 v[10:11], v48 offset:760
	ds_read2_b64 v[24:27], v48 offset0:93 offset1:94
	ds_read2_b64 v[28:31], v48 offset0:91 offset1:92
	s_waitcnt lgkmcnt(0)
	v_mul_f64 v[10:11], v[2:3], v[10:11]
	v_fma_f64 v[10:11], s[4:5], v[14:15], -v[10:11]
	v_fma_f64 v[10:11], -v[4:5], v[26:27], v[10:11]
	v_fma_f64 v[10:11], -v[6:7], v[24:25], v[10:11]
	;; [unrolled: 1-line block ×3, first 2 shown]
	v_mul_f64 v[40:41], v[10:11], v[28:29]
	flat_load_dwordx4 v[28:31], v[0:1]
	s_nop 0
	flat_store_dwordx2 v[0:1], v[40:41] offset:56
	ds_read_b128 v[24:27], v48 offset:656
	ds_read_b128 v[32:35], v48 offset:640
	;; [unrolled: 1-line block ×3, first 2 shown]
	s_waitcnt lgkmcnt(0)
	v_mul_f64 v[10:11], v[2:3], v[26:27]
	v_fma_f64 v[10:11], s[4:5], v[12:13], -v[10:11]
	v_fma_f64 v[10:11], -v[4:5], v[24:25], v[10:11]
	v_fma_f64 v[10:11], -v[6:7], v[34:35], v[10:11]
	;; [unrolled: 1-line block ×4, first 2 shown]
	v_mul_f64 v[42:43], v[10:11], v[36:37]
	flat_store_dwordx2 v[0:1], v[42:43] offset:48
	ds_read_b64 v[14:15], v48 offset:568
	ds_read2_b64 v[10:13], v48 offset0:69 offset1:70
	ds_read2_b64 v[24:27], v48 offset0:67 offset1:68
	;; [unrolled: 1-line block ×3, first 2 shown]
	s_waitcnt lgkmcnt(0)
	v_mul_f64 v[14:15], v[2:3], v[14:15]
	v_fma_f64 v[14:15], s[4:5], v[18:19], -v[14:15]
	v_fma_f64 v[12:13], -v[4:5], v[12:13], v[14:15]
	v_fma_f64 v[10:11], -v[6:7], v[10:11], v[12:13]
	;; [unrolled: 1-line block ×5, first 2 shown]
	v_mul_f64 v[44:45], v[10:11], v[32:33]
	flat_store_dwordx2 v[0:1], v[44:45] offset:40
	ds_read_b128 v[10:13], v48 offset:464
	ds_read_b128 v[24:27], v48 offset:448
	;; [unrolled: 1-line block ×4, first 2 shown]
	s_waitcnt lgkmcnt(0)
	v_mul_f64 v[12:13], v[2:3], v[12:13]
	v_fma_f64 v[12:13], s[4:5], v[16:17], -v[12:13]
	v_fma_f64 v[10:11], -v[4:5], v[10:11], v[12:13]
	v_fma_f64 v[10:11], -v[6:7], v[26:27], v[10:11]
	;; [unrolled: 1-line block ×6, first 2 shown]
	v_mul_f64 v[46:47], v[10:11], v[32:33]
	flat_store_dwordx2 v[0:1], v[46:47] offset:32
	ds_read_b64 v[18:19], v48 offset:376
	ds_read2_b64 v[10:13], v48 offset0:45 offset1:46
	ds_read2_b64 v[14:17], v48 offset0:43 offset1:44
	;; [unrolled: 1-line block ×4, first 2 shown]
	s_waitcnt lgkmcnt(0)
	v_mul_f64 v[18:19], v[2:3], v[18:19]
	s_waitcnt vmcnt(0)
	v_fma_f64 v[18:19], s[4:5], v[22:23], -v[18:19]
	v_fma_f64 v[12:13], -v[4:5], v[12:13], v[18:19]
	v_fma_f64 v[10:11], -v[6:7], v[10:11], v[12:13]
	;; [unrolled: 1-line block ×7, first 2 shown]
	v_mul_f64 v[26:27], v[10:11], v[32:33]
	flat_store_dwordx2 v[0:1], v[26:27] offset:24
	ds_read_b128 v[10:13], v48 offset:272
	ds_read_b128 v[14:17], v48 offset:240
	;; [unrolled: 1-line block ×5, first 2 shown]
	s_waitcnt lgkmcnt(0)
	v_mul_f64 v[12:13], v[2:3], v[12:13]
	v_fma_f64 v[12:13], s[4:5], v[20:21], -v[12:13]
	v_fma_f64 v[10:11], -v[4:5], v[10:11], v[12:13]
	v_fma_f64 v[10:11], -v[6:7], v[24:25], v[10:11]
	;; [unrolled: 1-line block ×8, first 2 shown]
	v_mul_f64 v[36:37], v[10:11], v[32:33]
	flat_store_dwordx2 v[0:1], v[36:37] offset:16
	ds_read_b64 v[38:39], v48 offset:184
	ds_read2_b64 v[10:13], v48 offset0:21 offset1:22
	ds_read2_b64 v[14:17], v48 offset0:19 offset1:20
	;; [unrolled: 1-line block ×5, first 2 shown]
	s_waitcnt lgkmcnt(0)
	v_mul_f64 v[38:39], v[2:3], v[38:39]
	v_fma_f64 v[30:31], s[4:5], v[30:31], -v[38:39]
	v_fma_f64 v[12:13], -v[4:5], v[12:13], v[30:31]
	v_fma_f64 v[10:11], -v[6:7], v[10:11], v[12:13]
	;; [unrolled: 1-line block ×9, first 2 shown]
	v_mul_f64 v[30:31], v[10:11], v[32:33]
	flat_store_dwordx2 v[0:1], v[30:31] offset:8
	ds_read_b128 v[10:13], v48 offset:80
	ds_read_b128 v[14:17], v48 offset:64
	;; [unrolled: 1-line block ×4, first 2 shown]
	s_waitcnt lgkmcnt(0)
	v_mul_f64 v[2:3], v[2:3], v[12:13]
	v_fma_f64 v[2:3], s[4:5], v[28:29], -v[2:3]
	v_fma_f64 v[2:3], -v[4:5], v[10:11], v[2:3]
	v_fma_f64 v[2:3], -v[6:7], v[16:17], v[2:3]
	;; [unrolled: 1-line block ×3, first 2 shown]
	ds_read_b128 v[2:5], v48
	ds_read_b128 v[6:9], v48 offset:16
	v_fma_f64 v[10:11], -v[40:41], v[24:25], v[10:11]
	v_fma_f64 v[10:11], -v[42:43], v[22:23], v[10:11]
	;; [unrolled: 1-line block ×4, first 2 shown]
	s_waitcnt lgkmcnt(0)
	v_fma_f64 v[8:9], -v[26:27], v[8:9], v[10:11]
	v_fma_f64 v[6:7], -v[36:37], v[6:7], v[8:9]
	;; [unrolled: 1-line block ×3, first 2 shown]
	v_mul_f64 v[2:3], v[4:5], v[2:3]
	flat_store_dwordx2 v[0:1], v[2:3]
	s_cmp_gt_i32 s0, -1
	s_cbranch_scc1 .LBB80_11
	s_branch .LBB80_33
.LBB80_10:
	s_mov_b32 s0, s8
	s_cmp_gt_i32 s0, -1
	s_cbranch_scc0 .LBB80_33
.LBB80_11:
	s_cmp_lt_u32 s0, 7
	s_cbranch_scc1 .LBB80_16
; %bb.12:
	s_mov_b32 s3, 0
	s_mov_b32 s1, s3
	v_lshl_add_u64 v[10:11], s[0:1], 3, v[0:1]
	v_add_co_u32_e32 v12, vcc, -8, v10
	s_cmp_le_i32 s8, s0
	s_nop 0
	v_addc_co_u32_e32 v13, vcc, -1, v11, vcc
	v_add_co_u32_e32 v14, vcc, 0xffffffe8, v10
	s_nop 1
	v_addc_co_u32_e32 v15, vcc, -1, v11, vcc
	flat_load_dwordx4 v[2:5], v[12:13]
	flat_load_dwordx4 v[6:9], v[14:15]
	v_add_co_u32_e32 v12, vcc, 0xffffffd8, v10
	s_waitcnt vmcnt(0) lgkmcnt(0)
	v_mul_f64 v[18:19], s[4:5], v[4:5]
	v_addc_co_u32_e32 v13, vcc, -1, v11, vcc
	flat_load_dwordx4 v[20:23], v[12:13]
	v_add_co_u32_e32 v12, vcc, 0xffffffc8, v10
	v_mul_f64 v[16:17], s[4:5], v[2:3]
	s_nop 0
	v_addc_co_u32_e32 v13, vcc, -1, v11, vcc
	flat_load_dwordx4 v[24:27], v[12:13]
	v_mul_f64 v[14:15], s[4:5], v[8:9]
	v_mul_f64 v[12:13], s[4:5], v[6:7]
	s_waitcnt vmcnt(0) lgkmcnt(0)
	v_mul_f64 v[8:9], s[4:5], v[22:23]
	v_mul_f64 v[6:7], s[4:5], v[20:21]
	;; [unrolled: 1-line block ×4, first 2 shown]
	s_cbranch_scc1 .LBB80_15
; %bb.13:
	s_mul_i32 s1, s0, 0x60
	s_lshl_b32 s2, s22, 3
	s_add_i32 s1, s1, s2
	s_addk_i32 s1, 0xfd58
	s_mov_b32 s2, s8
.LBB80_14:                              ; =>This Inner Loop Header: Depth=1
	v_lshl_add_u64 v[20:21], s[2:3], 3, v[0:1]
	flat_load_dwordx2 v[36:37], v[20:21]
	v_mov_b32_e32 v32, s1
	ds_read2_b64 v[20:23], v32 offset0:72 offset1:84
	ds_read2_b64 v[24:27], v32 offset0:48 offset1:60
	;; [unrolled: 1-line block ×3, first 2 shown]
	ds_read2_b64 v[32:35], v32 offset1:12
	s_add_i32 s2, s2, -1
	s_add_i32 s1, s1, -8
	s_cmp_gt_i32 s2, s0
	s_waitcnt vmcnt(0) lgkmcnt(0)
	v_fma_f64 v[18:19], -v[36:37], v[22:23], v[18:19]
	v_fma_f64 v[16:17], -v[36:37], v[20:21], v[16:17]
	;; [unrolled: 1-line block ×8, first 2 shown]
	s_cbranch_scc1 .LBB80_14
.LBB80_15:
	s_mul_i32 s1, s0, 0x68
	v_mov_b32_e32 v20, s1
	ds_read_b64 v[20:21], v20
	s_add_i32 s2, s0, -1
	s_mul_i32 s1, s2, 0x60
	s_lshl_b32 s3, s2, 3
	s_add_i32 s3, s1, s3
	s_waitcnt lgkmcnt(0)
	v_mul_f64 v[22:23], v[18:19], v[20:21]
	flat_store_dwordx2 v[10:11], v[22:23]
	v_mov_b32_e32 v10, s3
	ds_read2_b64 v[18:21], v10 offset1:1
	s_mov_b32 s3, 0
	s_add_i32 s6, s1, 0xffffffa0
	s_lshl_b32 s7, s0, 3
	v_lshl_add_u64 v[10:11], s[2:3], 3, v[0:1]
	s_waitcnt lgkmcnt(0)
	v_fma_f64 v[16:17], -v[22:23], v[20:21], v[16:17]
	s_add_i32 s2, s0, -2
	v_mul_f64 v[24:25], v[16:17], v[18:19]
	s_add_i32 s9, s6, s7
	flat_store_dwordx2 v[10:11], v[24:25]
	v_mov_b32_e32 v10, s9
	s_lshl_b32 s9, s2, 3
	s_add_i32 s6, s6, s9
	v_mov_b32_e32 v16, s6
	ds_read_b64 v[10:11], v10
	ds_read2_b64 v[16:19], v16 offset1:1
	s_add_i32 s6, s1, 0xffffff40
	s_add_i32 s9, s6, s7
	s_add_i32 s9, s9, -8
	s_waitcnt lgkmcnt(0)
	v_fma_f64 v[10:11], -v[22:23], v[10:11], v[14:15]
	v_fma_f64 v[10:11], -v[24:25], v[18:19], v[10:11]
	v_mul_f64 v[26:27], v[10:11], v[16:17]
	v_lshl_add_u64 v[10:11], s[2:3], 3, v[0:1]
	s_add_i32 s2, s0, -3
	flat_store_dwordx2 v[10:11], v[26:27]
	v_mov_b32_e32 v10, s9
	s_lshl_b32 s9, s2, 3
	ds_read2_b64 v[14:17], v10 offset1:1
	s_add_i32 s6, s6, s9
	v_mov_b32_e32 v10, s6
	ds_read2_b64 v[18:21], v10 offset1:1
	s_add_i32 s6, s1, 0xfffffee0
	s_waitcnt lgkmcnt(0)
	v_fma_f64 v[10:11], -v[22:23], v[16:17], v[12:13]
	v_fma_f64 v[10:11], -v[24:25], v[14:15], v[10:11]
	s_add_i32 s9, s6, s7
	v_fma_f64 v[10:11], -v[26:27], v[20:21], v[10:11]
	v_mul_f64 v[20:21], v[10:11], v[18:19]
	v_lshl_add_u64 v[10:11], s[2:3], 3, v[0:1]
	flat_store_dwordx2 v[10:11], v[20:21]
	s_add_i32 s2, s0, -4
	v_mov_b32_e32 v10, s9
	s_add_i32 s9, s9, -16
	v_mov_b32_e32 v11, s9
	s_lshl_b32 s9, s2, 3
	ds_read_b64 v[18:19], v10
	ds_read2_b64 v[10:13], v11 offset1:1
	s_add_i32 s6, s6, s9
	v_mov_b32_e32 v14, s6
	ds_read2_b64 v[14:17], v14 offset1:1
	s_waitcnt lgkmcnt(0)
	v_fma_f64 v[8:9], -v[22:23], v[18:19], v[8:9]
	v_fma_f64 v[8:9], -v[24:25], v[12:13], v[8:9]
	;; [unrolled: 1-line block ×3, first 2 shown]
	s_add_i32 s6, s1, 0xfffffe80
	v_fma_f64 v[8:9], -v[20:21], v[16:17], v[8:9]
	s_add_i32 s9, s6, s7
	v_mul_f64 v[28:29], v[8:9], v[14:15]
	v_lshl_add_u64 v[8:9], s[2:3], 3, v[0:1]
	s_add_i32 s11, s9, -8
	s_sub_i32 s9, s9, 24
	flat_store_dwordx2 v[8:9], v[28:29]
	s_add_i32 s2, s0, -5
	v_mov_b32_e32 v8, s11
	v_mov_b32_e32 v12, s9
	ds_read2_b64 v[8:11], v8 offset1:1
	ds_read2_b64 v[12:15], v12 offset1:1
	s_lshl_b32 s9, s2, 3
	s_add_i32 s6, s6, s9
	v_mov_b32_e32 v16, s6
	ds_read2_b64 v[16:19], v16 offset1:1
	s_waitcnt lgkmcnt(0)
	v_fma_f64 v[6:7], -v[22:23], v[10:11], v[6:7]
	v_fma_f64 v[6:7], -v[24:25], v[8:9], v[6:7]
	v_fma_f64 v[6:7], -v[26:27], v[14:15], v[6:7]
	v_fma_f64 v[6:7], -v[20:21], v[12:13], v[6:7]
	v_fma_f64 v[6:7], -v[28:29], v[18:19], v[6:7]
	s_add_i32 s6, s1, 0xfffffe20
	v_mul_f64 v[18:19], v[6:7], v[16:17]
	v_lshl_add_u64 v[6:7], s[2:3], 3, v[0:1]
	s_add_i32 s9, s6, s7
	flat_store_dwordx2 v[6:7], v[18:19]
	v_mov_b32_e32 v6, s9
	ds_read_b64 v[10:11], v6
	s_add_i32 s11, s9, -16
	v_mov_b32_e32 v6, s11
	s_add_i32 s2, s0, -6
	ds_read2_b64 v[6:9], v6 offset1:1
	s_sub_i32 s9, s9, 32
	s_waitcnt lgkmcnt(0)
	v_fma_f64 v[4:5], -v[22:23], v[10:11], v[4:5]
	v_mov_b32_e32 v10, s9
	s_lshl_b32 s9, s2, 3
	ds_read2_b64 v[10:13], v10 offset1:1
	s_add_i32 s6, s6, s9
	v_mov_b32_e32 v14, s6
	ds_read2_b64 v[14:17], v14 offset1:1
	v_fma_f64 v[4:5], -v[24:25], v[8:9], v[4:5]
	v_fma_f64 v[4:5], -v[26:27], v[6:7], v[4:5]
	s_waitcnt lgkmcnt(0)
	v_fma_f64 v[4:5], -v[20:21], v[12:13], v[4:5]
	v_fma_f64 v[4:5], -v[28:29], v[10:11], v[4:5]
	s_addk_i32 s1, 0xfdc0
	v_fma_f64 v[4:5], -v[18:19], v[16:17], v[4:5]
	s_add_i32 s6, s1, s7
	v_mul_f64 v[16:17], v[4:5], v[14:15]
	v_lshl_add_u64 v[4:5], s[2:3], 3, v[0:1]
	s_add_i32 s2, s6, -8
	flat_store_dwordx2 v[4:5], v[16:17]
	v_mov_b32_e32 v4, s2
	ds_read2_b64 v[4:7], v4 offset1:1
	s_sub_i32 s7, s6, 24
	v_mov_b32_e32 v8, s7
	s_add_i32 s2, s0, -7
	ds_read2_b64 v[8:11], v8 offset1:1
	s_waitcnt lgkmcnt(0)
	v_fma_f64 v[2:3], -v[22:23], v[6:7], v[2:3]
	s_sub_i32 s6, s6, 40
	v_fma_f64 v[6:7], -v[24:25], v[4:5], v[2:3]
	v_mov_b32_e32 v2, s6
	s_lshl_b32 s6, s2, 3
	ds_read2_b64 v[2:5], v2 offset1:1
	s_add_i32 s1, s1, s6
	v_mov_b32_e32 v12, s1
	ds_read2_b64 v[12:15], v12 offset1:1
	v_fma_f64 v[6:7], -v[26:27], v[10:11], v[6:7]
	v_fma_f64 v[6:7], -v[20:21], v[8:9], v[6:7]
	s_waitcnt lgkmcnt(0)
	v_fma_f64 v[4:5], -v[28:29], v[4:5], v[6:7]
	v_fma_f64 v[2:3], -v[18:19], v[2:3], v[4:5]
	;; [unrolled: 1-line block ×3, first 2 shown]
	v_mul_f64 v[2:3], v[2:3], v[12:13]
	v_lshl_add_u64 v[4:5], s[2:3], 3, v[0:1]
	s_add_i32 s0, s0, -8
	flat_store_dwordx2 v[4:5], v[2:3]
.LBB80_16:
	s_cmp_lt_i32 s0, 0
	s_cbranch_scc1 .LBB80_33
; %bb.17:
	s_and_b32 s1, s0, 3
	s_cmp_eq_u32 s1, 3
	s_mov_b32 s2, s0
	s_cbranch_scc1 .LBB80_22
; %bb.18:
	s_mul_i32 s2, s0, 0x60
	s_lshl_b32 s3, s22, 3
	s_add_i32 s1, s0, 1
	s_add_i32 s2, s2, s3
	s_and_b32 s1, s1, 3
	s_add_i32 s9, s2, -8
	s_mov_b32 s7, 0
	s_mov_b32 s2, s0
	;; [unrolled: 1-line block ×3, first 2 shown]
	s_branch .LBB80_20
.LBB80_19:                              ;   in Loop: Header=BB80_20 Depth=1
	s_mul_i32 s3, s2, 0x68
	v_mov_b32_e32 v6, s3
	ds_read_b64 v[6:7], v6
	s_add_i32 s2, s2, -1
	s_add_i32 s11, s11, 1
	s_addk_i32 s9, 0xffa0
	s_cmp_lg_u32 s11, s1
	s_waitcnt lgkmcnt(0)
	v_mul_f64 v[4:5], v[4:5], v[6:7]
	flat_store_dwordx2 v[2:3], v[4:5]
	s_cbranch_scc0 .LBB80_22
.LBB80_20:                              ; =>This Loop Header: Depth=1
                                        ;     Child Loop BB80_21 Depth 2
	s_mov_b32 s3, s7
	v_lshl_add_u64 v[2:3], s[2:3], 3, v[0:1]
	flat_load_dwordx2 v[4:5], v[2:3]
	s_cmp_le_i32 s8, s2
	s_mov_b32 s3, s9
	s_mov_b32 s6, s8
	s_waitcnt vmcnt(0) lgkmcnt(0)
	v_mul_f64 v[4:5], s[4:5], v[4:5]
	s_cbranch_scc1 .LBB80_19
.LBB80_21:                              ;   Parent Loop BB80_20 Depth=1
                                        ; =>  This Inner Loop Header: Depth=2
	v_lshl_add_u64 v[6:7], s[6:7], 3, v[0:1]
	flat_load_dwordx2 v[6:7], v[6:7]
	v_mov_b32_e32 v8, s3
	ds_read_b64 v[8:9], v8
	s_add_i32 s6, s6, -1
	s_add_i32 s3, s3, -8
	s_cmp_gt_i32 s6, s2
	s_waitcnt vmcnt(0) lgkmcnt(0)
	v_fma_f64 v[4:5], -v[6:7], v[8:9], v[4:5]
	s_cbranch_scc1 .LBB80_21
	s_branch .LBB80_19
.LBB80_22:
	s_cmp_lt_u32 s0, 3
	s_cbranch_scc1 .LBB80_33
; %bb.23:
	s_mul_i32 s0, s2, 0x60
	s_lshl_b32 s1, s22, 3
	s_add_i32 s0, s0, s1
	s_add_i32 s9, s0, -8
	s_add_i32 s11, s0, 0xffffff98
	s_add_i32 s12, s0, 0xffffff38
	;; [unrolled: 1-line block ×3, first 2 shown]
	s_mov_b32 s1, 0
	s_branch .LBB80_25
.LBB80_24:                              ;   in Loop: Header=BB80_25 Depth=1
	s_add_i32 s0, s3, 0xffffff98
	v_mov_b32_e32 v6, s0
	ds_read_b64 v[6:7], v6
	s_add_i32 s0, s2, -4
	s_addk_i32 s9, 0xfe80
	s_addk_i32 s11, 0xfe80
	;; [unrolled: 1-line block ×4, first 2 shown]
	s_waitcnt lgkmcnt(0)
	v_mul_f64 v[4:5], v[4:5], v[6:7]
	s_cmp_lt_i32 s2, 4
	s_mov_b32 s2, s0
	flat_store_dwordx2 v[2:3], v[4:5]
	s_cbranch_scc1 .LBB80_33
.LBB80_25:                              ; =>This Loop Header: Depth=1
                                        ;     Child Loop BB80_26 Depth 2
                                        ;     Child Loop BB80_28 Depth 2
	;; [unrolled: 1-line block ×4, first 2 shown]
	s_mov_b32 s3, s1
	v_lshl_add_u64 v[4:5], s[2:3], 3, v[0:1]
	flat_load_dwordx2 v[2:3], v[4:5]
	s_cmp_le_i32 s8, s2
	s_mov_b32 s3, s9
	s_mov_b32 s0, s8
	s_waitcnt vmcnt(0) lgkmcnt(0)
	v_mul_f64 v[6:7], s[4:5], v[2:3]
	s_cbranch_scc1 .LBB80_27
.LBB80_26:                              ;   Parent Loop BB80_25 Depth=1
                                        ; =>  This Inner Loop Header: Depth=2
	v_lshl_add_u64 v[2:3], s[0:1], 3, v[0:1]
	flat_load_dwordx2 v[2:3], v[2:3]
	v_mov_b32_e32 v8, s3
	ds_read_b64 v[8:9], v8
	s_add_i32 s0, s0, -1
	s_add_i32 s3, s3, -8
	s_cmp_gt_i32 s0, s2
	s_waitcnt vmcnt(0) lgkmcnt(0)
	v_fma_f64 v[6:7], -v[2:3], v[8:9], v[6:7]
	s_cbranch_scc1 .LBB80_26
.LBB80_27:                              ;   in Loop: Header=BB80_25 Depth=1
	s_add_i32 s0, s2, -1
	v_lshl_add_u64 v[2:3], s[0:1], 3, v[0:1]
	flat_load_dwordx2 v[8:9], v[2:3]
	s_mul_i32 s3, s2, 0x68
	v_mov_b32_e32 v10, s3
	ds_read_b64 v[10:11], v10
	s_mov_b32 s6, s11
	s_cmp_le_i32 s22, s2
	s_mov_b32 s0, s22
	s_waitcnt lgkmcnt(0)
	v_mul_f64 v[6:7], v[6:7], v[10:11]
	flat_store_dwordx2 v[4:5], v[6:7]
	s_waitcnt vmcnt(0)
	v_mul_f64 v[6:7], s[4:5], v[8:9]
	s_cbranch_scc1 .LBB80_29
.LBB80_28:                              ;   Parent Loop BB80_25 Depth=1
                                        ; =>  This Inner Loop Header: Depth=2
	s_add_i32 s0, s0, -1
	v_lshl_add_u64 v[4:5], s[0:1], 3, v[0:1]
	flat_load_dwordx2 v[4:5], v[4:5]
	v_mov_b32_e32 v8, s6
	ds_read_b64 v[8:9], v8
	s_add_i32 s6, s6, -8
	s_cmp_gt_i32 s0, s2
	s_waitcnt vmcnt(0) lgkmcnt(0)
	v_fma_f64 v[6:7], -v[4:5], v[8:9], v[6:7]
	s_cbranch_scc1 .LBB80_28
.LBB80_29:                              ;   in Loop: Header=BB80_25 Depth=1
	s_add_i32 s6, s2, -2
	s_mov_b32 s7, s1
	v_lshl_add_u64 v[4:5], s[6:7], 3, v[0:1]
	flat_load_dwordx2 v[8:9], v[4:5]
	s_addk_i32 s3, 0xff98
	v_mov_b32_e32 v10, s3
	ds_read_b64 v[10:11], v10
	s_mov_b32 s7, s12
	s_cmp_le_i32 s8, s6
	s_mov_b32 s0, s8
	s_waitcnt lgkmcnt(0)
	v_mul_f64 v[6:7], v[6:7], v[10:11]
	flat_store_dwordx2 v[2:3], v[6:7]
	s_waitcnt vmcnt(0)
	v_mul_f64 v[6:7], s[4:5], v[8:9]
	s_cbranch_scc1 .LBB80_31
.LBB80_30:                              ;   Parent Loop BB80_25 Depth=1
                                        ; =>  This Inner Loop Header: Depth=2
	v_lshl_add_u64 v[2:3], s[0:1], 3, v[0:1]
	flat_load_dwordx2 v[2:3], v[2:3]
	v_mov_b32_e32 v8, s7
	ds_read_b64 v[8:9], v8
	s_add_i32 s0, s0, -1
	s_add_i32 s7, s7, -8
	s_cmp_gt_i32 s0, s6
	s_waitcnt vmcnt(0) lgkmcnt(0)
	v_fma_f64 v[6:7], -v[2:3], v[8:9], v[6:7]
	s_cbranch_scc1 .LBB80_30
.LBB80_31:                              ;   in Loop: Header=BB80_25 Depth=1
	s_add_i32 s6, s2, -3
	s_mov_b32 s7, s1
	v_lshl_add_u64 v[2:3], s[6:7], 3, v[0:1]
	flat_load_dwordx2 v[8:9], v[2:3]
	s_addk_i32 s3, 0xff98
	v_mov_b32_e32 v10, s3
	ds_read_b64 v[10:11], v10
	s_mov_b32 s7, s13
	s_cmp_le_i32 s8, s6
	s_mov_b32 s0, s8
	s_waitcnt lgkmcnt(0)
	v_mul_f64 v[6:7], v[6:7], v[10:11]
	flat_store_dwordx2 v[4:5], v[6:7]
	s_waitcnt vmcnt(0)
	v_mul_f64 v[4:5], s[4:5], v[8:9]
	s_cbranch_scc1 .LBB80_24
.LBB80_32:                              ;   Parent Loop BB80_25 Depth=1
                                        ; =>  This Inner Loop Header: Depth=2
	v_lshl_add_u64 v[6:7], s[0:1], 3, v[0:1]
	flat_load_dwordx2 v[6:7], v[6:7]
	v_mov_b32_e32 v8, s7
	ds_read_b64 v[8:9], v8
	s_add_i32 s0, s0, -1
	s_add_i32 s7, s7, -8
	s_cmp_gt_i32 s0, s6
	s_waitcnt vmcnt(0) lgkmcnt(0)
	v_fma_f64 v[4:5], -v[6:7], v[8:9], v[4:5]
	s_cbranch_scc1 .LBB80_32
	s_branch .LBB80_24
.LBB80_33:
	s_mov_b64 s[0:1], 0
.LBB80_34:
	s_and_b64 vcc, exec, s[0:1]
	s_cbranch_vccz .LBB80_48
; %bb.35:
	s_cmp_gt_i32 s10, 11
	s_cselect_b64 s[2:3], -1, 0
	s_and_b64 vcc, exec, s[2:3]
	s_cbranch_vccz .LBB80_37
; %bb.36:
	flat_load_dwordx4 v[2:5], v[0:1]
	flat_load_dwordx4 v[6:9], v[0:1] offset:16
	flat_load_dwordx4 v[10:13], v[0:1] offset:32
	;; [unrolled: 1-line block ×3, first 2 shown]
	v_mov_b32_e32 v50, 0
	ds_read_b64 v[18:19], v50
	s_mov_b32 s0, 12
	s_waitcnt vmcnt(0) lgkmcnt(0)
	v_mul_f64 v[2:3], s[4:5], v[2:3]
	v_mul_f64 v[22:23], v[2:3], v[18:19]
	flat_store_dwordx2 v[0:1], v[22:23]
	ds_read_b64 v[2:3], v50 offset:8
	ds_read_b64 v[18:19], v50 offset:104
	s_waitcnt lgkmcnt(0)
	v_mul_f64 v[2:3], v[22:23], v[2:3]
	v_fma_f64 v[2:3], s[4:5], v[4:5], -v[2:3]
	v_mul_f64 v[24:25], v[2:3], v[18:19]
	flat_store_dwordx2 v[0:1], v[24:25] offset:8
	ds_read_b64 v[2:3], v50 offset:16
	ds_read_b64 v[4:5], v50 offset:112
	;; [unrolled: 1-line block ×3, first 2 shown]
	s_waitcnt lgkmcnt(0)
	v_mul_f64 v[2:3], v[22:23], v[2:3]
	v_fma_f64 v[2:3], s[4:5], v[6:7], -v[2:3]
	v_fma_f64 v[2:3], -v[24:25], v[4:5], v[2:3]
	v_mul_f64 v[6:7], v[2:3], v[18:19]
	flat_store_dwordx2 v[0:1], v[6:7] offset:16
	ds_read_b64 v[26:27], v50 offset:24
	flat_load_dwordx4 v[2:5], v[0:1] offset:64
	flat_load_dwordx4 v[18:21], v[0:1] offset:80
	ds_read_b64 v[28:29], v50 offset:120
	ds_read_b64 v[30:31], v50 offset:216
	;; [unrolled: 1-line block ×3, first 2 shown]
	s_waitcnt lgkmcnt(0)
	v_mul_f64 v[26:27], v[22:23], v[26:27]
	v_fma_f64 v[8:9], s[4:5], v[8:9], -v[26:27]
	v_fma_f64 v[8:9], -v[24:25], v[28:29], v[8:9]
	v_fma_f64 v[8:9], -v[6:7], v[30:31], v[8:9]
	v_mul_f64 v[8:9], v[8:9], v[32:33]
	flat_store_dwordx2 v[0:1], v[8:9] offset:24
	ds_read_b64 v[26:27], v50 offset:32
	ds_read_b64 v[28:29], v50 offset:128
	ds_read_b64 v[30:31], v50 offset:224
	ds_read_b64 v[32:33], v50 offset:320
	ds_read_b64 v[34:35], v50 offset:416
	s_waitcnt lgkmcnt(0)
	v_mul_f64 v[26:27], v[22:23], v[26:27]
	v_fma_f64 v[10:11], s[4:5], v[10:11], -v[26:27]
	v_fma_f64 v[10:11], -v[24:25], v[28:29], v[10:11]
	v_fma_f64 v[10:11], -v[6:7], v[30:31], v[10:11]
	;; [unrolled: 1-line block ×3, first 2 shown]
	v_mul_f64 v[10:11], v[10:11], v[34:35]
	flat_store_dwordx2 v[0:1], v[10:11] offset:32
	ds_read_b64 v[26:27], v50 offset:40
	ds_read_b64 v[28:29], v50 offset:136
	;; [unrolled: 1-line block ×6, first 2 shown]
	s_waitcnt lgkmcnt(0)
	v_mul_f64 v[26:27], v[22:23], v[26:27]
	v_fma_f64 v[12:13], s[4:5], v[12:13], -v[26:27]
	v_fma_f64 v[12:13], -v[24:25], v[28:29], v[12:13]
	v_fma_f64 v[12:13], -v[6:7], v[30:31], v[12:13]
	;; [unrolled: 1-line block ×4, first 2 shown]
	v_mul_f64 v[12:13], v[12:13], v[36:37]
	flat_store_dwordx2 v[0:1], v[12:13] offset:40
	ds_read_b64 v[26:27], v50 offset:48
	ds_read_b64 v[28:29], v50 offset:144
	;; [unrolled: 1-line block ×7, first 2 shown]
	s_waitcnt lgkmcnt(0)
	v_mul_f64 v[26:27], v[22:23], v[26:27]
	v_fma_f64 v[14:15], s[4:5], v[14:15], -v[26:27]
	v_fma_f64 v[14:15], -v[24:25], v[28:29], v[14:15]
	v_fma_f64 v[14:15], -v[6:7], v[30:31], v[14:15]
	;; [unrolled: 1-line block ×5, first 2 shown]
	v_mul_f64 v[14:15], v[14:15], v[38:39]
	flat_store_dwordx2 v[0:1], v[14:15] offset:48
	ds_read_b64 v[26:27], v50 offset:56
	ds_read_b64 v[28:29], v50 offset:152
	;; [unrolled: 1-line block ×8, first 2 shown]
	s_waitcnt lgkmcnt(0)
	v_mul_f64 v[26:27], v[22:23], v[26:27]
	v_fma_f64 v[16:17], s[4:5], v[16:17], -v[26:27]
	v_fma_f64 v[16:17], -v[24:25], v[28:29], v[16:17]
	v_fma_f64 v[16:17], -v[6:7], v[30:31], v[16:17]
	;; [unrolled: 1-line block ×6, first 2 shown]
	v_mul_f64 v[16:17], v[16:17], v[40:41]
	flat_store_dwordx2 v[0:1], v[16:17] offset:56
	ds_read_b64 v[26:27], v50 offset:64
	ds_read_b64 v[28:29], v50 offset:160
	;; [unrolled: 1-line block ×9, first 2 shown]
	s_waitcnt lgkmcnt(0)
	v_mul_f64 v[26:27], v[22:23], v[26:27]
	s_waitcnt vmcnt(0)
	v_fma_f64 v[2:3], s[4:5], v[2:3], -v[26:27]
	v_fma_f64 v[2:3], -v[24:25], v[28:29], v[2:3]
	v_fma_f64 v[2:3], -v[6:7], v[30:31], v[2:3]
	;; [unrolled: 1-line block ×7, first 2 shown]
	v_mul_f64 v[26:27], v[2:3], v[42:43]
	flat_store_dwordx2 v[0:1], v[26:27] offset:64
	ds_read_b64 v[2:3], v50 offset:72
	ds_read_b64 v[28:29], v50 offset:168
	;; [unrolled: 1-line block ×10, first 2 shown]
	s_waitcnt lgkmcnt(0)
	v_mul_f64 v[2:3], v[22:23], v[2:3]
	v_fma_f64 v[2:3], s[4:5], v[4:5], -v[2:3]
	v_fma_f64 v[2:3], -v[24:25], v[28:29], v[2:3]
	v_fma_f64 v[2:3], -v[6:7], v[30:31], v[2:3]
	;; [unrolled: 1-line block ×8, first 2 shown]
	v_mul_f64 v[28:29], v[2:3], v[44:45]
	flat_store_dwordx2 v[0:1], v[28:29] offset:72
	ds_read_b64 v[2:3], v50 offset:80
	ds_read_b64 v[4:5], v50 offset:176
	;; [unrolled: 1-line block ×11, first 2 shown]
	s_waitcnt lgkmcnt(0)
	v_mul_f64 v[2:3], v[22:23], v[2:3]
	v_fma_f64 v[2:3], s[4:5], v[18:19], -v[2:3]
	v_fma_f64 v[2:3], -v[24:25], v[4:5], v[2:3]
	v_fma_f64 v[2:3], -v[6:7], v[30:31], v[2:3]
	v_fma_f64 v[2:3], -v[8:9], v[32:33], v[2:3]
	v_fma_f64 v[2:3], -v[10:11], v[34:35], v[2:3]
	v_fma_f64 v[2:3], -v[12:13], v[36:37], v[2:3]
	v_fma_f64 v[2:3], -v[14:15], v[38:39], v[2:3]
	v_fma_f64 v[2:3], -v[16:17], v[40:41], v[2:3]
	v_fma_f64 v[2:3], -v[26:27], v[42:43], v[2:3]
	v_fma_f64 v[2:3], -v[28:29], v[44:45], v[2:3]
	v_mul_f64 v[18:19], v[2:3], v[46:47]
	flat_store_dwordx2 v[0:1], v[18:19] offset:80
	ds_read_b64 v[30:31], v50 offset:88
	ds_read_b64 v[32:33], v50 offset:184
	;; [unrolled: 1-line block ×10, first 2 shown]
	ds_read2_b64 v[2:5], v50 offset0:131 offset1:143
	s_waitcnt lgkmcnt(0)
	v_mul_f64 v[22:23], v[22:23], v[30:31]
	v_fma_f64 v[20:21], s[4:5], v[20:21], -v[22:23]
	v_fma_f64 v[20:21], -v[24:25], v[32:33], v[20:21]
	v_fma_f64 v[6:7], -v[6:7], v[34:35], v[20:21]
	;; [unrolled: 1-line block ×10, first 2 shown]
	v_mul_f64 v[2:3], v[2:3], v[4:5]
	flat_store_dwordx2 v[0:1], v[2:3] offset:88
	s_cmp_lt_i32 s0, s22
	s_cbranch_scc1 .LBB80_38
	s_branch .LBB80_48
.LBB80_37:
	s_mov_b32 s0, 0
	s_cmp_lt_i32 s0, s22
	s_cbranch_scc0 .LBB80_48
.LBB80_38:
	s_add_i32 s1, s0, 7
	s_cmp_ge_u32 s1, s22
	s_cbranch_scc1 .LBB80_43
; %bb.39:
	s_lshl_b32 s6, s0, 3
	s_mov_b32 s7, 0
	v_lshl_add_u64 v[2:3], v[0:1], 0, s[6:7]
	flat_load_dwordx4 v[4:7], v[2:3]
	flat_load_dwordx4 v[8:11], v[2:3] offset:16
	flat_load_dwordx4 v[20:23], v[2:3] offset:32
	;; [unrolled: 1-line block ×3, first 2 shown]
	s_andn2_b64 vcc, exec, s[2:3]
	s_waitcnt vmcnt(0) lgkmcnt(0)
	v_mul_f64 v[18:19], s[4:5], v[4:5]
	v_mul_f64 v[16:17], s[4:5], v[6:7]
	;; [unrolled: 1-line block ×8, first 2 shown]
	s_cbranch_vccnz .LBB80_42
; %bb.40:
	v_mov_b64_e32 v[20:21], v[0:1]
	s_mov_b32 s1, s0
.LBB80_41:                              ; =>This Inner Loop Header: Depth=1
	flat_load_dwordx2 v[38:39], v[20:21]
	v_mov_b32_e32 v34, s6
	ds_read_b128 v[22:25], v34
	ds_read_b128 v[26:29], v34 offset:16
	ds_read_b128 v[30:33], v34 offset:32
	;; [unrolled: 1-line block ×3, first 2 shown]
	s_add_i32 s1, s1, -1
	s_addk_i32 s6, 0x60
	v_lshl_add_u64 v[20:21], v[20:21], 0, 8
	s_cmp_lg_u32 s1, 0
	s_waitcnt vmcnt(0) lgkmcnt(0)
	v_fma_f64 v[18:19], -v[38:39], v[22:23], v[18:19]
	v_fma_f64 v[16:17], -v[38:39], v[24:25], v[16:17]
	;; [unrolled: 1-line block ×8, first 2 shown]
	s_cbranch_scc1 .LBB80_41
.LBB80_42:
	s_lshl_b32 s1, s0, 3
	s_mul_i32 s2, s0, 0x60
	s_add_i32 s1, s1, s2
	v_mov_b32_e32 v36, s1
	ds_read_b64 v[20:21], v36
	s_add_i32 s0, s0, 8
	s_waitcnt lgkmcnt(0)
	v_mul_f64 v[18:19], v[18:19], v[20:21]
	flat_store_dwordx2 v[2:3], v[18:19]
	ds_read_b64 v[20:21], v36 offset:8
	ds_read_b64 v[22:23], v36 offset:104
	s_waitcnt lgkmcnt(0)
	v_fma_f64 v[16:17], -v[18:19], v[20:21], v[16:17]
	v_mul_f64 v[16:17], v[16:17], v[22:23]
	flat_store_dwordx2 v[2:3], v[16:17] offset:8
	ds_read_b64 v[20:21], v36 offset:16
	ds_read_b64 v[22:23], v36 offset:112
	;; [unrolled: 1-line block ×3, first 2 shown]
	s_waitcnt lgkmcnt(0)
	v_fma_f64 v[14:15], -v[18:19], v[20:21], v[14:15]
	v_fma_f64 v[14:15], -v[16:17], v[22:23], v[14:15]
	v_mul_f64 v[14:15], v[14:15], v[24:25]
	flat_store_dwordx2 v[2:3], v[14:15] offset:16
	ds_read_b64 v[20:21], v36 offset:24
	ds_read_b64 v[22:23], v36 offset:120
	;; [unrolled: 1-line block ×4, first 2 shown]
	s_waitcnt lgkmcnt(0)
	v_fma_f64 v[12:13], -v[18:19], v[20:21], v[12:13]
	v_fma_f64 v[12:13], -v[16:17], v[22:23], v[12:13]
	;; [unrolled: 1-line block ×3, first 2 shown]
	v_mul_f64 v[12:13], v[12:13], v[26:27]
	flat_store_dwordx2 v[2:3], v[12:13] offset:24
	ds_read_b64 v[20:21], v36 offset:32
	ds_read_b64 v[22:23], v36 offset:128
	ds_read_b64 v[24:25], v36 offset:224
	ds_read_b64 v[26:27], v36 offset:320
	ds_read_b64 v[28:29], v36 offset:416
	s_waitcnt lgkmcnt(0)
	v_fma_f64 v[10:11], -v[18:19], v[20:21], v[10:11]
	v_fma_f64 v[10:11], -v[16:17], v[22:23], v[10:11]
	;; [unrolled: 1-line block ×4, first 2 shown]
	v_mul_f64 v[10:11], v[10:11], v[28:29]
	flat_store_dwordx2 v[2:3], v[10:11] offset:32
	ds_read_b64 v[20:21], v36 offset:40
	ds_read_b64 v[22:23], v36 offset:136
	;; [unrolled: 1-line block ×6, first 2 shown]
	s_waitcnt lgkmcnt(0)
	v_fma_f64 v[8:9], -v[18:19], v[20:21], v[8:9]
	v_fma_f64 v[8:9], -v[16:17], v[22:23], v[8:9]
	;; [unrolled: 1-line block ×5, first 2 shown]
	v_mul_f64 v[20:21], v[8:9], v[30:31]
	flat_store_dwordx2 v[2:3], v[20:21] offset:40
	ds_read_b64 v[8:9], v36 offset:48
	ds_read_b64 v[22:23], v36 offset:144
	ds_read_b64 v[24:25], v36 offset:240
	ds_read_b64 v[26:27], v36 offset:336
	ds_read_b64 v[28:29], v36 offset:432
	ds_read_b64 v[30:31], v36 offset:528
	ds_read_b64 v[32:33], v36 offset:624
	s_waitcnt lgkmcnt(0)
	v_fma_f64 v[6:7], -v[18:19], v[8:9], v[6:7]
	v_fma_f64 v[6:7], -v[16:17], v[22:23], v[6:7]
	v_fma_f64 v[6:7], -v[14:15], v[24:25], v[6:7]
	v_fma_f64 v[6:7], -v[12:13], v[26:27], v[6:7]
	v_fma_f64 v[6:7], -v[10:11], v[28:29], v[6:7]
	v_fma_f64 v[6:7], -v[20:21], v[30:31], v[6:7]
	v_mul_f64 v[22:23], v[6:7], v[32:33]
	flat_store_dwordx2 v[2:3], v[22:23] offset:48
	ds_read_b64 v[24:25], v36 offset:56
	ds_read_b64 v[26:27], v36 offset:152
	;; [unrolled: 1-line block ×6, first 2 shown]
	ds_read2_b64 v[6:9], v36 offset0:79 offset1:91
	s_waitcnt lgkmcnt(0)
	v_fma_f64 v[4:5], -v[18:19], v[24:25], v[4:5]
	v_fma_f64 v[4:5], -v[16:17], v[26:27], v[4:5]
	;; [unrolled: 1-line block ×7, first 2 shown]
	v_mul_f64 v[4:5], v[4:5], v[8:9]
	flat_store_dwordx2 v[2:3], v[4:5] offset:56
.LBB80_43:
	s_cmp_ge_i32 s0, s22
	s_cbranch_scc1 .LBB80_48
; %bb.44:
	s_lshl_b32 s2, s0, 3
	s_mov_b32 s1, 0
	s_branch .LBB80_46
.LBB80_45:                              ;   in Loop: Header=BB80_46 Depth=1
	s_mul_i32 s3, s0, 0x68
	v_mov_b32_e32 v6, s3
	ds_read_b64 v[6:7], v6
	s_add_i32 s0, s0, 1
	s_add_i32 s2, s2, 8
	s_cmp_ge_i32 s0, s22
	s_waitcnt lgkmcnt(0)
	v_mul_f64 v[4:5], v[4:5], v[6:7]
	flat_store_dwordx2 v[2:3], v[4:5]
	s_cbranch_scc1 .LBB80_48
.LBB80_46:                              ; =>This Loop Header: Depth=1
                                        ;     Child Loop BB80_47 Depth 2
	v_lshl_add_u64 v[2:3], s[0:1], 3, v[0:1]
	flat_load_dwordx2 v[4:5], v[2:3]
	s_cmp_eq_u32 s0, 0
	v_mov_b64_e32 v[6:7], v[0:1]
	s_mov_b32 s3, s2
	s_mov_b32 s6, s0
	s_waitcnt vmcnt(0) lgkmcnt(0)
	v_mul_f64 v[4:5], s[4:5], v[4:5]
	s_cbranch_scc1 .LBB80_45
.LBB80_47:                              ;   Parent Loop BB80_46 Depth=1
                                        ; =>  This Inner Loop Header: Depth=2
	flat_load_dwordx2 v[8:9], v[6:7]
	v_mov_b32_e32 v10, s3
	ds_read_b64 v[10:11], v10
	s_add_i32 s6, s6, -1
	s_addk_i32 s3, 0x60
	v_lshl_add_u64 v[6:7], v[6:7], 0, 8
	s_cmp_lg_u32 s6, 0
	s_waitcnt vmcnt(0) lgkmcnt(0)
	v_fma_f64 v[4:5], -v[8:9], v[10:11], v[4:5]
	s_cbranch_scc1 .LBB80_47
	s_branch .LBB80_45
.LBB80_48:
	s_endpgm
	.section	.rodata,"a",@progbits
	.p2align	6, 0x0
	.amdhsa_kernel _ZL30rocblas_trsm_small_left_deviceILi12ELi12ELb1EddPKPKdPKPdEv13rocblas_fill_18rocblas_operation_17rocblas_diagonal_iiT3_T4_lilT5_lili
		.amdhsa_group_segment_fixed_size 1152
		.amdhsa_private_segment_fixed_size 0
		.amdhsa_kernarg_size 360
		.amdhsa_user_sgpr_count 2
		.amdhsa_user_sgpr_dispatch_ptr 0
		.amdhsa_user_sgpr_queue_ptr 0
		.amdhsa_user_sgpr_kernarg_segment_ptr 1
		.amdhsa_user_sgpr_dispatch_id 0
		.amdhsa_user_sgpr_kernarg_preload_length 0
		.amdhsa_user_sgpr_kernarg_preload_offset 0
		.amdhsa_user_sgpr_private_segment_size 0
		.amdhsa_uses_dynamic_stack 0
		.amdhsa_enable_private_segment 0
		.amdhsa_system_sgpr_workgroup_id_x 1
		.amdhsa_system_sgpr_workgroup_id_y 0
		.amdhsa_system_sgpr_workgroup_id_z 1
		.amdhsa_system_sgpr_workgroup_info 0
		.amdhsa_system_vgpr_workitem_id 0
		.amdhsa_next_free_vgpr 51
		.amdhsa_next_free_sgpr 26
		.amdhsa_accum_offset 52
		.amdhsa_reserve_vcc 1
		.amdhsa_float_round_mode_32 0
		.amdhsa_float_round_mode_16_64 0
		.amdhsa_float_denorm_mode_32 3
		.amdhsa_float_denorm_mode_16_64 3
		.amdhsa_dx10_clamp 1
		.amdhsa_ieee_mode 1
		.amdhsa_fp16_overflow 0
		.amdhsa_tg_split 0
		.amdhsa_exception_fp_ieee_invalid_op 0
		.amdhsa_exception_fp_denorm_src 0
		.amdhsa_exception_fp_ieee_div_zero 0
		.amdhsa_exception_fp_ieee_overflow 0
		.amdhsa_exception_fp_ieee_underflow 0
		.amdhsa_exception_fp_ieee_inexact 0
		.amdhsa_exception_int_div_zero 0
	.end_amdhsa_kernel
	.section	.text._ZL30rocblas_trsm_small_left_deviceILi12ELi12ELb1EddPKPKdPKPdEv13rocblas_fill_18rocblas_operation_17rocblas_diagonal_iiT3_T4_lilT5_lili,"axG",@progbits,_ZL30rocblas_trsm_small_left_deviceILi12ELi12ELb1EddPKPKdPKPdEv13rocblas_fill_18rocblas_operation_17rocblas_diagonal_iiT3_T4_lilT5_lili,comdat
.Lfunc_end80:
	.size	_ZL30rocblas_trsm_small_left_deviceILi12ELi12ELb1EddPKPKdPKPdEv13rocblas_fill_18rocblas_operation_17rocblas_diagonal_iiT3_T4_lilT5_lili, .Lfunc_end80-_ZL30rocblas_trsm_small_left_deviceILi12ELi12ELb1EddPKPKdPKPdEv13rocblas_fill_18rocblas_operation_17rocblas_diagonal_iiT3_T4_lilT5_lili
                                        ; -- End function
	.set _ZL30rocblas_trsm_small_left_deviceILi12ELi12ELb1EddPKPKdPKPdEv13rocblas_fill_18rocblas_operation_17rocblas_diagonal_iiT3_T4_lilT5_lili.num_vgpr, 51
	.set _ZL30rocblas_trsm_small_left_deviceILi12ELi12ELb1EddPKPKdPKPdEv13rocblas_fill_18rocblas_operation_17rocblas_diagonal_iiT3_T4_lilT5_lili.num_agpr, 0
	.set _ZL30rocblas_trsm_small_left_deviceILi12ELi12ELb1EddPKPKdPKPdEv13rocblas_fill_18rocblas_operation_17rocblas_diagonal_iiT3_T4_lilT5_lili.numbered_sgpr, 26
	.set _ZL30rocblas_trsm_small_left_deviceILi12ELi12ELb1EddPKPKdPKPdEv13rocblas_fill_18rocblas_operation_17rocblas_diagonal_iiT3_T4_lilT5_lili.num_named_barrier, 0
	.set _ZL30rocblas_trsm_small_left_deviceILi12ELi12ELb1EddPKPKdPKPdEv13rocblas_fill_18rocblas_operation_17rocblas_diagonal_iiT3_T4_lilT5_lili.private_seg_size, 0
	.set _ZL30rocblas_trsm_small_left_deviceILi12ELi12ELb1EddPKPKdPKPdEv13rocblas_fill_18rocblas_operation_17rocblas_diagonal_iiT3_T4_lilT5_lili.uses_vcc, 1
	.set _ZL30rocblas_trsm_small_left_deviceILi12ELi12ELb1EddPKPKdPKPdEv13rocblas_fill_18rocblas_operation_17rocblas_diagonal_iiT3_T4_lilT5_lili.uses_flat_scratch, 0
	.set _ZL30rocblas_trsm_small_left_deviceILi12ELi12ELb1EddPKPKdPKPdEv13rocblas_fill_18rocblas_operation_17rocblas_diagonal_iiT3_T4_lilT5_lili.has_dyn_sized_stack, 0
	.set _ZL30rocblas_trsm_small_left_deviceILi12ELi12ELb1EddPKPKdPKPdEv13rocblas_fill_18rocblas_operation_17rocblas_diagonal_iiT3_T4_lilT5_lili.has_recursion, 0
	.set _ZL30rocblas_trsm_small_left_deviceILi12ELi12ELb1EddPKPKdPKPdEv13rocblas_fill_18rocblas_operation_17rocblas_diagonal_iiT3_T4_lilT5_lili.has_indirect_call, 0
	.section	.AMDGPU.csdata,"",@progbits
; Kernel info:
; codeLenInByte = 6648
; TotalNumSgprs: 32
; NumVgprs: 51
; NumAgprs: 0
; TotalNumVgprs: 51
; ScratchSize: 0
; MemoryBound: 0
; FloatMode: 240
; IeeeMode: 1
; LDSByteSize: 1152 bytes/workgroup (compile time only)
; SGPRBlocks: 3
; VGPRBlocks: 6
; NumSGPRsForWavesPerEU: 32
; NumVGPRsForWavesPerEU: 51
; AccumOffset: 52
; Occupancy: 8
; WaveLimiterHint : 1
; COMPUTE_PGM_RSRC2:SCRATCH_EN: 0
; COMPUTE_PGM_RSRC2:USER_SGPR: 2
; COMPUTE_PGM_RSRC2:TRAP_HANDLER: 0
; COMPUTE_PGM_RSRC2:TGID_X_EN: 1
; COMPUTE_PGM_RSRC2:TGID_Y_EN: 0
; COMPUTE_PGM_RSRC2:TGID_Z_EN: 1
; COMPUTE_PGM_RSRC2:TIDIG_COMP_CNT: 0
; COMPUTE_PGM_RSRC3_GFX90A:ACCUM_OFFSET: 12
; COMPUTE_PGM_RSRC3_GFX90A:TG_SPLIT: 0
	.section	.text._ZL31rocblas_trsm_small_right_deviceIddPKPKdPKPdLi12EEv13rocblas_fill_18rocblas_operation_17rocblas_diagonal_iiT0_T1_lilT2_lili,"axG",@progbits,_ZL31rocblas_trsm_small_right_deviceIddPKPKdPKPdLi12EEv13rocblas_fill_18rocblas_operation_17rocblas_diagonal_iiT0_T1_lilT2_lili,comdat
	.globl	_ZL31rocblas_trsm_small_right_deviceIddPKPKdPKPdLi12EEv13rocblas_fill_18rocblas_operation_17rocblas_diagonal_iiT0_T1_lilT2_lili ; -- Begin function _ZL31rocblas_trsm_small_right_deviceIddPKPKdPKPdLi12EEv13rocblas_fill_18rocblas_operation_17rocblas_diagonal_iiT0_T1_lilT2_lili
	.p2align	8
	.type	_ZL31rocblas_trsm_small_right_deviceIddPKPKdPKPdLi12EEv13rocblas_fill_18rocblas_operation_17rocblas_diagonal_iiT0_T1_lilT2_lili,@function
_ZL31rocblas_trsm_small_right_deviceIddPKPKdPKPdLi12EEv13rocblas_fill_18rocblas_operation_17rocblas_diagonal_iiT0_T1_lilT2_lili: ; @_ZL31rocblas_trsm_small_right_deviceIddPKPKdPKPdLi12EEv13rocblas_fill_18rocblas_operation_17rocblas_diagonal_iiT0_T1_lilT2_lili
; %bb.0:
	s_load_dwordx4 s[4:7], s[0:1], 0x0
	s_load_dword s22, s[0:1], 0x10
	s_load_dwordx4 s[12:15], s[0:1], 0x40
	s_load_dwordx4 s[8:11], s[0:1], 0x18
	s_load_dwordx2 s[18:19], s[0:1], 0x28
	s_mov_b32 s16, s3
	s_mov_b32 s17, 0
	s_lshl_b64 s[20:21], s[16:17], 3
	s_waitcnt lgkmcnt(0)
	s_add_u32 s12, s12, s20
	s_addc_u32 s13, s13, s21
	s_load_dwordx2 s[12:13], s[12:13], 0x0
	s_min_i32 s23, s22, 12
	v_cmp_gt_i32_e32 vcc, s23, v0
	s_and_saveexec_b64 s[16:17], vcc
	s_cbranch_execz .LBB81_5
; %bb.1:
	s_load_dword s24, s[0:1], 0x30
	v_lshlrev_b32_e32 v2, 3, v0
	v_mov_b32_e32 v3, 0
	v_mov_b32_e32 v1, v2
	s_mov_b32 s3, s23
	s_waitcnt lgkmcnt(0)
	s_ashr_i32 s25, s24, 31
	s_add_u32 s10, s10, s20
	s_addc_u32 s11, s11, s21
	s_load_dwordx2 s[10:11], s[10:11], 0x0
	s_lshl_b64 s[18:19], s[18:19], 3
	s_waitcnt lgkmcnt(0)
	s_add_u32 s18, s10, s18
	s_addc_u32 s19, s11, s19
	s_lshl_b64 s[10:11], s[24:25], 3
	v_lshl_add_u64 v[4:5], s[18:19], 0, v[2:3]
.LBB81_2:                               ; =>This Inner Loop Header: Depth=1
	flat_load_dwordx2 v[6:7], v[4:5]
	s_add_i32 s3, s3, -1
	v_lshl_add_u64 v[4:5], v[4:5], 0, s[10:11]
	s_cmp_eq_u32 s3, 0
	s_waitcnt vmcnt(0) lgkmcnt(0)
	ds_write_b64 v1, v[6:7]
	v_add_u32_e32 v1, 0x60, v1
	s_cbranch_scc0 .LBB81_2
; %bb.3:
	s_cmpk_eq_i32 s6, 0x84
	s_cbranch_scc0 .LBB81_5
; %bb.4:
	s_movk_i32 s3, 0x60
	v_mad_u32_u24 v1, v0, s3, v2
	v_mov_b32_e32 v2, 0
	v_mov_b32_e32 v3, 0x3ff00000
	ds_write_b64 v1, v[2:3]
.LBB81_5:
	s_or_b64 exec, exec, s[16:17]
	s_load_dword s3, s[0:1], 0x68
	s_load_dword s6, s[0:1], 0x50
	s_lshl_b64 s[0:1], s[14:15], 3
	s_waitcnt lgkmcnt(0)
	s_add_u32 s0, s12, s0
	s_mul_i32 s10, s2, -12
	s_addc_u32 s1, s13, s1
	s_add_i32 s3, s3, -1
	s_add_i32 s7, s7, s10
	s_cmp_ge_u32 s2, s3
	s_mul_hi_i32 s3, s2, 0x60
	s_mulk_i32 s2, 0x60
	s_cselect_b32 s7, s7, 12
	s_add_u32 s2, s0, s2
	s_addc_u32 s3, s1, s3
	v_cmp_gt_i32_e64 s[0:1], s7, v0
	s_and_saveexec_b64 s[10:11], s[0:1]
	s_cbranch_execz .LBB81_9
; %bb.6:
	s_cmp_lt_i32 s22, 1
	s_cbranch_scc1 .LBB81_9
; %bb.7:
	s_ashr_i32 s7, s6, 31
	v_lshlrev_b32_e32 v4, 3, v0
	v_mov_b32_e32 v5, 0
	v_lshl_add_u64 v[2:3], s[2:3], 0, v[4:5]
	s_lshl_b64 s[12:13], s[6:7], 3
	v_or_b32_e32 v1, 0x480, v4
	s_mov_b32 s7, s22
.LBB81_8:                               ; =>This Inner Loop Header: Depth=1
	flat_load_dwordx2 v[4:5], v[2:3]
	s_add_i32 s7, s7, -1
	v_lshl_add_u64 v[2:3], v[2:3], 0, s[12:13]
	s_cmp_lg_u32 s7, 0
	s_waitcnt vmcnt(0) lgkmcnt(0)
	v_mul_f64 v[4:5], s[8:9], v[4:5]
	ds_write_b64 v1, v[4:5]
	v_add_u32_e32 v1, 0x60, v1
	s_cbranch_scc1 .LBB81_8
.LBB81_9:
	s_or_b64 exec, exec, s[10:11]
	s_cmpk_eq_i32 s5, 0x6f
	s_cselect_b64 s[10:11], -1, 0
	s_cmpk_lg_i32 s4, 0x79
	s_cselect_b64 s[8:9], -1, 0
	s_cmpk_eq_i32 s4, 0x79
	s_cselect_b64 s[12:13], -1, 0
	s_and_b64 s[12:13], s[12:13], s[10:11]
	s_andn2_b64 vcc, exec, s[12:13]
	s_mov_b64 s[12:13], -1
	s_waitcnt lgkmcnt(0)
	; wave barrier
	s_cbranch_vccz .LBB81_66
; %bb.10:
	s_cmpk_lg_i32 s4, 0x7a
	s_cselect_b64 s[4:5], -1, 0
	s_xor_b64 s[10:11], s[10:11], -1
	s_add_i32 s7, s23, -1
	s_or_b64 s[10:11], s[4:5], s[10:11]
	v_mov_b32_e32 v1, 0x480
	s_cmp_gt_i32 s22, 3
	v_lshl_or_b32 v1, v0, 3, v1
	s_cselect_b64 s[4:5], -1, 0
	s_and_b64 vcc, exec, s[10:11]
	s_cbranch_vccz .LBB81_45
; %bb.11:
	s_andn2_b64 vcc, exec, s[8:9]
	s_mov_b64 s[8:9], -1
	s_cbranch_vccnz .LBB81_24
; %bb.12:
	s_andn2_b64 vcc, exec, s[4:5]
	s_mov_b32 s10, 0
	s_cbranch_vccnz .LBB81_18
; %bb.13:
	v_mov_b32_e32 v2, 0x480
	v_lshl_or_b32 v10, v0, 3, v2
	s_mov_b32 s8, 0
	s_mov_b32 s9, 0
.LBB81_14:                              ; =>This Loop Header: Depth=1
                                        ;     Child Loop BB81_15 Depth 2
	s_or_b32 s11, s9, 3
	s_mul_i32 s10, s9, 0x60
	v_add_u32_e32 v12, s10, v1
	s_mulk_i32 s11, 0x60
	ds_read2_b64 v[2:5], v12 offset1:12
	v_add_u32_e32 v11, s11, v1
	ds_read_b64 v[8:9], v12 offset:192
	ds_read_b64 v[6:7], v11
	s_cmp_eq_u32 s9, 0
	v_mov_b32_e32 v13, v10
	s_mov_b32 s11, s8
	s_mov_b32 s12, s9
	s_cbranch_scc1 .LBB81_16
.LBB81_15:                              ;   Parent Loop BB81_14 Depth=1
                                        ; =>  This Inner Loop Header: Depth=2
	v_mov_b32_e32 v18, s11
	ds_read_b64 v[22:23], v13
	ds_read_b128 v[14:17], v18
	ds_read_b128 v[18:21], v18 offset:16
	s_add_i32 s12, s12, -1
	s_addk_i32 s11, 0x60
	v_add_u32_e32 v13, 0x60, v13
	s_cmp_eq_u32 s12, 0
	s_waitcnt lgkmcnt(1)
	v_fma_f64 v[2:3], -v[22:23], v[14:15], v[2:3]
	v_fma_f64 v[4:5], -v[22:23], v[16:17], v[4:5]
	s_waitcnt lgkmcnt(0)
	v_fma_f64 v[8:9], -v[22:23], v[18:19], v[8:9]
	v_fma_f64 v[6:7], -v[22:23], v[20:21], v[6:7]
	s_cbranch_scc0 .LBB81_15
.LBB81_16:                              ;   in Loop: Header=BB81_14 Depth=1
	s_lshl_b32 s12, s9, 3
	s_add_i32 s13, s12, s10
	v_mov_b32_e32 v13, s13
	ds_read_b128 v[14:17], v13
	ds_read_b128 v[18:21], v13 offset:16
	ds_read2_b64 v[22:25], v13 offset0:13 offset1:14
	ds_read_b128 v[26:29], v13 offset:208
	s_addk_i32 s13, 0x68
	s_add_i32 s8, s8, 32
	s_waitcnt lgkmcnt(3)
	v_div_scale_f64 v[30:31], s[10:11], v[14:15], v[14:15], v[2:3]
	v_rcp_f64_e32 v[32:33], v[30:31]
	v_div_scale_f64 v[34:35], vcc, v[2:3], v[14:15], v[2:3]
	v_fma_f64 v[36:37], -v[30:31], v[32:33], 1.0
	v_fmac_f64_e32 v[32:33], v[32:33], v[36:37]
	v_fma_f64 v[36:37], -v[30:31], v[32:33], 1.0
	v_fmac_f64_e32 v[32:33], v[32:33], v[36:37]
	v_mul_f64 v[36:37], v[34:35], v[32:33]
	v_fma_f64 v[30:31], -v[30:31], v[36:37], v[34:35]
	v_div_fmas_f64 v[30:31], v[30:31], v[32:33], v[36:37]
	v_div_fixup_f64 v[2:3], v[30:31], v[14:15], v[2:3]
	v_fma_f64 v[4:5], -v[2:3], v[16:17], v[4:5]
	s_waitcnt lgkmcnt(1)
	v_div_scale_f64 v[14:15], s[10:11], v[22:23], v[22:23], v[4:5]
	v_rcp_f64_e32 v[16:17], v[14:15]
	v_fma_f64 v[8:9], -v[2:3], v[18:19], v[8:9]
	v_fma_f64 v[6:7], -v[2:3], v[20:21], v[6:7]
	v_fma_f64 v[30:31], -v[14:15], v[16:17], 1.0
	v_fmac_f64_e32 v[16:17], v[16:17], v[30:31]
	v_fma_f64 v[30:31], -v[14:15], v[16:17], 1.0
	v_fmac_f64_e32 v[16:17], v[16:17], v[30:31]
	v_div_scale_f64 v[30:31], vcc, v[4:5], v[22:23], v[4:5]
	v_mul_f64 v[32:33], v[30:31], v[16:17]
	v_fma_f64 v[14:15], -v[14:15], v[32:33], v[30:31]
	s_nop 1
	v_div_fmas_f64 v[14:15], v[14:15], v[16:17], v[32:33]
	v_div_fixup_f64 v[4:5], v[14:15], v[22:23], v[4:5]
	v_fma_f64 v[8:9], -v[4:5], v[24:25], v[8:9]
	s_waitcnt lgkmcnt(0)
	v_div_scale_f64 v[14:15], s[10:11], v[26:27], v[26:27], v[8:9]
	v_rcp_f64_e32 v[16:17], v[14:15]
	s_or_b32 s10, s12, 8
	s_sub_i32 s10, s13, s10
	s_add_i32 s10, s10, s12
	v_fma_f64 v[18:19], -v[14:15], v[16:17], 1.0
	v_fmac_f64_e32 v[16:17], v[16:17], v[18:19]
	v_fma_f64 v[18:19], -v[14:15], v[16:17], 1.0
	v_fmac_f64_e32 v[16:17], v[16:17], v[18:19]
	v_div_scale_f64 v[18:19], vcc, v[8:9], v[26:27], v[8:9]
	v_mul_f64 v[22:23], v[18:19], v[16:17]
	v_fma_f64 v[14:15], -v[14:15], v[22:23], v[18:19]
	v_mov_b32_e32 v18, s10
	ds_read_b64 v[18:19], v18 offset:24
	v_div_fmas_f64 v[14:15], v[14:15], v[16:17], v[22:23]
	v_div_fixup_f64 v[8:9], v[14:15], v[26:27], v[8:9]
	ds_read_b64 v[14:15], v13 offset:312
	ds_write2_b64 v12, v[2:3], v[4:5] offset1:12
	ds_write_b64 v12, v[8:9] offset:192
	s_waitcnt lgkmcnt(3)
	v_fma_f64 v[6:7], -v[4:5], v[18:19], v[6:7]
	v_fma_f64 v[6:7], -v[8:9], v[28:29], v[6:7]
	s_waitcnt lgkmcnt(2)
	v_div_scale_f64 v[16:17], s[10:11], v[14:15], v[14:15], v[6:7]
	v_rcp_f64_e32 v[18:19], v[16:17]
	s_add_i32 s10, s9, 4
	s_add_i32 s9, s9, 7
	s_cmp_ge_i32 s9, s23
	v_fma_f64 v[2:3], -v[16:17], v[18:19], 1.0
	v_fmac_f64_e32 v[18:19], v[18:19], v[2:3]
	v_fma_f64 v[2:3], -v[16:17], v[18:19], 1.0
	v_fmac_f64_e32 v[18:19], v[18:19], v[2:3]
	v_div_scale_f64 v[2:3], vcc, v[6:7], v[14:15], v[6:7]
	v_mul_f64 v[4:5], v[2:3], v[18:19]
	v_fma_f64 v[2:3], -v[16:17], v[4:5], v[2:3]
	s_nop 1
	v_div_fmas_f64 v[2:3], v[2:3], v[18:19], v[4:5]
	v_div_fixup_f64 v[2:3], v[2:3], v[14:15], v[6:7]
	ds_write_b64 v11, v[2:3]
	s_cbranch_scc1 .LBB81_18
; %bb.17:                               ;   in Loop: Header=BB81_14 Depth=1
	s_mov_b32 s9, s10
	s_branch .LBB81_14
.LBB81_18:
	s_cmp_ge_i32 s10, s23
	s_cbranch_scc1 .LBB81_23
; %bb.19:
	v_mov_b32_e32 v2, 0x480
	s_lshl_b32 s8, s10, 3
	v_lshl_or_b32 v4, v0, 3, v2
	s_branch .LBB81_21
.LBB81_20:                              ;   in Loop: Header=BB81_21 Depth=1
	s_lshl_b32 s11, s10, 3
	s_add_i32 s9, s11, s9
	v_mov_b32_e32 v6, s9
	ds_read_b64 v[6:7], v6
	s_add_i32 s10, s10, 1
	s_add_i32 s8, s8, 8
	s_cmp_ge_i32 s10, s23
	s_waitcnt lgkmcnt(0)
	v_div_scale_f64 v[8:9], s[12:13], v[6:7], v[6:7], v[2:3]
	v_rcp_f64_e32 v[10:11], v[8:9]
	v_div_scale_f64 v[12:13], vcc, v[2:3], v[6:7], v[2:3]
	v_fma_f64 v[14:15], -v[8:9], v[10:11], 1.0
	v_fmac_f64_e32 v[10:11], v[10:11], v[14:15]
	v_fma_f64 v[14:15], -v[8:9], v[10:11], 1.0
	v_fmac_f64_e32 v[10:11], v[10:11], v[14:15]
	v_mul_f64 v[14:15], v[12:13], v[10:11]
	v_fma_f64 v[8:9], -v[8:9], v[14:15], v[12:13]
	v_div_fmas_f64 v[8:9], v[8:9], v[10:11], v[14:15]
	v_div_fixup_f64 v[2:3], v[8:9], v[6:7], v[2:3]
	ds_write_b64 v5, v[2:3]
	s_cbranch_scc1 .LBB81_23
.LBB81_21:                              ; =>This Loop Header: Depth=1
                                        ;     Child Loop BB81_22 Depth 2
	s_mul_i32 s9, s10, 0x60
	v_add_u32_e32 v5, s9, v1
	ds_read_b64 v[2:3], v5
	s_cmp_eq_u32 s10, 0
	v_mov_b32_e32 v6, v4
	s_mov_b32 s11, s8
	s_mov_b32 s12, s10
	s_cbranch_scc1 .LBB81_20
.LBB81_22:                              ;   Parent Loop BB81_21 Depth=1
                                        ; =>  This Inner Loop Header: Depth=2
	v_mov_b32_e32 v7, s11
	ds_read_b64 v[8:9], v6
	ds_read_b64 v[10:11], v7
	s_add_i32 s12, s12, -1
	s_addk_i32 s11, 0x60
	v_add_u32_e32 v6, 0x60, v6
	s_cmp_eq_u32 s12, 0
	s_waitcnt lgkmcnt(0)
	v_fma_f64 v[2:3], -v[8:9], v[10:11], v[2:3]
	s_cbranch_scc0 .LBB81_22
	s_branch .LBB81_20
.LBB81_23:
	s_mov_b64 s[8:9], 0
.LBB81_24:
	s_and_b64 vcc, exec, s[8:9]
	s_cbranch_vccz .LBB81_44
; %bb.25:
	s_andn2_b64 vcc, exec, s[4:5]
	s_mov_b32 s10, s7
	s_cbranch_vccnz .LBB81_31
; %bb.26:
	s_mul_i32 s9, s23, 0x60
	s_mul_i32 s8, s23, 0x68
	v_lshl_add_u32 v2, v0, 3, s9
	s_addk_i32 s8, 0xff80
	v_add_u32_e32 v10, 0x420, v2
	s_mov_b32 s9, s7
.LBB81_27:                              ; =>This Loop Header: Depth=1
                                        ;     Child Loop BB81_28 Depth 2
	s_mul_i32 s10, s9, 0x60
	v_add_u32_e32 v12, s10, v1
	s_add_i32 s11, s10, 0xfffffee0
	v_add_u32_e32 v13, 0xffffffa0, v12
	v_add_u32_e32 v14, 0xffffff40, v12
	;; [unrolled: 1-line block ×3, first 2 shown]
	ds_read_b64 v[8:9], v12
	ds_read_b64 v[6:7], v13
	ds_read_b64 v[4:5], v14
	ds_read_b64 v[2:3], v11
	s_cmp_le_i32 s7, s9
	v_mov_b32_e32 v15, v10
	s_mov_b32 s12, s8
	s_mov_b32 s13, s7
	s_cbranch_scc1 .LBB81_29
.LBB81_28:                              ;   Parent Loop BB81_27 Depth=1
                                        ; =>  This Inner Loop Header: Depth=2
	v_mov_b32_e32 v20, s12
	ds_read_b64 v[24:25], v15
	ds_read2_b64 v[16:19], v20 offset0:2 offset1:3
	ds_read2_b64 v[20:23], v20 offset1:1
	s_add_i32 s13, s13, -1
	s_addk_i32 s12, 0xffa0
	v_add_u32_e32 v15, 0xffffffa0, v15
	s_cmp_le_i32 s13, s9
	s_waitcnt lgkmcnt(1)
	v_fma_f64 v[8:9], -v[24:25], v[18:19], v[8:9]
	v_fma_f64 v[6:7], -v[24:25], v[16:17], v[6:7]
	s_waitcnt lgkmcnt(0)
	v_fma_f64 v[4:5], -v[24:25], v[22:23], v[4:5]
	v_fma_f64 v[2:3], -v[24:25], v[20:21], v[2:3]
	s_cbranch_scc0 .LBB81_28
.LBB81_29:                              ;   in Loop: Header=BB81_27 Depth=1
	s_lshl_b32 s13, s9, 3
	s_add_i32 s16, s13, s10
	s_add_i32 s14, s16, -8
	v_mov_b32_e32 v15, s14
	ds_read2_b64 v[16:19], v15 offset1:1
	s_add_i32 s14, s16, 0xffffff98
	v_mov_b32_e32 v15, s14
	ds_read_b64 v[20:21], v15
	s_add_i32 s12, s9, -3
	s_waitcnt lgkmcnt(1)
	v_div_scale_f64 v[22:23], s[14:15], v[18:19], v[18:19], v[8:9]
	v_rcp_f64_e32 v[24:25], v[22:23]
	v_div_scale_f64 v[26:27], vcc, v[8:9], v[18:19], v[8:9]
	s_add_i32 s13, s13, s11
	v_fma_f64 v[28:29], -v[22:23], v[24:25], 1.0
	v_fmac_f64_e32 v[24:25], v[24:25], v[28:29]
	v_fma_f64 v[28:29], -v[22:23], v[24:25], 1.0
	v_fmac_f64_e32 v[24:25], v[24:25], v[28:29]
	v_mul_f64 v[28:29], v[26:27], v[24:25]
	v_fma_f64 v[22:23], -v[22:23], v[28:29], v[26:27]
	v_div_fmas_f64 v[22:23], v[22:23], v[24:25], v[28:29]
	v_div_fixup_f64 v[22:23], v[22:23], v[18:19], v[8:9]
	v_fma_f64 v[24:25], -v[22:23], v[16:17], v[6:7]
	s_waitcnt lgkmcnt(0)
	v_div_scale_f64 v[6:7], s[14:15], v[20:21], v[20:21], v[24:25]
	v_rcp_f64_e32 v[26:27], v[6:7]
	s_sub_i32 s11, s16, 24
	s_sub_i32 s8, s8, 32
	v_fma_f64 v[8:9], -v[6:7], v[26:27], 1.0
	v_fmac_f64_e32 v[26:27], v[26:27], v[8:9]
	v_fma_f64 v[8:9], -v[6:7], v[26:27], 1.0
	v_fmac_f64_e32 v[26:27], v[26:27], v[8:9]
	v_div_scale_f64 v[8:9], vcc, v[24:25], v[20:21], v[24:25]
	v_mul_f64 v[28:29], v[8:9], v[26:27]
	v_fma_f64 v[30:31], -v[6:7], v[28:29], v[8:9]
	v_mov_b32_e32 v6, s11
	s_lshl_b32 s11, s12, 3
	s_add_i32 s10, s10, s11
	s_add_i32 s11, s10, 0xffffffa0
	v_mov_b32_e32 v15, s11
	ds_read2_b64 v[6:9], v6 offset1:1
	ds_read2_b64 v[16:19], v15 offset1:1
	v_div_fmas_f64 v[26:27], v[30:31], v[26:27], v[28:29]
	s_addk_i32 s10, 0xff40
	v_div_fixup_f64 v[24:25], v[26:27], v[20:21], v[24:25]
	s_waitcnt lgkmcnt(1)
	v_fma_f64 v[4:5], -v[22:23], v[8:9], v[4:5]
	v_mov_b32_e32 v8, s10
	s_waitcnt lgkmcnt(0)
	v_fma_f64 v[4:5], -v[24:25], v[18:19], v[4:5]
	ds_read2_b64 v[18:21], v8 offset1:1
	s_sub_i32 s10, s13, 24
	v_mov_b32_e32 v8, s10
	ds_read_b64 v[8:9], v8
	v_fma_f64 v[2:3], -v[22:23], v[6:7], v[2:3]
	s_waitcnt lgkmcnt(1)
	v_div_scale_f64 v[26:27], s[10:11], v[20:21], v[20:21], v[4:5]
	v_rcp_f64_e32 v[28:29], v[26:27]
	v_fma_f64 v[2:3], -v[24:25], v[16:17], v[2:3]
	v_fma_f64 v[30:31], -v[26:27], v[28:29], 1.0
	v_fmac_f64_e32 v[28:29], v[28:29], v[30:31]
	v_fma_f64 v[30:31], -v[26:27], v[28:29], 1.0
	v_fmac_f64_e32 v[28:29], v[28:29], v[30:31]
	v_div_scale_f64 v[30:31], vcc, v[4:5], v[20:21], v[4:5]
	v_mul_f64 v[32:33], v[30:31], v[28:29]
	v_fma_f64 v[26:27], -v[26:27], v[32:33], v[30:31]
	s_nop 1
	v_div_fmas_f64 v[26:27], v[26:27], v[28:29], v[32:33]
	v_div_fixup_f64 v[4:5], v[26:27], v[20:21], v[4:5]
	v_fma_f64 v[2:3], -v[4:5], v[18:19], v[2:3]
	s_waitcnt lgkmcnt(0)
	v_div_scale_f64 v[6:7], s[10:11], v[8:9], v[8:9], v[2:3]
	v_rcp_f64_e32 v[16:17], v[6:7]
	ds_write_b64 v12, v[22:23]
	ds_write_b64 v13, v[24:25]
	;; [unrolled: 1-line block ×3, first 2 shown]
	s_add_i32 s10, s9, -4
	s_cmp_lt_i32 s9, 7
	v_fma_f64 v[4:5], -v[6:7], v[16:17], 1.0
	v_fmac_f64_e32 v[16:17], v[16:17], v[4:5]
	v_fma_f64 v[4:5], -v[6:7], v[16:17], 1.0
	v_fmac_f64_e32 v[16:17], v[16:17], v[4:5]
	v_div_scale_f64 v[4:5], vcc, v[2:3], v[8:9], v[2:3]
	v_mul_f64 v[12:13], v[4:5], v[16:17]
	v_fma_f64 v[4:5], -v[6:7], v[12:13], v[4:5]
	s_nop 1
	v_div_fmas_f64 v[4:5], v[4:5], v[16:17], v[12:13]
	v_div_fixup_f64 v[2:3], v[4:5], v[8:9], v[2:3]
	ds_write_b64 v11, v[2:3]
	s_cbranch_scc1 .LBB81_31
; %bb.30:                               ;   in Loop: Header=BB81_27 Depth=1
	s_mov_b32 s9, s10
	s_branch .LBB81_27
.LBB81_31:
	s_cmp_lt_i32 s10, 0
	s_cbranch_scc1 .LBB81_44
; %bb.32:
	s_bitcmp1_b32 s10, 0
	s_cselect_b64 s[8:9], -1, 0
	s_and_b64 vcc, exec, s[8:9]
	s_mov_b32 s8, s10
	s_cbranch_vccnz .LBB81_37
; %bb.33:
	s_mul_i32 s8, s10, 0x60
	v_add_u32_e32 v4, s8, v1
	ds_read_b64 v[2:3], v4
	s_cmp_le_i32 s7, s10
	s_cbranch_scc1 .LBB81_36
; %bb.34:
	s_mul_i32 s11, s23, 0x60
	s_lshl_b32 s9, s10, 3
	s_add_i32 s9, s11, s9
	v_lshl_add_u32 v5, v0, 3, s11
	s_addk_i32 s9, 0xffa0
	v_add_u32_e32 v5, 0x420, v5
	s_mov_b32 s11, s7
.LBB81_35:                              ; =>This Inner Loop Header: Depth=1
	v_mov_b32_e32 v8, s9
	ds_read_b64 v[6:7], v5
	ds_read_b64 v[8:9], v8
	s_add_i32 s11, s11, -1
	s_addk_i32 s9, 0xffa0
	v_add_u32_e32 v5, 0xffffffa0, v5
	s_cmp_gt_u32 s11, s10
	s_waitcnt lgkmcnt(0)
	v_fma_f64 v[2:3], -v[6:7], v[8:9], v[2:3]
	s_cbranch_scc1 .LBB81_35
.LBB81_36:
	s_lshl_b32 s9, s10, 3
	s_add_i32 s8, s9, s8
	v_mov_b32_e32 v5, s8
	ds_read_b64 v[6:7], v5
	s_waitcnt lgkmcnt(0)
	v_div_scale_f64 v[8:9], s[8:9], v[6:7], v[6:7], v[2:3]
	v_rcp_f64_e32 v[10:11], v[8:9]
	v_div_scale_f64 v[12:13], vcc, v[2:3], v[6:7], v[2:3]
	s_add_i32 s8, s10, -1
	v_fma_f64 v[14:15], -v[8:9], v[10:11], 1.0
	v_fmac_f64_e32 v[10:11], v[10:11], v[14:15]
	v_fma_f64 v[14:15], -v[8:9], v[10:11], 1.0
	v_fmac_f64_e32 v[10:11], v[10:11], v[14:15]
	v_mul_f64 v[14:15], v[12:13], v[10:11]
	v_fma_f64 v[8:9], -v[8:9], v[14:15], v[12:13]
	v_div_fmas_f64 v[8:9], v[8:9], v[10:11], v[14:15]
	v_div_fixup_f64 v[2:3], v[8:9], v[6:7], v[2:3]
	ds_write_b64 v4, v[2:3]
.LBB81_37:
	s_cmp_eq_u32 s10, 0
	s_cbranch_scc1 .LBB81_44
; %bb.38:
	s_mul_i32 s10, s23, 0x60
	s_lshl_b32 s9, s8, 3
	s_add_i32 s11, s10, s9
	v_lshl_add_u32 v2, v0, 3, s10
	s_add_i32 s9, s11, 0xffffffa0
	v_add_u32_e32 v6, 0x420, v2
	s_add_i32 s10, s11, 0xffffff98
	s_branch .LBB81_40
.LBB81_39:                              ;   in Loop: Header=BB81_40 Depth=1
	s_mul_i32 s13, s12, 0x60
	s_add_i32 s11, s11, s13
	s_add_i32 s11, s11, -8
	v_mov_b32_e32 v4, s11
	ds_read_b64 v[4:5], v4
	s_add_i32 s8, s8, -2
	s_add_i32 s9, s9, -16
	;; [unrolled: 1-line block ×3, first 2 shown]
	s_cmp_eq_u32 s12, 0
	s_waitcnt lgkmcnt(0)
	v_div_scale_f64 v[8:9], s[14:15], v[4:5], v[4:5], v[2:3]
	v_rcp_f64_e32 v[10:11], v[8:9]
	v_div_scale_f64 v[12:13], vcc, v[2:3], v[4:5], v[2:3]
	v_fma_f64 v[14:15], -v[8:9], v[10:11], 1.0
	v_fmac_f64_e32 v[10:11], v[10:11], v[14:15]
	v_fma_f64 v[14:15], -v[8:9], v[10:11], 1.0
	v_fmac_f64_e32 v[10:11], v[10:11], v[14:15]
	v_mul_f64 v[14:15], v[12:13], v[10:11]
	v_fma_f64 v[8:9], -v[8:9], v[14:15], v[12:13]
	v_div_fmas_f64 v[8:9], v[8:9], v[10:11], v[14:15]
	v_div_fixup_f64 v[2:3], v[8:9], v[4:5], v[2:3]
	ds_write_b64 v7, v[2:3]
	s_cbranch_scc1 .LBB81_44
.LBB81_40:                              ; =>This Loop Header: Depth=1
                                        ;     Child Loop BB81_41 Depth 2
                                        ;     Child Loop BB81_43 Depth 2
	s_mul_i32 s12, s8, 0x60
	v_add_u32_e32 v8, s12, v1
	ds_read_b64 v[4:5], v8
	s_cmp_le_i32 s7, s8
	v_mov_b32_e32 v2, v6
	s_mov_b32 s11, s9
	s_mov_b32 s13, s7
	s_cbranch_scc1 .LBB81_42
.LBB81_41:                              ;   Parent Loop BB81_40 Depth=1
                                        ; =>  This Inner Loop Header: Depth=2
	v_mov_b32_e32 v3, s11
	ds_read_b64 v[10:11], v2
	ds_read_b64 v[12:13], v3
	s_add_i32 s13, s13, -1
	s_addk_i32 s11, 0xffa0
	v_add_u32_e32 v2, 0xffffffa0, v2
	s_cmp_le_u32 s13, s8
	s_waitcnt lgkmcnt(0)
	v_fma_f64 v[4:5], -v[10:11], v[12:13], v[4:5]
	s_cbranch_scc0 .LBB81_41
.LBB81_42:                              ;   in Loop: Header=BB81_40 Depth=1
	s_lshl_b32 s11, s8, 3
	s_add_i32 s13, s11, s12
	v_mov_b32_e32 v2, s13
	ds_read_b64 v[10:11], v2
	s_addk_i32 s12, 0xffa0
	v_add_u32_e32 v7, s12, v1
	ds_read_b64 v[2:3], v7
	s_mov_b32 s14, s7
	s_waitcnt lgkmcnt(1)
	v_div_scale_f64 v[12:13], s[12:13], v[10:11], v[10:11], v[4:5]
	v_rcp_f64_e32 v[14:15], v[12:13]
	v_div_scale_f64 v[16:17], vcc, v[4:5], v[10:11], v[4:5]
	s_add_i32 s12, s8, -1
	v_fma_f64 v[18:19], -v[12:13], v[14:15], 1.0
	v_fmac_f64_e32 v[14:15], v[14:15], v[18:19]
	v_fma_f64 v[18:19], -v[12:13], v[14:15], 1.0
	v_fmac_f64_e32 v[14:15], v[14:15], v[18:19]
	v_mul_f64 v[18:19], v[16:17], v[14:15]
	v_fma_f64 v[12:13], -v[12:13], v[18:19], v[16:17]
	v_div_fmas_f64 v[12:13], v[12:13], v[14:15], v[18:19]
	v_div_fixup_f64 v[4:5], v[12:13], v[10:11], v[4:5]
	ds_write_b64 v8, v[4:5]
	s_cmp_le_i32 s23, s8
	v_mov_b32_e32 v4, v6
	s_mov_b32 s13, s10
	s_cbranch_scc1 .LBB81_39
.LBB81_43:                              ;   Parent Loop BB81_40 Depth=1
                                        ; =>  This Inner Loop Header: Depth=2
	v_mov_b32_e32 v5, s13
	ds_read_b64 v[8:9], v4
	ds_read_b64 v[10:11], v5
	s_add_i32 s14, s14, -1
	s_addk_i32 s13, 0xffa0
	v_add_u32_e32 v4, 0xffffffa0, v4
	s_cmp_gt_u32 s14, s12
	s_waitcnt lgkmcnt(0)
	v_fma_f64 v[2:3], -v[8:9], v[10:11], v[2:3]
	s_cbranch_scc1 .LBB81_43
	s_branch .LBB81_39
.LBB81_44:
	s_mov_b64 s[12:13], 0
.LBB81_45:
	s_andn2_b64 vcc, exec, s[12:13]
	s_cbranch_vccnz .LBB81_65
; %bb.46:
	s_andn2_b64 vcc, exec, s[4:5]
	s_mov_b32 s8, s7
	s_cbranch_vccnz .LBB81_52
; %bb.47:
	s_mul_i32 s4, s23, 0x60
	v_lshl_add_u32 v2, v0, 3, s4
	s_mul_i32 s4, s23, 0x68
	v_add_u32_e32 v10, 0x420, v2
	s_addk_i32 s4, 0xfe78
	s_mov_b32 s5, s7
.LBB81_48:                              ; =>This Loop Header: Depth=1
                                        ;     Child Loop BB81_49 Depth 2
	s_mul_i32 s8, s5, 12
	v_lshl_add_u32 v12, s8, 3, v1
	v_add_u32_e32 v13, 0xffffffa0, v12
	v_add_u32_e32 v14, 0xffffff40, v12
	;; [unrolled: 1-line block ×3, first 2 shown]
	ds_read_b64 v[8:9], v12
	ds_read_b64 v[6:7], v13
	;; [unrolled: 1-line block ×4, first 2 shown]
	s_cmp_le_i32 s7, s5
	s_mov_b32 s9, s4
	v_mov_b32_e32 v15, v10
	s_mov_b32 s10, s7
	s_cbranch_scc1 .LBB81_50
.LBB81_49:                              ;   Parent Loop BB81_48 Depth=1
                                        ; =>  This Inner Loop Header: Depth=2
	v_mov_b32_e32 v20, s9
	ds_read_b64 v[24:25], v15
	ds_read2_b64 v[16:19], v20 offset0:24 offset1:36
	ds_read2_b64 v[20:23], v20 offset1:12
	s_add_i32 s10, s10, -1
	s_add_i32 s9, s9, -8
	v_add_u32_e32 v15, 0xffffffa0, v15
	s_cmp_le_i32 s10, s5
	s_waitcnt lgkmcnt(1)
	v_fma_f64 v[8:9], -v[24:25], v[18:19], v[8:9]
	v_fma_f64 v[6:7], -v[24:25], v[16:17], v[6:7]
	s_waitcnt lgkmcnt(0)
	v_fma_f64 v[4:5], -v[24:25], v[22:23], v[4:5]
	v_fma_f64 v[2:3], -v[24:25], v[20:21], v[2:3]
	s_cbranch_scc0 .LBB81_49
.LBB81_50:                              ;   in Loop: Header=BB81_48 Depth=1
	s_mul_i32 s9, s5, 0x68
	v_mov_b32_e32 v15, s9
	ds_read_b64 v[20:21], v15
	s_lshl_b32 s8, s8, 3
	s_lshl_b32 s9, s5, 3
	s_add_i32 s10, s8, s9
	s_add_i32 s8, s10, 0xffffff98
	v_mov_b32_e32 v15, s8
	s_waitcnt lgkmcnt(0)
	v_div_scale_f64 v[22:23], s[8:9], v[20:21], v[20:21], v[8:9]
	v_rcp_f64_e32 v[24:25], v[22:23]
	ds_read2_b64 v[16:19], v15 offset1:1
	s_addk_i32 s4, 0xfe80
	v_fma_f64 v[26:27], -v[22:23], v[24:25], 1.0
	v_fmac_f64_e32 v[24:25], v[24:25], v[26:27]
	v_fma_f64 v[26:27], -v[22:23], v[24:25], 1.0
	v_fmac_f64_e32 v[24:25], v[24:25], v[26:27]
	v_div_scale_f64 v[26:27], vcc, v[8:9], v[20:21], v[8:9]
	v_mul_f64 v[28:29], v[26:27], v[24:25]
	v_fma_f64 v[22:23], -v[22:23], v[28:29], v[26:27]
	s_nop 1
	v_div_fmas_f64 v[22:23], v[22:23], v[24:25], v[28:29]
	v_div_fixup_f64 v[24:25], v[22:23], v[20:21], v[8:9]
	s_waitcnt lgkmcnt(0)
	v_fma_f64 v[18:19], -v[24:25], v[18:19], v[6:7]
	v_div_scale_f64 v[6:7], s[8:9], v[16:17], v[16:17], v[18:19]
	v_rcp_f64_e32 v[20:21], v[6:7]
	s_add_i32 s8, s10, 0xffffff40
	v_fma_f64 v[8:9], -v[6:7], v[20:21], 1.0
	v_fmac_f64_e32 v[20:21], v[20:21], v[8:9]
	v_fma_f64 v[8:9], -v[6:7], v[20:21], 1.0
	v_fmac_f64_e32 v[20:21], v[20:21], v[8:9]
	v_div_scale_f64 v[8:9], vcc, v[18:19], v[16:17], v[18:19]
	v_mul_f64 v[22:23], v[8:9], v[20:21]
	v_fma_f64 v[26:27], -v[6:7], v[22:23], v[8:9]
	v_mov_b32_e32 v6, s8
	s_add_i32 s8, s10, 0xffffff30
	v_mov_b32_e32 v7, s8
	ds_read_b64 v[28:29], v6
	ds_read2_b64 v[6:9], v7 offset1:1
	v_div_fmas_f64 v[20:21], v[26:27], v[20:21], v[22:23]
	v_div_fixup_f64 v[26:27], v[20:21], v[16:17], v[18:19]
	s_waitcnt lgkmcnt(1)
	v_fma_f64 v[4:5], -v[24:25], v[28:29], v[4:5]
	s_waitcnt lgkmcnt(0)
	v_fma_f64 v[4:5], -v[26:27], v[8:9], v[4:5]
	v_div_scale_f64 v[8:9], s[8:9], v[6:7], v[6:7], v[4:5]
	v_rcp_f64_e32 v[28:29], v[8:9]
	s_add_i32 s8, s10, 0xfffffed8
	v_mov_b32_e32 v15, s8
	s_add_i32 s8, s10, 0xfffffec8
	v_fma_f64 v[16:17], -v[8:9], v[28:29], 1.0
	v_fmac_f64_e32 v[28:29], v[28:29], v[16:17]
	v_fma_f64 v[16:17], -v[8:9], v[28:29], 1.0
	v_fmac_f64_e32 v[28:29], v[28:29], v[16:17]
	v_div_scale_f64 v[16:17], vcc, v[4:5], v[6:7], v[4:5]
	v_mul_f64 v[30:31], v[16:17], v[28:29]
	v_mov_b32_e32 v20, s8
	v_fma_f64 v[8:9], -v[8:9], v[30:31], v[16:17]
	ds_read2_b64 v[16:19], v15 offset1:1
	ds_read2_b64 v[20:23], v20 offset1:1
	v_div_fmas_f64 v[8:9], v[8:9], v[28:29], v[30:31]
	v_div_fixup_f64 v[4:5], v[8:9], v[6:7], v[4:5]
	ds_write_b64 v12, v[24:25]
	ds_write_b64 v13, v[26:27]
	;; [unrolled: 1-line block ×3, first 2 shown]
	s_waitcnt lgkmcnt(4)
	v_fma_f64 v[2:3], -v[24:25], v[18:19], v[2:3]
	v_fma_f64 v[2:3], -v[26:27], v[16:17], v[2:3]
	s_waitcnt lgkmcnt(3)
	v_fma_f64 v[2:3], -v[4:5], v[22:23], v[2:3]
	v_div_scale_f64 v[6:7], s[8:9], v[20:21], v[20:21], v[2:3]
	v_rcp_f64_e32 v[8:9], v[6:7]
	s_add_i32 s8, s5, -4
	s_cmp_lt_i32 s5, 7
	v_fma_f64 v[4:5], -v[6:7], v[8:9], 1.0
	v_fmac_f64_e32 v[8:9], v[8:9], v[4:5]
	v_fma_f64 v[4:5], -v[6:7], v[8:9], 1.0
	v_fmac_f64_e32 v[8:9], v[8:9], v[4:5]
	v_div_scale_f64 v[4:5], vcc, v[2:3], v[20:21], v[2:3]
	v_mul_f64 v[12:13], v[4:5], v[8:9]
	v_fma_f64 v[4:5], -v[6:7], v[12:13], v[4:5]
	s_nop 1
	v_div_fmas_f64 v[4:5], v[4:5], v[8:9], v[12:13]
	v_div_fixup_f64 v[2:3], v[4:5], v[20:21], v[2:3]
	ds_write_b64 v11, v[2:3]
	s_cbranch_scc1 .LBB81_52
; %bb.51:                               ;   in Loop: Header=BB81_48 Depth=1
	s_mov_b32 s5, s8
	s_branch .LBB81_48
.LBB81_52:
	s_cmp_lt_i32 s8, 0
	s_cbranch_scc1 .LBB81_65
; %bb.53:
	s_bitcmp1_b32 s8, 0
	s_cselect_b64 s[4:5], -1, 0
	s_and_b64 vcc, exec, s[4:5]
	s_mov_b32 s4, s8
	s_cbranch_vccnz .LBB81_58
; %bb.54:
	s_mul_i32 s4, s8, 0x60
	v_add_u32_e32 v4, s4, v1
	ds_read_b64 v[2:3], v4
	s_cmp_le_i32 s7, s8
	s_cbranch_scc1 .LBB81_57
; %bb.55:
	s_lshl_b32 s5, s23, 3
	s_add_i32 s4, s4, s5
	s_mul_i32 s5, s23, 0x60
	v_lshl_add_u32 v5, v0, 3, s5
	s_add_i32 s4, s4, -8
	v_add_u32_e32 v5, 0x420, v5
	s_mov_b32 s5, s7
.LBB81_56:                              ; =>This Inner Loop Header: Depth=1
	v_mov_b32_e32 v8, s4
	ds_read_b64 v[6:7], v5
	ds_read_b64 v[8:9], v8
	s_add_i32 s5, s5, -1
	s_add_i32 s4, s4, -8
	v_add_u32_e32 v5, 0xffffffa0, v5
	s_cmp_gt_u32 s5, s8
	s_waitcnt lgkmcnt(0)
	v_fma_f64 v[2:3], -v[6:7], v[8:9], v[2:3]
	s_cbranch_scc1 .LBB81_56
.LBB81_57:
	s_mul_i32 s4, s8, 0x68
	v_mov_b32_e32 v5, s4
	ds_read_b64 v[6:7], v5
	s_waitcnt lgkmcnt(0)
	v_div_scale_f64 v[8:9], s[4:5], v[6:7], v[6:7], v[2:3]
	v_rcp_f64_e32 v[10:11], v[8:9]
	v_div_scale_f64 v[12:13], vcc, v[2:3], v[6:7], v[2:3]
	s_add_i32 s4, s8, -1
	v_fma_f64 v[14:15], -v[8:9], v[10:11], 1.0
	v_fmac_f64_e32 v[10:11], v[10:11], v[14:15]
	v_fma_f64 v[14:15], -v[8:9], v[10:11], 1.0
	v_fmac_f64_e32 v[10:11], v[10:11], v[14:15]
	v_mul_f64 v[14:15], v[12:13], v[10:11]
	v_fma_f64 v[8:9], -v[8:9], v[14:15], v[12:13]
	v_div_fmas_f64 v[8:9], v[8:9], v[10:11], v[14:15]
	v_div_fixup_f64 v[2:3], v[8:9], v[6:7], v[2:3]
	ds_write_b64 v4, v[2:3]
.LBB81_58:
	s_cmp_eq_u32 s8, 0
	s_cbranch_scc1 .LBB81_65
; %bb.59:
	s_mul_i32 s5, s23, 0x60
	v_lshl_add_u32 v2, v0, 3, s5
	s_mul_i32 s5, s4, 0x60
	s_lshl_b32 s8, s23, 3
	s_add_i32 s8, s5, s8
	v_add_u32_e32 v6, 0x420, v2
	s_add_i32 s5, s8, -8
	s_addk_i32 s8, 0xff98
	s_branch .LBB81_61
.LBB81_60:                              ;   in Loop: Header=BB81_61 Depth=1
	s_addk_i32 s10, 0xff98
	v_mov_b32_e32 v4, s10
	ds_read_b64 v[4:5], v4
	s_add_i32 s4, s4, -2
	s_addk_i32 s5, 0xff40
	s_addk_i32 s8, 0xff40
	s_cmp_eq_u32 s9, 0
	s_waitcnt lgkmcnt(0)
	v_div_scale_f64 v[8:9], s[10:11], v[4:5], v[4:5], v[2:3]
	v_rcp_f64_e32 v[10:11], v[8:9]
	v_div_scale_f64 v[12:13], vcc, v[2:3], v[4:5], v[2:3]
	v_fma_f64 v[14:15], -v[8:9], v[10:11], 1.0
	v_fmac_f64_e32 v[10:11], v[10:11], v[14:15]
	v_fma_f64 v[14:15], -v[8:9], v[10:11], 1.0
	v_fmac_f64_e32 v[10:11], v[10:11], v[14:15]
	v_mul_f64 v[14:15], v[12:13], v[10:11]
	v_fma_f64 v[8:9], -v[8:9], v[14:15], v[12:13]
	v_div_fmas_f64 v[8:9], v[8:9], v[10:11], v[14:15]
	v_div_fixup_f64 v[2:3], v[8:9], v[4:5], v[2:3]
	ds_write_b64 v7, v[2:3]
	s_cbranch_scc1 .LBB81_65
.LBB81_61:                              ; =>This Loop Header: Depth=1
                                        ;     Child Loop BB81_62 Depth 2
                                        ;     Child Loop BB81_64 Depth 2
	s_mul_i32 s9, s4, 0x60
	v_add_u32_e32 v8, s9, v1
	ds_read_b64 v[4:5], v8
	s_cmp_le_i32 s7, s4
	s_mov_b32 s9, s5
	v_mov_b32_e32 v2, v6
	s_mov_b32 s10, s7
	s_cbranch_scc1 .LBB81_63
.LBB81_62:                              ;   Parent Loop BB81_61 Depth=1
                                        ; =>  This Inner Loop Header: Depth=2
	v_mov_b32_e32 v3, s9
	ds_read_b64 v[10:11], v2
	ds_read_b64 v[12:13], v3
	s_add_i32 s10, s10, -1
	s_add_i32 s9, s9, -8
	v_add_u32_e32 v2, 0xffffffa0, v2
	s_cmp_le_u32 s10, s4
	s_waitcnt lgkmcnt(0)
	v_fma_f64 v[4:5], -v[10:11], v[12:13], v[4:5]
	s_cbranch_scc0 .LBB81_62
.LBB81_63:                              ;   in Loop: Header=BB81_61 Depth=1
	s_mul_i32 s10, s4, 0x68
	v_mov_b32_e32 v2, s10
	ds_read_b64 v[10:11], v2
	v_add_u32_e32 v7, 0xffffffa0, v8
	ds_read_b64 v[2:3], v7
	s_add_i32 s9, s4, -1
	s_cmp_le_i32 s23, s4
	s_waitcnt lgkmcnt(1)
	v_div_scale_f64 v[12:13], s[12:13], v[10:11], v[10:11], v[4:5]
	v_rcp_f64_e32 v[14:15], v[12:13]
	v_div_scale_f64 v[16:17], vcc, v[4:5], v[10:11], v[4:5]
	s_mov_b32 s11, s8
	v_fma_f64 v[18:19], -v[12:13], v[14:15], 1.0
	v_fmac_f64_e32 v[14:15], v[14:15], v[18:19]
	v_fma_f64 v[18:19], -v[12:13], v[14:15], 1.0
	v_fmac_f64_e32 v[14:15], v[14:15], v[18:19]
	v_mul_f64 v[18:19], v[16:17], v[14:15]
	v_fma_f64 v[12:13], -v[12:13], v[18:19], v[16:17]
	v_div_fmas_f64 v[12:13], v[12:13], v[14:15], v[18:19]
	v_div_fixup_f64 v[4:5], v[12:13], v[10:11], v[4:5]
	ds_write_b64 v8, v[4:5]
	v_mov_b32_e32 v4, v6
	s_mov_b32 s12, s7
	s_cbranch_scc1 .LBB81_60
.LBB81_64:                              ;   Parent Loop BB81_61 Depth=1
                                        ; =>  This Inner Loop Header: Depth=2
	v_mov_b32_e32 v5, s11
	ds_read_b64 v[8:9], v4
	ds_read_b64 v[10:11], v5
	s_add_i32 s12, s12, -1
	s_add_i32 s11, s11, -8
	v_add_u32_e32 v4, 0xffffffa0, v4
	s_cmp_gt_u32 s12, s9
	s_waitcnt lgkmcnt(0)
	v_fma_f64 v[2:3], -v[8:9], v[10:11], v[2:3]
	s_cbranch_scc1 .LBB81_64
	s_branch .LBB81_60
.LBB81_65:
	s_mov_b64 s[12:13], 0
.LBB81_66:
	s_andn2_b64 vcc, exec, s[12:13]
	s_cbranch_vccnz .LBB81_78
; %bb.67:
	v_mov_b32_e32 v1, 0x480
	v_lshl_or_b32 v1, v0, 3, v1
	s_cmp_lt_i32 s22, 4
	s_mov_b32 s7, 0
	s_cbranch_scc1 .LBB81_73
; %bb.68:
	s_mov_b32 s4, 0
	s_mov_b32 s5, 0
.LBB81_69:                              ; =>This Loop Header: Depth=1
                                        ;     Child Loop BB81_70 Depth 2
	s_mul_i32 s7, s5, 12
	v_lshl_add_u32 v10, s7, 3, v1
	ds_read2_b64 v[6:9], v10 offset1:12
	ds_read2_b64 v[2:5], v10 offset0:24 offset1:36
	s_cmp_eq_u32 s5, 0
	s_mov_b32 s8, s4
	v_mov_b32_e32 v11, v1
	s_mov_b32 s9, s5
	s_cbranch_scc1 .LBB81_71
.LBB81_70:                              ;   Parent Loop BB81_69 Depth=1
                                        ; =>  This Inner Loop Header: Depth=2
	v_mov_b32_e32 v16, s8
	ds_read_b64 v[20:21], v11
	ds_read2_b64 v[12:15], v16 offset1:12
	ds_read2_b64 v[16:19], v16 offset0:24 offset1:36
	s_add_i32 s9, s9, -1
	s_add_i32 s8, s8, 8
	v_add_u32_e32 v11, 0x60, v11
	s_cmp_eq_u32 s9, 0
	s_waitcnt lgkmcnt(1)
	v_fma_f64 v[6:7], -v[20:21], v[12:13], v[6:7]
	v_fma_f64 v[8:9], -v[20:21], v[14:15], v[8:9]
	s_waitcnt lgkmcnt(0)
	v_fma_f64 v[2:3], -v[20:21], v[16:17], v[2:3]
	v_fma_f64 v[4:5], -v[20:21], v[18:19], v[4:5]
	s_cbranch_scc0 .LBB81_70
.LBB81_71:                              ;   in Loop: Header=BB81_69 Depth=1
	s_mul_i32 s8, s5, 0x68
	v_mov_b32_e32 v11, s8
	ds_read_b64 v[16:17], v11
	s_lshl_b32 s7, s7, 3
	s_lshl_b32 s8, s5, 3
	s_add_i32 s7, s7, s8
	v_mov_b32_e32 v11, s7
	s_waitcnt lgkmcnt(0)
	v_div_scale_f64 v[18:19], s[8:9], v[16:17], v[16:17], v[6:7]
	v_rcp_f64_e32 v[20:21], v[18:19]
	ds_read_b128 v[12:15], v11 offset:96
	s_add_i32 s7, s5, 4
	s_add_i32 s5, s5, 7
	v_fma_f64 v[22:23], -v[18:19], v[20:21], 1.0
	v_fmac_f64_e32 v[20:21], v[20:21], v[22:23]
	v_fma_f64 v[22:23], -v[18:19], v[20:21], 1.0
	v_fmac_f64_e32 v[20:21], v[20:21], v[22:23]
	v_div_scale_f64 v[22:23], vcc, v[6:7], v[16:17], v[6:7]
	v_mul_f64 v[24:25], v[22:23], v[20:21]
	v_fma_f64 v[18:19], -v[18:19], v[24:25], v[22:23]
	s_addk_i32 s4, 0x180
	s_nop 0
	v_div_fmas_f64 v[18:19], v[18:19], v[20:21], v[24:25]
	v_div_fixup_f64 v[16:17], v[18:19], v[16:17], v[6:7]
	s_waitcnt lgkmcnt(0)
	v_fma_f64 v[12:13], -v[16:17], v[12:13], v[8:9]
	v_div_scale_f64 v[6:7], s[8:9], v[14:15], v[14:15], v[12:13]
	v_rcp_f64_e32 v[18:19], v[6:7]
	s_cmp_ge_i32 s5, s23
	v_fma_f64 v[8:9], -v[6:7], v[18:19], 1.0
	v_fmac_f64_e32 v[18:19], v[18:19], v[8:9]
	v_fma_f64 v[8:9], -v[6:7], v[18:19], 1.0
	v_fmac_f64_e32 v[18:19], v[18:19], v[8:9]
	v_div_scale_f64 v[8:9], vcc, v[12:13], v[14:15], v[12:13]
	v_mul_f64 v[20:21], v[8:9], v[18:19]
	v_fma_f64 v[22:23], -v[6:7], v[20:21], v[8:9]
	ds_read_b128 v[6:9], v11 offset:192
	s_nop 0
	v_div_fmas_f64 v[18:19], v[22:23], v[18:19], v[20:21]
	ds_read_b64 v[20:21], v11 offset:208
	v_div_fixup_f64 v[18:19], v[18:19], v[14:15], v[12:13]
	s_waitcnt lgkmcnt(1)
	v_fma_f64 v[2:3], -v[16:17], v[6:7], v[2:3]
	v_fma_f64 v[2:3], -v[18:19], v[8:9], v[2:3]
	s_waitcnt lgkmcnt(0)
	v_div_scale_f64 v[6:7], s[8:9], v[20:21], v[20:21], v[2:3]
	v_rcp_f64_e32 v[22:23], v[6:7]
	s_nop 0
	v_fma_f64 v[8:9], -v[6:7], v[22:23], 1.0
	v_fmac_f64_e32 v[22:23], v[22:23], v[8:9]
	v_fma_f64 v[8:9], -v[6:7], v[22:23], 1.0
	v_fmac_f64_e32 v[22:23], v[22:23], v[8:9]
	v_div_scale_f64 v[8:9], vcc, v[2:3], v[20:21], v[2:3]
	v_mul_f64 v[24:25], v[8:9], v[22:23]
	v_fma_f64 v[26:27], -v[6:7], v[24:25], v[8:9]
	ds_read_b128 v[6:9], v11 offset:288
	ds_read_b128 v[12:15], v11 offset:304
	v_div_fmas_f64 v[22:23], v[26:27], v[22:23], v[24:25]
	v_div_fixup_f64 v[2:3], v[22:23], v[20:21], v[2:3]
	ds_write2_b64 v10, v[16:17], v[18:19] offset1:12
	s_waitcnt lgkmcnt(2)
	v_fma_f64 v[4:5], -v[16:17], v[6:7], v[4:5]
	v_fma_f64 v[4:5], -v[18:19], v[8:9], v[4:5]
	s_waitcnt lgkmcnt(1)
	v_fma_f64 v[4:5], -v[2:3], v[12:13], v[4:5]
	v_div_scale_f64 v[6:7], s[8:9], v[14:15], v[14:15], v[4:5]
	v_rcp_f64_e32 v[8:9], v[6:7]
	s_nop 0
	v_fma_f64 v[12:13], -v[6:7], v[8:9], 1.0
	v_fmac_f64_e32 v[8:9], v[8:9], v[12:13]
	v_fma_f64 v[12:13], -v[6:7], v[8:9], 1.0
	v_fmac_f64_e32 v[8:9], v[8:9], v[12:13]
	v_div_scale_f64 v[12:13], vcc, v[4:5], v[14:15], v[4:5]
	v_mul_f64 v[16:17], v[12:13], v[8:9]
	v_fma_f64 v[6:7], -v[6:7], v[16:17], v[12:13]
	s_nop 1
	v_div_fmas_f64 v[6:7], v[6:7], v[8:9], v[16:17]
	v_div_fixup_f64 v[4:5], v[6:7], v[14:15], v[4:5]
	ds_write2_b64 v10, v[2:3], v[4:5] offset0:24 offset1:36
	s_cbranch_scc1 .LBB81_73
; %bb.72:                               ;   in Loop: Header=BB81_69 Depth=1
	s_mov_b32 s5, s7
	s_branch .LBB81_69
.LBB81_73:
	s_cmp_ge_i32 s7, s23
	s_cbranch_scc1 .LBB81_78
; %bb.74:
	v_mov_b32_e32 v2, 0x480
	v_lshl_or_b32 v4, v0, 3, v2
	s_mul_i32 s4, s7, 0x60
	s_branch .LBB81_76
.LBB81_75:                              ;   in Loop: Header=BB81_76 Depth=1
	s_mul_i32 s5, s7, 0x68
	v_mov_b32_e32 v6, s5
	ds_read_b64 v[6:7], v6
	s_add_i32 s7, s7, 1
	s_addk_i32 s4, 0x60
	s_cmp_ge_i32 s7, s23
	s_waitcnt lgkmcnt(0)
	v_div_scale_f64 v[8:9], s[8:9], v[6:7], v[6:7], v[2:3]
	v_rcp_f64_e32 v[10:11], v[8:9]
	v_div_scale_f64 v[12:13], vcc, v[2:3], v[6:7], v[2:3]
	v_fma_f64 v[14:15], -v[8:9], v[10:11], 1.0
	v_fmac_f64_e32 v[10:11], v[10:11], v[14:15]
	v_fma_f64 v[14:15], -v[8:9], v[10:11], 1.0
	v_fmac_f64_e32 v[10:11], v[10:11], v[14:15]
	v_mul_f64 v[14:15], v[12:13], v[10:11]
	v_fma_f64 v[8:9], -v[8:9], v[14:15], v[12:13]
	v_div_fmas_f64 v[8:9], v[8:9], v[10:11], v[14:15]
	v_div_fixup_f64 v[2:3], v[8:9], v[6:7], v[2:3]
	ds_write_b64 v5, v[2:3]
	s_cbranch_scc1 .LBB81_78
.LBB81_76:                              ; =>This Loop Header: Depth=1
                                        ;     Child Loop BB81_77 Depth 2
	s_mul_i32 s5, s7, 0x60
	v_add_u32_e32 v5, s5, v1
	ds_read_b64 v[2:3], v5
	s_cmp_eq_u32 s7, 0
	s_mov_b32 s5, s4
	v_mov_b32_e32 v6, v4
	s_mov_b32 s8, s7
	s_cbranch_scc1 .LBB81_75
.LBB81_77:                              ;   Parent Loop BB81_76 Depth=1
                                        ; =>  This Inner Loop Header: Depth=2
	v_mov_b32_e32 v7, s5
	ds_read_b64 v[8:9], v6
	ds_read_b64 v[10:11], v7
	s_add_i32 s8, s8, -1
	s_add_i32 s5, s5, 8
	v_add_u32_e32 v6, 0x60, v6
	s_cmp_eq_u32 s8, 0
	s_waitcnt lgkmcnt(0)
	v_fma_f64 v[2:3], -v[8:9], v[10:11], v[2:3]
	s_cbranch_scc0 .LBB81_77
	s_branch .LBB81_75
.LBB81_78:
	s_and_saveexec_b64 s[4:5], s[0:1]
	s_cbranch_execz .LBB81_82
; %bb.79:
	s_cmp_lt_i32 s22, 1
	s_cbranch_scc1 .LBB81_82
; %bb.80:
	s_ashr_i32 s7, s6, 31
	v_lshlrev_b32_e32 v2, 3, v0
	v_mov_b32_e32 v3, 0
	v_lshl_add_u64 v[0:1], s[2:3], 0, v[2:3]
	s_lshl_b64 s[0:1], s[6:7], 3
	v_or_b32_e32 v2, 0x480, v2
.LBB81_81:                              ; =>This Inner Loop Header: Depth=1
	ds_read_b64 v[4:5], v2
	s_add_i32 s22, s22, -1
	v_add_u32_e32 v2, 0x60, v2
	s_cmp_lg_u32 s22, 0
	s_waitcnt lgkmcnt(0)
	flat_store_dwordx2 v[0:1], v[4:5]
	v_lshl_add_u64 v[0:1], v[0:1], 0, s[0:1]
	s_cbranch_scc1 .LBB81_81
.LBB81_82:
	s_endpgm
	.section	.rodata,"a",@progbits
	.p2align	6, 0x0
	.amdhsa_kernel _ZL31rocblas_trsm_small_right_deviceIddPKPKdPKPdLi12EEv13rocblas_fill_18rocblas_operation_17rocblas_diagonal_iiT0_T1_lilT2_lili
		.amdhsa_group_segment_fixed_size 2304
		.amdhsa_private_segment_fixed_size 0
		.amdhsa_kernarg_size 360
		.amdhsa_user_sgpr_count 2
		.amdhsa_user_sgpr_dispatch_ptr 0
		.amdhsa_user_sgpr_queue_ptr 0
		.amdhsa_user_sgpr_kernarg_segment_ptr 1
		.amdhsa_user_sgpr_dispatch_id 0
		.amdhsa_user_sgpr_kernarg_preload_length 0
		.amdhsa_user_sgpr_kernarg_preload_offset 0
		.amdhsa_user_sgpr_private_segment_size 0
		.amdhsa_uses_dynamic_stack 0
		.amdhsa_enable_private_segment 0
		.amdhsa_system_sgpr_workgroup_id_x 1
		.amdhsa_system_sgpr_workgroup_id_y 0
		.amdhsa_system_sgpr_workgroup_id_z 1
		.amdhsa_system_sgpr_workgroup_info 0
		.amdhsa_system_vgpr_workitem_id 0
		.amdhsa_next_free_vgpr 38
		.amdhsa_next_free_sgpr 26
		.amdhsa_accum_offset 40
		.amdhsa_reserve_vcc 1
		.amdhsa_float_round_mode_32 0
		.amdhsa_float_round_mode_16_64 0
		.amdhsa_float_denorm_mode_32 3
		.amdhsa_float_denorm_mode_16_64 3
		.amdhsa_dx10_clamp 1
		.amdhsa_ieee_mode 1
		.amdhsa_fp16_overflow 0
		.amdhsa_tg_split 0
		.amdhsa_exception_fp_ieee_invalid_op 0
		.amdhsa_exception_fp_denorm_src 0
		.amdhsa_exception_fp_ieee_div_zero 0
		.amdhsa_exception_fp_ieee_overflow 0
		.amdhsa_exception_fp_ieee_underflow 0
		.amdhsa_exception_fp_ieee_inexact 0
		.amdhsa_exception_int_div_zero 0
	.end_amdhsa_kernel
	.section	.text._ZL31rocblas_trsm_small_right_deviceIddPKPKdPKPdLi12EEv13rocblas_fill_18rocblas_operation_17rocblas_diagonal_iiT0_T1_lilT2_lili,"axG",@progbits,_ZL31rocblas_trsm_small_right_deviceIddPKPKdPKPdLi12EEv13rocblas_fill_18rocblas_operation_17rocblas_diagonal_iiT0_T1_lilT2_lili,comdat
.Lfunc_end81:
	.size	_ZL31rocblas_trsm_small_right_deviceIddPKPKdPKPdLi12EEv13rocblas_fill_18rocblas_operation_17rocblas_diagonal_iiT0_T1_lilT2_lili, .Lfunc_end81-_ZL31rocblas_trsm_small_right_deviceIddPKPKdPKPdLi12EEv13rocblas_fill_18rocblas_operation_17rocblas_diagonal_iiT0_T1_lilT2_lili
                                        ; -- End function
	.set _ZL31rocblas_trsm_small_right_deviceIddPKPKdPKPdLi12EEv13rocblas_fill_18rocblas_operation_17rocblas_diagonal_iiT0_T1_lilT2_lili.num_vgpr, 38
	.set _ZL31rocblas_trsm_small_right_deviceIddPKPKdPKPdLi12EEv13rocblas_fill_18rocblas_operation_17rocblas_diagonal_iiT0_T1_lilT2_lili.num_agpr, 0
	.set _ZL31rocblas_trsm_small_right_deviceIddPKPKdPKPdLi12EEv13rocblas_fill_18rocblas_operation_17rocblas_diagonal_iiT0_T1_lilT2_lili.numbered_sgpr, 26
	.set _ZL31rocblas_trsm_small_right_deviceIddPKPKdPKPdLi12EEv13rocblas_fill_18rocblas_operation_17rocblas_diagonal_iiT0_T1_lilT2_lili.num_named_barrier, 0
	.set _ZL31rocblas_trsm_small_right_deviceIddPKPKdPKPdLi12EEv13rocblas_fill_18rocblas_operation_17rocblas_diagonal_iiT0_T1_lilT2_lili.private_seg_size, 0
	.set _ZL31rocblas_trsm_small_right_deviceIddPKPKdPKPdLi12EEv13rocblas_fill_18rocblas_operation_17rocblas_diagonal_iiT0_T1_lilT2_lili.uses_vcc, 1
	.set _ZL31rocblas_trsm_small_right_deviceIddPKPKdPKPdLi12EEv13rocblas_fill_18rocblas_operation_17rocblas_diagonal_iiT0_T1_lilT2_lili.uses_flat_scratch, 0
	.set _ZL31rocblas_trsm_small_right_deviceIddPKPKdPKPdLi12EEv13rocblas_fill_18rocblas_operation_17rocblas_diagonal_iiT0_T1_lilT2_lili.has_dyn_sized_stack, 0
	.set _ZL31rocblas_trsm_small_right_deviceIddPKPKdPKPdLi12EEv13rocblas_fill_18rocblas_operation_17rocblas_diagonal_iiT0_T1_lilT2_lili.has_recursion, 0
	.set _ZL31rocblas_trsm_small_right_deviceIddPKPKdPKPdLi12EEv13rocblas_fill_18rocblas_operation_17rocblas_diagonal_iiT0_T1_lilT2_lili.has_indirect_call, 0
	.section	.AMDGPU.csdata,"",@progbits
; Kernel info:
; codeLenInByte = 5732
; TotalNumSgprs: 32
; NumVgprs: 38
; NumAgprs: 0
; TotalNumVgprs: 38
; ScratchSize: 0
; MemoryBound: 0
; FloatMode: 240
; IeeeMode: 1
; LDSByteSize: 2304 bytes/workgroup (compile time only)
; SGPRBlocks: 3
; VGPRBlocks: 4
; NumSGPRsForWavesPerEU: 32
; NumVGPRsForWavesPerEU: 38
; AccumOffset: 40
; Occupancy: 8
; WaveLimiterHint : 0
; COMPUTE_PGM_RSRC2:SCRATCH_EN: 0
; COMPUTE_PGM_RSRC2:USER_SGPR: 2
; COMPUTE_PGM_RSRC2:TRAP_HANDLER: 0
; COMPUTE_PGM_RSRC2:TGID_X_EN: 1
; COMPUTE_PGM_RSRC2:TGID_Y_EN: 0
; COMPUTE_PGM_RSRC2:TGID_Z_EN: 1
; COMPUTE_PGM_RSRC2:TIDIG_COMP_CNT: 0
; COMPUTE_PGM_RSRC3_GFX90A:ACCUM_OFFSET: 9
; COMPUTE_PGM_RSRC3_GFX90A:TG_SPLIT: 0
	.section	.text._ZL38rocblas_trsm_small_left_device_sharedBILi16ELi16ELb0EddPKPKdPKPdEv13rocblas_fill_18rocblas_operation_17rocblas_diagonal_iiT3_T4_lilT5_lili,"axG",@progbits,_ZL38rocblas_trsm_small_left_device_sharedBILi16ELi16ELb0EddPKPKdPKPdEv13rocblas_fill_18rocblas_operation_17rocblas_diagonal_iiT3_T4_lilT5_lili,comdat
	.globl	_ZL38rocblas_trsm_small_left_device_sharedBILi16ELi16ELb0EddPKPKdPKPdEv13rocblas_fill_18rocblas_operation_17rocblas_diagonal_iiT3_T4_lilT5_lili ; -- Begin function _ZL38rocblas_trsm_small_left_device_sharedBILi16ELi16ELb0EddPKPKdPKPdEv13rocblas_fill_18rocblas_operation_17rocblas_diagonal_iiT3_T4_lilT5_lili
	.p2align	8
	.type	_ZL38rocblas_trsm_small_left_device_sharedBILi16ELi16ELb0EddPKPKdPKPdEv13rocblas_fill_18rocblas_operation_17rocblas_diagonal_iiT3_T4_lilT5_lili,@function
_ZL38rocblas_trsm_small_left_device_sharedBILi16ELi16ELb0EddPKPKdPKPdEv13rocblas_fill_18rocblas_operation_17rocblas_diagonal_iiT3_T4_lilT5_lili: ; @_ZL38rocblas_trsm_small_left_device_sharedBILi16ELi16ELb0EddPKPKdPKPdEv13rocblas_fill_18rocblas_operation_17rocblas_diagonal_iiT3_T4_lilT5_lili
; %bb.0:
	s_load_dwordx2 s[18:19], s[0:1], 0x28
	s_load_dwordx4 s[12:15], s[0:1], 0x40
	s_load_dwordx4 s[4:7], s[0:1], 0x4
	;; [unrolled: 1-line block ×3, first 2 shown]
	s_mov_b32 s16, s3
	s_mov_b32 s17, 0
	s_lshl_b64 s[20:21], s[16:17], 3
	s_waitcnt lgkmcnt(0)
	s_add_u32 s12, s12, s20
	s_addc_u32 s13, s13, s21
	s_load_dwordx2 s[12:13], s[12:13], 0x0
	s_min_i32 s22, s6, 16
	v_cmp_gt_i32_e32 vcc, s22, v0
	s_and_saveexec_b64 s[16:17], vcc
	s_cbranch_execz .LBB82_6
; %bb.1:
	s_load_dword s24, s[0:1], 0x30
	v_lshlrev_b32_e32 v2, 3, v0
	v_mov_b32_e32 v3, 0
	v_mov_b32_e32 v1, v2
	s_mov_b32 s3, s22
	s_waitcnt lgkmcnt(0)
	s_ashr_i32 s25, s24, 31
	s_add_u32 s10, s10, s20
	s_addc_u32 s11, s11, s21
	s_load_dwordx2 s[10:11], s[10:11], 0x0
	s_lshl_b64 s[18:19], s[18:19], 3
	s_waitcnt lgkmcnt(0)
	s_add_u32 s18, s10, s18
	s_addc_u32 s19, s11, s19
	s_lshl_b64 s[10:11], s[24:25], 3
	v_lshl_add_u64 v[4:5], s[18:19], 0, v[2:3]
.LBB82_2:                               ; =>This Inner Loop Header: Depth=1
	flat_load_dwordx2 v[6:7], v[4:5]
	s_add_i32 s3, s3, -1
	v_lshl_add_u64 v[4:5], v[4:5], 0, s[10:11]
	s_cmp_eq_u32 s3, 0
	s_waitcnt vmcnt(0) lgkmcnt(0)
	ds_write_b64 v1, v[6:7]
	v_add_u32_e32 v1, 0x80, v1
	s_cbranch_scc0 .LBB82_2
; %bb.3:
	v_lshlrev_b32_e32 v1, 7, v0
	s_cmpk_lg_i32 s5, 0x84
	v_mov_b64_e32 v[4:5], 1.0
	v_add_u32_e32 v1, v2, v1
	s_cbranch_scc0 .LBB82_5
; %bb.4:
	ds_read_b64 v[2:3], v1
	s_waitcnt lgkmcnt(0)
	v_div_scale_f64 v[4:5], s[10:11], v[2:3], v[2:3], 1.0
	v_rcp_f64_e32 v[6:7], v[4:5]
	v_div_scale_f64 v[8:9], vcc, 1.0, v[2:3], 1.0
	v_fma_f64 v[10:11], -v[4:5], v[6:7], 1.0
	v_fmac_f64_e32 v[6:7], v[6:7], v[10:11]
	v_fma_f64 v[10:11], -v[4:5], v[6:7], 1.0
	v_fmac_f64_e32 v[6:7], v[6:7], v[10:11]
	v_mul_f64 v[10:11], v[8:9], v[6:7]
	v_fma_f64 v[4:5], -v[4:5], v[10:11], v[8:9]
	v_div_fmas_f64 v[4:5], v[4:5], v[6:7], v[10:11]
	v_div_fixup_f64 v[4:5], v[4:5], v[2:3], 1.0
.LBB82_5:
	ds_write_b64 v1, v[4:5]
.LBB82_6:
	s_or_b64 exec, exec, s[16:17]
	s_load_dword s3, s[0:1], 0x68
	s_load_dword s16, s[0:1], 0x50
	s_lshl_b64 s[0:1], s[14:15], 3
	s_waitcnt lgkmcnt(0)
	s_add_u32 s5, s12, s0
	s_addc_u32 s10, s13, s1
	s_lshl_b32 s0, s2, 4
	s_add_i32 s3, s3, -1
	s_sub_i32 s1, s7, s0
	s_cmp_ge_u32 s2, s3
	s_cselect_b32 s7, s1, 16
	s_mul_hi_i32 s1, s16, s0
	s_mul_i32 s0, s16, s0
	s_lshl_b64 s[0:1], s[0:1], 3
	s_add_u32 s2, s5, s0
	s_addc_u32 s3, s10, s1
	s_cmp_gt_i32 s6, 0
	v_cmp_gt_i32_e64 s[0:1], s7, v0
	s_cselect_b64 s[10:11], -1, 0
	s_and_b64 s[14:15], s[0:1], s[10:11]
	s_and_saveexec_b64 s[12:13], s[14:15]
	s_cbranch_execz .LBB82_9
; %bb.7:
	v_mad_i64_i32 v[2:3], s[14:15], s16, v0, 0
	v_mov_b32_e32 v1, 0x800
	v_lshl_add_u64 v[2:3], v[2:3], 3, s[2:3]
	v_lshl_or_b32 v1, v0, 3, v1
	s_mov_b32 s5, s22
.LBB82_8:                               ; =>This Inner Loop Header: Depth=1
	flat_load_dwordx2 v[4:5], v[2:3]
	s_add_i32 s5, s5, -1
	v_lshl_add_u64 v[2:3], v[2:3], 0, 8
	s_cmp_lg_u32 s5, 0
	s_waitcnt vmcnt(0) lgkmcnt(0)
	v_mul_f64 v[4:5], s[8:9], v[4:5]
	ds_write_b64 v1, v[4:5]
	v_add_u32_e32 v1, 0x80, v1
	s_cbranch_scc1 .LBB82_8
.LBB82_9:
	s_or_b64 exec, exec, s[12:13]
	v_mov_b32_e32 v1, 0x800
	s_cmpk_eq_i32 s4, 0x6f
	v_lshl_or_b32 v1, v0, 3, v1
	s_mov_b64 s[4:5], -1
	s_waitcnt lgkmcnt(0)
	; wave barrier
	s_cbranch_scc1 .LBB82_24
; %bb.10:
	s_cmp_gt_i32 s6, 15
	s_cselect_b64 s[4:5], -1, 0
	s_and_b64 vcc, exec, s[4:5]
	s_cbranch_vccz .LBB82_12
; %bb.11:
	v_mov_b32_e32 v34, 0
	ds_read2_b64 v[14:17], v1 offset1:16
	ds_read2_b64 v[18:21], v1 offset0:32 offset1:48
	ds_read2_b64 v[22:25], v1 offset0:64 offset1:80
	;; [unrolled: 1-line block ×4, first 2 shown]
	ds_read2_b64 v[36:39], v34 offset1:34
	ds_read2_b64 v[10:13], v1 offset0:160 offset1:176
	ds_read_b128 v[40:43], v34 offset:128
	ds_read2_b64 v[6:9], v1 offset0:192 offset1:208
	ds_read2_b64 v[2:5], v1 offset0:224 offset1:240
	ds_read_b128 v[44:47], v34 offset:256
	s_waitcnt lgkmcnt(5)
	v_mul_f64 v[14:15], v[14:15], v[36:37]
	s_waitcnt lgkmcnt(3)
	v_fma_f64 v[16:17], -v[14:15], v[40:41], v[16:17]
	v_mul_f64 v[16:17], v[16:17], v[42:43]
	ds_read_b128 v[40:43], v34 offset:384
	s_waitcnt lgkmcnt(1)
	v_fma_f64 v[18:19], -v[14:15], v[44:45], v[18:19]
	v_fma_f64 v[18:19], -v[16:17], v[46:47], v[18:19]
	ds_read_b128 v[44:47], v34 offset:400
	v_mul_f64 v[18:19], v[18:19], v[38:39]
	ds_read_b128 v[36:39], v34 offset:512
	s_waitcnt lgkmcnt(2)
	v_fma_f64 v[20:21], -v[14:15], v[40:41], v[20:21]
	v_fma_f64 v[20:21], -v[16:17], v[42:43], v[20:21]
	ds_read_b128 v[40:43], v34 offset:528
	s_waitcnt lgkmcnt(2)
	v_fma_f64 v[20:21], -v[18:19], v[44:45], v[20:21]
	v_mul_f64 v[20:21], v[20:21], v[46:47]
	ds_write2_b64 v1, v[14:15], v[16:17] offset1:16
	ds_write2_b64 v1, v[18:19], v[20:21] offset0:32 offset1:48
	s_waitcnt lgkmcnt(3)
	v_fma_f64 v[22:23], -v[14:15], v[36:37], v[22:23]
	v_fma_f64 v[22:23], -v[16:17], v[38:39], v[22:23]
	ds_read2_b64 v[36:39], v34 offset0:68 offset1:102
	ds_read_b128 v[44:47], v34 offset:640
	s_waitcnt lgkmcnt(4)
	v_fma_f64 v[22:23], -v[18:19], v[40:41], v[22:23]
	v_fma_f64 v[22:23], -v[20:21], v[42:43], v[22:23]
	ds_read_b128 v[40:43], v34 offset:656
	ds_read_b128 v[48:51], v34 offset:672
	s_waitcnt lgkmcnt(2)
	v_fma_f64 v[24:25], -v[14:15], v[44:45], v[24:25]
	v_fma_f64 v[24:25], -v[16:17], v[46:47], v[24:25]
	v_mul_f64 v[22:23], v[22:23], v[36:37]
	s_waitcnt lgkmcnt(1)
	v_fma_f64 v[24:25], -v[18:19], v[40:41], v[24:25]
	v_fma_f64 v[24:25], -v[20:21], v[42:43], v[24:25]
	ds_read_b128 v[40:43], v34 offset:768
	ds_read_b128 v[44:47], v34 offset:784
	s_waitcnt lgkmcnt(2)
	v_fma_f64 v[24:25], -v[22:23], v[48:49], v[24:25]
	v_mul_f64 v[24:25], v[24:25], v[50:51]
	ds_read_b128 v[48:51], v34 offset:800
	s_waitcnt lgkmcnt(2)
	v_fma_f64 v[26:27], -v[14:15], v[40:41], v[26:27]
	v_fma_f64 v[26:27], -v[16:17], v[42:43], v[26:27]
	s_waitcnt lgkmcnt(1)
	v_fma_f64 v[26:27], -v[18:19], v[44:45], v[26:27]
	ds_read_b128 v[40:43], v34 offset:896
	v_fma_f64 v[26:27], -v[20:21], v[46:47], v[26:27]
	s_waitcnt lgkmcnt(1)
	v_fma_f64 v[26:27], -v[22:23], v[48:49], v[26:27]
	ds_read_b128 v[44:47], v34 offset:912
	v_fma_f64 v[26:27], -v[24:25], v[50:51], v[26:27]
	v_mul_f64 v[26:27], v[26:27], v[38:39]
	ds_read_b128 v[36:39], v34 offset:928
	s_waitcnt lgkmcnt(2)
	v_fma_f64 v[28:29], -v[14:15], v[40:41], v[28:29]
	v_fma_f64 v[28:29], -v[16:17], v[42:43], v[28:29]
	ds_read_b128 v[40:43], v34 offset:944
	s_waitcnt lgkmcnt(2)
	v_fma_f64 v[28:29], -v[18:19], v[44:45], v[28:29]
	v_fma_f64 v[28:29], -v[20:21], v[46:47], v[28:29]
	s_waitcnt lgkmcnt(1)
	v_fma_f64 v[28:29], -v[22:23], v[36:37], v[28:29]
	v_fma_f64 v[28:29], -v[24:25], v[38:39], v[28:29]
	ds_read_b128 v[36:39], v34 offset:1024
	s_waitcnt lgkmcnt(1)
	v_fma_f64 v[28:29], -v[26:27], v[40:41], v[28:29]
	v_mul_f64 v[28:29], v[28:29], v[42:43]
	ds_read_b128 v[40:43], v34 offset:1040
	ds_read_b128 v[44:47], v34 offset:1056
	s_waitcnt lgkmcnt(2)
	v_fma_f64 v[30:31], -v[14:15], v[36:37], v[30:31]
	v_fma_f64 v[30:31], -v[16:17], v[38:39], v[30:31]
	ds_read_b128 v[36:39], v34 offset:1072
	s_waitcnt lgkmcnt(2)
	v_fma_f64 v[30:31], -v[18:19], v[40:41], v[30:31]
	v_fma_f64 v[30:31], -v[20:21], v[42:43], v[30:31]
	ds_write2_b64 v1, v[22:23], v[24:25] offset0:64 offset1:80
	ds_write2_b64 v1, v[26:27], v[28:29] offset0:96 offset1:112
	s_waitcnt lgkmcnt(3)
	v_fma_f64 v[30:31], -v[22:23], v[44:45], v[30:31]
	v_fma_f64 v[30:31], -v[24:25], v[46:47], v[30:31]
	ds_read2_b64 v[40:43], v34 offset0:136 offset1:170
	ds_read_b128 v[44:47], v34 offset:1152
	s_waitcnt lgkmcnt(4)
	v_fma_f64 v[30:31], -v[26:27], v[36:37], v[30:31]
	v_fma_f64 v[30:31], -v[28:29], v[38:39], v[30:31]
	ds_read_b128 v[36:39], v34 offset:1168
	ds_read_b128 v[48:51], v34 offset:1184
	s_waitcnt lgkmcnt(2)
	v_fma_f64 v[32:33], -v[14:15], v[44:45], v[32:33]
	v_fma_f64 v[32:33], -v[16:17], v[46:47], v[32:33]
	ds_read_b128 v[44:47], v34 offset:1200
	s_waitcnt lgkmcnt(2)
	v_fma_f64 v[32:33], -v[18:19], v[36:37], v[32:33]
	v_fma_f64 v[32:33], -v[20:21], v[38:39], v[32:33]
	;; [unrolled: 4-line block ×3, first 2 shown]
	s_waitcnt lgkmcnt(1)
	v_fma_f64 v[32:33], -v[26:27], v[44:45], v[32:33]
	v_mul_f64 v[30:31], v[30:31], v[40:41]
	v_fma_f64 v[32:33], -v[28:29], v[46:47], v[32:33]
	ds_read_b128 v[44:47], v34 offset:1280
	s_waitcnt lgkmcnt(1)
	v_fma_f64 v[32:33], -v[30:31], v[36:37], v[32:33]
	v_mul_f64 v[32:33], v[32:33], v[38:39]
	ds_write2_b64 v1, v[30:31], v[32:33] offset0:128 offset1:144
	ds_read_b128 v[36:39], v34 offset:1296
	ds_read_b128 v[48:51], v34 offset:1312
	;; [unrolled: 1-line block ×3, first 2 shown]
	s_waitcnt lgkmcnt(4)
	v_fma_f64 v[10:11], -v[14:15], v[44:45], v[10:11]
	v_fma_f64 v[10:11], -v[16:17], v[46:47], v[10:11]
	s_waitcnt lgkmcnt(2)
	v_fma_f64 v[10:11], -v[18:19], v[36:37], v[10:11]
	v_fma_f64 v[10:11], -v[20:21], v[38:39], v[10:11]
	ds_read_b128 v[36:39], v34 offset:1344
	ds_read_b128 v[44:47], v34 offset:1408
	s_waitcnt lgkmcnt(3)
	v_fma_f64 v[10:11], -v[22:23], v[48:49], v[10:11]
	v_fma_f64 v[10:11], -v[24:25], v[50:51], v[10:11]
	s_waitcnt lgkmcnt(2)
	v_fma_f64 v[10:11], -v[26:27], v[52:53], v[10:11]
	v_fma_f64 v[10:11], -v[28:29], v[54:55], v[10:11]
	;; [unrolled: 3-line block ×3, first 2 shown]
	ds_read_b128 v[36:39], v34 offset:1424
	v_mul_f64 v[10:11], v[10:11], v[42:43]
	ds_read_b128 v[40:43], v34 offset:1440
	s_waitcnt lgkmcnt(2)
	v_fma_f64 v[12:13], -v[14:15], v[44:45], v[12:13]
	v_fma_f64 v[12:13], -v[16:17], v[46:47], v[12:13]
	ds_read_b128 v[44:47], v34 offset:1456
	s_waitcnt lgkmcnt(2)
	v_fma_f64 v[12:13], -v[18:19], v[36:37], v[12:13]
	v_fma_f64 v[12:13], -v[20:21], v[38:39], v[12:13]
	;; [unrolled: 4-line block ×4, first 2 shown]
	s_waitcnt lgkmcnt(1)
	v_fma_f64 v[12:13], -v[30:31], v[36:37], v[12:13]
	v_fma_f64 v[12:13], -v[32:33], v[38:39], v[12:13]
	ds_read_b128 v[36:39], v34 offset:1536
	s_waitcnt lgkmcnt(1)
	v_fma_f64 v[12:13], -v[10:11], v[40:41], v[12:13]
	v_mul_f64 v[56:57], v[12:13], v[42:43]
	ds_read_b128 v[40:43], v34 offset:1552
	ds_read_b128 v[44:47], v34 offset:1568
	s_waitcnt lgkmcnt(2)
	v_fma_f64 v[6:7], -v[14:15], v[36:37], v[6:7]
	v_fma_f64 v[6:7], -v[16:17], v[38:39], v[6:7]
	ds_read_b128 v[36:39], v34 offset:1584
	s_waitcnt lgkmcnt(2)
	v_fma_f64 v[6:7], -v[18:19], v[40:41], v[6:7]
	v_fma_f64 v[6:7], -v[20:21], v[42:43], v[6:7]
	;; [unrolled: 4-line block ×3, first 2 shown]
	s_waitcnt lgkmcnt(1)
	v_fma_f64 v[6:7], -v[26:27], v[36:37], v[6:7]
	ds_read_b128 v[44:47], v34 offset:1616
	v_fma_f64 v[6:7], -v[28:29], v[38:39], v[6:7]
	s_waitcnt lgkmcnt(1)
	v_fma_f64 v[6:7], -v[30:31], v[40:41], v[6:7]
	ds_read2_b64 v[36:39], v34 offset0:204 offset1:238
	v_fma_f64 v[6:7], -v[32:33], v[42:43], v[6:7]
	ds_read_b128 v[40:43], v34 offset:1664
	ds_write2_b64 v1, v[10:11], v[56:57] offset0:160 offset1:176
	s_waitcnt lgkmcnt(3)
	v_fma_f64 v[6:7], -v[10:11], v[44:45], v[6:7]
	v_fma_f64 v[6:7], -v[56:57], v[46:47], v[6:7]
	ds_read_b128 v[44:47], v34 offset:1680
	ds_read_b128 v[48:51], v34 offset:1696
	;; [unrolled: 1-line block ×3, first 2 shown]
	s_waitcnt lgkmcnt(5)
	v_mul_f64 v[58:59], v[6:7], v[36:37]
	s_waitcnt lgkmcnt(4)
	v_fma_f64 v[6:7], -v[14:15], v[40:41], v[8:9]
	v_fma_f64 v[6:7], -v[16:17], v[42:43], v[6:7]
	s_waitcnt lgkmcnt(2)
	v_fma_f64 v[6:7], -v[18:19], v[44:45], v[6:7]
	v_fma_f64 v[6:7], -v[20:21], v[46:47], v[6:7]
	s_waitcnt lgkmcnt(1)
	v_fma_f64 v[12:13], -v[22:23], v[48:49], v[6:7]
	ds_read_b128 v[6:9], v34 offset:1728
	ds_read_b128 v[40:43], v34 offset:1744
	v_fma_f64 v[12:13], -v[24:25], v[50:51], v[12:13]
	s_waitcnt lgkmcnt(2)
	v_fma_f64 v[12:13], -v[26:27], v[52:53], v[12:13]
	v_fma_f64 v[12:13], -v[28:29], v[54:55], v[12:13]
	s_waitcnt lgkmcnt(1)
	v_fma_f64 v[6:7], -v[30:31], v[6:7], v[12:13]
	ds_read_b128 v[44:47], v34 offset:1760
	v_fma_f64 v[6:7], -v[32:33], v[8:9], v[6:7]
	s_waitcnt lgkmcnt(1)
	v_fma_f64 v[6:7], -v[10:11], v[40:41], v[6:7]
	v_fma_f64 v[12:13], -v[56:57], v[42:43], v[6:7]
	ds_read_b128 v[6:9], v34 offset:1792
	ds_read_b128 v[40:43], v34 offset:1808
	s_waitcnt lgkmcnt(2)
	v_fma_f64 v[12:13], -v[58:59], v[44:45], v[12:13]
	v_mul_f64 v[48:49], v[12:13], v[46:47]
	ds_read_b128 v[44:47], v34 offset:1824
	s_waitcnt lgkmcnt(2)
	v_fma_f64 v[2:3], -v[14:15], v[6:7], v[2:3]
	v_fma_f64 v[2:3], -v[16:17], v[8:9], v[2:3]
	ds_read_b128 v[6:9], v34 offset:1840
	s_waitcnt lgkmcnt(2)
	v_fma_f64 v[2:3], -v[18:19], v[40:41], v[2:3]
	v_fma_f64 v[2:3], -v[20:21], v[42:43], v[2:3]
	;; [unrolled: 4-line block ×5, first 2 shown]
	s_waitcnt lgkmcnt(1)
	v_fma_f64 v[2:3], -v[10:11], v[44:45], v[2:3]
	v_fma_f64 v[2:3], -v[56:57], v[46:47], v[2:3]
	s_waitcnt lgkmcnt(0)
	v_fma_f64 v[2:3], -v[58:59], v[6:7], v[2:3]
	v_fma_f64 v[2:3], -v[48:49], v[8:9], v[2:3]
	ds_read_b128 v[6:9], v34 offset:1920
	ds_write2_b64 v1, v[58:59], v[48:49] offset0:192 offset1:208
	v_mul_f64 v[50:51], v[2:3], v[38:39]
	ds_read_b128 v[36:39], v34 offset:1936
	ds_read_b128 v[40:43], v34 offset:1952
	;; [unrolled: 1-line block ×3, first 2 shown]
	s_mov_b32 s7, 16
	s_waitcnt lgkmcnt(4)
	v_fma_f64 v[2:3], -v[14:15], v[6:7], v[4:5]
	v_fma_f64 v[2:3], -v[16:17], v[8:9], v[2:3]
	s_waitcnt lgkmcnt(2)
	v_fma_f64 v[2:3], -v[18:19], v[36:37], v[2:3]
	v_fma_f64 v[2:3], -v[20:21], v[38:39], v[2:3]
	s_waitcnt lgkmcnt(1)
	v_fma_f64 v[6:7], -v[22:23], v[40:41], v[2:3]
	ds_read_b128 v[2:5], v34 offset:1984
	v_fma_f64 v[6:7], -v[24:25], v[42:43], v[6:7]
	s_waitcnt lgkmcnt(1)
	v_fma_f64 v[6:7], -v[26:27], v[44:45], v[6:7]
	v_fma_f64 v[12:13], -v[28:29], v[46:47], v[6:7]
	ds_read_b128 v[6:9], v34 offset:2000
	s_waitcnt lgkmcnt(1)
	v_fma_f64 v[2:3], -v[30:31], v[2:3], v[12:13]
	ds_read_b128 v[12:15], v34 offset:2016
	v_fma_f64 v[16:17], -v[32:33], v[4:5], v[2:3]
	ds_read_b128 v[2:5], v34 offset:2032
	s_waitcnt lgkmcnt(2)
	v_fma_f64 v[6:7], -v[10:11], v[6:7], v[16:17]
	v_fma_f64 v[6:7], -v[56:57], v[8:9], v[6:7]
	s_waitcnt lgkmcnt(1)
	v_fma_f64 v[6:7], -v[58:59], v[12:13], v[6:7]
	v_fma_f64 v[6:7], -v[48:49], v[14:15], v[6:7]
	s_waitcnt lgkmcnt(0)
	v_fma_f64 v[2:3], -v[50:51], v[2:3], v[6:7]
	v_mul_f64 v[2:3], v[2:3], v[4:5]
	ds_write2_b64 v1, v[50:51], v[2:3] offset0:224 offset1:240
	s_cmp_lt_i32 s7, s22
	s_cbranch_scc1 .LBB82_13
	s_branch .LBB82_23
.LBB82_12:
	s_mov_b32 s7, 0
	s_cmp_lt_i32 s7, s22
	s_cbranch_scc0 .LBB82_23
.LBB82_13:
	s_or_b32 s9, s7, 11
	s_cmp_ge_u32 s9, s22
	s_cbranch_scc1 .LBB82_18
; %bb.14:
	s_lshl_b32 s8, s7, 7
	v_add_u32_e32 v35, s8, v1
	ds_read2_b64 v[18:21], v35 offset1:16
	ds_read2_b64 v[14:17], v35 offset0:32 offset1:48
	ds_read2_b64 v[10:13], v35 offset0:64 offset1:80
	;; [unrolled: 1-line block ×4, first 2 shown]
	s_lshl_b32 s9, s9, 7
	v_add_u32_e32 v34, s9, v1
	ds_read_b64 v[32:33], v35 offset:1280
	ds_read_b64 v[30:31], v34
	s_andn2_b64 vcc, exec, s[4:5]
	s_cbranch_vccnz .LBB82_17
; %bb.15:
	v_mov_b32_e32 v22, 0x800
	v_lshl_or_b32 v36, v0, 3, v22
	s_mov_b32 s4, s7
	s_mov_b32 s5, s8
.LBB82_16:                              ; =>This Inner Loop Header: Depth=1
	ds_read2_b64 v[22:25], v36 offset1:16
	v_mov_b32_e32 v37, s5
	ds_read2_b64 v[26:29], v36 offset0:32 offset1:48
	ds_read_b128 v[38:41], v37
	ds_read_b128 v[42:45], v37 offset:16
	ds_read_b128 v[46:49], v37 offset:128
	ds_read_b128 v[50:53], v37 offset:256
	s_add_i32 s5, s5, 32
	s_waitcnt lgkmcnt(3)
	v_fma_f64 v[18:19], -v[22:23], v[38:39], v[18:19]
	v_fma_f64 v[54:55], -v[24:25], v[40:41], v[18:19]
	s_waitcnt lgkmcnt(1)
	v_fma_f64 v[18:19], -v[22:23], v[46:47], v[20:21]
	ds_read_b128 v[38:41], v37 offset:384
	v_fma_f64 v[56:57], -v[24:25], v[48:49], v[18:19]
	ds_read_b128 v[18:21], v37 offset:512
	ds_read_b128 v[46:49], v37 offset:640
	s_waitcnt lgkmcnt(3)
	v_fma_f64 v[14:15], -v[22:23], v[50:51], v[14:15]
	v_fma_f64 v[50:51], -v[24:25], v[52:53], v[14:15]
	s_waitcnt lgkmcnt(2)
	v_fma_f64 v[14:15], -v[22:23], v[38:39], v[16:17]
	s_waitcnt lgkmcnt(1)
	v_fma_f64 v[10:11], -v[22:23], v[18:19], v[10:11]
	v_fma_f64 v[38:39], -v[24:25], v[40:41], v[14:15]
	ds_read_b128 v[14:17], v37 offset:768
	v_fma_f64 v[52:53], -v[24:25], v[20:21], v[10:11]
	s_waitcnt lgkmcnt(1)
	v_fma_f64 v[10:11], -v[22:23], v[46:47], v[12:13]
	ds_read_b128 v[18:21], v37 offset:896
	v_fma_f64 v[46:47], -v[24:25], v[48:49], v[10:11]
	ds_read_b128 v[10:13], v37 offset:1024
	s_waitcnt lgkmcnt(2)
	v_fma_f64 v[6:7], -v[22:23], v[14:15], v[6:7]
	v_fma_f64 v[48:49], -v[24:25], v[16:17], v[6:7]
	ds_read_b128 v[14:17], v37 offset:1152
	s_waitcnt lgkmcnt(2)
	v_fma_f64 v[6:7], -v[22:23], v[18:19], v[8:9]
	s_waitcnt lgkmcnt(1)
	v_fma_f64 v[2:3], -v[22:23], v[10:11], v[2:3]
	v_fma_f64 v[58:59], -v[24:25], v[20:21], v[6:7]
	ds_read_b128 v[6:9], v37 offset:1280
	v_fma_f64 v[60:61], -v[24:25], v[12:13], v[2:3]
	ds_read_b128 v[10:13], v37 offset:1408
	s_waitcnt lgkmcnt(2)
	v_fma_f64 v[2:3], -v[22:23], v[14:15], v[4:5]
	v_fma_f64 v[62:63], -v[24:25], v[16:17], v[2:3]
	ds_read_b128 v[2:5], v37 offset:144
	s_waitcnt lgkmcnt(2)
	v_fma_f64 v[6:7], -v[22:23], v[6:7], v[32:33]
	s_waitcnt lgkmcnt(1)
	v_fma_f64 v[10:11], -v[22:23], v[10:11], v[30:31]
	v_fma_f64 v[64:65], -v[24:25], v[8:9], v[6:7]
	ds_read_b128 v[6:9], v37 offset:272
	v_fma_f64 v[66:67], -v[24:25], v[12:13], v[10:11]
	ds_read_b128 v[10:13], v37 offset:400
	ds_read_b128 v[22:25], v37 offset:528
	;; [unrolled: 1-line block ×3, first 2 shown]
	s_waitcnt lgkmcnt(4)
	v_fma_f64 v[2:3], -v[26:27], v[2:3], v[56:57]
	v_fma_f64 v[14:15], -v[26:27], v[42:43], v[54:55]
	s_waitcnt lgkmcnt(2)
	v_fma_f64 v[10:11], -v[26:27], v[10:11], v[38:39]
	v_fma_f64 v[20:21], -v[28:29], v[4:5], v[2:3]
	ds_read_b128 v[2:5], v37 offset:784
	v_fma_f64 v[6:7], -v[26:27], v[6:7], v[50:51]
	v_fma_f64 v[16:17], -v[28:29], v[12:13], v[10:11]
	s_waitcnt lgkmcnt(2)
	v_fma_f64 v[10:11], -v[26:27], v[22:23], v[52:53]
	s_waitcnt lgkmcnt(1)
	v_fma_f64 v[12:13], -v[26:27], v[30:31], v[46:47]
	v_fma_f64 v[18:19], -v[28:29], v[44:45], v[14:15]
	;; [unrolled: 1-line block ×3, first 2 shown]
	ds_read_b128 v[6:9], v37 offset:912
	ds_read_b128 v[38:41], v37 offset:1040
	v_fma_f64 v[10:11], -v[28:29], v[24:25], v[10:11]
	ds_read_b128 v[22:25], v37 offset:1168
	v_fma_f64 v[12:13], -v[28:29], v[32:33], v[12:13]
	ds_read_b128 v[30:33], v37 offset:1296
	ds_read_b128 v[42:45], v37 offset:1424
	s_add_i32 s4, s4, -4
	s_waitcnt lgkmcnt(5)
	v_fma_f64 v[2:3], -v[26:27], v[2:3], v[48:49]
	s_waitcnt lgkmcnt(4)
	v_fma_f64 v[46:47], -v[26:27], v[6:7], v[58:59]
	;; [unrolled: 2-line block ×6, first 2 shown]
	v_add_u32_e32 v36, 0x200, v36
	s_cmp_lg_u32 s4, 0
	v_fma_f64 v[6:7], -v[28:29], v[4:5], v[2:3]
	v_fma_f64 v[8:9], -v[28:29], v[8:9], v[46:47]
	;; [unrolled: 1-line block ×6, first 2 shown]
	s_cbranch_scc1 .LBB82_16
.LBB82_17:
	s_lshl_b32 s4, s7, 3
	s_add_i32 s5, s4, s8
	v_mov_b32_e32 v48, s5
	ds_read2_b64 v[22:25], v48 offset1:34
	s_or_b32 s5, s8, 0x80
	s_add_i32 s12, s4, s5
	v_mov_b32_e32 v26, s12
	ds_read_b128 v[26:29], v26
	s_or_b32 s12, s8, 0x100
	s_add_i32 s13, s4, s12
	s_waitcnt lgkmcnt(1)
	v_mul_f64 v[18:19], v[18:19], v[22:23]
	v_mov_b32_e32 v22, s13
	ds_read_b128 v[36:39], v22
	s_waitcnt lgkmcnt(1)
	v_fma_f64 v[20:21], -v[18:19], v[26:27], v[20:21]
	v_add_u32_e32 v22, s5, v1
	s_or_b32 s5, s8, 0x180
	v_mul_f64 v[20:21], v[20:21], v[28:29]
	s_add_i32 s13, s4, s5
	ds_write_b64 v22, v[20:21]
	v_mov_b32_e32 v22, s13
	s_waitcnt lgkmcnt(1)
	v_fma_f64 v[14:15], -v[18:19], v[36:37], v[14:15]
	ds_read_b128 v[26:29], v22
	v_fma_f64 v[14:15], -v[20:21], v[38:39], v[14:15]
	v_mul_f64 v[14:15], v[14:15], v[24:25]
	ds_read_b128 v[22:25], v22 offset:16
	ds_write_b64 v35, v[18:19]
	v_add_u32_e32 v35, s12, v1
	s_waitcnt lgkmcnt(2)
	v_fma_f64 v[16:17], -v[18:19], v[26:27], v[16:17]
	s_or_b32 s12, s8, 0x200
	v_fma_f64 v[16:17], -v[20:21], v[28:29], v[16:17]
	s_add_i32 s13, s4, s12
	ds_write_b64 v35, v[14:15]
	s_waitcnt lgkmcnt(2)
	v_fma_f64 v[16:17], -v[14:15], v[22:23], v[16:17]
	v_mov_b32_e32 v26, s13
	v_add_u32_e32 v35, s5, v1
	s_or_b32 s5, s8, 0x280
	v_mul_f64 v[16:17], v[16:17], v[24:25]
	ds_read_b128 v[22:25], v26
	s_add_i32 s13, s4, s5
	ds_write_b64 v35, v[16:17]
	v_mov_b32_e32 v35, s13
	ds_read_b128 v[40:43], v35 offset:32
	ds_read_b128 v[26:29], v26 offset:16
	ds_read2_b64 v[36:39], v48 offset0:68 offset1:102
	s_waitcnt lgkmcnt(4)
	v_fma_f64 v[10:11], -v[18:19], v[22:23], v[10:11]
	v_fma_f64 v[10:11], -v[20:21], v[24:25], v[10:11]
	ds_read_b128 v[22:25], v35
	s_waitcnt lgkmcnt(2)
	v_fma_f64 v[10:11], -v[14:15], v[26:27], v[10:11]
	v_fma_f64 v[10:11], -v[16:17], v[28:29], v[10:11]
	ds_read_b128 v[26:29], v35 offset:16
	s_waitcnt lgkmcnt(2)
	v_mul_f64 v[10:11], v[10:11], v[36:37]
	v_add_u32_e32 v36, s12, v1
	s_or_b32 s12, s8, 0x300
	s_add_i32 s13, s4, s12
	s_waitcnt lgkmcnt(1)
	v_fma_f64 v[12:13], -v[18:19], v[22:23], v[12:13]
	v_mov_b32_e32 v35, s13
	v_fma_f64 v[12:13], -v[20:21], v[24:25], v[12:13]
	ds_read_b128 v[22:25], v35
	s_waitcnt lgkmcnt(1)
	v_fma_f64 v[12:13], -v[14:15], v[26:27], v[12:13]
	v_fma_f64 v[12:13], -v[16:17], v[28:29], v[12:13]
	ds_read_b128 v[26:29], v35 offset:16
	v_fma_f64 v[12:13], -v[10:11], v[40:41], v[12:13]
	v_mul_f64 v[12:13], v[12:13], v[42:43]
	ds_read_b128 v[40:43], v35 offset:32
	s_waitcnt lgkmcnt(2)
	v_fma_f64 v[6:7], -v[18:19], v[22:23], v[6:7]
	v_fma_f64 v[6:7], -v[20:21], v[24:25], v[6:7]
	s_waitcnt lgkmcnt(1)
	v_fma_f64 v[6:7], -v[14:15], v[26:27], v[6:7]
	v_fma_f64 v[6:7], -v[16:17], v[28:29], v[6:7]
	s_waitcnt lgkmcnt(0)
	v_fma_f64 v[6:7], -v[10:11], v[40:41], v[6:7]
	ds_write_b64 v36, v[10:11]
	v_add_u32_e32 v36, s5, v1
	v_fma_f64 v[6:7], -v[12:13], v[42:43], v[6:7]
	s_or_b32 s5, s8, 0x380
	v_mul_f64 v[44:45], v[6:7], v[38:39]
	v_add_u32_e32 v6, s12, v1
	s_add_i32 s12, s4, s5
	v_mov_b32_e32 v7, s12
	ds_read_b128 v[22:25], v7
	ds_write_b64 v36, v[12:13]
	ds_write_b64 v6, v[44:45]
	ds_read_b128 v[26:29], v7 offset:16
	ds_read_b128 v[36:39], v7 offset:32
	ds_read_b128 v[40:43], v7 offset:48
	s_or_b32 s7, s7, 12
	s_waitcnt lgkmcnt(5)
	v_fma_f64 v[6:7], -v[18:19], v[22:23], v[8:9]
	v_fma_f64 v[6:7], -v[20:21], v[24:25], v[6:7]
	s_waitcnt lgkmcnt(2)
	v_fma_f64 v[6:7], -v[14:15], v[26:27], v[6:7]
	v_fma_f64 v[6:7], -v[16:17], v[28:29], v[6:7]
	s_waitcnt lgkmcnt(1)
	v_fma_f64 v[6:7], -v[10:11], v[36:37], v[6:7]
	v_add_u32_e32 v22, s5, v1
	s_or_b32 s5, s8, 0x400
	v_fma_f64 v[6:7], -v[12:13], v[38:39], v[6:7]
	s_add_i32 s12, s4, s5
	s_waitcnt lgkmcnt(0)
	v_fma_f64 v[6:7], -v[44:45], v[40:41], v[6:7]
	v_mov_b32_e32 v35, s12
	v_mul_f64 v[46:47], v[6:7], v[42:43]
	ds_read_b128 v[6:9], v35
	ds_write_b64 v22, v[46:47]
	ds_read_b128 v[22:25], v35 offset:16
	ds_read_b128 v[26:29], v35 offset:32
	;; [unrolled: 1-line block ×3, first 2 shown]
	s_waitcnt lgkmcnt(4)
	v_fma_f64 v[2:3], -v[18:19], v[6:7], v[2:3]
	v_fma_f64 v[2:3], -v[20:21], v[8:9], v[2:3]
	s_waitcnt lgkmcnt(2)
	v_fma_f64 v[2:3], -v[14:15], v[22:23], v[2:3]
	v_fma_f64 v[2:3], -v[16:17], v[24:25], v[2:3]
	ds_read2_b64 v[6:9], v48 offset0:136 offset1:170
	s_waitcnt lgkmcnt(2)
	v_fma_f64 v[2:3], -v[10:11], v[26:27], v[2:3]
	v_fma_f64 v[2:3], -v[12:13], v[28:29], v[2:3]
	s_waitcnt lgkmcnt(1)
	v_fma_f64 v[2:3], -v[44:45], v[36:37], v[2:3]
	v_fma_f64 v[2:3], -v[46:47], v[38:39], v[2:3]
	s_waitcnt lgkmcnt(0)
	v_mul_f64 v[48:49], v[2:3], v[6:7]
	v_add_u32_e32 v2, s5, v1
	s_or_b32 s5, s8, 0x480
	s_add_i32 s12, s4, s5
	v_mov_b32_e32 v35, s12
	ds_read_b128 v[22:25], v35
	ds_write_b64 v2, v[48:49]
	ds_read_b128 v[26:29], v35 offset:16
	ds_read_b128 v[36:39], v35 offset:32
	;; [unrolled: 1-line block ×3, first 2 shown]
	s_or_b32 s8, s8, 0x500
	s_add_i32 s12, s4, s8
	s_waitcnt lgkmcnt(4)
	v_fma_f64 v[2:3], -v[18:19], v[22:23], v[4:5]
	v_fma_f64 v[2:3], -v[20:21], v[24:25], v[2:3]
	s_waitcnt lgkmcnt(2)
	v_fma_f64 v[2:3], -v[14:15], v[26:27], v[2:3]
	v_fma_f64 v[2:3], -v[16:17], v[28:29], v[2:3]
	;; [unrolled: 3-line block ×4, first 2 shown]
	ds_read_b128 v[2:5], v35 offset:64
	v_mov_b32_e32 v35, s12
	ds_read_b128 v[22:25], v35
	s_add_i32 s4, s4, s9
	s_waitcnt lgkmcnt(1)
	v_fma_f64 v[2:3], -v[48:49], v[2:3], v[6:7]
	v_mul_f64 v[40:41], v[2:3], v[4:5]
	v_add_u32_e32 v2, s5, v1
	ds_write_b64 v2, v[40:41]
	ds_read_b128 v[2:5], v35 offset:16
	ds_read_b128 v[26:29], v35 offset:32
	ds_read_b128 v[36:39], v35 offset:48
	s_waitcnt lgkmcnt(4)
	v_fma_f64 v[6:7], -v[18:19], v[22:23], v[32:33]
	v_fma_f64 v[6:7], -v[20:21], v[24:25], v[6:7]
	s_waitcnt lgkmcnt(2)
	v_fma_f64 v[2:3], -v[14:15], v[2:3], v[6:7]
	v_fma_f64 v[6:7], -v[16:17], v[4:5], v[2:3]
	ds_read_b128 v[2:5], v35 offset:64
	s_waitcnt lgkmcnt(2)
	v_fma_f64 v[6:7], -v[10:11], v[26:27], v[6:7]
	v_fma_f64 v[6:7], -v[12:13], v[28:29], v[6:7]
	s_waitcnt lgkmcnt(1)
	v_fma_f64 v[6:7], -v[44:45], v[36:37], v[6:7]
	v_fma_f64 v[6:7], -v[46:47], v[38:39], v[6:7]
	;; [unrolled: 3-line block ×3, first 2 shown]
	v_mov_b32_e32 v35, s4
	v_mul_f64 v[32:33], v[2:3], v[8:9]
	ds_read_b128 v[2:5], v35
	v_add_u32_e32 v6, s8, v1
	ds_write_b64 v6, v[32:33]
	ds_read_b128 v[6:9], v35 offset:16
	ds_read_b128 v[22:25], v35 offset:32
	;; [unrolled: 1-line block ×3, first 2 shown]
	s_waitcnt lgkmcnt(4)
	v_fma_f64 v[2:3], -v[18:19], v[2:3], v[30:31]
	v_fma_f64 v[2:3], -v[20:21], v[4:5], v[2:3]
	s_waitcnt lgkmcnt(2)
	v_fma_f64 v[2:3], -v[14:15], v[6:7], v[2:3]
	v_fma_f64 v[2:3], -v[16:17], v[8:9], v[2:3]
	s_waitcnt lgkmcnt(1)
	v_fma_f64 v[6:7], -v[10:11], v[22:23], v[2:3]
	ds_read_b128 v[2:5], v35 offset:64
	v_fma_f64 v[10:11], -v[12:13], v[24:25], v[6:7]
	ds_read_b128 v[6:9], v35 offset:80
	s_waitcnt lgkmcnt(2)
	v_fma_f64 v[10:11], -v[44:45], v[26:27], v[10:11]
	v_fma_f64 v[10:11], -v[46:47], v[28:29], v[10:11]
	s_waitcnt lgkmcnt(1)
	v_fma_f64 v[2:3], -v[48:49], v[2:3], v[10:11]
	v_fma_f64 v[2:3], -v[40:41], v[4:5], v[2:3]
	s_waitcnt lgkmcnt(0)
	v_fma_f64 v[2:3], -v[32:33], v[6:7], v[2:3]
	v_mul_f64 v[2:3], v[2:3], v[8:9]
	ds_write_b64 v34, v[2:3]
.LBB82_18:
	s_cmp_ge_i32 s7, s22
	s_cbranch_scc1 .LBB82_23
; %bb.19:
	v_mov_b32_e32 v2, 0x800
	s_lshl_b32 s4, s7, 7
	v_lshl_or_b32 v4, v0, 3, v2
	s_branch .LBB82_21
.LBB82_20:                              ;   in Loop: Header=BB82_21 Depth=1
	s_mul_i32 s5, s7, 0x88
	v_mov_b32_e32 v6, s5
	ds_read_b64 v[6:7], v6
	s_add_i32 s7, s7, 1
	s_addk_i32 s4, 0x80
	s_cmp_ge_i32 s7, s22
	s_waitcnt lgkmcnt(0)
	v_mul_f64 v[2:3], v[2:3], v[6:7]
	ds_write_b64 v5, v[2:3]
	s_cbranch_scc1 .LBB82_23
.LBB82_21:                              ; =>This Loop Header: Depth=1
                                        ;     Child Loop BB82_22 Depth 2
	s_lshl_b32 s5, s7, 7
	v_add_u32_e32 v5, s5, v1
	ds_read_b64 v[2:3], v5
	s_cmp_eq_u32 s7, 0
	v_mov_b32_e32 v6, v4
	s_mov_b32 s5, s7
	s_mov_b32 s8, s4
	s_cbranch_scc1 .LBB82_20
.LBB82_22:                              ;   Parent Loop BB82_21 Depth=1
                                        ; =>  This Inner Loop Header: Depth=2
	v_mov_b32_e32 v7, s8
	ds_read_b64 v[8:9], v6
	ds_read_b64 v[10:11], v7
	s_add_i32 s8, s8, 8
	s_add_i32 s5, s5, -1
	v_add_u32_e32 v6, 0x80, v6
	s_cmp_lg_u32 s5, 0
	s_waitcnt lgkmcnt(0)
	v_fma_f64 v[2:3], -v[8:9], v[10:11], v[2:3]
	s_cbranch_scc1 .LBB82_22
	s_branch .LBB82_20
.LBB82_23:
	s_mov_b64 s[4:5], 0
.LBB82_24:
	s_and_b64 vcc, exec, s[4:5]
	s_cbranch_vccz .LBB82_50
; %bb.25:
	s_add_i32 s4, s22, -1
	s_cmp_gt_i32 s6, 15
	s_mov_b32 s5, -1
	s_cbranch_scc0 .LBB82_27
; %bb.26:
	ds_read2_b64 v[26:29], v1 offset0:224 offset1:240
	ds_read2_b64 v[14:17], v1 offset0:192 offset1:208
	ds_read2_b64 v[10:13], v1 offset0:160 offset1:176
	v_mov_b32_e32 v44, 0
	ds_read_b128 v[30:33], v44 offset:2032
	ds_read2_b64 v[6:9], v1 offset0:128 offset1:144
	ds_read2_b64 v[2:5], v1 offset0:96 offset1:112
	;; [unrolled: 1-line block ×3, first 2 shown]
	ds_read_b128 v[22:25], v44 offset:2016
	s_waitcnt lgkmcnt(4)
	v_mul_f64 v[42:43], v[28:29], v[32:33]
	v_fma_f64 v[30:31], -v[42:43], v[30:31], v[26:27]
	ds_read_b128 v[26:29], v44 offset:1888
	ds_read_b128 v[34:37], v44 offset:1872
	s_waitcnt lgkmcnt(3)
	v_mul_f64 v[20:21], v[30:31], v[20:21]
	ds_read_b128 v[30:33], v44 offset:1760
	ds_read_b128 v[38:41], v44 offset:1792
	s_waitcnt lgkmcnt(4)
	v_fma_f64 v[16:17], -v[42:43], v[24:25], v[16:17]
	v_fma_f64 v[14:15], -v[42:43], v[22:23], v[14:15]
	ds_read_b128 v[22:25], v44 offset:2000
	s_waitcnt lgkmcnt(4)
	v_fma_f64 v[16:17], -v[20:21], v[28:29], v[16:17]
	s_waitcnt lgkmcnt(2)
	v_mul_f64 v[16:17], v[16:17], v[32:33]
	v_fma_f64 v[14:15], -v[20:21], v[26:27], v[14:15]
	v_fma_f64 v[14:15], -v[16:17], v[30:31], v[14:15]
	ds_read_b128 v[26:29], v44 offset:1744
	ds_read_b128 v[30:33], v44 offset:1984
	s_waitcnt lgkmcnt(2)
	v_fma_f64 v[12:13], -v[42:43], v[24:25], v[12:13]
	v_fma_f64 v[12:13], -v[20:21], v[36:37], v[12:13]
	v_mul_f64 v[14:15], v[14:15], v[18:19]
	ds_read_b128 v[46:49], v44 offset:1616
	ds_read_b128 v[50:53], v44 offset:1728
	s_waitcnt lgkmcnt(3)
	v_fma_f64 v[18:19], -v[16:17], v[28:29], v[12:13]
	v_fma_f64 v[22:23], -v[42:43], v[22:23], v[10:11]
	ds_read_b128 v[10:13], v44 offset:1488
	v_fma_f64 v[28:29], -v[20:21], v[34:35], v[22:23]
	s_waitcnt lgkmcnt(2)
	v_fma_f64 v[18:19], -v[14:15], v[48:49], v[18:19]
	v_fma_f64 v[34:35], -v[16:17], v[26:27], v[28:29]
	ds_read_b128 v[22:25], v44 offset:1600
	v_fma_f64 v[46:47], -v[14:15], v[46:47], v[34:35]
	s_waitcnt lgkmcnt(1)
	v_mul_f64 v[12:13], v[18:19], v[12:13]
	ds_read2_b64 v[26:29], v44 offset0:136 offset1:170
	v_fma_f64 v[10:11], -v[12:13], v[10:11], v[46:47]
	ds_read_b128 v[46:49], v44 offset:1856
	v_fma_f64 v[8:9], -v[42:43], v[32:33], v[8:9]
	v_fma_f64 v[6:7], -v[42:43], v[30:31], v[6:7]
	s_waitcnt lgkmcnt(1)
	v_mul_f64 v[10:11], v[10:11], v[28:29]
	ds_read_b128 v[28:31], v44 offset:1840
	s_waitcnt lgkmcnt(1)
	v_fma_f64 v[8:9], -v[20:21], v[48:49], v[8:9]
	ds_read_b128 v[34:37], v44 offset:1472
	v_fma_f64 v[8:9], -v[16:17], v[52:53], v[8:9]
	v_fma_f64 v[18:19], -v[14:15], v[24:25], v[8:9]
	;; [unrolled: 1-line block ×3, first 2 shown]
	ds_read_b128 v[6:9], v44 offset:1344
	ds_read_b128 v[46:49], v44 offset:1216
	v_fma_f64 v[24:25], -v[16:17], v[50:51], v[24:25]
	s_waitcnt lgkmcnt(2)
	v_fma_f64 v[18:19], -v[12:13], v[36:37], v[18:19]
	v_fma_f64 v[32:33], -v[14:15], v[22:23], v[24:25]
	s_waitcnt lgkmcnt(1)
	v_fma_f64 v[8:9], -v[10:11], v[8:9], v[18:19]
	ds_read_b128 v[22:25], v44 offset:1328
	s_waitcnt lgkmcnt(1)
	v_mul_f64 v[54:55], v[8:9], v[48:49]
	v_fma_f64 v[8:9], -v[12:13], v[34:35], v[32:33]
	ds_read_b128 v[32:35], v44 offset:1968
	v_fma_f64 v[6:7], -v[10:11], v[6:7], v[8:9]
	v_fma_f64 v[6:7], -v[54:55], v[46:47], v[6:7]
	ds_read_b128 v[46:49], v44 offset:1712
	ds_read_b128 v[50:53], v44 offset:1952
	v_mul_f64 v[6:7], v[6:7], v[26:27]
	s_waitcnt lgkmcnt(2)
	v_fma_f64 v[4:5], -v[42:43], v[34:35], v[4:5]
	v_fma_f64 v[8:9], -v[20:21], v[30:31], v[4:5]
	;; [unrolled: 1-line block ×3, first 2 shown]
	ds_read_b128 v[2:5], v44 offset:1584
	v_fma_f64 v[18:19], -v[20:21], v[28:29], v[18:19]
	ds_read_b128 v[26:29], v44 offset:1456
	s_waitcnt lgkmcnt(3)
	v_fma_f64 v[8:9], -v[16:17], v[48:49], v[8:9]
	v_fma_f64 v[18:19], -v[16:17], v[46:47], v[18:19]
	s_waitcnt lgkmcnt(1)
	v_fma_f64 v[4:5], -v[14:15], v[4:5], v[8:9]
	v_fma_f64 v[18:19], -v[14:15], v[2:3], v[18:19]
	s_waitcnt lgkmcnt(0)
	v_fma_f64 v[8:9], -v[12:13], v[28:29], v[4:5]
	ds_read_b128 v[2:5], v44 offset:1200
	v_fma_f64 v[8:9], -v[10:11], v[24:25], v[8:9]
	v_fma_f64 v[18:19], -v[12:13], v[26:27], v[18:19]
	ds_read_b128 v[24:27], v44 offset:1072
	v_fma_f64 v[18:19], -v[10:11], v[22:23], v[18:19]
	s_waitcnt lgkmcnt(1)
	v_fma_f64 v[4:5], -v[54:55], v[4:5], v[8:9]
	v_fma_f64 v[2:3], -v[54:55], v[2:3], v[18:19]
	ds_read_b128 v[30:33], v44 offset:1568
	ds_read2_b64 v[46:49], v1 offset0:64 offset1:80
	s_waitcnt lgkmcnt(2)
	v_fma_f64 v[8:9], -v[6:7], v[26:27], v[4:5]
	v_fma_f64 v[18:19], -v[6:7], v[24:25], v[2:3]
	ds_read_b128 v[2:5], v44 offset:944
	ds_read_b128 v[34:37], v44 offset:1696
	;; [unrolled: 1-line block ×4, first 2 shown]
	s_waitcnt lgkmcnt(4)
	v_fma_f64 v[48:49], -v[42:43], v[52:53], v[48:49]
	v_fma_f64 v[46:47], -v[42:43], v[50:51], v[46:47]
	s_waitcnt lgkmcnt(3)
	v_mul_f64 v[50:51], v[8:9], v[4:5]
	v_fma_f64 v[8:9], -v[50:51], v[2:3], v[18:19]
	s_waitcnt lgkmcnt(1)
	v_fma_f64 v[18:19], -v[20:21], v[24:25], v[48:49]
	v_fma_f64 v[46:47], -v[20:21], v[22:23], v[46:47]
	v_fma_f64 v[18:19], -v[16:17], v[36:37], v[18:19]
	ds_read_b128 v[2:5], v44 offset:1184
	v_fma_f64 v[36:37], -v[16:17], v[34:35], v[46:47]
	v_fma_f64 v[18:19], -v[14:15], v[32:33], v[18:19]
	ds_read_b128 v[32:35], v44 offset:1312
	ds_read_b128 v[22:25], v44 offset:1056
	;; [unrolled: 1-line block ×3, first 2 shown]
	v_fma_f64 v[30:31], -v[14:15], v[30:31], v[36:37]
	s_waitcnt lgkmcnt(4)
	v_fma_f64 v[26:27], -v[12:13], v[26:27], v[30:31]
	v_fma_f64 v[18:19], -v[12:13], v[28:29], v[18:19]
	s_waitcnt lgkmcnt(2)
	v_fma_f64 v[30:31], -v[10:11], v[32:33], v[26:27]
	v_fma_f64 v[18:19], -v[10:11], v[34:35], v[18:19]
	;; [unrolled: 1-line block ×3, first 2 shown]
	ds_read2_b64 v[26:29], v1 offset0:32 offset1:48
	v_fma_f64 v[18:19], -v[54:55], v[4:5], v[18:19]
	ds_read_b128 v[30:33], v44 offset:1936
	s_waitcnt lgkmcnt(3)
	v_fma_f64 v[22:23], -v[6:7], v[22:23], v[34:35]
	ds_read2_b64 v[2:5], v1 offset1:16
	v_fma_f64 v[18:19], -v[6:7], v[24:25], v[18:19]
	s_waitcnt lgkmcnt(3)
	v_fma_f64 v[34:35], -v[50:51], v[46:47], v[22:23]
	ds_read_b128 v[22:25], v44 offset:1920
	s_waitcnt lgkmcnt(2)
	v_fma_f64 v[36:37], -v[42:43], v[32:33], v[28:29]
	v_fma_f64 v[46:47], -v[42:43], v[30:31], v[26:27]
	ds_read2_b64 v[26:29], v44 offset0:68 offset1:102
	ds_read_b128 v[30:33], v44 offset:800
	v_fma_f64 v[18:19], -v[50:51], v[48:49], v[18:19]
	s_waitcnt lgkmcnt(2)
	v_fma_f64 v[48:49], -v[42:43], v[24:25], v[4:5]
	v_fma_f64 v[52:53], -v[42:43], v[22:23], v[2:3]
	ds_read_b128 v[2:5], v44 offset:672
	ds_read_b128 v[22:25], v44 offset:1280
	s_waitcnt lgkmcnt(3)
	v_mul_f64 v[56:57], v[8:9], v[28:29]
	s_waitcnt lgkmcnt(2)
	v_fma_f64 v[8:9], -v[56:57], v[32:33], v[18:19]
	v_fma_f64 v[18:19], -v[56:57], v[30:31], v[34:35]
	s_waitcnt lgkmcnt(1)
	v_mul_f64 v[58:59], v[8:9], v[4:5]
	v_fma_f64 v[8:9], -v[58:59], v[2:3], v[18:19]
	ds_read_b128 v[2:5], v44 offset:1808
	ds_write2_b64 v1, v[20:21], v[42:43] offset0:224 offset1:240
	v_mul_f64 v[42:43], v[8:9], v[26:27]
	ds_read_b128 v[26:29], v44 offset:1680
	ds_read_b128 v[30:33], v44 offset:1296
	v_fma_f64 v[34:35], -v[20:21], v[40:41], v[48:49]
	s_waitcnt lgkmcnt(3)
	v_fma_f64 v[8:9], -v[20:21], v[4:5], v[36:37]
	v_fma_f64 v[18:19], -v[20:21], v[2:3], v[46:47]
	s_waitcnt lgkmcnt(1)
	v_fma_f64 v[8:9], -v[16:17], v[28:29], v[8:9]
	v_fma_f64 v[46:47], -v[16:17], v[26:27], v[18:19]
	ds_read_b128 v[26:29], v44 offset:1664
	ds_read_b128 v[2:5], v44 offset:784
	v_fma_f64 v[36:37], -v[20:21], v[38:39], v[52:53]
	ds_read_b128 v[18:21], v44 offset:1552
	ds_write2_b64 v1, v[14:15], v[16:17] offset0:192 offset1:208
	s_waitcnt lgkmcnt(3)
	v_fma_f64 v[38:39], -v[16:17], v[28:29], v[34:35]
	v_fma_f64 v[40:41], -v[16:17], v[26:27], v[36:37]
	ds_read_b128 v[26:29], v44 offset:1424
	ds_read_b128 v[34:37], v44 offset:1536
	s_waitcnt lgkmcnt(3)
	v_fma_f64 v[8:9], -v[14:15], v[20:21], v[8:9]
	v_fma_f64 v[20:21], -v[14:15], v[18:19], v[46:47]
	ds_read_b128 v[16:19], v44 offset:1408
	s_waitcnt lgkmcnt(2)
	v_fma_f64 v[46:47], -v[12:13], v[26:27], v[20:21]
	s_waitcnt lgkmcnt(1)
	v_fma_f64 v[20:21], -v[14:15], v[36:37], v[38:39]
	v_fma_f64 v[14:15], -v[14:15], v[34:35], v[40:41]
	ds_read_b128 v[34:37], v44 offset:1168
	v_fma_f64 v[8:9], -v[12:13], v[28:29], v[8:9]
	s_waitcnt lgkmcnt(1)
	v_fma_f64 v[40:41], -v[12:13], v[16:17], v[14:15]
	ds_read_b128 v[14:17], v44 offset:1040
	v_fma_f64 v[38:39], -v[12:13], v[18:19], v[20:21]
	ds_write2_b64 v1, v[10:11], v[12:13] offset0:160 offset1:176
	v_fma_f64 v[8:9], -v[10:11], v[32:33], v[8:9]
	v_fma_f64 v[12:13], -v[10:11], v[30:31], v[46:47]
	ds_read_b128 v[30:33], v44 offset:912
	s_waitcnt lgkmcnt(3)
	v_fma_f64 v[8:9], -v[54:55], v[36:37], v[8:9]
	v_fma_f64 v[12:13], -v[54:55], v[34:35], v[12:13]
	ds_read_b128 v[34:37], v44 offset:656
	ds_read_b128 v[18:21], v44 offset:1152
	s_waitcnt lgkmcnt(4)
	v_fma_f64 v[8:9], -v[6:7], v[16:17], v[8:9]
	s_waitcnt lgkmcnt(2)
	v_fma_f64 v[8:9], -v[50:51], v[32:33], v[8:9]
	v_fma_f64 v[16:17], -v[6:7], v[14:15], v[12:13]
	;; [unrolled: 1-line block ×3, first 2 shown]
	s_waitcnt lgkmcnt(1)
	v_fma_f64 v[8:9], -v[58:59], v[36:37], v[4:5]
	v_fma_f64 v[4:5], -v[50:51], v[30:31], v[16:17]
	ds_read_b128 v[30:33], v44 offset:528
	v_fma_f64 v[16:17], -v[56:57], v[2:3], v[4:5]
	ds_read_b128 v[2:5], v44 offset:400
	;; [unrolled: 2-line block ×3, first 2 shown]
	ds_read_b128 v[34:37], v44 offset:896
	s_waitcnt lgkmcnt(3)
	v_fma_f64 v[8:9], -v[42:43], v[32:33], v[8:9]
	v_fma_f64 v[16:17], -v[42:43], v[30:31], v[16:17]
	s_waitcnt lgkmcnt(2)
	v_mul_f64 v[46:47], v[8:9], v[4:5]
	v_fma_f64 v[48:49], -v[46:47], v[2:3], v[16:17]
	v_fma_f64 v[16:17], -v[10:11], v[24:25], v[38:39]
	;; [unrolled: 1-line block ×3, first 2 shown]
	ds_read2_b64 v[8:11], v44 offset1:34
	ds_read_b128 v[26:29], v44 offset:768
	ds_read_b128 v[30:33], v44 offset:640
	;; [unrolled: 1-line block ×3, first 2 shown]
	v_fma_f64 v[20:21], -v[54:55], v[20:21], v[16:17]
	v_fma_f64 v[24:25], -v[54:55], v[18:19], v[22:23]
	ds_read_b128 v[16:19], v44 offset:384
	ds_write2_b64 v1, v[6:7], v[54:55] offset0:128 offset1:144
	ds_write2_b64 v1, v[56:57], v[50:51] offset0:96 offset1:112
	;; [unrolled: 1-line block ×3, first 2 shown]
	s_waitcnt lgkmcnt(7)
	v_mul_f64 v[38:39], v[48:49], v[10:11]
	v_fma_f64 v[10:11], -v[6:7], v[14:15], v[20:21]
	v_fma_f64 v[10:11], -v[50:51], v[36:37], v[10:11]
	ds_read_b128 v[20:23], v44 offset:256
	v_fma_f64 v[6:7], -v[6:7], v[12:13], v[24:25]
	s_waitcnt lgkmcnt(7)
	v_fma_f64 v[14:15], -v[56:57], v[28:29], v[10:11]
	ds_read_b128 v[10:13], v44 offset:128
	v_fma_f64 v[6:7], -v[50:51], v[34:35], v[6:7]
	s_waitcnt lgkmcnt(7)
	v_fma_f64 v[14:15], -v[58:59], v[32:33], v[14:15]
	v_fma_f64 v[6:7], -v[56:57], v[26:27], v[6:7]
	s_waitcnt lgkmcnt(6)
	v_fma_f64 v[4:5], -v[42:43], v[4:5], v[14:15]
	;; [unrolled: 3-line block ×4, first 2 shown]
	v_fma_f64 v[2:3], -v[46:47], v[16:17], v[2:3]
	s_waitcnt lgkmcnt(0)
	v_mul_f64 v[4:5], v[4:5], v[12:13]
	v_fma_f64 v[2:3], -v[38:39], v[20:21], v[2:3]
	v_fma_f64 v[2:3], -v[4:5], v[10:11], v[2:3]
	v_mul_f64 v[2:3], v[2:3], v[8:9]
	ds_write2_b64 v1, v[38:39], v[46:47] offset0:32 offset1:48
	ds_write2_b64 v1, v[2:3], v[4:5] offset1:16
	s_cmp_gt_i32 s5, -1
	s_cbranch_scc1 .LBB82_28
	s_branch .LBB82_50
.LBB82_27:
	s_mov_b32 s5, s4
	s_cmp_gt_i32 s5, -1
	s_cbranch_scc0 .LBB82_50
.LBB82_28:
	s_cmp_lt_u32 s5, 11
	s_cbranch_scc1 .LBB82_33
; %bb.29:
	s_lshl_b32 s6, s5, 7
	v_add_u32_e32 v26, s6, v1
	v_add_u32_e32 v2, 0xffffff80, v26
	v_add_u32_e32 v3, 0xffffff00, v26
	v_add_u32_e32 v4, 0xfffffe80, v26
	ds_read_b64 v[8:9], v26
	ds_read_b64 v[14:15], v2
	ds_read_b64 v[16:17], v3
	ds_read_b64 v[18:19], v4
	v_add_u32_e32 v2, 0xfffffe00, v26
	v_add_u32_e32 v3, 0xfffffd80, v26
	v_add_u32_e32 v4, 0xfffffd00, v26
	v_add_u32_e32 v5, 0xfffffc80, v26
	ds_read_b64 v[22:23], v2
	ds_read_b64 v[24:25], v3
	ds_read_b64 v[20:21], v4
	ds_read_b64 v[12:13], v5
	v_add_u32_e32 v2, 0xfffffc00, v26
	v_add_u32_e32 v3, 0xfffffb80, v26
	v_add_u32_e32 v4, 0xfffffb00, v26
	v_add_u32_e32 v27, 0xfffffa80, v26
	ds_read_b64 v[10:11], v2
	ds_read_b64 v[6:7], v3
	ds_read_b64 v[4:5], v4
	ds_read_b64 v[2:3], v27
	s_cmp_le_i32 s4, s5
	s_cbranch_scc1 .LBB82_32
; %bb.30:
	s_lshl_b32 s7, s22, 7
	s_lshl_b32 s8, s5, 3
	v_lshl_or_b32 v27, v0, 3, s7
	s_add_i32 s7, s7, s8
	v_add_u32_e32 v27, 0x780, v27
	s_addk_i32 s7, 0xff28
	s_mov_b32 s8, s4
.LBB82_31:                              ; =>This Inner Loop Header: Depth=1
	v_mov_b32_e32 v48, s7
	ds_read_b64 v[52:53], v27
	ds_read2_b64 v[28:31], v48 offset0:10 offset1:11
	ds_read2_b64 v[32:35], v48 offset0:8 offset1:9
	;; [unrolled: 1-line block ×5, first 2 shown]
	ds_read2_b64 v[48:51], v48 offset1:1
	s_add_i32 s8, s8, -1
	s_addk_i32 s7, 0xff80
	v_add_u32_e32 v27, 0xffffff80, v27
	s_cmp_gt_i32 s8, s5
	s_waitcnt lgkmcnt(5)
	v_fma_f64 v[8:9], -v[52:53], v[30:31], v[8:9]
	v_fma_f64 v[14:15], -v[52:53], v[28:29], v[14:15]
	s_waitcnt lgkmcnt(4)
	v_fma_f64 v[16:17], -v[52:53], v[34:35], v[16:17]
	v_fma_f64 v[18:19], -v[52:53], v[32:33], v[18:19]
	;; [unrolled: 3-line block ×6, first 2 shown]
	s_cbranch_scc1 .LBB82_31
.LBB82_32:
	s_add_i32 s7, s5, -1
	s_lshl_b32 s8, s7, 3
	s_add_i32 s9, s8, s6
	v_mov_b32_e32 v27, s9
	ds_read2_b64 v[28:31], v27 offset1:1
	s_lshl_b32 s7, s7, 7
	s_add_i32 s9, s5, -3
	s_add_i32 s8, s8, s7
	s_lshl_b32 s12, s9, 3
	v_mov_b32_e32 v27, s8
	s_waitcnt lgkmcnt(0)
	v_mul_f64 v[8:9], v[8:9], v[30:31]
	s_add_i32 s8, s12, s6
	ds_write_b64 v26, v[8:9]
	v_mov_b32_e32 v26, s8
	s_add_i32 s8, s12, s7
	ds_read_b64 v[34:35], v27
	v_mov_b32_e32 v30, s8
	v_fma_f64 v[14:15], -v[8:9], v[28:29], v[14:15]
	ds_read2_b64 v[26:29], v26 offset1:1
	ds_read2_b64 v[30:33], v30 offset1:1
	s_add_i32 s8, s6, 0xffffff00
	s_add_i32 s13, s12, s8
	s_waitcnt lgkmcnt(2)
	v_mul_f64 v[14:15], v[14:15], v[34:35]
	v_add_u32_e32 v34, s7, v1
	s_waitcnt lgkmcnt(1)
	v_fma_f64 v[16:17], -v[8:9], v[28:29], v[16:17]
	v_mov_b32_e32 v28, s13
	s_lshl_b32 s9, s9, 7
	ds_write_b64 v34, v[14:15]
	s_waitcnt lgkmcnt(1)
	v_fma_f64 v[16:17], -v[14:15], v[32:33], v[16:17]
	ds_read2_b64 v[32:35], v28 offset1:1
	s_add_i32 s12, s12, s9
	v_mov_b32_e32 v28, s12
	ds_read_b64 v[28:29], v28
	s_add_i32 s13, s5, -5
	s_lshl_b32 s14, s13, 3
	v_fma_f64 v[18:19], -v[8:9], v[26:27], v[18:19]
	s_add_i32 s12, s14, s6
	s_waitcnt lgkmcnt(1)
	v_mul_f64 v[16:17], v[16:17], v[34:35]
	v_add_u32_e32 v34, s8, v1
	v_fma_f64 v[18:19], -v[14:15], v[30:31], v[18:19]
	v_mov_b32_e32 v26, s12
	s_add_i32 s12, s14, s7
	ds_write_b64 v34, v[16:17]
	v_fma_f64 v[18:19], -v[16:17], v[32:33], v[18:19]
	v_mov_b32_e32 v30, s12
	s_add_i32 s12, s14, s8
	s_waitcnt lgkmcnt(1)
	v_mul_f64 v[18:19], v[18:19], v[28:29]
	ds_read2_b64 v[26:29], v26 offset1:1
	ds_read2_b64 v[30:33], v30 offset1:1
	v_mov_b32_e32 v34, s12
	s_add_i32 s12, s14, s9
	v_mov_b32_e32 v38, s12
	ds_read2_b64 v[34:37], v34 offset1:1
	ds_read2_b64 v[38:41], v38 offset1:1
	s_waitcnt lgkmcnt(3)
	v_fma_f64 v[22:23], -v[8:9], v[28:29], v[22:23]
	s_add_i32 s12, s6, 0xfffffe00
	s_waitcnt lgkmcnt(2)
	v_fma_f64 v[22:23], -v[14:15], v[32:33], v[22:23]
	s_add_i32 s15, s14, s12
	v_add_u32_e32 v42, s9, v1
	s_waitcnt lgkmcnt(1)
	v_fma_f64 v[22:23], -v[16:17], v[36:37], v[22:23]
	v_mov_b32_e32 v28, s15
	s_lshl_b32 s13, s13, 7
	ds_write_b64 v42, v[18:19]
	s_waitcnt lgkmcnt(1)
	v_fma_f64 v[22:23], -v[18:19], v[40:41], v[22:23]
	ds_read2_b64 v[40:43], v28 offset1:1
	s_add_i32 s14, s14, s13
	v_mov_b32_e32 v28, s14
	ds_read_b64 v[28:29], v28
	v_fma_f64 v[24:25], -v[8:9], v[26:27], v[24:25]
	v_fma_f64 v[24:25], -v[14:15], v[30:31], v[24:25]
	s_add_i32 s15, s5, -7
	v_fma_f64 v[24:25], -v[16:17], v[34:35], v[24:25]
	s_lshl_b32 s17, s15, 3
	s_waitcnt lgkmcnt(1)
	v_mul_f64 v[22:23], v[22:23], v[42:43]
	v_fma_f64 v[24:25], -v[18:19], v[38:39], v[24:25]
	s_add_i32 s14, s17, s6
	v_fma_f64 v[24:25], -v[22:23], v[40:41], v[24:25]
	v_mov_b32_e32 v26, s14
	s_waitcnt lgkmcnt(0)
	v_mul_f64 v[24:25], v[24:25], v[28:29]
	ds_read2_b64 v[26:29], v26 offset1:1
	v_add_u32_e32 v30, s13, v1
	s_add_i32 s14, s17, s7
	v_add_u32_e32 v32, s12, v1
	ds_write_b64 v30, v[24:25]
	v_mov_b32_e32 v30, s14
	ds_write_b64 v32, v[22:23]
	ds_read2_b64 v[30:33], v30 offset1:1
	s_add_i32 s14, s17, s8
	s_waitcnt lgkmcnt(3)
	v_fma_f64 v[20:21], -v[8:9], v[28:29], v[20:21]
	v_mov_b32_e32 v28, s14
	s_add_i32 s14, s17, s9
	v_mov_b32_e32 v29, s14
	ds_read2_b64 v[34:37], v28 offset1:1
	ds_read2_b64 v[38:41], v29 offset1:1
	s_add_i32 s14, s17, s12
	v_mov_b32_e32 v28, s14
	s_add_i32 s14, s17, s13
	v_mov_b32_e32 v29, s14
	ds_read2_b64 v[42:45], v28 offset1:1
	ds_read2_b64 v[46:49], v29 offset1:1
	s_waitcnt lgkmcnt(4)
	v_fma_f64 v[20:21], -v[14:15], v[32:33], v[20:21]
	s_waitcnt lgkmcnt(3)
	v_fma_f64 v[20:21], -v[16:17], v[36:37], v[20:21]
	s_add_i32 s14, s6, 0xfffffd00
	s_waitcnt lgkmcnt(2)
	v_fma_f64 v[20:21], -v[18:19], v[40:41], v[20:21]
	s_add_i32 s18, s17, s14
	s_waitcnt lgkmcnt(1)
	v_fma_f64 v[20:21], -v[22:23], v[44:45], v[20:21]
	v_mov_b32_e32 v28, s18
	s_lshl_b32 s15, s15, 7
	s_waitcnt lgkmcnt(0)
	v_fma_f64 v[20:21], -v[24:25], v[48:49], v[20:21]
	ds_read2_b64 v[48:51], v28 offset1:1
	s_add_i32 s17, s17, s15
	v_fma_f64 v[12:13], -v[8:9], v[26:27], v[12:13]
	v_mov_b32_e32 v28, s17
	v_fma_f64 v[12:13], -v[14:15], v[30:31], v[12:13]
	ds_read_b64 v[28:29], v28
	v_fma_f64 v[12:13], -v[16:17], v[34:35], v[12:13]
	v_fma_f64 v[12:13], -v[18:19], v[38:39], v[12:13]
	s_add_i32 s17, s5, -9
	v_fma_f64 v[12:13], -v[22:23], v[42:43], v[12:13]
	s_lshl_b32 s18, s17, 3
	s_waitcnt lgkmcnt(1)
	v_mul_f64 v[20:21], v[20:21], v[50:51]
	v_fma_f64 v[12:13], -v[24:25], v[46:47], v[12:13]
	s_add_i32 s19, s18, s6
	v_fma_f64 v[12:13], -v[20:21], v[48:49], v[12:13]
	v_mov_b32_e32 v26, s19
	s_waitcnt lgkmcnt(0)
	v_mul_f64 v[12:13], v[12:13], v[28:29]
	ds_read2_b64 v[26:29], v26 offset1:1
	v_add_u32_e32 v30, s15, v1
	s_add_i32 s19, s18, s7
	v_add_u32_e32 v32, s14, v1
	ds_write_b64 v30, v[12:13]
	v_mov_b32_e32 v30, s19
	s_add_i32 s19, s18, s8
	ds_write_b64 v32, v[20:21]
	ds_read2_b64 v[30:33], v30 offset1:1
	s_waitcnt lgkmcnt(3)
	v_fma_f64 v[10:11], -v[8:9], v[28:29], v[10:11]
	v_mov_b32_e32 v28, s19
	s_add_i32 s19, s18, s9
	ds_read2_b64 v[34:37], v28 offset1:1
	v_mov_b32_e32 v28, s19
	s_add_i32 s19, s18, s12
	ds_read2_b64 v[38:41], v28 offset1:1
	v_mov_b32_e32 v28, s19
	s_add_i32 s19, s18, s13
	v_mov_b32_e32 v29, s19
	s_add_i32 s19, s18, s14
	ds_read2_b64 v[42:45], v28 offset1:1
	ds_read2_b64 v[46:49], v29 offset1:1
	v_mov_b32_e32 v28, s19
	s_add_i32 s19, s18, s15
	v_mov_b32_e32 v29, s19
	s_add_i32 s19, s6, 0xfffffc00
	s_waitcnt lgkmcnt(4)
	v_fma_f64 v[10:11], -v[14:15], v[32:33], v[10:11]
	s_add_i32 s20, s18, s19
	v_fma_f64 v[6:7], -v[8:9], v[26:27], v[6:7]
	s_waitcnt lgkmcnt(3)
	v_fma_f64 v[10:11], -v[16:17], v[36:37], v[10:11]
	ds_read2_b64 v[50:53], v28 offset1:1
	ds_read2_b64 v[54:57], v29 offset1:1
	v_mov_b32_e32 v28, s20
	s_lshl_b32 s17, s17, 7
	v_fma_f64 v[6:7], -v[14:15], v[30:31], v[6:7]
	s_waitcnt lgkmcnt(4)
	v_fma_f64 v[10:11], -v[18:19], v[40:41], v[10:11]
	ds_read2_b64 v[26:29], v28 offset1:1
	s_add_i32 s18, s18, s17
	v_fma_f64 v[6:7], -v[16:17], v[34:35], v[6:7]
	s_waitcnt lgkmcnt(4)
	v_fma_f64 v[10:11], -v[22:23], v[44:45], v[10:11]
	v_mov_b32_e32 v32, s18
	v_fma_f64 v[6:7], -v[18:19], v[38:39], v[6:7]
	s_waitcnt lgkmcnt(3)
	v_fma_f64 v[10:11], -v[24:25], v[48:49], v[10:11]
	ds_read_b64 v[32:33], v32
	v_fma_f64 v[6:7], -v[22:23], v[42:43], v[6:7]
	s_waitcnt lgkmcnt(3)
	v_fma_f64 v[10:11], -v[20:21], v[52:53], v[10:11]
	v_fma_f64 v[6:7], -v[24:25], v[46:47], v[6:7]
	s_waitcnt lgkmcnt(2)
	v_fma_f64 v[10:11], -v[12:13], v[56:57], v[10:11]
	v_fma_f64 v[6:7], -v[20:21], v[50:51], v[6:7]
	s_add_i32 s18, s5, -11
	s_waitcnt lgkmcnt(1)
	v_mul_f64 v[52:53], v[10:11], v[28:29]
	v_fma_f64 v[6:7], -v[12:13], v[54:55], v[6:7]
	s_lshl_b32 s20, s18, 3
	v_fma_f64 v[6:7], -v[52:53], v[26:27], v[6:7]
	s_add_i32 s21, s20, s6
	s_waitcnt lgkmcnt(0)
	v_mul_f64 v[54:55], v[6:7], v[32:33]
	v_mov_b32_e32 v7, s21
	ds_read2_b64 v[26:29], v7 offset1:1
	v_add_u32_e32 v6, s17, v1
	s_add_i32 s7, s20, s7
	v_add_u32_e32 v10, s19, v1
	ds_write_b64 v6, v[54:55]
	v_mov_b32_e32 v6, s7
	s_add_i32 s7, s20, s8
	ds_write_b64 v10, v[52:53]
	ds_read2_b64 v[30:33], v6 offset1:1
	s_waitcnt lgkmcnt(3)
	v_fma_f64 v[10:11], -v[8:9], v[28:29], v[4:5]
	v_mov_b32_e32 v4, s7
	ds_read2_b64 v[4:7], v4 offset1:1
	s_add_i32 s7, s20, s9
	s_waitcnt lgkmcnt(1)
	v_fma_f64 v[10:11], -v[14:15], v[32:33], v[10:11]
	v_mov_b32_e32 v28, s7
	s_add_i32 s7, s20, s12
	ds_read2_b64 v[32:35], v28 offset1:1
	s_waitcnt lgkmcnt(1)
	v_fma_f64 v[6:7], -v[16:17], v[6:7], v[10:11]
	v_mov_b32_e32 v10, s7
	ds_read2_b64 v[36:39], v10 offset1:1
	s_add_i32 s7, s20, s13
	s_waitcnt lgkmcnt(1)
	v_fma_f64 v[6:7], -v[18:19], v[34:35], v[6:7]
	v_mov_b32_e32 v10, s7
	s_add_i32 s7, s20, s14
	ds_read2_b64 v[40:43], v10 offset1:1
	s_waitcnt lgkmcnt(1)
	v_fma_f64 v[10:11], -v[22:23], v[38:39], v[6:7]
	v_mov_b32_e32 v6, s7
	s_add_i32 s7, s20, s15
	v_mov_b32_e32 v7, s7
	s_add_i32 s7, s20, s19
	ds_read2_b64 v[44:47], v6 offset1:1
	ds_read2_b64 v[48:51], v7 offset1:1
	v_mov_b32_e32 v6, s7
	s_add_i32 s7, s20, s17
	v_mov_b32_e32 v28, s7
	v_fma_f64 v[2:3], -v[8:9], v[26:27], v[2:3]
	ds_read2_b64 v[6:9], v6 offset1:1
	ds_read2_b64 v[26:29], v28 offset1:1
	s_waitcnt lgkmcnt(4)
	v_fma_f64 v[10:11], -v[24:25], v[42:43], v[10:11]
	s_waitcnt lgkmcnt(3)
	v_fma_f64 v[10:11], -v[20:21], v[46:47], v[10:11]
	;; [unrolled: 2-line block ×3, first 2 shown]
	s_addk_i32 s6, 0xfb00
	v_fma_f64 v[2:3], -v[14:15], v[30:31], v[2:3]
	s_waitcnt lgkmcnt(1)
	v_fma_f64 v[8:9], -v[52:53], v[8:9], v[10:11]
	s_add_i32 s7, s20, s6
	v_fma_f64 v[2:3], -v[16:17], v[4:5], v[2:3]
	s_waitcnt lgkmcnt(0)
	v_fma_f64 v[28:29], -v[54:55], v[28:29], v[8:9]
	v_mov_b32_e32 v8, s7
	s_lshl_b32 s7, s18, 7
	v_fma_f64 v[2:3], -v[18:19], v[32:33], v[2:3]
	ds_read2_b64 v[8:11], v8 offset1:1
	s_add_i32 s8, s20, s7
	v_fma_f64 v[2:3], -v[22:23], v[36:37], v[2:3]
	v_mov_b32_e32 v14, s8
	v_fma_f64 v[2:3], -v[24:25], v[40:41], v[2:3]
	ds_read_b64 v[14:15], v14
	v_fma_f64 v[2:3], -v[20:21], v[44:45], v[2:3]
	v_fma_f64 v[2:3], -v[12:13], v[48:49], v[2:3]
	;; [unrolled: 1-line block ×3, first 2 shown]
	s_waitcnt lgkmcnt(1)
	v_mul_f64 v[10:11], v[28:29], v[10:11]
	v_fma_f64 v[2:3], -v[54:55], v[26:27], v[2:3]
	v_fma_f64 v[2:3], -v[10:11], v[8:9], v[2:3]
	v_add_u32_e32 v28, s6, v1
	s_waitcnt lgkmcnt(0)
	v_mul_f64 v[2:3], v[2:3], v[14:15]
	v_add_u32_e32 v4, s7, v1
	s_add_i32 s5, s5, -12
	ds_write_b64 v28, v[10:11]
	ds_write_b64 v4, v[2:3]
.LBB82_33:
	s_cmp_lt_i32 s5, 0
	s_cbranch_scc1 .LBB82_50
; %bb.34:
	s_and_b32 s6, s5, 3
	s_cmp_eq_u32 s6, 3
	s_mov_b32 s6, s5
	s_cbranch_scc1 .LBB82_39
; %bb.35:
	s_add_i32 s6, s5, 1
	s_and_b32 s7, s6, 3
	s_lshl_b32 s6, s22, 7
	s_lshl_b32 s8, s5, 3
	s_add_i32 s8, s6, s8
	v_lshl_or_b32 v2, v0, 3, s6
	s_addk_i32 s8, 0xff80
	v_add_u32_e32 v4, 0x780, v2
	s_mov_b32 s9, 0
	s_mov_b32 s6, s5
	s_branch .LBB82_37
.LBB82_36:                              ;   in Loop: Header=BB82_37 Depth=1
	s_mul_i32 s12, s6, 0x88
	v_mov_b32_e32 v6, s12
	ds_read_b64 v[6:7], v6
	s_add_i32 s6, s6, -1
	s_add_i32 s9, s9, 1
	s_add_i32 s8, s8, -8
	s_cmp_lg_u32 s9, s7
	s_waitcnt lgkmcnt(0)
	v_mul_f64 v[2:3], v[2:3], v[6:7]
	ds_write_b64 v5, v[2:3]
	s_cbranch_scc0 .LBB82_39
.LBB82_37:                              ; =>This Loop Header: Depth=1
                                        ;     Child Loop BB82_38 Depth 2
	s_lshl_b32 s12, s6, 7
	v_add_u32_e32 v5, s12, v1
	ds_read_b64 v[2:3], v5
	s_cmp_le_i32 s4, s6
	v_mov_b32_e32 v6, v4
	s_mov_b32 s12, s8
	s_mov_b32 s13, s4
	s_cbranch_scc1 .LBB82_36
.LBB82_38:                              ;   Parent Loop BB82_37 Depth=1
                                        ; =>  This Inner Loop Header: Depth=2
	v_mov_b32_e32 v7, s12
	ds_read_b64 v[8:9], v6
	ds_read_b64 v[10:11], v7
	s_add_i32 s13, s13, -1
	s_addk_i32 s12, 0xff80
	v_add_u32_e32 v6, 0xffffff80, v6
	s_cmp_gt_i32 s13, s6
	s_waitcnt lgkmcnt(0)
	v_fma_f64 v[2:3], -v[8:9], v[10:11], v[2:3]
	s_cbranch_scc1 .LBB82_38
	s_branch .LBB82_36
.LBB82_39:
	s_cmp_lt_u32 s5, 3
	s_cbranch_scc1 .LBB82_50
; %bb.40:
	s_lshl_b32 s7, s22, 7
	s_lshl_b32 s5, s6, 3
	s_add_i32 s9, s7, s5
	v_lshl_or_b32 v2, v0, 3, s7
	s_add_i32 s5, s9, 0xffffff80
	v_add_u32_e32 v6, 0x780, v2
	s_add_i32 s7, s9, 0xffffff78
	s_add_i32 s8, s9, 0xffffff70
	s_addk_i32 s9, 0xff68
	s_branch .LBB82_42
.LBB82_41:                              ;   in Loop: Header=BB82_42 Depth=1
	s_addk_i32 s12, 0xff78
	v_mov_b32_e32 v2, s12
	ds_read_b64 v[2:3], v2
	s_add_i32 s12, s6, -4
	s_sub_i32 s5, s5, 32
	s_sub_i32 s7, s7, 32
	;; [unrolled: 1-line block ×4, first 2 shown]
	s_waitcnt lgkmcnt(0)
	v_mul_f64 v[2:3], v[4:5], v[2:3]
	s_cmp_lt_i32 s6, 4
	s_mov_b32 s6, s12
	ds_write_b64 v8, v[2:3]
	s_cbranch_scc1 .LBB82_50
.LBB82_42:                              ; =>This Loop Header: Depth=1
                                        ;     Child Loop BB82_43 Depth 2
                                        ;     Child Loop BB82_45 Depth 2
	;; [unrolled: 1-line block ×4, first 2 shown]
	s_lshl_b32 s13, s6, 7
	v_add_u32_e32 v7, s13, v1
	ds_read_b64 v[2:3], v7
	s_cmp_le_i32 s4, s6
	v_mov_b32_e32 v4, v6
	s_mov_b32 s12, s5
	s_mov_b32 s14, s4
	s_cbranch_scc1 .LBB82_44
.LBB82_43:                              ;   Parent Loop BB82_42 Depth=1
                                        ; =>  This Inner Loop Header: Depth=2
	v_mov_b32_e32 v5, s12
	ds_read_b64 v[8:9], v4
	ds_read_b64 v[10:11], v5
	s_add_i32 s14, s14, -1
	s_addk_i32 s12, 0xff80
	v_add_u32_e32 v4, 0xffffff80, v4
	s_cmp_gt_i32 s14, s6
	s_waitcnt lgkmcnt(0)
	v_fma_f64 v[2:3], -v[8:9], v[10:11], v[2:3]
	s_cbranch_scc1 .LBB82_43
.LBB82_44:                              ;   in Loop: Header=BB82_42 Depth=1
	s_mul_i32 s12, s6, 0x88
	v_mov_b32_e32 v4, s12
	ds_read_b64 v[10:11], v4
	s_addk_i32 s13, 0xff80
	v_add_u32_e32 v8, s13, v1
	ds_read_b64 v[4:5], v8
	s_cmp_le_i32 s22, s6
	s_waitcnt lgkmcnt(1)
	v_mul_f64 v[2:3], v[2:3], v[10:11]
	ds_write_b64 v7, v[2:3]
	v_mov_b32_e32 v2, v6
	s_mov_b32 s13, s7
	s_mov_b32 s14, s22
	s_cbranch_scc1 .LBB82_46
.LBB82_45:                              ;   Parent Loop BB82_42 Depth=1
                                        ; =>  This Inner Loop Header: Depth=2
	v_mov_b32_e32 v3, s13
	ds_read_b64 v[10:11], v2
	ds_read_b64 v[12:13], v3
	s_add_i32 s14, s14, -1
	s_addk_i32 s13, 0xff80
	v_add_u32_e32 v2, 0xffffff80, v2
	s_cmp_gt_i32 s14, s6
	s_waitcnt lgkmcnt(0)
	v_fma_f64 v[4:5], -v[10:11], v[12:13], v[4:5]
	s_cbranch_scc1 .LBB82_45
.LBB82_46:                              ;   in Loop: Header=BB82_42 Depth=1
	s_addk_i32 s12, 0xff78
	v_mov_b32_e32 v2, s12
	s_add_i32 s13, s6, -2
	ds_read_b64 v[10:11], v2
	s_lshl_b32 s14, s13, 7
	v_add_u32_e32 v7, s14, v1
	ds_read_b64 v[2:3], v7
	s_cmp_le_i32 s4, s13
	s_waitcnt lgkmcnt(1)
	v_mul_f64 v[4:5], v[4:5], v[10:11]
	ds_write_b64 v8, v[4:5]
	v_mov_b32_e32 v4, v6
	s_mov_b32 s14, s8
	s_mov_b32 s15, s4
	s_cbranch_scc1 .LBB82_48
.LBB82_47:                              ;   Parent Loop BB82_42 Depth=1
                                        ; =>  This Inner Loop Header: Depth=2
	v_mov_b32_e32 v5, s14
	ds_read_b64 v[8:9], v4
	ds_read_b64 v[10:11], v5
	s_add_i32 s15, s15, -1
	s_addk_i32 s14, 0xff80
	v_add_u32_e32 v4, 0xffffff80, v4
	s_cmp_gt_i32 s15, s13
	s_waitcnt lgkmcnt(0)
	v_fma_f64 v[2:3], -v[8:9], v[10:11], v[2:3]
	s_cbranch_scc1 .LBB82_47
.LBB82_48:                              ;   in Loop: Header=BB82_42 Depth=1
	s_addk_i32 s12, 0xff78
	v_mov_b32_e32 v4, s12
	s_add_i32 s13, s6, -3
	ds_read_b64 v[10:11], v4
	s_lshl_b32 s14, s13, 7
	v_add_u32_e32 v8, s14, v1
	ds_read_b64 v[4:5], v8
	s_cmp_le_i32 s4, s13
	s_waitcnt lgkmcnt(1)
	v_mul_f64 v[2:3], v[2:3], v[10:11]
	ds_write_b64 v7, v[2:3]
	v_mov_b32_e32 v2, v6
	s_mov_b32 s14, s9
	s_mov_b32 s15, s4
	s_cbranch_scc1 .LBB82_41
.LBB82_49:                              ;   Parent Loop BB82_42 Depth=1
                                        ; =>  This Inner Loop Header: Depth=2
	v_mov_b32_e32 v3, s14
	ds_read_b64 v[10:11], v2
	ds_read_b64 v[12:13], v3
	s_add_i32 s15, s15, -1
	s_addk_i32 s14, 0xff80
	v_add_u32_e32 v2, 0xffffff80, v2
	s_cmp_gt_i32 s15, s13
	s_waitcnt lgkmcnt(0)
	v_fma_f64 v[4:5], -v[10:11], v[12:13], v[4:5]
	s_cbranch_scc1 .LBB82_49
	s_branch .LBB82_41
.LBB82_50:
	s_waitcnt lgkmcnt(0)
	; wave barrier
	s_and_saveexec_b64 s[4:5], s[0:1]
	s_cbranch_execz .LBB82_54
; %bb.51:
	s_andn2_b64 vcc, exec, s[10:11]
	s_cbranch_vccnz .LBB82_54
; %bb.52:
	v_mad_i64_i32 v[2:3], s[0:1], s16, v0, 0
	v_mov_b32_e32 v1, 0x800
	v_lshl_add_u64 v[2:3], v[2:3], 3, s[2:3]
	v_lshl_or_b32 v0, v0, 3, v1
.LBB82_53:                              ; =>This Inner Loop Header: Depth=1
	ds_read_b64 v[4:5], v0
	s_add_i32 s22, s22, -1
	v_add_u32_e32 v0, 0x80, v0
	s_cmp_lg_u32 s22, 0
	s_waitcnt lgkmcnt(0)
	flat_store_dwordx2 v[2:3], v[4:5]
	v_lshl_add_u64 v[2:3], v[2:3], 0, 8
	s_cbranch_scc1 .LBB82_53
.LBB82_54:
	s_endpgm
	.section	.rodata,"a",@progbits
	.p2align	6, 0x0
	.amdhsa_kernel _ZL38rocblas_trsm_small_left_device_sharedBILi16ELi16ELb0EddPKPKdPKPdEv13rocblas_fill_18rocblas_operation_17rocblas_diagonal_iiT3_T4_lilT5_lili
		.amdhsa_group_segment_fixed_size 4096
		.amdhsa_private_segment_fixed_size 0
		.amdhsa_kernarg_size 360
		.amdhsa_user_sgpr_count 2
		.amdhsa_user_sgpr_dispatch_ptr 0
		.amdhsa_user_sgpr_queue_ptr 0
		.amdhsa_user_sgpr_kernarg_segment_ptr 1
		.amdhsa_user_sgpr_dispatch_id 0
		.amdhsa_user_sgpr_kernarg_preload_length 0
		.amdhsa_user_sgpr_kernarg_preload_offset 0
		.amdhsa_user_sgpr_private_segment_size 0
		.amdhsa_uses_dynamic_stack 0
		.amdhsa_enable_private_segment 0
		.amdhsa_system_sgpr_workgroup_id_x 1
		.amdhsa_system_sgpr_workgroup_id_y 0
		.amdhsa_system_sgpr_workgroup_id_z 1
		.amdhsa_system_sgpr_workgroup_info 0
		.amdhsa_system_vgpr_workitem_id 0
		.amdhsa_next_free_vgpr 68
		.amdhsa_next_free_sgpr 26
		.amdhsa_accum_offset 68
		.amdhsa_reserve_vcc 1
		.amdhsa_float_round_mode_32 0
		.amdhsa_float_round_mode_16_64 0
		.amdhsa_float_denorm_mode_32 3
		.amdhsa_float_denorm_mode_16_64 3
		.amdhsa_dx10_clamp 1
		.amdhsa_ieee_mode 1
		.amdhsa_fp16_overflow 0
		.amdhsa_tg_split 0
		.amdhsa_exception_fp_ieee_invalid_op 0
		.amdhsa_exception_fp_denorm_src 0
		.amdhsa_exception_fp_ieee_div_zero 0
		.amdhsa_exception_fp_ieee_overflow 0
		.amdhsa_exception_fp_ieee_underflow 0
		.amdhsa_exception_fp_ieee_inexact 0
		.amdhsa_exception_int_div_zero 0
	.end_amdhsa_kernel
	.section	.text._ZL38rocblas_trsm_small_left_device_sharedBILi16ELi16ELb0EddPKPKdPKPdEv13rocblas_fill_18rocblas_operation_17rocblas_diagonal_iiT3_T4_lilT5_lili,"axG",@progbits,_ZL38rocblas_trsm_small_left_device_sharedBILi16ELi16ELb0EddPKPKdPKPdEv13rocblas_fill_18rocblas_operation_17rocblas_diagonal_iiT3_T4_lilT5_lili,comdat
.Lfunc_end82:
	.size	_ZL38rocblas_trsm_small_left_device_sharedBILi16ELi16ELb0EddPKPKdPKPdEv13rocblas_fill_18rocblas_operation_17rocblas_diagonal_iiT3_T4_lilT5_lili, .Lfunc_end82-_ZL38rocblas_trsm_small_left_device_sharedBILi16ELi16ELb0EddPKPKdPKPdEv13rocblas_fill_18rocblas_operation_17rocblas_diagonal_iiT3_T4_lilT5_lili
                                        ; -- End function
	.set _ZL38rocblas_trsm_small_left_device_sharedBILi16ELi16ELb0EddPKPKdPKPdEv13rocblas_fill_18rocblas_operation_17rocblas_diagonal_iiT3_T4_lilT5_lili.num_vgpr, 68
	.set _ZL38rocblas_trsm_small_left_device_sharedBILi16ELi16ELb0EddPKPKdPKPdEv13rocblas_fill_18rocblas_operation_17rocblas_diagonal_iiT3_T4_lilT5_lili.num_agpr, 0
	.set _ZL38rocblas_trsm_small_left_device_sharedBILi16ELi16ELb0EddPKPKdPKPdEv13rocblas_fill_18rocblas_operation_17rocblas_diagonal_iiT3_T4_lilT5_lili.numbered_sgpr, 26
	.set _ZL38rocblas_trsm_small_left_device_sharedBILi16ELi16ELb0EddPKPKdPKPdEv13rocblas_fill_18rocblas_operation_17rocblas_diagonal_iiT3_T4_lilT5_lili.num_named_barrier, 0
	.set _ZL38rocblas_trsm_small_left_device_sharedBILi16ELi16ELb0EddPKPKdPKPdEv13rocblas_fill_18rocblas_operation_17rocblas_diagonal_iiT3_T4_lilT5_lili.private_seg_size, 0
	.set _ZL38rocblas_trsm_small_left_device_sharedBILi16ELi16ELb0EddPKPKdPKPdEv13rocblas_fill_18rocblas_operation_17rocblas_diagonal_iiT3_T4_lilT5_lili.uses_vcc, 1
	.set _ZL38rocblas_trsm_small_left_device_sharedBILi16ELi16ELb0EddPKPKdPKPdEv13rocblas_fill_18rocblas_operation_17rocblas_diagonal_iiT3_T4_lilT5_lili.uses_flat_scratch, 0
	.set _ZL38rocblas_trsm_small_left_device_sharedBILi16ELi16ELb0EddPKPKdPKPdEv13rocblas_fill_18rocblas_operation_17rocblas_diagonal_iiT3_T4_lilT5_lili.has_dyn_sized_stack, 0
	.set _ZL38rocblas_trsm_small_left_device_sharedBILi16ELi16ELb0EddPKPKdPKPdEv13rocblas_fill_18rocblas_operation_17rocblas_diagonal_iiT3_T4_lilT5_lili.has_recursion, 0
	.set _ZL38rocblas_trsm_small_left_device_sharedBILi16ELi16ELb0EddPKPKdPKPdEv13rocblas_fill_18rocblas_operation_17rocblas_diagonal_iiT3_T4_lilT5_lili.has_indirect_call, 0
	.section	.AMDGPU.csdata,"",@progbits
; Kernel info:
; codeLenInByte = 10192
; TotalNumSgprs: 32
; NumVgprs: 68
; NumAgprs: 0
; TotalNumVgprs: 68
; ScratchSize: 0
; MemoryBound: 0
; FloatMode: 240
; IeeeMode: 1
; LDSByteSize: 4096 bytes/workgroup (compile time only)
; SGPRBlocks: 3
; VGPRBlocks: 8
; NumSGPRsForWavesPerEU: 32
; NumVGPRsForWavesPerEU: 68
; AccumOffset: 68
; Occupancy: 7
; WaveLimiterHint : 0
; COMPUTE_PGM_RSRC2:SCRATCH_EN: 0
; COMPUTE_PGM_RSRC2:USER_SGPR: 2
; COMPUTE_PGM_RSRC2:TRAP_HANDLER: 0
; COMPUTE_PGM_RSRC2:TGID_X_EN: 1
; COMPUTE_PGM_RSRC2:TGID_Y_EN: 0
; COMPUTE_PGM_RSRC2:TGID_Z_EN: 1
; COMPUTE_PGM_RSRC2:TIDIG_COMP_CNT: 0
; COMPUTE_PGM_RSRC3_GFX90A:ACCUM_OFFSET: 16
; COMPUTE_PGM_RSRC3_GFX90A:TG_SPLIT: 0
	.section	.text._ZL30rocblas_trsm_small_left_deviceILi16ELi16ELb0EddPKPKdPKPdEv13rocblas_fill_18rocblas_operation_17rocblas_diagonal_iiT3_T4_lilT5_lili,"axG",@progbits,_ZL30rocblas_trsm_small_left_deviceILi16ELi16ELb0EddPKPKdPKPdEv13rocblas_fill_18rocblas_operation_17rocblas_diagonal_iiT3_T4_lilT5_lili,comdat
	.globl	_ZL30rocblas_trsm_small_left_deviceILi16ELi16ELb0EddPKPKdPKPdEv13rocblas_fill_18rocblas_operation_17rocblas_diagonal_iiT3_T4_lilT5_lili ; -- Begin function _ZL30rocblas_trsm_small_left_deviceILi16ELi16ELb0EddPKPKdPKPdEv13rocblas_fill_18rocblas_operation_17rocblas_diagonal_iiT3_T4_lilT5_lili
	.p2align	8
	.type	_ZL30rocblas_trsm_small_left_deviceILi16ELi16ELb0EddPKPKdPKPdEv13rocblas_fill_18rocblas_operation_17rocblas_diagonal_iiT3_T4_lilT5_lili,@function
_ZL30rocblas_trsm_small_left_deviceILi16ELi16ELb0EddPKPKdPKPdEv13rocblas_fill_18rocblas_operation_17rocblas_diagonal_iiT3_T4_lilT5_lili: ; @_ZL30rocblas_trsm_small_left_deviceILi16ELi16ELb0EddPKPKdPKPdEv13rocblas_fill_18rocblas_operation_17rocblas_diagonal_iiT3_T4_lilT5_lili
; %bb.0:
	s_load_dwordx2 s[18:19], s[0:1], 0x28
	s_load_dwordx4 s[12:15], s[0:1], 0x40
	s_load_dwordx4 s[8:11], s[0:1], 0x4
	;; [unrolled: 1-line block ×3, first 2 shown]
	s_mov_b32 s16, s3
	s_mov_b32 s17, 0
	s_lshl_b64 s[20:21], s[16:17], 3
	s_waitcnt lgkmcnt(0)
	s_add_u32 s12, s12, s20
	s_addc_u32 s13, s13, s21
	s_load_dwordx2 s[12:13], s[12:13], 0x0
	s_min_i32 s22, s10, 16
	v_cmp_gt_i32_e32 vcc, s22, v0
	s_and_saveexec_b64 s[16:17], vcc
	s_cbranch_execz .LBB83_6
; %bb.1:
	s_load_dword s24, s[0:1], 0x30
	v_lshlrev_b32_e32 v2, 3, v0
	v_mov_b32_e32 v3, 0
	v_mov_b32_e32 v1, v2
	s_mov_b32 s3, s22
	s_waitcnt lgkmcnt(0)
	s_ashr_i32 s25, s24, 31
	s_add_u32 s6, s6, s20
	s_addc_u32 s7, s7, s21
	s_load_dwordx2 s[6:7], s[6:7], 0x0
	s_lshl_b64 s[18:19], s[18:19], 3
	s_waitcnt lgkmcnt(0)
	s_add_u32 s18, s6, s18
	s_addc_u32 s19, s7, s19
	s_lshl_b64 s[6:7], s[24:25], 3
	v_lshl_add_u64 v[4:5], s[18:19], 0, v[2:3]
.LBB83_2:                               ; =>This Inner Loop Header: Depth=1
	flat_load_dwordx2 v[6:7], v[4:5]
	s_add_i32 s3, s3, -1
	v_lshl_add_u64 v[4:5], v[4:5], 0, s[6:7]
	s_cmp_eq_u32 s3, 0
	s_waitcnt vmcnt(0) lgkmcnt(0)
	ds_write_b64 v1, v[6:7]
	v_add_u32_e32 v1, 0x80, v1
	s_cbranch_scc0 .LBB83_2
; %bb.3:
	v_lshlrev_b32_e32 v1, 7, v0
	s_cmpk_lg_i32 s9, 0x84
	v_mov_b64_e32 v[4:5], 1.0
	v_add_u32_e32 v1, v2, v1
	s_cbranch_scc0 .LBB83_5
; %bb.4:
	ds_read_b64 v[2:3], v1
	s_waitcnt lgkmcnt(0)
	v_div_scale_f64 v[4:5], s[6:7], v[2:3], v[2:3], 1.0
	v_rcp_f64_e32 v[6:7], v[4:5]
	v_div_scale_f64 v[8:9], vcc, 1.0, v[2:3], 1.0
	v_fma_f64 v[10:11], -v[4:5], v[6:7], 1.0
	v_fmac_f64_e32 v[6:7], v[6:7], v[10:11]
	v_fma_f64 v[10:11], -v[4:5], v[6:7], 1.0
	v_fmac_f64_e32 v[6:7], v[6:7], v[10:11]
	v_mul_f64 v[10:11], v[8:9], v[6:7]
	v_fma_f64 v[4:5], -v[4:5], v[10:11], v[8:9]
	v_div_fmas_f64 v[4:5], v[4:5], v[6:7], v[10:11]
	v_div_fixup_f64 v[4:5], v[4:5], v[2:3], 1.0
.LBB83_5:
	ds_write_b64 v1, v[4:5]
.LBB83_6:
	s_or_b64 exec, exec, s[16:17]
	s_load_dword s3, s[0:1], 0x68
	s_waitcnt lgkmcnt(0)
	; wave barrier
	s_add_i32 s6, s3, -1
	s_lshl_b32 s3, s2, 4
	s_sub_i32 s7, s11, s3
	s_cmp_ge_u32 s2, s6
	s_cselect_b32 s2, s7, 16
	v_cmp_gt_i32_e32 vcc, s2, v0
	s_and_saveexec_b64 s[6:7], vcc
	s_cbranch_execz .LBB83_51
; %bb.7:
	s_load_dword s2, s[0:1], 0x50
	s_lshl_b64 s[0:1], s[14:15], 3
	s_add_u32 s0, s12, s0
	v_add_u32_e32 v0, s3, v0
	s_addc_u32 s1, s13, s1
	s_waitcnt lgkmcnt(0)
	v_mad_i64_i32 v[0:1], s[2:3], s2, v0, 0
	v_lshl_add_u64 v[12:13], v[0:1], 3, s[0:1]
	s_cmpk_eq_i32 s8, 0x6f
	s_mov_b64 s[0:1], -1
	s_cbranch_scc1 .LBB83_25
; %bb.8:
	s_cmp_lt_i32 s10, 16
	s_cselect_b64 s[6:7], -1, 0
	s_cmp_gt_i32 s10, 15
	s_mov_b32 s0, 16
	s_cbranch_scc0 .LBB83_10
; %bb.9:
	flat_load_dwordx4 v[0:3], v[12:13]
	flat_load_dwordx4 v[4:7], v[12:13] offset:16
	flat_load_dwordx4 v[22:25], v[12:13] offset:32
	;; [unrolled: 1-line block ×3, first 2 shown]
	v_mov_b32_e32 v34, 0
	ds_read_b64 v[8:9], v34
	flat_load_dwordx4 v[30:33], v[12:13] offset:64
	s_waitcnt vmcnt(0) lgkmcnt(0)
	v_mul_f64 v[0:1], s[4:5], v[0:1]
	v_mul_f64 v[14:15], v[0:1], v[8:9]
	flat_store_dwordx2 v[12:13], v[14:15]
	ds_read_b128 v[8:11], v34 offset:128
	s_waitcnt lgkmcnt(0)
	v_mul_f64 v[0:1], v[14:15], v[8:9]
	v_fma_f64 v[0:1], s[4:5], v[2:3], -v[0:1]
	v_mul_f64 v[16:17], v[0:1], v[10:11]
	flat_store_dwordx2 v[12:13], v[16:17] offset:8
	ds_read_b128 v[0:3], v34 offset:256
	ds_read_b64 v[8:9], v34 offset:272
	s_waitcnt lgkmcnt(0)
	v_mul_f64 v[0:1], v[14:15], v[0:1]
	v_fma_f64 v[0:1], s[4:5], v[4:5], -v[0:1]
	v_fma_f64 v[0:1], -v[16:17], v[2:3], v[0:1]
	v_mul_f64 v[18:19], v[0:1], v[8:9]
	flat_store_dwordx2 v[12:13], v[18:19] offset:16
	ds_read_b128 v[0:3], v34 offset:384
	ds_read_b128 v[8:11], v34 offset:400
	s_waitcnt lgkmcnt(0)
	v_mul_f64 v[0:1], v[14:15], v[0:1]
	v_fma_f64 v[0:1], s[4:5], v[6:7], -v[0:1]
	v_fma_f64 v[0:1], -v[16:17], v[2:3], v[0:1]
	v_fma_f64 v[0:1], -v[18:19], v[8:9], v[0:1]
	v_mul_f64 v[20:21], v[0:1], v[10:11]
	flat_store_dwordx2 v[12:13], v[20:21] offset:24
	ds_read_b128 v[0:3], v34 offset:512
	ds_read_b128 v[4:7], v34 offset:528
	ds_read_b64 v[8:9], v34 offset:544
	s_waitcnt lgkmcnt(0)
	v_mul_f64 v[0:1], v[14:15], v[0:1]
	v_fma_f64 v[0:1], s[4:5], v[22:23], -v[0:1]
	v_fma_f64 v[0:1], -v[16:17], v[2:3], v[0:1]
	v_fma_f64 v[0:1], -v[18:19], v[4:5], v[0:1]
	v_fma_f64 v[0:1], -v[20:21], v[6:7], v[0:1]
	v_mul_f64 v[22:23], v[0:1], v[8:9]
	flat_load_dwordx4 v[8:11], v[12:13] offset:80
	s_nop 0
	flat_store_dwordx2 v[12:13], v[22:23] offset:32
	ds_read_b128 v[0:3], v34 offset:640
	ds_read_b128 v[4:7], v34 offset:656
	;; [unrolled: 1-line block ×3, first 2 shown]
	s_waitcnt lgkmcnt(0)
	v_mul_f64 v[0:1], v[14:15], v[0:1]
	v_fma_f64 v[0:1], s[4:5], v[24:25], -v[0:1]
	v_fma_f64 v[0:1], -v[16:17], v[2:3], v[0:1]
	v_fma_f64 v[0:1], -v[18:19], v[4:5], v[0:1]
	;; [unrolled: 1-line block ×4, first 2 shown]
	v_mul_f64 v[24:25], v[0:1], v[38:39]
	flat_store_dwordx2 v[12:13], v[24:25] offset:40
	ds_read_b128 v[0:3], v34 offset:768
	ds_read_b128 v[4:7], v34 offset:784
	;; [unrolled: 1-line block ×3, first 2 shown]
	ds_read_b64 v[40:41], v34 offset:816
	s_waitcnt lgkmcnt(0)
	v_mul_f64 v[0:1], v[14:15], v[0:1]
	v_fma_f64 v[0:1], s[4:5], v[26:27], -v[0:1]
	v_fma_f64 v[0:1], -v[16:17], v[2:3], v[0:1]
	v_fma_f64 v[0:1], -v[18:19], v[4:5], v[0:1]
	;; [unrolled: 1-line block ×5, first 2 shown]
	v_mul_f64 v[26:27], v[0:1], v[40:41]
	flat_store_dwordx2 v[12:13], v[26:27] offset:48
	ds_read_b128 v[36:39], v34 offset:896
	flat_load_dwordx4 v[4:7], v[12:13] offset:96
	flat_load_dwordx4 v[0:3], v[12:13] offset:112
	ds_read_b128 v[40:43], v34 offset:912
	ds_read_b128 v[44:47], v34 offset:928
	;; [unrolled: 1-line block ×3, first 2 shown]
	s_waitcnt lgkmcnt(0)
	v_mul_f64 v[36:37], v[14:15], v[36:37]
	v_fma_f64 v[28:29], s[4:5], v[28:29], -v[36:37]
	v_fma_f64 v[28:29], -v[16:17], v[38:39], v[28:29]
	v_fma_f64 v[28:29], -v[18:19], v[40:41], v[28:29]
	;; [unrolled: 1-line block ×6, first 2 shown]
	v_mul_f64 v[28:29], v[28:29], v[50:51]
	flat_store_dwordx2 v[12:13], v[28:29] offset:56
	ds_read_b128 v[36:39], v34 offset:1024
	ds_read_b128 v[40:43], v34 offset:1040
	;; [unrolled: 1-line block ×4, first 2 shown]
	ds_read_b64 v[52:53], v34 offset:1088
	s_waitcnt lgkmcnt(0)
	v_mul_f64 v[36:37], v[14:15], v[36:37]
	v_fma_f64 v[30:31], s[4:5], v[30:31], -v[36:37]
	v_fma_f64 v[30:31], -v[16:17], v[38:39], v[30:31]
	v_fma_f64 v[30:31], -v[18:19], v[40:41], v[30:31]
	;; [unrolled: 1-line block ×7, first 2 shown]
	v_mul_f64 v[30:31], v[30:31], v[52:53]
	flat_store_dwordx2 v[12:13], v[30:31] offset:64
	ds_read_b128 v[36:39], v34 offset:1152
	ds_read_b128 v[40:43], v34 offset:1168
	;; [unrolled: 1-line block ×5, first 2 shown]
	s_waitcnt lgkmcnt(0)
	v_mul_f64 v[36:37], v[14:15], v[36:37]
	v_fma_f64 v[32:33], s[4:5], v[32:33], -v[36:37]
	v_fma_f64 v[32:33], -v[16:17], v[38:39], v[32:33]
	v_fma_f64 v[32:33], -v[18:19], v[40:41], v[32:33]
	;; [unrolled: 1-line block ×8, first 2 shown]
	v_mul_f64 v[32:33], v[32:33], v[54:55]
	flat_store_dwordx2 v[12:13], v[32:33] offset:72
	ds_read_b128 v[36:39], v34 offset:1280
	ds_read_b128 v[40:43], v34 offset:1296
	;; [unrolled: 1-line block ×5, first 2 shown]
	ds_read_b64 v[56:57], v34 offset:1360
	s_waitcnt lgkmcnt(0)
	v_mul_f64 v[36:37], v[14:15], v[36:37]
	s_waitcnt vmcnt(0)
	v_fma_f64 v[8:9], s[4:5], v[8:9], -v[36:37]
	v_fma_f64 v[8:9], -v[16:17], v[38:39], v[8:9]
	v_fma_f64 v[8:9], -v[18:19], v[40:41], v[8:9]
	;; [unrolled: 1-line block ×9, first 2 shown]
	v_mul_f64 v[8:9], v[8:9], v[56:57]
	flat_store_dwordx2 v[12:13], v[8:9] offset:80
	ds_read_b128 v[36:39], v34 offset:1408
	ds_read_b128 v[40:43], v34 offset:1424
	;; [unrolled: 1-line block ×6, first 2 shown]
	s_waitcnt lgkmcnt(0)
	v_mul_f64 v[36:37], v[14:15], v[36:37]
	v_fma_f64 v[10:11], s[4:5], v[10:11], -v[36:37]
	v_fma_f64 v[10:11], -v[16:17], v[38:39], v[10:11]
	v_fma_f64 v[10:11], -v[18:19], v[40:41], v[10:11]
	;; [unrolled: 1-line block ×10, first 2 shown]
	v_mul_f64 v[10:11], v[10:11], v[58:59]
	flat_store_dwordx2 v[12:13], v[10:11] offset:88
	ds_read_b128 v[36:39], v34 offset:1536
	ds_read_b128 v[40:43], v34 offset:1552
	;; [unrolled: 1-line block ×6, first 2 shown]
	ds_read_b64 v[60:61], v34 offset:1632
	s_waitcnt lgkmcnt(0)
	v_mul_f64 v[36:37], v[14:15], v[36:37]
	v_fma_f64 v[4:5], s[4:5], v[4:5], -v[36:37]
	v_fma_f64 v[4:5], -v[16:17], v[38:39], v[4:5]
	v_fma_f64 v[4:5], -v[18:19], v[40:41], v[4:5]
	;; [unrolled: 1-line block ×11, first 2 shown]
	v_mul_f64 v[64:65], v[4:5], v[60:61]
	flat_store_dwordx2 v[12:13], v[64:65] offset:96
	ds_read_b128 v[36:39], v34 offset:1664
	ds_read_b128 v[40:43], v34 offset:1680
	;; [unrolled: 1-line block ×7, first 2 shown]
	s_waitcnt lgkmcnt(0)
	v_mul_f64 v[4:5], v[14:15], v[36:37]
	v_fma_f64 v[4:5], s[4:5], v[6:7], -v[4:5]
	v_fma_f64 v[4:5], -v[16:17], v[38:39], v[4:5]
	v_fma_f64 v[4:5], -v[18:19], v[40:41], v[4:5]
	;; [unrolled: 1-line block ×12, first 2 shown]
	v_mul_f64 v[60:61], v[4:5], v[62:63]
	flat_store_dwordx2 v[12:13], v[60:61] offset:104
	ds_read_b128 v[4:7], v34 offset:1792
	ds_read_b128 v[36:39], v34 offset:1808
	;; [unrolled: 1-line block ×7, first 2 shown]
	ds_read_b64 v[62:63], v34 offset:1904
	s_waitcnt lgkmcnt(0)
	v_mul_f64 v[4:5], v[14:15], v[4:5]
	v_fma_f64 v[0:1], s[4:5], v[0:1], -v[4:5]
	v_fma_f64 v[0:1], -v[16:17], v[6:7], v[0:1]
	v_fma_f64 v[0:1], -v[18:19], v[36:37], v[0:1]
	;; [unrolled: 1-line block ×13, first 2 shown]
	v_mul_f64 v[62:63], v[0:1], v[62:63]
	flat_store_dwordx2 v[12:13], v[62:63] offset:112
	ds_read_b128 v[4:7], v34 offset:1920
	ds_read_b128 v[36:39], v34 offset:1936
	;; [unrolled: 1-line block ×7, first 2 shown]
	s_waitcnt lgkmcnt(0)
	v_mul_f64 v[0:1], v[14:15], v[4:5]
	v_fma_f64 v[0:1], s[4:5], v[2:3], -v[0:1]
	v_fma_f64 v[0:1], -v[16:17], v[6:7], v[0:1]
	v_fma_f64 v[0:1], -v[18:19], v[36:37], v[0:1]
	;; [unrolled: 1-line block ×9, first 2 shown]
	ds_read_b128 v[0:3], v34 offset:2032
	v_fma_f64 v[4:5], -v[8:9], v[52:53], v[4:5]
	v_fma_f64 v[4:5], -v[10:11], v[54:55], v[4:5]
	;; [unrolled: 1-line block ×4, first 2 shown]
	s_waitcnt lgkmcnt(0)
	v_fma_f64 v[0:1], -v[62:63], v[0:1], v[4:5]
	v_mul_f64 v[0:1], v[0:1], v[2:3]
	flat_store_dwordx2 v[12:13], v[0:1] offset:120
	s_cmp_lt_i32 s0, s22
	s_cbranch_scc1 .LBB83_11
	s_branch .LBB83_24
.LBB83_10:
	s_mov_b32 s0, 0
	s_cmp_lt_i32 s0, s22
	s_cbranch_scc0 .LBB83_24
.LBB83_11:
	s_or_b32 s8, s0, 11
	s_cmp_ge_u32 s8, s22
	s_cbranch_scc1 .LBB83_19
; %bb.12:
	s_lshl_b32 s2, s0, 3
	s_mov_b32 s3, 0
	v_lshl_add_u64 v[8:9], v[12:13], 0, s[2:3]
	flat_load_dwordx4 v[0:3], v[8:9]
	flat_load_dwordx4 v[4:7], v[8:9] offset:16
	flat_load_dwordx4 v[14:17], v[8:9] offset:32
	;; [unrolled: 1-line block ×5, first 2 shown]
	s_andn2_b64 vcc, exec, s[6:7]
	s_waitcnt vmcnt(0) lgkmcnt(0)
	v_mul_f64 v[32:33], s[4:5], v[0:1]
	v_mul_f64 v[36:37], s[4:5], v[2:3]
	;; [unrolled: 1-line block ×12, first 2 shown]
	s_cbranch_vccnz .LBB83_14
; %bb.13:
	s_lshl_b32 s3, s0, 7
	s_lshl_b32 s1, s8, 7
	s_mov_b64 s[6:7], 0
	s_branch .LBB83_15
.LBB83_14:
	s_mov_b64 s[6:7], -1
                                        ; implicit-def: $sgpr3
                                        ; implicit-def: $sgpr1
.LBB83_15:
	s_andn2_b64 vcc, exec, s[6:7]
	s_cbranch_vccnz .LBB83_18
; %bb.16:
	s_lshl_b32 s3, s0, 7
	s_lshl_b32 s1, s8, 7
	v_mov_b64_e32 v[34:35], v[12:13]
	s_mov_b32 s6, s0
	s_mov_b32 s7, s3
.LBB83_17:                              ; =>This Inner Loop Header: Depth=1
	flat_load_dwordx4 v[0:3], v[34:35]
	flat_load_dwordx4 v[4:7], v[34:35] offset:16
	v_mov_b32_e32 v82, s7
	ds_read_b128 v[38:41], v82
	ds_read_b128 v[42:45], v82 offset:16
	ds_read_b128 v[46:49], v82 offset:128
	;; [unrolled: 1-line block ×9, first 2 shown]
	s_add_i32 s7, s7, 32
	s_add_i32 s6, s6, -4
	v_lshl_add_u64 v[34:35], v[34:35], 0, 32
	s_cmp_lg_u32 s6, 0
	s_waitcnt vmcnt(0) lgkmcnt(0)
	v_fma_f64 v[32:33], -v[0:1], v[38:39], v[32:33]
	v_fma_f64 v[86:87], -v[2:3], v[40:41], v[32:33]
	;; [unrolled: 1-line block ×3, first 2 shown]
	ds_read_b128 v[38:41], v82 offset:640
	v_fma_f64 v[88:89], -v[2:3], v[48:49], v[32:33]
	ds_read_b128 v[46:49], v82 offset:768
	v_fma_f64 v[30:31], -v[0:1], v[54:55], v[30:31]
	v_fma_f64 v[90:91], -v[2:3], v[56:57], v[30:31]
	ds_read_b128 v[30:33], v82 offset:896
	ds_read_b128 v[54:57], v82 offset:1024
	v_fma_f64 v[28:29], -v[0:1], v[62:63], v[28:29]
	v_fma_f64 v[28:29], -v[2:3], v[64:65], v[28:29]
	;; [unrolled: 1-line block ×3, first 2 shown]
	ds_read_b128 v[62:65], v82 offset:656
	s_waitcnt lgkmcnt(4)
	v_fma_f64 v[24:25], -v[0:1], v[38:39], v[24:25]
	ds_read_b128 v[36:39], v82 offset:784
	s_waitcnt lgkmcnt(4)
	v_fma_f64 v[22:23], -v[0:1], v[46:47], v[22:23]
	v_fma_f64 v[26:27], -v[2:3], v[72:73], v[26:27]
	;; [unrolled: 1-line block ×3, first 2 shown]
	ds_read_b128 v[46:49], v82 offset:912
	s_waitcnt lgkmcnt(4)
	v_fma_f64 v[20:21], -v[0:1], v[30:31], v[20:21]
	ds_read_b128 v[70:73], v82 offset:1040
	s_waitcnt lgkmcnt(4)
	v_fma_f64 v[18:19], -v[0:1], v[54:55], v[18:19]
	v_fma_f64 v[24:25], -v[2:3], v[40:41], v[24:25]
	;; [unrolled: 1-line block ×4, first 2 shown]
	ds_read_b128 v[18:21], v82 offset:1152
	ds_read_b128 v[54:57], v82 offset:1168
	s_waitcnt lgkmcnt(5)
	v_fma_f64 v[24:25], -v[4:5], v[62:63], v[24:25]
	s_waitcnt lgkmcnt(4)
	v_fma_f64 v[22:23], -v[4:5], v[36:37], v[22:23]
	;; [unrolled: 2-line block ×4, first 2 shown]
	v_fma_f64 v[20:21], -v[2:3], v[20:21], v[16:17]
	ds_read_b128 v[16:19], v82 offset:1280
	ds_read_b128 v[78:81], v82 offset:1296
	v_fma_f64 v[24:25], -v[6:7], v[64:65], v[24:25]
	v_fma_f64 v[22:23], -v[6:7], v[38:39], v[22:23]
	s_waitcnt lgkmcnt(1)
	v_fma_f64 v[14:15], -v[0:1], v[16:17], v[14:15]
	v_fma_f64 v[18:19], -v[2:3], v[18:19], v[14:15]
	ds_read_b128 v[14:17], v82 offset:1408
	ds_read_b128 v[82:85], v82 offset:1424
	s_waitcnt lgkmcnt(1)
	v_fma_f64 v[0:1], -v[0:1], v[14:15], v[10:11]
	v_fma_f64 v[0:1], -v[2:3], v[16:17], v[0:1]
	;; [unrolled: 1-line block ×11, first 2 shown]
	s_waitcnt lgkmcnt(0)
	v_fma_f64 v[0:1], -v[4:5], v[82:83], v[0:1]
	v_fma_f64 v[36:37], -v[6:7], v[52:53], v[2:3]
	;; [unrolled: 1-line block ×10, first 2 shown]
	s_cbranch_scc1 .LBB83_17
.LBB83_18:
	s_add_i32 s3, s2, s3
	v_mov_b32_e32 v52, s3
	ds_read_b64 v[0:1], v52
	s_lshl_b32 s3, s0, 7
	s_add_i32 s3, s2, s3
	v_mov_b32_e32 v53, s3
	s_add_i32 s1, s2, s1
	s_waitcnt lgkmcnt(0)
	v_mul_f64 v[0:1], v[32:33], v[0:1]
	flat_store_dwordx2 v[8:9], v[0:1]
	ds_read_b128 v[2:5], v53 offset:128
	v_mov_b32_e32 v54, s1
	s_or_b32 s0, s0, 12
	s_waitcnt lgkmcnt(0)
	v_fma_f64 v[2:3], -v[0:1], v[2:3], v[36:37]
	v_mul_f64 v[2:3], v[2:3], v[4:5]
	flat_store_dwordx2 v[8:9], v[2:3] offset:8
	ds_read_b128 v[4:7], v53 offset:256
	ds_read_b64 v[32:33], v52 offset:272
	s_waitcnt lgkmcnt(0)
	v_fma_f64 v[4:5], -v[0:1], v[4:5], v[30:31]
	v_fma_f64 v[4:5], -v[2:3], v[6:7], v[4:5]
	v_mul_f64 v[4:5], v[4:5], v[32:33]
	flat_store_dwordx2 v[8:9], v[4:5] offset:16
	ds_read_b128 v[30:33], v53 offset:384
	ds_read_b128 v[34:37], v53 offset:400
	s_waitcnt lgkmcnt(0)
	v_fma_f64 v[6:7], -v[0:1], v[30:31], v[28:29]
	v_fma_f64 v[6:7], -v[2:3], v[32:33], v[6:7]
	;; [unrolled: 1-line block ×3, first 2 shown]
	v_mul_f64 v[6:7], v[6:7], v[36:37]
	flat_store_dwordx2 v[8:9], v[6:7] offset:24
	ds_read_b128 v[28:31], v53 offset:512
	ds_read_b128 v[32:35], v53 offset:528
	ds_read_b64 v[36:37], v52 offset:544
	s_waitcnt lgkmcnt(0)
	v_fma_f64 v[26:27], -v[0:1], v[28:29], v[26:27]
	v_fma_f64 v[26:27], -v[2:3], v[30:31], v[26:27]
	;; [unrolled: 1-line block ×4, first 2 shown]
	v_mul_f64 v[26:27], v[26:27], v[36:37]
	flat_store_dwordx2 v[8:9], v[26:27] offset:32
	ds_read_b128 v[28:31], v53 offset:640
	ds_read_b128 v[32:35], v53 offset:656
	;; [unrolled: 1-line block ×3, first 2 shown]
	s_waitcnt lgkmcnt(0)
	v_fma_f64 v[24:25], -v[0:1], v[28:29], v[24:25]
	v_fma_f64 v[24:25], -v[2:3], v[30:31], v[24:25]
	;; [unrolled: 1-line block ×5, first 2 shown]
	v_mul_f64 v[24:25], v[24:25], v[38:39]
	flat_store_dwordx2 v[8:9], v[24:25] offset:40
	ds_read_b128 v[28:31], v53 offset:768
	ds_read_b128 v[32:35], v53 offset:784
	;; [unrolled: 1-line block ×3, first 2 shown]
	ds_read_b64 v[40:41], v52 offset:816
	s_waitcnt lgkmcnt(0)
	v_fma_f64 v[22:23], -v[0:1], v[28:29], v[22:23]
	v_fma_f64 v[22:23], -v[2:3], v[30:31], v[22:23]
	;; [unrolled: 1-line block ×6, first 2 shown]
	v_mul_f64 v[44:45], v[22:23], v[40:41]
	flat_store_dwordx2 v[8:9], v[44:45] offset:48
	ds_read_b128 v[28:31], v53 offset:896
	ds_read_b128 v[32:35], v53 offset:912
	;; [unrolled: 1-line block ×4, first 2 shown]
	s_waitcnt lgkmcnt(0)
	v_fma_f64 v[20:21], -v[0:1], v[28:29], v[20:21]
	v_fma_f64 v[20:21], -v[2:3], v[30:31], v[20:21]
	v_fma_f64 v[20:21], -v[4:5], v[32:33], v[20:21]
	v_fma_f64 v[20:21], -v[6:7], v[34:35], v[20:21]
	v_fma_f64 v[20:21], -v[26:27], v[36:37], v[20:21]
	v_fma_f64 v[20:21], -v[24:25], v[38:39], v[20:21]
	v_fma_f64 v[20:21], -v[44:45], v[40:41], v[20:21]
	v_mul_f64 v[46:47], v[20:21], v[42:43]
	flat_store_dwordx2 v[8:9], v[46:47] offset:56
	ds_read_b128 v[20:23], v53 offset:1024
	ds_read_b128 v[28:31], v53 offset:1040
	;; [unrolled: 1-line block ×4, first 2 shown]
	ds_read_b64 v[40:41], v52 offset:1088
	s_waitcnt lgkmcnt(0)
	v_fma_f64 v[18:19], -v[0:1], v[20:21], v[18:19]
	v_fma_f64 v[18:19], -v[2:3], v[22:23], v[18:19]
	;; [unrolled: 1-line block ×8, first 2 shown]
	v_mul_f64 v[48:49], v[18:19], v[40:41]
	flat_store_dwordx2 v[8:9], v[48:49] offset:64
	ds_read_b128 v[18:21], v53 offset:1152
	ds_read_b128 v[28:31], v53 offset:1168
	ds_read_b128 v[32:35], v53 offset:1184
	ds_read_b128 v[36:39], v53 offset:1200
	ds_read_b128 v[40:43], v53 offset:1216
	s_waitcnt lgkmcnt(0)
	v_fma_f64 v[16:17], -v[0:1], v[18:19], v[16:17]
	v_fma_f64 v[16:17], -v[2:3], v[20:21], v[16:17]
	;; [unrolled: 1-line block ×9, first 2 shown]
	v_mul_f64 v[50:51], v[16:17], v[42:43]
	flat_store_dwordx2 v[8:9], v[50:51] offset:72
	ds_read_b128 v[16:19], v53 offset:1280
	ds_read_b128 v[20:23], v53 offset:1296
	ds_read_b128 v[28:31], v53 offset:1312
	ds_read_b128 v[32:35], v53 offset:1328
	ds_read_b128 v[36:39], v53 offset:1344
	ds_read_b64 v[40:41], v52 offset:1360
	s_waitcnt lgkmcnt(0)
	v_fma_f64 v[14:15], -v[0:1], v[16:17], v[14:15]
	v_fma_f64 v[14:15], -v[2:3], v[18:19], v[14:15]
	;; [unrolled: 1-line block ×10, first 2 shown]
	v_mul_f64 v[22:23], v[14:15], v[40:41]
	flat_store_dwordx2 v[8:9], v[22:23] offset:80
	ds_read_b128 v[14:17], v54
	ds_read_b128 v[18:21], v54 offset:16
	ds_read_b128 v[28:31], v54 offset:32
	;; [unrolled: 1-line block ×5, first 2 shown]
	s_waitcnt lgkmcnt(0)
	v_fma_f64 v[0:1], -v[0:1], v[14:15], v[10:11]
	v_fma_f64 v[0:1], -v[2:3], v[16:17], v[0:1]
	v_fma_f64 v[0:1], -v[4:5], v[18:19], v[0:1]
	v_fma_f64 v[0:1], -v[6:7], v[20:21], v[0:1]
	v_fma_f64 v[0:1], -v[26:27], v[28:29], v[0:1]
	v_fma_f64 v[0:1], -v[24:25], v[30:31], v[0:1]
	v_fma_f64 v[0:1], -v[44:45], v[32:33], v[0:1]
	v_fma_f64 v[0:1], -v[46:47], v[34:35], v[0:1]
	v_fma_f64 v[0:1], -v[48:49], v[36:37], v[0:1]
	v_fma_f64 v[0:1], -v[50:51], v[38:39], v[0:1]
	v_fma_f64 v[0:1], -v[22:23], v[40:41], v[0:1]
	v_mul_f64 v[0:1], v[0:1], v[42:43]
	flat_store_dwordx2 v[8:9], v[0:1] offset:88
.LBB83_19:
	s_cmp_ge_i32 s0, s22
	s_cbranch_scc1 .LBB83_24
; %bb.20:
	s_lshl_b32 s2, s0, 7
	s_mov_b32 s1, 0
	s_branch .LBB83_22
.LBB83_21:                              ;   in Loop: Header=BB83_22 Depth=1
	s_mul_i32 s3, s0, 0x88
	v_mov_b32_e32 v4, s3
	ds_read_b64 v[4:5], v4
	s_add_i32 s0, s0, 1
	s_addk_i32 s2, 0x80
	s_cmp_ge_i32 s0, s22
	s_waitcnt lgkmcnt(0)
	v_mul_f64 v[2:3], v[2:3], v[4:5]
	flat_store_dwordx2 v[0:1], v[2:3]
	s_cbranch_scc1 .LBB83_24
.LBB83_22:                              ; =>This Loop Header: Depth=1
                                        ;     Child Loop BB83_23 Depth 2
	v_lshl_add_u64 v[0:1], s[0:1], 3, v[12:13]
	flat_load_dwordx2 v[2:3], v[0:1]
	s_cmp_eq_u32 s0, 0
	v_mov_b64_e32 v[4:5], v[12:13]
	s_mov_b32 s3, s0
	s_mov_b32 s6, s2
	s_waitcnt vmcnt(0) lgkmcnt(0)
	v_mul_f64 v[2:3], s[4:5], v[2:3]
	s_cbranch_scc1 .LBB83_21
.LBB83_23:                              ;   Parent Loop BB83_22 Depth=1
                                        ; =>  This Inner Loop Header: Depth=2
	flat_load_dwordx2 v[6:7], v[4:5]
	v_mov_b32_e32 v8, s6
	ds_read_b64 v[8:9], v8
	s_add_i32 s6, s6, 8
	s_add_i32 s3, s3, -1
	v_lshl_add_u64 v[4:5], v[4:5], 0, 8
	s_cmp_lg_u32 s3, 0
	s_waitcnt vmcnt(0) lgkmcnt(0)
	v_fma_f64 v[2:3], -v[6:7], v[8:9], v[2:3]
	s_cbranch_scc1 .LBB83_23
	s_branch .LBB83_21
.LBB83_24:
	s_mov_b64 s[0:1], 0
.LBB83_25:
	s_and_b64 vcc, exec, s[0:1]
	s_cbranch_vccz .LBB83_51
; %bb.26:
	s_add_i32 s8, s22, -1
	s_cmp_gt_i32 s10, 15
	s_mov_b32 s0, -1
	s_cbranch_scc0 .LBB83_28
; %bb.27:
	flat_load_dwordx4 v[0:3], v[12:13] offset:112
	flat_load_dwordx4 v[16:19], v[12:13] offset:96
	flat_load_dwordx4 v[20:23], v[12:13] offset:80
	flat_load_dwordx4 v[24:27], v[12:13] offset:64
	v_mov_b32_e32 v64, 0
	ds_read_b64 v[4:5], v64 offset:2040
	s_waitcnt vmcnt(0) lgkmcnt(0)
	v_mul_f64 v[2:3], s[4:5], v[2:3]
	v_mul_f64 v[8:9], v[2:3], v[4:5]
	flat_store_dwordx2 v[12:13], v[8:9] offset:120
	ds_read_b64 v[2:3], v64 offset:2032
	ds_read_b64 v[4:5], v64 offset:1904
	s_waitcnt lgkmcnt(0)
	v_mul_f64 v[2:3], v[8:9], v[2:3]
	v_fma_f64 v[0:1], s[4:5], v[0:1], -v[2:3]
	v_mul_f64 v[10:11], v[0:1], v[4:5]
	flat_store_dwordx2 v[12:13], v[10:11] offset:112
	ds_read_b64 v[0:1], v64 offset:2024
	ds_read_b64 v[2:3], v64 offset:1896
	;; [unrolled: 1-line block ×3, first 2 shown]
	flat_load_dwordx4 v[28:31], v[12:13] offset:48
	flat_load_dwordx4 v[32:35], v[12:13] offset:32
	s_waitcnt lgkmcnt(0)
	v_mul_f64 v[0:1], v[8:9], v[0:1]
	v_fma_f64 v[0:1], s[4:5], v[18:19], -v[0:1]
	v_fma_f64 v[0:1], -v[10:11], v[2:3], v[0:1]
	v_mul_f64 v[14:15], v[0:1], v[4:5]
	flat_store_dwordx2 v[12:13], v[14:15] offset:104
	ds_read_b64 v[18:19], v64 offset:2016
	flat_load_dwordx4 v[4:7], v[12:13] offset:16
	flat_load_dwordx4 v[0:3], v[12:13]
	ds_read_b64 v[36:37], v64 offset:1888
	ds_read_b64 v[38:39], v64 offset:1760
	;; [unrolled: 1-line block ×3, first 2 shown]
	s_waitcnt lgkmcnt(0)
	v_mul_f64 v[18:19], v[8:9], v[18:19]
	v_fma_f64 v[16:17], s[4:5], v[16:17], -v[18:19]
	v_fma_f64 v[16:17], -v[10:11], v[36:37], v[16:17]
	v_fma_f64 v[16:17], -v[14:15], v[38:39], v[16:17]
	v_mul_f64 v[16:17], v[16:17], v[40:41]
	flat_store_dwordx2 v[12:13], v[16:17] offset:96
	ds_read_b64 v[18:19], v64 offset:2008
	ds_read_b64 v[36:37], v64 offset:1880
	;; [unrolled: 1-line block ×5, first 2 shown]
	s_waitcnt lgkmcnt(0)
	v_mul_f64 v[18:19], v[8:9], v[18:19]
	v_fma_f64 v[18:19], s[4:5], v[22:23], -v[18:19]
	v_fma_f64 v[18:19], -v[10:11], v[36:37], v[18:19]
	v_fma_f64 v[18:19], -v[14:15], v[38:39], v[18:19]
	;; [unrolled: 1-line block ×3, first 2 shown]
	v_mul_f64 v[18:19], v[18:19], v[42:43]
	flat_store_dwordx2 v[12:13], v[18:19] offset:88
	ds_read_b64 v[22:23], v64 offset:2000
	ds_read_b64 v[36:37], v64 offset:1872
	ds_read_b64 v[38:39], v64 offset:1744
	ds_read_b64 v[40:41], v64 offset:1616
	ds_read_b64 v[42:43], v64 offset:1488
	ds_read_b64 v[44:45], v64 offset:1360
	s_waitcnt lgkmcnt(0)
	v_mul_f64 v[22:23], v[8:9], v[22:23]
	v_fma_f64 v[20:21], s[4:5], v[20:21], -v[22:23]
	v_fma_f64 v[20:21], -v[10:11], v[36:37], v[20:21]
	v_fma_f64 v[20:21], -v[14:15], v[38:39], v[20:21]
	;; [unrolled: 1-line block ×4, first 2 shown]
	v_mul_f64 v[20:21], v[20:21], v[44:45]
	flat_store_dwordx2 v[12:13], v[20:21] offset:80
	ds_read_b64 v[22:23], v64 offset:1992
	ds_read_b64 v[36:37], v64 offset:1864
	;; [unrolled: 1-line block ×7, first 2 shown]
	s_waitcnt lgkmcnt(0)
	v_mul_f64 v[22:23], v[8:9], v[22:23]
	v_fma_f64 v[22:23], s[4:5], v[26:27], -v[22:23]
	v_fma_f64 v[22:23], -v[10:11], v[36:37], v[22:23]
	v_fma_f64 v[22:23], -v[14:15], v[38:39], v[22:23]
	;; [unrolled: 1-line block ×5, first 2 shown]
	v_mul_f64 v[22:23], v[22:23], v[46:47]
	flat_store_dwordx2 v[12:13], v[22:23] offset:72
	ds_read_b64 v[26:27], v64 offset:1984
	ds_read_b64 v[36:37], v64 offset:1856
	ds_read_b64 v[38:39], v64 offset:1728
	ds_read_b64 v[40:41], v64 offset:1600
	ds_read_b64 v[42:43], v64 offset:1472
	ds_read_b64 v[44:45], v64 offset:1344
	ds_read_b64 v[46:47], v64 offset:1216
	ds_read_b64 v[48:49], v64 offset:1088
	s_waitcnt lgkmcnt(0)
	v_mul_f64 v[26:27], v[8:9], v[26:27]
	v_fma_f64 v[24:25], s[4:5], v[24:25], -v[26:27]
	v_fma_f64 v[24:25], -v[10:11], v[36:37], v[24:25]
	v_fma_f64 v[24:25], -v[14:15], v[38:39], v[24:25]
	;; [unrolled: 1-line block ×6, first 2 shown]
	v_mul_f64 v[24:25], v[24:25], v[48:49]
	flat_store_dwordx2 v[12:13], v[24:25] offset:64
	ds_read_b64 v[26:27], v64 offset:1976
	ds_read_b64 v[36:37], v64 offset:1848
	;; [unrolled: 1-line block ×9, first 2 shown]
	s_waitcnt lgkmcnt(0)
	v_mul_f64 v[26:27], v[8:9], v[26:27]
	s_waitcnt vmcnt(0)
	v_fma_f64 v[26:27], s[4:5], v[30:31], -v[26:27]
	v_fma_f64 v[26:27], -v[10:11], v[36:37], v[26:27]
	v_fma_f64 v[26:27], -v[14:15], v[38:39], v[26:27]
	;; [unrolled: 1-line block ×7, first 2 shown]
	v_mul_f64 v[26:27], v[26:27], v[50:51]
	flat_store_dwordx2 v[12:13], v[26:27] offset:56
	ds_read_b64 v[30:31], v64 offset:1968
	ds_read_b64 v[36:37], v64 offset:1840
	;; [unrolled: 1-line block ×10, first 2 shown]
	s_waitcnt lgkmcnt(0)
	v_mul_f64 v[30:31], v[8:9], v[30:31]
	v_fma_f64 v[28:29], s[4:5], v[28:29], -v[30:31]
	v_fma_f64 v[28:29], -v[10:11], v[36:37], v[28:29]
	v_fma_f64 v[28:29], -v[14:15], v[38:39], v[28:29]
	;; [unrolled: 1-line block ×8, first 2 shown]
	v_mul_f64 v[28:29], v[28:29], v[52:53]
	flat_store_dwordx2 v[12:13], v[28:29] offset:48
	ds_read_b64 v[30:31], v64 offset:1960
	ds_read_b64 v[36:37], v64 offset:1832
	;; [unrolled: 1-line block ×11, first 2 shown]
	s_waitcnt lgkmcnt(0)
	v_mul_f64 v[30:31], v[8:9], v[30:31]
	v_fma_f64 v[30:31], s[4:5], v[34:35], -v[30:31]
	v_fma_f64 v[30:31], -v[10:11], v[36:37], v[30:31]
	v_fma_f64 v[30:31], -v[14:15], v[38:39], v[30:31]
	;; [unrolled: 1-line block ×9, first 2 shown]
	v_mul_f64 v[30:31], v[30:31], v[54:55]
	flat_store_dwordx2 v[12:13], v[30:31] offset:40
	ds_read_b64 v[34:35], v64 offset:1952
	ds_read_b64 v[36:37], v64 offset:1824
	;; [unrolled: 1-line block ×12, first 2 shown]
	s_waitcnt lgkmcnt(0)
	v_mul_f64 v[34:35], v[8:9], v[34:35]
	v_fma_f64 v[32:33], s[4:5], v[32:33], -v[34:35]
	v_fma_f64 v[32:33], -v[10:11], v[36:37], v[32:33]
	v_fma_f64 v[32:33], -v[14:15], v[38:39], v[32:33]
	;; [unrolled: 1-line block ×10, first 2 shown]
	v_mul_f64 v[32:33], v[32:33], v[56:57]
	flat_store_dwordx2 v[12:13], v[32:33] offset:32
	ds_read_b64 v[34:35], v64 offset:1944
	ds_read_b64 v[36:37], v64 offset:1816
	;; [unrolled: 1-line block ×13, first 2 shown]
	s_waitcnt lgkmcnt(0)
	v_mul_f64 v[34:35], v[8:9], v[34:35]
	v_fma_f64 v[6:7], s[4:5], v[6:7], -v[34:35]
	v_fma_f64 v[6:7], -v[10:11], v[36:37], v[6:7]
	v_fma_f64 v[6:7], -v[14:15], v[38:39], v[6:7]
	;; [unrolled: 1-line block ×11, first 2 shown]
	v_mul_f64 v[6:7], v[6:7], v[58:59]
	flat_store_dwordx2 v[12:13], v[6:7] offset:24
	ds_read_b64 v[34:35], v64 offset:1936
	ds_read_b64 v[36:37], v64 offset:1808
	ds_read_b64 v[38:39], v64 offset:1680
	ds_read_b64 v[40:41], v64 offset:1552
	ds_read_b64 v[42:43], v64 offset:1424
	ds_read_b64 v[44:45], v64 offset:1296
	ds_read_b64 v[46:47], v64 offset:1168
	ds_read_b64 v[48:49], v64 offset:1040
	ds_read_b64 v[50:51], v64 offset:912
	ds_read_b64 v[52:53], v64 offset:784
	ds_read_b64 v[54:55], v64 offset:656
	ds_read_b64 v[56:57], v64 offset:528
	ds_read_b64 v[58:59], v64 offset:400
	ds_read_b64 v[60:61], v64 offset:272
	s_waitcnt lgkmcnt(0)
	v_mul_f64 v[34:35], v[8:9], v[34:35]
	v_fma_f64 v[4:5], s[4:5], v[4:5], -v[34:35]
	v_fma_f64 v[4:5], -v[10:11], v[36:37], v[4:5]
	v_fma_f64 v[4:5], -v[14:15], v[38:39], v[4:5]
	;; [unrolled: 1-line block ×12, first 2 shown]
	v_mul_f64 v[4:5], v[4:5], v[60:61]
	flat_store_dwordx2 v[12:13], v[4:5] offset:16
	ds_read_b64 v[34:35], v64 offset:1928
	ds_read_b64 v[36:37], v64 offset:1800
	;; [unrolled: 1-line block ×15, first 2 shown]
	s_waitcnt lgkmcnt(0)
	v_mul_f64 v[34:35], v[8:9], v[34:35]
	v_fma_f64 v[2:3], s[4:5], v[2:3], -v[34:35]
	v_fma_f64 v[2:3], -v[10:11], v[36:37], v[2:3]
	v_fma_f64 v[2:3], -v[14:15], v[38:39], v[2:3]
	;; [unrolled: 1-line block ×13, first 2 shown]
	v_mul_f64 v[34:35], v[2:3], v[62:63]
	flat_store_dwordx2 v[12:13], v[34:35] offset:8
	ds_read_b64 v[2:3], v64 offset:1920
	ds_read_b64 v[36:37], v64 offset:1792
	;; [unrolled: 1-line block ×14, first 2 shown]
	s_waitcnt lgkmcnt(0)
	v_mul_f64 v[2:3], v[8:9], v[2:3]
	v_fma_f64 v[0:1], s[4:5], v[0:1], -v[2:3]
	v_fma_f64 v[0:1], -v[10:11], v[36:37], v[0:1]
	v_fma_f64 v[0:1], -v[14:15], v[38:39], v[0:1]
	;; [unrolled: 1-line block ×9, first 2 shown]
	ds_read2_b64 v[0:3], v64 offset1:16
	v_fma_f64 v[8:9], -v[30:31], v[54:55], v[8:9]
	v_fma_f64 v[8:9], -v[32:33], v[56:57], v[8:9]
	;; [unrolled: 1-line block ×4, first 2 shown]
	s_waitcnt lgkmcnt(0)
	v_fma_f64 v[2:3], -v[34:35], v[2:3], v[4:5]
	v_mul_f64 v[0:1], v[2:3], v[0:1]
	flat_store_dwordx2 v[12:13], v[0:1]
	s_cmp_gt_i32 s0, -1
	s_cbranch_scc1 .LBB83_29
	s_branch .LBB83_51
.LBB83_28:
	s_mov_b32 s0, s8
	s_cmp_gt_i32 s0, -1
	s_cbranch_scc0 .LBB83_51
.LBB83_29:
	s_cmp_lt_u32 s0, 11
	s_cbranch_scc1 .LBB83_34
; %bb.30:
	s_mov_b32 s3, 0
	s_mov_b32 s1, s3
	v_lshl_add_u64 v[10:11], s[0:1], 3, v[12:13]
	v_add_co_u32_e32 v4, vcc, -8, v10
	s_cmp_le_i32 s8, s0
	s_nop 0
	v_addc_co_u32_e32 v5, vcc, -1, v11, vcc
	v_add_co_u32_e32 v6, vcc, 0xffffffe8, v10
	s_nop 1
	v_addc_co_u32_e32 v7, vcc, -1, v11, vcc
	flat_load_dwordx4 v[0:3], v[4:5]
	flat_load_dwordx4 v[16:19], v[6:7]
	v_add_co_u32_e32 v4, vcc, 0xffffffd8, v10
	s_waitcnt vmcnt(0) lgkmcnt(0)
	v_mul_f64 v[26:27], s[4:5], v[0:1]
	v_addc_co_u32_e32 v5, vcc, -1, v11, vcc
	v_add_co_u32_e32 v6, vcc, 0xffffffc8, v10
	v_mul_f64 v[14:15], s[4:5], v[18:19]
	s_nop 0
	v_addc_co_u32_e32 v7, vcc, -1, v11, vcc
	flat_load_dwordx4 v[22:25], v[4:5]
	flat_load_dwordx4 v[28:31], v[6:7]
	v_add_co_u32_e32 v4, vcc, 0xffffffb8, v10
	v_mul_f64 v[6:7], s[4:5], v[2:3]
	s_nop 0
	v_addc_co_u32_e32 v5, vcc, -1, v11, vcc
	flat_load_dwordx4 v[32:35], v[4:5]
	v_add_co_u32_e32 v4, vcc, 0xffffffa8, v10
	v_mul_f64 v[18:19], s[4:5], v[16:17]
	s_nop 0
	v_addc_co_u32_e32 v5, vcc, -1, v11, vcc
	flat_load_dwordx4 v[36:39], v[4:5]
	s_waitcnt vmcnt(0) lgkmcnt(0)
	v_mul_f64 v[20:21], s[4:5], v[24:25]
	v_mul_f64 v[24:25], s[4:5], v[22:23]
	;; [unrolled: 1-line block ×8, first 2 shown]
	s_cbranch_scc1 .LBB83_33
; %bb.31:
	s_lshl_b32 s1, s22, 7
	s_lshl_b32 s2, s0, 3
	s_add_i32 s1, s1, s2
	s_addk_i32 s1, 0xff28
	s_mov_b32 s2, s8
.LBB83_32:                              ; =>This Inner Loop Header: Depth=1
	v_lshl_add_u64 v[28:29], s[2:3], 3, v[12:13]
	flat_load_dwordx2 v[52:53], v[28:29]
	v_mov_b32_e32 v48, s1
	ds_read2_b64 v[28:31], v48 offset0:10 offset1:11
	ds_read2_b64 v[32:35], v48 offset0:8 offset1:9
	;; [unrolled: 1-line block ×5, first 2 shown]
	ds_read2_b64 v[48:51], v48 offset1:1
	s_add_i32 s2, s2, -1
	s_addk_i32 s1, 0xff80
	s_cmp_gt_i32 s2, s0
	s_waitcnt vmcnt(0) lgkmcnt(0)
	v_fma_f64 v[6:7], -v[52:53], v[30:31], v[6:7]
	v_fma_f64 v[26:27], -v[52:53], v[28:29], v[26:27]
	;; [unrolled: 1-line block ×12, first 2 shown]
	s_cbranch_scc1 .LBB83_32
.LBB83_33:
	s_mul_i32 s1, s0, 0x88
	v_mov_b32_e32 v28, s1
	ds_read_b64 v[28:29], v28
	s_add_i32 s2, s0, -1
	s_lshl_b32 s1, s0, 7
	s_lshl_b32 s3, s2, 3
	s_add_i32 s6, s3, s1
	s_waitcnt lgkmcnt(0)
	v_mul_f64 v[6:7], v[6:7], v[28:29]
	flat_store_dwordx2 v[10:11], v[6:7]
	v_mov_b32_e32 v10, s6
	s_lshl_b32 s6, s2, 7
	s_add_i32 s3, s3, s6
	v_mov_b32_e32 v28, s3
	ds_read_b64 v[10:11], v10
	ds_read_b64 v[28:29], v28
	s_mov_b32 s3, 0
	s_waitcnt lgkmcnt(0)
	v_fma_f64 v[10:11], -v[6:7], v[10:11], v[26:27]
	v_lshl_add_u64 v[26:27], s[2:3], 3, v[12:13]
	s_add_i32 s2, s0, -2
	s_lshl_b32 s9, s2, 3
	v_mul_f64 v[10:11], v[10:11], v[28:29]
	s_add_i32 s7, s9, s1
	flat_store_dwordx2 v[26:27], v[10:11]
	v_mov_b32_e32 v26, s7
	s_add_i32 s7, s9, s6
	v_mov_b32_e32 v28, s7
	s_lshl_b32 s7, s2, 7
	s_add_i32 s9, s9, s7
	v_mov_b32_e32 v30, s9
	ds_read_b64 v[26:27], v26
	ds_read_b64 v[28:29], v28
	;; [unrolled: 1-line block ×3, first 2 shown]
	s_waitcnt lgkmcnt(0)
	v_fma_f64 v[14:15], -v[6:7], v[26:27], v[14:15]
	v_lshl_add_u64 v[26:27], s[2:3], 3, v[12:13]
	s_add_i32 s2, s0, -3
	v_fma_f64 v[14:15], -v[10:11], v[28:29], v[14:15]
	s_lshl_b32 s10, s2, 3
	v_mul_f64 v[14:15], v[14:15], v[30:31]
	s_add_i32 s9, s10, s1
	flat_store_dwordx2 v[26:27], v[14:15]
	v_mov_b32_e32 v26, s9
	s_add_i32 s9, s10, s6
	v_mov_b32_e32 v28, s9
	s_add_i32 s9, s10, s7
	v_mov_b32_e32 v30, s9
	s_lshl_b32 s9, s2, 7
	s_add_i32 s10, s10, s9
	v_mov_b32_e32 v32, s10
	ds_read_b64 v[26:27], v26
	ds_read_b64 v[28:29], v28
	;; [unrolled: 1-line block ×4, first 2 shown]
	s_waitcnt lgkmcnt(0)
	v_fma_f64 v[18:19], -v[6:7], v[26:27], v[18:19]
	v_fma_f64 v[18:19], -v[10:11], v[28:29], v[18:19]
	v_lshl_add_u64 v[26:27], s[2:3], 3, v[12:13]
	s_add_i32 s2, s0, -4
	v_fma_f64 v[18:19], -v[14:15], v[30:31], v[18:19]
	s_lshl_b32 s11, s2, 3
	v_mul_f64 v[18:19], v[18:19], v[32:33]
	s_add_i32 s10, s11, s1
	flat_store_dwordx2 v[26:27], v[18:19]
	v_mov_b32_e32 v26, s10
	s_add_i32 s10, s11, s6
	v_mov_b32_e32 v28, s10
	s_add_i32 s10, s11, s7
	;; [unrolled: 2-line block ×3, first 2 shown]
	v_mov_b32_e32 v32, s10
	s_lshl_b32 s10, s2, 7
	s_add_i32 s11, s11, s10
	ds_read_b64 v[26:27], v26
	ds_read_b64 v[28:29], v28
	;; [unrolled: 1-line block ×4, first 2 shown]
	v_mov_b32_e32 v34, s11
	ds_read_b64 v[34:35], v34
	s_waitcnt lgkmcnt(0)
	v_fma_f64 v[20:21], -v[6:7], v[26:27], v[20:21]
	v_fma_f64 v[20:21], -v[10:11], v[28:29], v[20:21]
	;; [unrolled: 1-line block ×3, first 2 shown]
	v_lshl_add_u64 v[26:27], s[2:3], 3, v[12:13]
	s_add_i32 s2, s0, -5
	v_fma_f64 v[20:21], -v[18:19], v[32:33], v[20:21]
	s_lshl_b32 s12, s2, 3
	v_mul_f64 v[20:21], v[20:21], v[34:35]
	s_add_i32 s11, s12, s1
	flat_store_dwordx2 v[26:27], v[20:21]
	v_mov_b32_e32 v26, s11
	ds_read_b64 v[26:27], v26
	s_add_i32 s11, s12, s6
	v_mov_b32_e32 v28, s11
	s_add_i32 s11, s12, s7
	v_mov_b32_e32 v30, s11
	;; [unrolled: 2-line block ×3, first 2 shown]
	s_add_i32 s11, s12, s10
	s_waitcnt lgkmcnt(0)
	v_fma_f64 v[24:25], -v[6:7], v[26:27], v[24:25]
	v_mov_b32_e32 v26, s11
	s_lshl_b32 s11, s2, 7
	ds_read_b64 v[28:29], v28
	ds_read_b64 v[30:31], v30
	;; [unrolled: 1-line block ×3, first 2 shown]
	s_add_i32 s12, s12, s11
	v_mov_b32_e32 v34, s12
	ds_read_b64 v[26:27], v26
	ds_read_b64 v[34:35], v34
	s_waitcnt lgkmcnt(0)
	v_fma_f64 v[24:25], -v[10:11], v[28:29], v[24:25]
	v_fma_f64 v[24:25], -v[14:15], v[30:31], v[24:25]
	v_fma_f64 v[24:25], -v[18:19], v[32:33], v[24:25]
	v_fma_f64 v[24:25], -v[20:21], v[26:27], v[24:25]
	v_lshl_add_u64 v[26:27], s[2:3], 3, v[12:13]
	s_add_i32 s2, s0, -6
	s_lshl_b32 s13, s2, 3
	v_mul_f64 v[24:25], v[24:25], v[34:35]
	s_add_i32 s12, s13, s1
	flat_store_dwordx2 v[26:27], v[24:25]
	v_mov_b32_e32 v26, s12
	s_add_i32 s12, s13, s6
	v_mov_b32_e32 v28, s12
	ds_read_b64 v[26:27], v26
	ds_read_b64 v[28:29], v28
	s_add_i32 s12, s13, s7
	v_mov_b32_e32 v30, s12
	s_add_i32 s12, s13, s9
	v_mov_b32_e32 v32, s12
	s_add_i32 s12, s13, s10
	s_waitcnt lgkmcnt(0)
	v_fma_f64 v[22:23], -v[6:7], v[26:27], v[22:23]
	v_mov_b32_e32 v26, s12
	s_add_i32 s12, s13, s11
	ds_read_b64 v[30:31], v30
	ds_read_b64 v[32:33], v32
	v_fma_f64 v[22:23], -v[10:11], v[28:29], v[22:23]
	v_mov_b32_e32 v28, s12
	s_lshl_b32 s12, s2, 7
	s_add_i32 s13, s13, s12
	v_mov_b32_e32 v34, s13
	ds_read_b64 v[26:27], v26
	ds_read_b64 v[28:29], v28
	;; [unrolled: 1-line block ×3, first 2 shown]
	s_waitcnt lgkmcnt(0)
	v_fma_f64 v[22:23], -v[14:15], v[30:31], v[22:23]
	v_fma_f64 v[22:23], -v[18:19], v[32:33], v[22:23]
	;; [unrolled: 1-line block ×3, first 2 shown]
	v_lshl_add_u64 v[26:27], s[2:3], 3, v[12:13]
	s_add_i32 s2, s0, -7
	v_fma_f64 v[22:23], -v[24:25], v[28:29], v[22:23]
	s_lshl_b32 s14, s2, 3
	v_mul_f64 v[22:23], v[22:23], v[34:35]
	s_add_i32 s13, s14, s1
	flat_store_dwordx2 v[26:27], v[22:23]
	v_mov_b32_e32 v26, s13
	s_add_i32 s13, s14, s6
	v_mov_b32_e32 v28, s13
	s_add_i32 s13, s14, s7
	v_mov_b32_e32 v30, s13
	ds_read_b64 v[26:27], v26
	ds_read_b64 v[28:29], v28
	;; [unrolled: 1-line block ×3, first 2 shown]
	s_add_i32 s13, s14, s9
	v_mov_b32_e32 v32, s13
	s_add_i32 s13, s14, s10
	s_waitcnt lgkmcnt(0)
	v_fma_f64 v[16:17], -v[6:7], v[26:27], v[16:17]
	v_mov_b32_e32 v26, s13
	s_add_i32 s13, s14, s11
	ds_read_b64 v[32:33], v32
	v_fma_f64 v[16:17], -v[10:11], v[28:29], v[16:17]
	v_mov_b32_e32 v28, s13
	s_add_i32 s13, s14, s12
	v_fma_f64 v[16:17], -v[14:15], v[30:31], v[16:17]
	v_mov_b32_e32 v30, s13
	s_lshl_b32 s13, s2, 7
	s_add_i32 s14, s14, s13
	v_mov_b32_e32 v34, s14
	ds_read_b64 v[26:27], v26
	ds_read_b64 v[28:29], v28
	;; [unrolled: 1-line block ×4, first 2 shown]
	s_waitcnt lgkmcnt(0)
	v_fma_f64 v[16:17], -v[18:19], v[32:33], v[16:17]
	v_fma_f64 v[16:17], -v[20:21], v[26:27], v[16:17]
	;; [unrolled: 1-line block ×3, first 2 shown]
	v_lshl_add_u64 v[26:27], s[2:3], 3, v[12:13]
	s_add_i32 s2, s0, -8
	v_fma_f64 v[16:17], -v[22:23], v[30:31], v[16:17]
	s_lshl_b32 s14, s2, 3
	v_mul_f64 v[16:17], v[16:17], v[34:35]
	s_add_i32 s15, s14, s1
	flat_store_dwordx2 v[26:27], v[16:17]
	v_mov_b32_e32 v26, s15
	s_add_i32 s15, s14, s6
	v_mov_b32_e32 v28, s15
	s_add_i32 s15, s14, s7
	;; [unrolled: 2-line block ×3, first 2 shown]
	v_mov_b32_e32 v32, s15
	ds_read_b64 v[26:27], v26
	ds_read_b64 v[28:29], v28
	;; [unrolled: 1-line block ×4, first 2 shown]
	s_add_i32 s15, s14, s10
	s_waitcnt lgkmcnt(0)
	v_fma_f64 v[8:9], -v[6:7], v[26:27], v[8:9]
	v_mov_b32_e32 v26, s15
	s_add_i32 s15, s14, s11
	v_fma_f64 v[8:9], -v[10:11], v[28:29], v[8:9]
	v_mov_b32_e32 v28, s15
	s_add_i32 s15, s14, s12
	;; [unrolled: 3-line block ×3, first 2 shown]
	v_fma_f64 v[8:9], -v[18:19], v[32:33], v[8:9]
	v_mov_b32_e32 v32, s15
	s_lshl_b32 s15, s2, 7
	s_add_i32 s14, s14, s15
	ds_read_b64 v[26:27], v26
	ds_read_b64 v[28:29], v28
	;; [unrolled: 1-line block ×4, first 2 shown]
	v_mov_b32_e32 v34, s14
	ds_read_b64 v[34:35], v34
	s_waitcnt lgkmcnt(0)
	v_fma_f64 v[8:9], -v[20:21], v[26:27], v[8:9]
	v_fma_f64 v[8:9], -v[24:25], v[28:29], v[8:9]
	;; [unrolled: 1-line block ×3, first 2 shown]
	v_lshl_add_u64 v[26:27], s[2:3], 3, v[12:13]
	s_add_i32 s2, s0, -9
	v_fma_f64 v[8:9], -v[16:17], v[32:33], v[8:9]
	s_lshl_b32 s14, s2, 3
	v_mul_f64 v[8:9], v[8:9], v[34:35]
	s_add_i32 s16, s14, s1
	flat_store_dwordx2 v[26:27], v[8:9]
	v_mov_b32_e32 v26, s16
	s_add_i32 s16, s14, s6
	v_mov_b32_e32 v28, s16
	s_add_i32 s16, s14, s7
	;; [unrolled: 2-line block ×3, first 2 shown]
	v_mov_b32_e32 v32, s16
	ds_read_b64 v[26:27], v26
	ds_read_b64 v[28:29], v28
	;; [unrolled: 1-line block ×4, first 2 shown]
	s_add_i32 s16, s14, s10
	s_waitcnt lgkmcnt(0)
	v_fma_f64 v[4:5], -v[6:7], v[26:27], v[4:5]
	v_mov_b32_e32 v26, s16
	ds_read_b64 v[26:27], v26
	s_add_i32 s16, s14, s11
	v_fma_f64 v[4:5], -v[10:11], v[28:29], v[4:5]
	v_mov_b32_e32 v28, s16
	s_add_i32 s16, s14, s12
	v_fma_f64 v[4:5], -v[14:15], v[30:31], v[4:5]
	v_mov_b32_e32 v30, s16
	;; [unrolled: 3-line block ×3, first 2 shown]
	s_add_i32 s16, s14, s15
	s_waitcnt lgkmcnt(0)
	v_fma_f64 v[4:5], -v[20:21], v[26:27], v[4:5]
	v_mov_b32_e32 v26, s16
	s_lshl_b32 s16, s2, 7
	ds_read_b64 v[28:29], v28
	ds_read_b64 v[30:31], v30
	;; [unrolled: 1-line block ×3, first 2 shown]
	s_add_i32 s14, s14, s16
	v_mov_b32_e32 v34, s14
	ds_read_b64 v[26:27], v26
	ds_read_b64 v[34:35], v34
	s_waitcnt lgkmcnt(0)
	v_fma_f64 v[4:5], -v[24:25], v[28:29], v[4:5]
	v_fma_f64 v[4:5], -v[22:23], v[30:31], v[4:5]
	;; [unrolled: 1-line block ×4, first 2 shown]
	v_lshl_add_u64 v[26:27], s[2:3], 3, v[12:13]
	s_add_i32 s2, s0, -10
	s_lshl_b32 s14, s2, 3
	v_mul_f64 v[4:5], v[4:5], v[34:35]
	s_add_i32 s17, s14, s1
	flat_store_dwordx2 v[26:27], v[4:5]
	v_mov_b32_e32 v26, s17
	s_add_i32 s17, s14, s6
	v_mov_b32_e32 v28, s17
	s_add_i32 s17, s14, s7
	;; [unrolled: 2-line block ×3, first 2 shown]
	v_mov_b32_e32 v32, s17
	ds_read_b64 v[26:27], v26
	ds_read_b64 v[28:29], v28
	;; [unrolled: 1-line block ×4, first 2 shown]
	s_add_i32 s17, s14, s10
	s_waitcnt lgkmcnt(0)
	v_fma_f64 v[2:3], -v[6:7], v[26:27], v[2:3]
	v_mov_b32_e32 v26, s17
	s_add_i32 s17, s14, s11
	v_fma_f64 v[2:3], -v[10:11], v[28:29], v[2:3]
	v_mov_b32_e32 v28, s17
	ds_read_b64 v[26:27], v26
	ds_read_b64 v[28:29], v28
	s_add_i32 s17, s14, s12
	v_fma_f64 v[2:3], -v[14:15], v[30:31], v[2:3]
	v_mov_b32_e32 v30, s17
	s_add_i32 s17, s14, s13
	v_fma_f64 v[2:3], -v[18:19], v[32:33], v[2:3]
	v_mov_b32_e32 v32, s17
	s_add_i32 s17, s14, s15
	s_waitcnt lgkmcnt(0)
	v_fma_f64 v[2:3], -v[20:21], v[26:27], v[2:3]
	v_mov_b32_e32 v26, s17
	s_add_i32 s17, s14, s16
	ds_read_b64 v[30:31], v30
	ds_read_b64 v[32:33], v32
	v_fma_f64 v[2:3], -v[24:25], v[28:29], v[2:3]
	v_mov_b32_e32 v28, s17
	s_lshl_b32 s17, s2, 7
	s_add_i32 s14, s14, s17
	v_mov_b32_e32 v34, s14
	ds_read_b64 v[26:27], v26
	ds_read_b64 v[28:29], v28
	;; [unrolled: 1-line block ×3, first 2 shown]
	s_waitcnt lgkmcnt(0)
	v_fma_f64 v[2:3], -v[22:23], v[30:31], v[2:3]
	v_fma_f64 v[2:3], -v[16:17], v[32:33], v[2:3]
	;; [unrolled: 1-line block ×3, first 2 shown]
	v_lshl_add_u64 v[26:27], s[2:3], 3, v[12:13]
	s_add_i32 s2, s0, -11
	v_fma_f64 v[2:3], -v[4:5], v[28:29], v[2:3]
	s_lshl_b32 s14, s2, 3
	v_mul_f64 v[2:3], v[2:3], v[34:35]
	s_add_i32 s1, s14, s1
	flat_store_dwordx2 v[26:27], v[2:3]
	v_mov_b32_e32 v26, s1
	s_add_i32 s1, s14, s6
	v_mov_b32_e32 v28, s1
	s_add_i32 s1, s14, s7
	;; [unrolled: 2-line block ×3, first 2 shown]
	v_mov_b32_e32 v32, s1
	ds_read_b64 v[26:27], v26
	ds_read_b64 v[28:29], v28
	;; [unrolled: 1-line block ×4, first 2 shown]
	s_add_i32 s1, s14, s10
	s_waitcnt lgkmcnt(0)
	v_fma_f64 v[0:1], -v[6:7], v[26:27], v[0:1]
	v_mov_b32_e32 v6, s1
	s_add_i32 s1, s14, s11
	v_fma_f64 v[0:1], -v[10:11], v[28:29], v[0:1]
	v_mov_b32_e32 v10, s1
	s_add_i32 s1, s14, s12
	v_fma_f64 v[0:1], -v[14:15], v[30:31], v[0:1]
	v_mov_b32_e32 v14, s1
	ds_read_b64 v[6:7], v6
	ds_read_b64 v[10:11], v10
	;; [unrolled: 1-line block ×3, first 2 shown]
	s_add_i32 s1, s14, s13
	v_fma_f64 v[0:1], -v[18:19], v[32:33], v[0:1]
	v_mov_b32_e32 v18, s1
	s_add_i32 s1, s14, s15
	s_waitcnt lgkmcnt(0)
	v_fma_f64 v[0:1], -v[20:21], v[6:7], v[0:1]
	v_mov_b32_e32 v6, s1
	s_add_i32 s1, s14, s16
	ds_read_b64 v[18:19], v18
	v_fma_f64 v[0:1], -v[24:25], v[10:11], v[0:1]
	v_mov_b32_e32 v10, s1
	s_add_i32 s1, s14, s17
	v_fma_f64 v[0:1], -v[22:23], v[14:15], v[0:1]
	v_mov_b32_e32 v14, s1
	s_lshl_b32 s1, s2, 7
	s_add_i32 s1, s14, s1
	v_mov_b32_e32 v20, s1
	ds_read_b64 v[6:7], v6
	ds_read_b64 v[10:11], v10
	;; [unrolled: 1-line block ×4, first 2 shown]
	s_waitcnt lgkmcnt(0)
	v_fma_f64 v[0:1], -v[16:17], v[18:19], v[0:1]
	v_fma_f64 v[0:1], -v[8:9], v[6:7], v[0:1]
	;; [unrolled: 1-line block ×4, first 2 shown]
	v_mul_f64 v[0:1], v[0:1], v[20:21]
	v_lshl_add_u64 v[2:3], s[2:3], 3, v[12:13]
	s_add_i32 s0, s0, -12
	flat_store_dwordx2 v[2:3], v[0:1]
.LBB83_34:
	s_cmp_lt_i32 s0, 0
	s_cbranch_scc1 .LBB83_51
; %bb.35:
	s_and_b32 s1, s0, 3
	s_cmp_eq_u32 s1, 3
	s_mov_b32 s2, s0
	s_cbranch_scc1 .LBB83_40
; %bb.36:
	s_lshl_b32 s2, s22, 7
	s_lshl_b32 s3, s0, 3
	s_add_i32 s1, s0, 1
	s_add_i32 s2, s2, s3
	s_and_b32 s1, s1, 3
	s_add_i32 s9, s2, 0xffffff80
	s_mov_b32 s7, 0
	s_mov_b32 s2, s0
	;; [unrolled: 1-line block ×3, first 2 shown]
	s_branch .LBB83_38
.LBB83_37:                              ;   in Loop: Header=BB83_38 Depth=1
	s_mul_i32 s3, s2, 0x88
	v_mov_b32_e32 v4, s3
	ds_read_b64 v[4:5], v4
	s_add_i32 s2, s2, -1
	s_add_i32 s10, s10, 1
	s_add_i32 s9, s9, -8
	s_cmp_lg_u32 s10, s1
	s_waitcnt lgkmcnt(0)
	v_mul_f64 v[2:3], v[2:3], v[4:5]
	flat_store_dwordx2 v[0:1], v[2:3]
	s_cbranch_scc0 .LBB83_40
.LBB83_38:                              ; =>This Loop Header: Depth=1
                                        ;     Child Loop BB83_39 Depth 2
	s_mov_b32 s3, s7
	v_lshl_add_u64 v[0:1], s[2:3], 3, v[12:13]
	flat_load_dwordx2 v[2:3], v[0:1]
	s_cmp_le_i32 s8, s2
	s_mov_b32 s3, s9
	s_mov_b32 s6, s8
	s_waitcnt vmcnt(0) lgkmcnt(0)
	v_mul_f64 v[2:3], s[4:5], v[2:3]
	s_cbranch_scc1 .LBB83_37
.LBB83_39:                              ;   Parent Loop BB83_38 Depth=1
                                        ; =>  This Inner Loop Header: Depth=2
	v_lshl_add_u64 v[4:5], s[6:7], 3, v[12:13]
	flat_load_dwordx2 v[4:5], v[4:5]
	v_mov_b32_e32 v6, s3
	ds_read_b64 v[6:7], v6
	s_add_i32 s6, s6, -1
	s_addk_i32 s3, 0xff80
	s_cmp_gt_i32 s6, s2
	s_waitcnt vmcnt(0) lgkmcnt(0)
	v_fma_f64 v[2:3], -v[4:5], v[6:7], v[2:3]
	s_cbranch_scc1 .LBB83_39
	s_branch .LBB83_37
.LBB83_40:
	s_cmp_lt_u32 s0, 3
	s_cbranch_scc1 .LBB83_51
; %bb.41:
	s_lshl_b32 s0, s22, 7
	s_lshl_b32 s1, s2, 3
	s_add_i32 s0, s0, s1
	s_add_i32 s9, s0, 0xffffff80
	;; [unrolled: 1-line block ×5, first 2 shown]
	s_mov_b32 s1, 0
	s_branch .LBB83_43
.LBB83_42:                              ;   in Loop: Header=BB83_43 Depth=1
	s_add_i32 s0, s3, 0xffffff78
	v_mov_b32_e32 v4, s0
	ds_read_b64 v[4:5], v4
	s_add_i32 s0, s2, -4
	s_sub_i32 s9, s9, 32
	s_sub_i32 s10, s10, 32
	;; [unrolled: 1-line block ×4, first 2 shown]
	s_waitcnt lgkmcnt(0)
	v_mul_f64 v[2:3], v[2:3], v[4:5]
	s_cmp_lt_i32 s2, 4
	s_mov_b32 s2, s0
	flat_store_dwordx2 v[0:1], v[2:3]
	s_cbranch_scc1 .LBB83_51
.LBB83_43:                              ; =>This Loop Header: Depth=1
                                        ;     Child Loop BB83_44 Depth 2
                                        ;     Child Loop BB83_46 Depth 2
	;; [unrolled: 1-line block ×4, first 2 shown]
	s_mov_b32 s3, s1
	v_lshl_add_u64 v[2:3], s[2:3], 3, v[12:13]
	flat_load_dwordx2 v[0:1], v[2:3]
	s_cmp_le_i32 s8, s2
	s_mov_b32 s3, s9
	s_mov_b32 s0, s8
	s_waitcnt vmcnt(0) lgkmcnt(0)
	v_mul_f64 v[4:5], s[4:5], v[0:1]
	s_cbranch_scc1 .LBB83_45
.LBB83_44:                              ;   Parent Loop BB83_43 Depth=1
                                        ; =>  This Inner Loop Header: Depth=2
	v_lshl_add_u64 v[0:1], s[0:1], 3, v[12:13]
	flat_load_dwordx2 v[0:1], v[0:1]
	v_mov_b32_e32 v6, s3
	ds_read_b64 v[6:7], v6
	s_add_i32 s0, s0, -1
	s_addk_i32 s3, 0xff80
	s_cmp_gt_i32 s0, s2
	s_waitcnt vmcnt(0) lgkmcnt(0)
	v_fma_f64 v[4:5], -v[0:1], v[6:7], v[4:5]
	s_cbranch_scc1 .LBB83_44
.LBB83_45:                              ;   in Loop: Header=BB83_43 Depth=1
	s_add_i32 s0, s2, -1
	v_lshl_add_u64 v[0:1], s[0:1], 3, v[12:13]
	flat_load_dwordx2 v[6:7], v[0:1]
	s_mul_i32 s3, s2, 0x88
	v_mov_b32_e32 v8, s3
	ds_read_b64 v[8:9], v8
	s_mov_b32 s6, s10
	s_cmp_le_i32 s22, s2
	s_mov_b32 s0, s22
	s_waitcnt lgkmcnt(0)
	v_mul_f64 v[4:5], v[4:5], v[8:9]
	flat_store_dwordx2 v[2:3], v[4:5]
	s_waitcnt vmcnt(0)
	v_mul_f64 v[4:5], s[4:5], v[6:7]
	s_cbranch_scc1 .LBB83_47
.LBB83_46:                              ;   Parent Loop BB83_43 Depth=1
                                        ; =>  This Inner Loop Header: Depth=2
	s_add_i32 s0, s0, -1
	v_lshl_add_u64 v[2:3], s[0:1], 3, v[12:13]
	flat_load_dwordx2 v[2:3], v[2:3]
	v_mov_b32_e32 v6, s6
	ds_read_b64 v[6:7], v6
	s_addk_i32 s6, 0xff80
	s_cmp_gt_i32 s0, s2
	s_waitcnt vmcnt(0) lgkmcnt(0)
	v_fma_f64 v[4:5], -v[2:3], v[6:7], v[4:5]
	s_cbranch_scc1 .LBB83_46
.LBB83_47:                              ;   in Loop: Header=BB83_43 Depth=1
	s_add_i32 s6, s2, -2
	s_mov_b32 s7, s1
	v_lshl_add_u64 v[2:3], s[6:7], 3, v[12:13]
	flat_load_dwordx2 v[6:7], v[2:3]
	s_addk_i32 s3, 0xff78
	v_mov_b32_e32 v8, s3
	ds_read_b64 v[8:9], v8
	s_mov_b32 s7, s11
	s_cmp_le_i32 s8, s6
	s_mov_b32 s0, s8
	s_waitcnt lgkmcnt(0)
	v_mul_f64 v[4:5], v[4:5], v[8:9]
	flat_store_dwordx2 v[0:1], v[4:5]
	s_waitcnt vmcnt(0)
	v_mul_f64 v[4:5], s[4:5], v[6:7]
	s_cbranch_scc1 .LBB83_49
.LBB83_48:                              ;   Parent Loop BB83_43 Depth=1
                                        ; =>  This Inner Loop Header: Depth=2
	v_lshl_add_u64 v[0:1], s[0:1], 3, v[12:13]
	flat_load_dwordx2 v[0:1], v[0:1]
	v_mov_b32_e32 v6, s7
	ds_read_b64 v[6:7], v6
	s_add_i32 s0, s0, -1
	s_addk_i32 s7, 0xff80
	s_cmp_gt_i32 s0, s6
	s_waitcnt vmcnt(0) lgkmcnt(0)
	v_fma_f64 v[4:5], -v[0:1], v[6:7], v[4:5]
	s_cbranch_scc1 .LBB83_48
.LBB83_49:                              ;   in Loop: Header=BB83_43 Depth=1
	s_add_i32 s6, s2, -3
	s_mov_b32 s7, s1
	v_lshl_add_u64 v[0:1], s[6:7], 3, v[12:13]
	flat_load_dwordx2 v[6:7], v[0:1]
	s_addk_i32 s3, 0xff78
	v_mov_b32_e32 v8, s3
	ds_read_b64 v[8:9], v8
	s_mov_b32 s7, s12
	s_cmp_le_i32 s8, s6
	s_mov_b32 s0, s8
	s_waitcnt lgkmcnt(0)
	v_mul_f64 v[4:5], v[4:5], v[8:9]
	flat_store_dwordx2 v[2:3], v[4:5]
	s_waitcnt vmcnt(0)
	v_mul_f64 v[2:3], s[4:5], v[6:7]
	s_cbranch_scc1 .LBB83_42
.LBB83_50:                              ;   Parent Loop BB83_43 Depth=1
                                        ; =>  This Inner Loop Header: Depth=2
	v_lshl_add_u64 v[4:5], s[0:1], 3, v[12:13]
	flat_load_dwordx2 v[4:5], v[4:5]
	v_mov_b32_e32 v6, s7
	ds_read_b64 v[6:7], v6
	s_add_i32 s0, s0, -1
	s_addk_i32 s7, 0xff80
	s_cmp_gt_i32 s0, s6
	s_waitcnt vmcnt(0) lgkmcnt(0)
	v_fma_f64 v[2:3], -v[4:5], v[6:7], v[2:3]
	s_cbranch_scc1 .LBB83_50
	s_branch .LBB83_42
.LBB83_51:
	s_endpgm
	.section	.rodata,"a",@progbits
	.p2align	6, 0x0
	.amdhsa_kernel _ZL30rocblas_trsm_small_left_deviceILi16ELi16ELb0EddPKPKdPKPdEv13rocblas_fill_18rocblas_operation_17rocblas_diagonal_iiT3_T4_lilT5_lili
		.amdhsa_group_segment_fixed_size 2048
		.amdhsa_private_segment_fixed_size 0
		.amdhsa_kernarg_size 360
		.amdhsa_user_sgpr_count 2
		.amdhsa_user_sgpr_dispatch_ptr 0
		.amdhsa_user_sgpr_queue_ptr 0
		.amdhsa_user_sgpr_kernarg_segment_ptr 1
		.amdhsa_user_sgpr_dispatch_id 0
		.amdhsa_user_sgpr_kernarg_preload_length 0
		.amdhsa_user_sgpr_kernarg_preload_offset 0
		.amdhsa_user_sgpr_private_segment_size 0
		.amdhsa_uses_dynamic_stack 0
		.amdhsa_enable_private_segment 0
		.amdhsa_system_sgpr_workgroup_id_x 1
		.amdhsa_system_sgpr_workgroup_id_y 0
		.amdhsa_system_sgpr_workgroup_id_z 1
		.amdhsa_system_sgpr_workgroup_info 0
		.amdhsa_system_vgpr_workitem_id 0
		.amdhsa_next_free_vgpr 92
		.amdhsa_next_free_sgpr 26
		.amdhsa_accum_offset 92
		.amdhsa_reserve_vcc 1
		.amdhsa_float_round_mode_32 0
		.amdhsa_float_round_mode_16_64 0
		.amdhsa_float_denorm_mode_32 3
		.amdhsa_float_denorm_mode_16_64 3
		.amdhsa_dx10_clamp 1
		.amdhsa_ieee_mode 1
		.amdhsa_fp16_overflow 0
		.amdhsa_tg_split 0
		.amdhsa_exception_fp_ieee_invalid_op 0
		.amdhsa_exception_fp_denorm_src 0
		.amdhsa_exception_fp_ieee_div_zero 0
		.amdhsa_exception_fp_ieee_overflow 0
		.amdhsa_exception_fp_ieee_underflow 0
		.amdhsa_exception_fp_ieee_inexact 0
		.amdhsa_exception_int_div_zero 0
	.end_amdhsa_kernel
	.section	.text._ZL30rocblas_trsm_small_left_deviceILi16ELi16ELb0EddPKPKdPKPdEv13rocblas_fill_18rocblas_operation_17rocblas_diagonal_iiT3_T4_lilT5_lili,"axG",@progbits,_ZL30rocblas_trsm_small_left_deviceILi16ELi16ELb0EddPKPKdPKPdEv13rocblas_fill_18rocblas_operation_17rocblas_diagonal_iiT3_T4_lilT5_lili,comdat
.Lfunc_end83:
	.size	_ZL30rocblas_trsm_small_left_deviceILi16ELi16ELb0EddPKPKdPKPdEv13rocblas_fill_18rocblas_operation_17rocblas_diagonal_iiT3_T4_lilT5_lili, .Lfunc_end83-_ZL30rocblas_trsm_small_left_deviceILi16ELi16ELb0EddPKPKdPKPdEv13rocblas_fill_18rocblas_operation_17rocblas_diagonal_iiT3_T4_lilT5_lili
                                        ; -- End function
	.set _ZL30rocblas_trsm_small_left_deviceILi16ELi16ELb0EddPKPKdPKPdEv13rocblas_fill_18rocblas_operation_17rocblas_diagonal_iiT3_T4_lilT5_lili.num_vgpr, 92
	.set _ZL30rocblas_trsm_small_left_deviceILi16ELi16ELb0EddPKPKdPKPdEv13rocblas_fill_18rocblas_operation_17rocblas_diagonal_iiT3_T4_lilT5_lili.num_agpr, 0
	.set _ZL30rocblas_trsm_small_left_deviceILi16ELi16ELb0EddPKPKdPKPdEv13rocblas_fill_18rocblas_operation_17rocblas_diagonal_iiT3_T4_lilT5_lili.numbered_sgpr, 26
	.set _ZL30rocblas_trsm_small_left_deviceILi16ELi16ELb0EddPKPKdPKPdEv13rocblas_fill_18rocblas_operation_17rocblas_diagonal_iiT3_T4_lilT5_lili.num_named_barrier, 0
	.set _ZL30rocblas_trsm_small_left_deviceILi16ELi16ELb0EddPKPKdPKPdEv13rocblas_fill_18rocblas_operation_17rocblas_diagonal_iiT3_T4_lilT5_lili.private_seg_size, 0
	.set _ZL30rocblas_trsm_small_left_deviceILi16ELi16ELb0EddPKPKdPKPdEv13rocblas_fill_18rocblas_operation_17rocblas_diagonal_iiT3_T4_lilT5_lili.uses_vcc, 1
	.set _ZL30rocblas_trsm_small_left_deviceILi16ELi16ELb0EddPKPKdPKPdEv13rocblas_fill_18rocblas_operation_17rocblas_diagonal_iiT3_T4_lilT5_lili.uses_flat_scratch, 0
	.set _ZL30rocblas_trsm_small_left_deviceILi16ELi16ELb0EddPKPKdPKPdEv13rocblas_fill_18rocblas_operation_17rocblas_diagonal_iiT3_T4_lilT5_lili.has_dyn_sized_stack, 0
	.set _ZL30rocblas_trsm_small_left_deviceILi16ELi16ELb0EddPKPKdPKPdEv13rocblas_fill_18rocblas_operation_17rocblas_diagonal_iiT3_T4_lilT5_lili.has_recursion, 0
	.set _ZL30rocblas_trsm_small_left_deviceILi16ELi16ELb0EddPKPKdPKPdEv13rocblas_fill_18rocblas_operation_17rocblas_diagonal_iiT3_T4_lilT5_lili.has_indirect_call, 0
	.section	.AMDGPU.csdata,"",@progbits
; Kernel info:
; codeLenInByte = 11048
; TotalNumSgprs: 32
; NumVgprs: 92
; NumAgprs: 0
; TotalNumVgprs: 92
; ScratchSize: 0
; MemoryBound: 0
; FloatMode: 240
; IeeeMode: 1
; LDSByteSize: 2048 bytes/workgroup (compile time only)
; SGPRBlocks: 3
; VGPRBlocks: 11
; NumSGPRsForWavesPerEU: 32
; NumVGPRsForWavesPerEU: 92
; AccumOffset: 92
; Occupancy: 5
; WaveLimiterHint : 1
; COMPUTE_PGM_RSRC2:SCRATCH_EN: 0
; COMPUTE_PGM_RSRC2:USER_SGPR: 2
; COMPUTE_PGM_RSRC2:TRAP_HANDLER: 0
; COMPUTE_PGM_RSRC2:TGID_X_EN: 1
; COMPUTE_PGM_RSRC2:TGID_Y_EN: 0
; COMPUTE_PGM_RSRC2:TGID_Z_EN: 1
; COMPUTE_PGM_RSRC2:TIDIG_COMP_CNT: 0
; COMPUTE_PGM_RSRC3_GFX90A:ACCUM_OFFSET: 22
; COMPUTE_PGM_RSRC3_GFX90A:TG_SPLIT: 0
	.section	.text._ZL38rocblas_trsm_small_left_device_sharedBILi16ELi16ELb1EddPKPKdPKPdEv13rocblas_fill_18rocblas_operation_17rocblas_diagonal_iiT3_T4_lilT5_lili,"axG",@progbits,_ZL38rocblas_trsm_small_left_device_sharedBILi16ELi16ELb1EddPKPKdPKPdEv13rocblas_fill_18rocblas_operation_17rocblas_diagonal_iiT3_T4_lilT5_lili,comdat
	.globl	_ZL38rocblas_trsm_small_left_device_sharedBILi16ELi16ELb1EddPKPKdPKPdEv13rocblas_fill_18rocblas_operation_17rocblas_diagonal_iiT3_T4_lilT5_lili ; -- Begin function _ZL38rocblas_trsm_small_left_device_sharedBILi16ELi16ELb1EddPKPKdPKPdEv13rocblas_fill_18rocblas_operation_17rocblas_diagonal_iiT3_T4_lilT5_lili
	.p2align	8
	.type	_ZL38rocblas_trsm_small_left_device_sharedBILi16ELi16ELb1EddPKPKdPKPdEv13rocblas_fill_18rocblas_operation_17rocblas_diagonal_iiT3_T4_lilT5_lili,@function
_ZL38rocblas_trsm_small_left_device_sharedBILi16ELi16ELb1EddPKPKdPKPdEv13rocblas_fill_18rocblas_operation_17rocblas_diagonal_iiT3_T4_lilT5_lili: ; @_ZL38rocblas_trsm_small_left_device_sharedBILi16ELi16ELb1EddPKPKdPKPdEv13rocblas_fill_18rocblas_operation_17rocblas_diagonal_iiT3_T4_lilT5_lili
; %bb.0:
	s_load_dwordx2 s[18:19], s[0:1], 0x28
	s_load_dwordx4 s[12:15], s[0:1], 0x40
	s_load_dwordx4 s[4:7], s[0:1], 0x4
	;; [unrolled: 1-line block ×3, first 2 shown]
	s_mov_b32 s16, s3
	s_mov_b32 s17, 0
	s_lshl_b64 s[20:21], s[16:17], 3
	s_waitcnt lgkmcnt(0)
	s_add_u32 s12, s12, s20
	s_addc_u32 s13, s13, s21
	s_load_dwordx2 s[12:13], s[12:13], 0x0
	s_min_i32 s22, s6, 16
	v_cmp_gt_i32_e32 vcc, s22, v0
	s_and_saveexec_b64 s[16:17], vcc
	s_cbranch_execz .LBB84_6
; %bb.1:
	s_load_dword s24, s[0:1], 0x30
	v_lshlrev_b32_e32 v2, 3, v0
	v_mov_b32_e32 v3, 0
	v_mov_b32_e32 v1, v2
	s_mov_b32 s3, s22
	s_waitcnt lgkmcnt(0)
	s_ashr_i32 s25, s24, 31
	s_add_u32 s10, s10, s20
	s_addc_u32 s11, s11, s21
	s_load_dwordx2 s[10:11], s[10:11], 0x0
	s_lshl_b64 s[18:19], s[18:19], 3
	s_waitcnt lgkmcnt(0)
	s_add_u32 s18, s10, s18
	s_addc_u32 s19, s11, s19
	s_lshl_b64 s[10:11], s[24:25], 3
	v_lshl_add_u64 v[4:5], s[18:19], 0, v[2:3]
.LBB84_2:                               ; =>This Inner Loop Header: Depth=1
	flat_load_dwordx2 v[6:7], v[4:5]
	s_add_i32 s3, s3, -1
	v_lshl_add_u64 v[4:5], v[4:5], 0, s[10:11]
	s_cmp_eq_u32 s3, 0
	s_waitcnt vmcnt(0) lgkmcnt(0)
	ds_write_b64 v1, v[6:7]
	v_add_u32_e32 v1, 0x80, v1
	s_cbranch_scc0 .LBB84_2
; %bb.3:
	v_lshlrev_b32_e32 v1, 7, v0
	s_cmpk_lg_i32 s5, 0x84
	v_mov_b64_e32 v[4:5], 1.0
	v_add_u32_e32 v1, v2, v1
	s_cbranch_scc0 .LBB84_5
; %bb.4:
	ds_read_b64 v[2:3], v1
	s_waitcnt lgkmcnt(0)
	v_div_scale_f64 v[4:5], s[10:11], v[2:3], v[2:3], 1.0
	v_rcp_f64_e32 v[6:7], v[4:5]
	v_div_scale_f64 v[8:9], vcc, 1.0, v[2:3], 1.0
	v_fma_f64 v[10:11], -v[4:5], v[6:7], 1.0
	v_fmac_f64_e32 v[6:7], v[6:7], v[10:11]
	v_fma_f64 v[10:11], -v[4:5], v[6:7], 1.0
	v_fmac_f64_e32 v[6:7], v[6:7], v[10:11]
	v_mul_f64 v[10:11], v[8:9], v[6:7]
	v_fma_f64 v[4:5], -v[4:5], v[10:11], v[8:9]
	v_div_fmas_f64 v[4:5], v[4:5], v[6:7], v[10:11]
	v_div_fixup_f64 v[4:5], v[4:5], v[2:3], 1.0
.LBB84_5:
	ds_write_b64 v1, v[4:5]
.LBB84_6:
	s_or_b64 exec, exec, s[16:17]
	s_load_dword s3, s[0:1], 0x68
	s_load_dword s16, s[0:1], 0x50
	s_lshl_b64 s[0:1], s[14:15], 3
	s_waitcnt lgkmcnt(0)
	s_add_u32 s5, s12, s0
	s_addc_u32 s10, s13, s1
	s_lshl_b32 s0, s2, 4
	s_add_i32 s3, s3, -1
	s_sub_i32 s1, s7, s0
	s_cmp_ge_u32 s2, s3
	s_cselect_b32 s7, s1, 16
	s_mul_hi_i32 s1, s16, s0
	s_mul_i32 s0, s16, s0
	s_lshl_b64 s[0:1], s[0:1], 3
	s_add_u32 s2, s5, s0
	s_addc_u32 s3, s10, s1
	s_cmp_gt_i32 s6, 0
	v_cmp_gt_i32_e64 s[0:1], s7, v0
	s_cselect_b64 s[10:11], -1, 0
	s_and_b64 s[14:15], s[0:1], s[10:11]
	s_and_saveexec_b64 s[12:13], s[14:15]
	s_cbranch_execz .LBB84_9
; %bb.7:
	v_mad_i64_i32 v[2:3], s[14:15], s16, v0, 0
	v_mov_b32_e32 v1, 0x800
	v_lshl_add_u64 v[2:3], v[2:3], 3, s[2:3]
	v_lshl_or_b32 v1, v0, 3, v1
	s_mov_b32 s5, s22
.LBB84_8:                               ; =>This Inner Loop Header: Depth=1
	flat_load_dwordx2 v[4:5], v[2:3]
	s_add_i32 s5, s5, -1
	v_lshl_add_u64 v[2:3], v[2:3], 0, 8
	s_cmp_lg_u32 s5, 0
	s_waitcnt vmcnt(0) lgkmcnt(0)
	v_mul_f64 v[4:5], s[8:9], v[4:5]
	ds_write_b64 v1, v[4:5]
	v_add_u32_e32 v1, 0x80, v1
	s_cbranch_scc1 .LBB84_8
.LBB84_9:
	s_or_b64 exec, exec, s[12:13]
	v_mov_b32_e32 v1, 0x800
	s_cmpk_eq_i32 s4, 0x6f
	v_lshl_or_b32 v1, v0, 3, v1
	s_mov_b64 s[4:5], -1
	s_waitcnt lgkmcnt(0)
	; wave barrier
	s_cbranch_scc1 .LBB84_36
; %bb.10:
	s_add_i32 s4, s22, -1
	s_cmp_gt_i32 s6, 15
	s_mov_b32 s5, -1
	s_cbranch_scc0 .LBB84_12
; %bb.11:
	v_mov_b32_e32 v34, 0
	ds_read2_b64 v[16:19], v1 offset0:224 offset1:240
	ds_read2_b64 v[20:23], v1 offset0:192 offset1:208
	;; [unrolled: 1-line block ×7, first 2 shown]
	ds_read_b128 v[44:47], v34 offset:1904
	ds_read2_b64 v[6:9], v1 offset0:32 offset1:48
	ds_read2_b64 v[2:5], v1 offset1:16
	ds_read2_b64 v[48:51], v34 offset0:221 offset1:222
	s_waitcnt lgkmcnt(5)
	v_mul_f64 v[14:15], v[18:19], v[42:43]
	s_waitcnt lgkmcnt(3)
	v_fma_f64 v[16:17], -v[14:15], v[46:47], v[16:17]
	v_mul_f64 v[16:17], v[16:17], v[44:45]
	ds_read_b128 v[42:45], v34 offset:1648
	v_fma_f64 v[18:19], -v[14:15], v[40:41], v[22:23]
	s_waitcnt lgkmcnt(1)
	v_fma_f64 v[18:19], -v[16:17], v[50:51], v[18:19]
	ds_read_b128 v[50:53], v34 offset:1632
	v_mul_f64 v[18:19], v[18:19], v[48:49]
	s_waitcnt lgkmcnt(1)
	v_fma_f64 v[20:21], -v[14:15], v[44:45], v[20:21]
	v_fma_f64 v[20:21], -v[16:17], v[42:43], v[20:21]
	ds_read2_b64 v[40:43], v34 offset0:159 offset1:191
	s_waitcnt lgkmcnt(1)
	v_fma_f64 v[20:21], -v[18:19], v[52:53], v[20:21]
	ds_read2_b64 v[44:47], v34 offset0:189 offset1:190
	v_mul_f64 v[20:21], v[20:21], v[50:51]
	ds_write2_b64 v1, v[16:17], v[14:15] offset0:224 offset1:240
	ds_write2_b64 v1, v[20:21], v[18:19] offset0:192 offset1:208
	ds_read2_b64 v[48:51], v34 offset0:187 offset1:188
	ds_read_b128 v[52:55], v34 offset:1376
	ds_read_b128 v[56:59], v34 offset:1392
	s_waitcnt lgkmcnt(6)
	v_fma_f64 v[22:23], -v[14:15], v[42:43], v[26:27]
	s_waitcnt lgkmcnt(5)
	v_fma_f64 v[22:23], -v[16:17], v[46:47], v[22:23]
	v_fma_f64 v[22:23], -v[18:19], v[44:45], v[22:23]
	ds_read_b128 v[42:45], v34 offset:1360
	s_waitcnt lgkmcnt(1)
	v_fma_f64 v[24:25], -v[14:15], v[58:59], v[24:25]
	v_fma_f64 v[24:25], -v[16:17], v[56:57], v[24:25]
	;; [unrolled: 1-line block ×4, first 2 shown]
	v_mul_f64 v[22:23], v[22:23], v[48:49]
	v_fma_f64 v[24:25], -v[20:21], v[52:53], v[24:25]
	ds_read2_b64 v[46:49], v34 offset0:157 offset1:158
	s_waitcnt lgkmcnt(1)
	v_fma_f64 v[24:25], -v[22:23], v[44:45], v[24:25]
	v_mul_f64 v[24:25], v[24:25], v[42:43]
	ds_read2_b64 v[42:45], v34 offset0:155 offset1:156
	v_fma_f64 v[26:27], -v[14:15], v[40:41], v[30:31]
	ds_read2_b64 v[30:33], v34 offset0:153 offset1:154
	s_waitcnt lgkmcnt(2)
	v_fma_f64 v[26:27], -v[16:17], v[48:49], v[26:27]
	v_fma_f64 v[26:27], -v[18:19], v[46:47], v[26:27]
	s_waitcnt lgkmcnt(1)
	v_fma_f64 v[26:27], -v[20:21], v[44:45], v[26:27]
	ds_read_b128 v[44:47], v34 offset:1136
	v_fma_f64 v[26:27], -v[22:23], v[42:43], v[26:27]
	s_waitcnt lgkmcnt(1)
	v_fma_f64 v[26:27], -v[24:25], v[32:33], v[26:27]
	v_mul_f64 v[26:27], v[26:27], v[30:31]
	ds_read_b128 v[30:33], v34 offset:1120
	ds_read_b128 v[40:43], v34 offset:1104
	s_waitcnt lgkmcnt(2)
	v_fma_f64 v[28:29], -v[14:15], v[46:47], v[28:29]
	v_fma_f64 v[28:29], -v[16:17], v[44:45], v[28:29]
	ds_read_b128 v[44:47], v34 offset:1088
	s_waitcnt lgkmcnt(2)
	v_fma_f64 v[28:29], -v[18:19], v[32:33], v[28:29]
	v_fma_f64 v[28:29], -v[20:21], v[30:31], v[28:29]
	ds_write2_b64 v1, v[24:25], v[22:23] offset0:160 offset1:176
	s_waitcnt lgkmcnt(2)
	v_fma_f64 v[28:29], -v[22:23], v[42:43], v[28:29]
	v_fma_f64 v[28:29], -v[24:25], v[40:41], v[28:29]
	ds_read2_b64 v[40:43], v34 offset0:95 offset1:127
	ds_read2_b64 v[30:33], v34 offset0:125 offset1:126
	s_waitcnt lgkmcnt(3)
	v_fma_f64 v[28:29], -v[26:27], v[46:47], v[28:29]
	v_mul_f64 v[28:29], v[28:29], v[44:45]
	ds_read2_b64 v[44:47], v34 offset0:123 offset1:124
	s_waitcnt lgkmcnt(2)
	v_fma_f64 v[38:39], -v[14:15], v[42:43], v[38:39]
	s_waitcnt lgkmcnt(1)
	v_fma_f64 v[32:33], -v[16:17], v[32:33], v[38:39]
	ds_read2_b64 v[48:51], v34 offset0:121 offset1:122
	v_fma_f64 v[30:31], -v[18:19], v[30:31], v[32:33]
	s_waitcnt lgkmcnt(1)
	v_fma_f64 v[38:39], -v[20:21], v[46:47], v[30:31]
	ds_read2_b64 v[30:33], v34 offset0:119 offset1:120
	v_fma_f64 v[38:39], -v[22:23], v[44:45], v[38:39]
	ds_read_b128 v[42:45], v34 offset:880
	s_waitcnt lgkmcnt(2)
	v_fma_f64 v[38:39], -v[24:25], v[50:51], v[38:39]
	v_fma_f64 v[38:39], -v[26:27], v[48:49], v[38:39]
	ds_read_b128 v[46:49], v34 offset:864
	ds_write2_b64 v1, v[28:29], v[26:27] offset0:128 offset1:144
	s_waitcnt lgkmcnt(3)
	v_fma_f64 v[32:33], -v[28:29], v[32:33], v[38:39]
	v_mul_f64 v[30:31], v[32:33], v[30:31]
	s_waitcnt lgkmcnt(2)
	v_fma_f64 v[32:33], -v[14:15], v[44:45], v[36:37]
	ds_read_b128 v[36:39], v34 offset:832
	ds_read_b128 v[50:53], v34 offset:848
	v_fma_f64 v[32:33], -v[16:17], v[42:43], v[32:33]
	s_waitcnt lgkmcnt(3)
	v_fma_f64 v[32:33], -v[18:19], v[48:49], v[32:33]
	v_fma_f64 v[32:33], -v[20:21], v[46:47], v[32:33]
	ds_read_b128 v[42:45], v34 offset:816
	s_waitcnt lgkmcnt(1)
	v_fma_f64 v[32:33], -v[22:23], v[52:53], v[32:33]
	v_fma_f64 v[32:33], -v[24:25], v[50:51], v[32:33]
	;; [unrolled: 1-line block ×4, first 2 shown]
	ds_read2_b64 v[36:39], v34 offset0:93 offset1:94
	s_waitcnt lgkmcnt(1)
	v_fma_f64 v[32:33], -v[30:31], v[44:45], v[32:33]
	v_mul_f64 v[32:33], v[32:33], v[42:43]
	ds_read2_b64 v[42:45], v34 offset0:91 offset1:92
	v_fma_f64 v[12:13], -v[14:15], v[40:41], v[12:13]
	s_waitcnt lgkmcnt(1)
	v_fma_f64 v[12:13], -v[16:17], v[38:39], v[12:13]
	ds_read2_b64 v[38:41], v34 offset0:89 offset1:90
	v_fma_f64 v[12:13], -v[18:19], v[36:37], v[12:13]
	s_waitcnt lgkmcnt(1)
	v_fma_f64 v[12:13], -v[20:21], v[44:45], v[12:13]
	;; [unrolled: 4-line block ×4, first 2 shown]
	ds_read_b128 v[36:39], v34 offset:624
	v_fma_f64 v[12:13], -v[30:31], v[44:45], v[12:13]
	s_waitcnt lgkmcnt(1)
	v_fma_f64 v[12:13], -v[32:33], v[42:43], v[12:13]
	ds_read_b128 v[42:45], v34 offset:608
	v_mul_f64 v[12:13], v[12:13], v[40:41]
	s_waitcnt lgkmcnt(1)
	v_fma_f64 v[10:11], -v[14:15], v[38:39], v[10:11]
	ds_read_b128 v[38:41], v34 offset:592
	v_fma_f64 v[10:11], -v[16:17], v[36:37], v[10:11]
	s_waitcnt lgkmcnt(1)
	v_fma_f64 v[10:11], -v[18:19], v[44:45], v[10:11]
	v_fma_f64 v[10:11], -v[20:21], v[42:43], v[10:11]
	ds_read_b128 v[42:45], v34 offset:576
	ds_write2_b64 v1, v[32:33], v[30:31] offset0:96 offset1:112
	ds_read_b128 v[46:49], v34 offset:544
	ds_read_b128 v[50:53], v34 offset:560
	s_waitcnt lgkmcnt(4)
	v_fma_f64 v[10:11], -v[22:23], v[40:41], v[10:11]
	v_fma_f64 v[10:11], -v[24:25], v[38:39], v[10:11]
	s_waitcnt lgkmcnt(3)
	v_fma_f64 v[10:11], -v[26:27], v[44:45], v[10:11]
	v_fma_f64 v[10:11], -v[28:29], v[42:43], v[10:11]
	ds_read2_b64 v[36:39], v34 offset0:31 offset1:63
	s_waitcnt lgkmcnt(1)
	v_fma_f64 v[10:11], -v[30:31], v[52:53], v[10:11]
	ds_read2_b64 v[40:43], v34 offset0:61 offset1:62
	v_fma_f64 v[10:11], -v[32:33], v[50:51], v[10:11]
	v_fma_f64 v[10:11], -v[12:13], v[48:49], v[10:11]
	v_mul_f64 v[50:51], v[10:11], v[46:47]
	ds_read2_b64 v[44:47], v34 offset0:59 offset1:60
	s_waitcnt lgkmcnt(2)
	v_fma_f64 v[8:9], -v[14:15], v[38:39], v[8:9]
	s_waitcnt lgkmcnt(1)
	v_fma_f64 v[38:39], -v[16:17], v[42:43], v[8:9]
	ds_read2_b64 v[8:11], v34 offset0:57 offset1:58
	v_fma_f64 v[38:39], -v[18:19], v[40:41], v[38:39]
	s_waitcnt lgkmcnt(1)
	v_fma_f64 v[42:43], -v[20:21], v[46:47], v[38:39]
	ds_read2_b64 v[38:41], v34 offset0:55 offset1:56
	;; [unrolled: 4-line block ×4, first 2 shown]
	v_fma_f64 v[38:39], -v[30:31], v[38:39], v[40:41]
	s_waitcnt lgkmcnt(1)
	v_fma_f64 v[44:45], -v[32:33], v[44:45], v[38:39]
	ds_read_b128 v[38:41], v34 offset:368
	v_fma_f64 v[42:43], -v[12:13], v[42:43], v[44:45]
	s_waitcnt lgkmcnt(1)
	v_fma_f64 v[10:11], -v[50:51], v[10:11], v[42:43]
	ds_read_b128 v[42:45], v34 offset:352
	v_mul_f64 v[52:53], v[10:11], v[8:9]
	s_waitcnt lgkmcnt(1)
	v_fma_f64 v[10:11], -v[14:15], v[40:41], v[6:7]
	ds_read_b128 v[6:9], v34 offset:336
	v_fma_f64 v[10:11], -v[16:17], v[38:39], v[10:11]
	s_waitcnt lgkmcnt(1)
	v_fma_f64 v[10:11], -v[18:19], v[44:45], v[10:11]
	ds_read_b128 v[38:41], v34 offset:320
	ds_write2_b64 v1, v[50:51], v[12:13] offset0:64 offset1:80
	v_fma_f64 v[10:11], -v[20:21], v[42:43], v[10:11]
	s_waitcnt lgkmcnt(2)
	v_fma_f64 v[46:47], -v[22:23], v[8:9], v[10:11]
	ds_read_b128 v[8:11], v34 offset:288
	ds_read_b128 v[42:45], v34 offset:304
	v_fma_f64 v[6:7], -v[24:25], v[6:7], v[46:47]
	s_waitcnt lgkmcnt(3)
	v_fma_f64 v[6:7], -v[26:27], v[40:41], v[6:7]
	v_fma_f64 v[6:7], -v[28:29], v[38:39], v[6:7]
	ds_read_b128 v[46:49], v34 offset:272
	s_waitcnt lgkmcnt(1)
	v_fma_f64 v[6:7], -v[30:31], v[44:45], v[6:7]
	v_fma_f64 v[6:7], -v[32:33], v[42:43], v[6:7]
	;; [unrolled: 1-line block ×4, first 2 shown]
	ds_read2_b64 v[6:9], v34 offset0:29 offset1:30
	ds_read2_b64 v[38:41], v34 offset0:27 offset1:28
	s_waitcnt lgkmcnt(2)
	v_fma_f64 v[10:11], -v[52:53], v[48:49], v[10:11]
	v_fma_f64 v[4:5], -v[14:15], v[36:37], v[4:5]
	v_mul_f64 v[42:43], v[10:11], v[46:47]
	s_waitcnt lgkmcnt(1)
	v_fma_f64 v[4:5], -v[16:17], v[8:9], v[4:5]
	ds_read2_b64 v[8:11], v34 offset0:25 offset1:26
	v_fma_f64 v[4:5], -v[18:19], v[6:7], v[4:5]
	s_waitcnt lgkmcnt(1)
	v_fma_f64 v[36:37], -v[20:21], v[40:41], v[4:5]
	ds_read2_b64 v[4:7], v34 offset0:23 offset1:24
	v_fma_f64 v[36:37], -v[22:23], v[38:39], v[36:37]
	s_waitcnt lgkmcnt(1)
	v_fma_f64 v[10:11], -v[24:25], v[10:11], v[36:37]
	ds_read2_b64 v[36:39], v34 offset0:21 offset1:22
	v_fma_f64 v[8:9], -v[26:27], v[8:9], v[10:11]
	s_waitcnt lgkmcnt(1)
	v_fma_f64 v[10:11], -v[28:29], v[6:7], v[8:9]
	ds_read2_b64 v[6:9], v34 offset0:19 offset1:20
	v_fma_f64 v[4:5], -v[30:31], v[4:5], v[10:11]
	s_waitcnt lgkmcnt(1)
	v_fma_f64 v[4:5], -v[32:33], v[38:39], v[4:5]
	ds_read2_b64 v[38:41], v34 offset0:17 offset1:18
	v_fma_f64 v[4:5], -v[12:13], v[36:37], v[4:5]
	s_waitcnt lgkmcnt(1)
	v_fma_f64 v[4:5], -v[50:51], v[8:9], v[4:5]
	ds_read_b128 v[8:11], v34 offset:112
	v_fma_f64 v[4:5], -v[52:53], v[6:7], v[4:5]
	s_waitcnt lgkmcnt(1)
	v_fma_f64 v[36:37], -v[42:43], v[40:41], v[4:5]
	ds_read_b128 v[4:7], v34 offset:96
	v_mul_f64 v[40:41], v[36:37], v[38:39]
	ds_read_b128 v[36:39], v34 offset:80
	s_waitcnt lgkmcnt(2)
	v_fma_f64 v[2:3], -v[14:15], v[10:11], v[2:3]
	v_fma_f64 v[2:3], -v[16:17], v[8:9], v[2:3]
	s_waitcnt lgkmcnt(1)
	v_fma_f64 v[2:3], -v[18:19], v[6:7], v[2:3]
	v_fma_f64 v[6:7], -v[20:21], v[4:5], v[2:3]
	ds_read_b128 v[2:5], v34 offset:64
	ds_write2_b64 v1, v[42:43], v[52:53] offset0:32 offset1:48
	s_waitcnt lgkmcnt(2)
	v_fma_f64 v[6:7], -v[22:23], v[38:39], v[6:7]
	v_fma_f64 v[10:11], -v[24:25], v[36:37], v[6:7]
	ds_read_b128 v[6:9], v34 offset:32
	ds_read_b128 v[14:17], v34 offset:48
	s_waitcnt lgkmcnt(3)
	v_fma_f64 v[4:5], -v[26:27], v[4:5], v[10:11]
	v_fma_f64 v[10:11], -v[28:29], v[2:3], v[4:5]
	ds_read_b128 v[2:5], v34
	ds_read_b128 v[18:21], v34 offset:16
	s_waitcnt lgkmcnt(2)
	v_fma_f64 v[10:11], -v[30:31], v[16:17], v[10:11]
	v_fma_f64 v[10:11], -v[32:33], v[14:15], v[10:11]
	;; [unrolled: 1-line block ×4, first 2 shown]
	s_waitcnt lgkmcnt(0)
	v_fma_f64 v[6:7], -v[52:53], v[20:21], v[6:7]
	v_fma_f64 v[6:7], -v[42:43], v[18:19], v[6:7]
	;; [unrolled: 1-line block ×3, first 2 shown]
	v_mul_f64 v[2:3], v[4:5], v[2:3]
	ds_write2_b64 v1, v[2:3], v[40:41] offset1:16
	s_cmp_gt_i32 s5, -1
	s_cbranch_scc1 .LBB84_13
	s_branch .LBB84_35
.LBB84_12:
	s_mov_b32 s5, s4
	s_cmp_gt_i32 s5, -1
	s_cbranch_scc0 .LBB84_35
.LBB84_13:
	s_cmp_lt_u32 s5, 11
	s_cbranch_scc1 .LBB84_18
; %bb.14:
	s_lshl_b32 s7, s5, 7
	v_add_u32_e32 v26, s7, v1
	v_add_u32_e32 v2, 0xffffff80, v26
	v_add_u32_e32 v3, 0xffffff00, v26
	v_add_u32_e32 v4, 0xfffffe80, v26
	ds_read_b64 v[8:9], v26
	ds_read_b64 v[12:13], v2
	ds_read_b64 v[14:15], v3
	ds_read_b64 v[18:19], v4
	v_add_u32_e32 v2, 0xfffffe00, v26
	v_add_u32_e32 v3, 0xfffffd80, v26
	v_add_u32_e32 v4, 0xfffffd00, v26
	v_add_u32_e32 v5, 0xfffffc80, v26
	ds_read_b64 v[20:21], v2
	ds_read_b64 v[24:25], v3
	ds_read_b64 v[22:23], v4
	ds_read_b64 v[16:17], v5
	;; [unrolled: 8-line block ×3, first 2 shown]
	s_cmp_le_i32 s4, s5
	s_cbranch_scc1 .LBB84_17
; %bb.15:
	v_lshlrev_b32_e32 v27, 3, v0
	s_lshl_b32 s8, s22, 3
	v_lshl_or_b32 v27, s22, 7, v27
	s_add_i32 s7, s7, s8
	v_add_u32_e32 v27, 0x780, v27
	s_addk_i32 s7, 0xfa78
	s_mov_b32 s8, s4
.LBB84_16:                              ; =>This Inner Loop Header: Depth=1
	v_mov_b32_e32 v48, s7
	ds_read_b64 v[52:53], v27
	ds_read2_b64 v[28:31], v48 offset0:160 offset1:176
	ds_read2_b64 v[32:35], v48 offset0:128 offset1:144
	;; [unrolled: 1-line block ×5, first 2 shown]
	ds_read2_b64 v[48:51], v48 offset1:16
	s_add_i32 s8, s8, -1
	s_add_i32 s7, s7, -8
	v_add_u32_e32 v27, 0xffffff80, v27
	s_cmp_gt_i32 s8, s5
	s_waitcnt lgkmcnt(5)
	v_fma_f64 v[8:9], -v[52:53], v[30:31], v[8:9]
	v_fma_f64 v[12:13], -v[52:53], v[28:29], v[12:13]
	s_waitcnt lgkmcnt(4)
	v_fma_f64 v[14:15], -v[52:53], v[34:35], v[14:15]
	v_fma_f64 v[18:19], -v[52:53], v[32:33], v[18:19]
	;; [unrolled: 3-line block ×6, first 2 shown]
	s_cbranch_scc1 .LBB84_16
.LBB84_17:
	s_mul_i32 s7, s5, 0x88
	v_mov_b32_e32 v27, s7
	s_add_i32 s7, s5, -1
	s_lshl_b32 s8, s7, 7
	s_lshl_b32 s7, s7, 3
	s_add_i32 s7, s8, s7
	ds_read_b64 v[32:33], v27
	v_mov_b32_e32 v27, s7
	ds_read2_b64 v[28:31], v27 offset1:1
	s_add_i32 s9, s5, -2
	s_lshl_b32 s12, s9, 7
	s_lshl_b32 s7, s5, 3
	;; [unrolled: 1-line block ×3, first 2 shown]
	s_waitcnt lgkmcnt(1)
	v_mul_f64 v[8:9], v[8:9], v[32:33]
	s_add_i32 s13, s12, s7
	s_add_i32 s9, s12, s9
	ds_write_b64 v26, v[8:9]
	s_waitcnt lgkmcnt(1)
	v_fma_f64 v[12:13], -v[8:9], v[30:31], v[12:13]
	v_mov_b32_e32 v26, s13
	v_mov_b32_e32 v30, s9
	ds_read_b64 v[26:27], v26
	ds_read2_b64 v[30:33], v30 offset1:1
	v_mul_f64 v[12:13], v[12:13], v[28:29]
	v_add_u32_e32 v28, s8, v1
	s_add_i32 s8, s5, -3
	s_lshl_b32 s9, s8, 7
	s_add_i32 s13, s9, s7
	s_add_i32 s13, s13, -8
	s_waitcnt lgkmcnt(1)
	v_fma_f64 v[14:15], -v[8:9], v[26:27], v[14:15]
	v_mov_b32_e32 v26, s13
	ds_write_b64 v28, v[12:13]
	ds_read2_b64 v[26:29], v26 offset1:1
	s_lshl_b32 s8, s8, 3
	s_waitcnt lgkmcnt(2)
	v_fma_f64 v[14:15], -v[12:13], v[32:33], v[14:15]
	s_add_i32 s8, s9, s8
	v_mul_f64 v[14:15], v[14:15], v[30:31]
	v_mov_b32_e32 v30, s8
	ds_read2_b64 v[30:33], v30 offset1:1
	s_add_i32 s8, s5, -4
	v_add_u32_e32 v34, s12, v1
	s_lshl_b32 s12, s8, 7
	s_waitcnt lgkmcnt(1)
	v_fma_f64 v[18:19], -v[8:9], v[28:29], v[18:19]
	s_add_i32 s13, s12, s7
	v_fma_f64 v[18:19], -v[12:13], v[26:27], v[18:19]
	v_mov_b32_e32 v26, s13
	s_add_i32 s13, s13, -16
	ds_write_b64 v34, v[14:15]
	v_mov_b32_e32 v27, s13
	s_waitcnt lgkmcnt(1)
	v_fma_f64 v[18:19], -v[14:15], v[32:33], v[18:19]
	ds_read_b64 v[32:33], v26
	ds_read2_b64 v[26:29], v27 offset1:1
	s_lshl_b32 s8, s8, 3
	s_add_i32 s8, s12, s8
	v_mul_f64 v[18:19], v[18:19], v[30:31]
	s_waitcnt lgkmcnt(1)
	v_fma_f64 v[20:21], -v[8:9], v[32:33], v[20:21]
	s_waitcnt lgkmcnt(0)
	v_fma_f64 v[20:21], -v[12:13], v[28:29], v[20:21]
	v_fma_f64 v[20:21], -v[14:15], v[26:27], v[20:21]
	v_mov_b32_e32 v26, s8
	ds_read2_b64 v[26:29], v26 offset1:1
	s_add_i32 s8, s5, -5
	v_add_u32_e32 v30, s9, v1
	s_lshl_b32 s9, s8, 7
	s_add_i32 s13, s9, s7
	s_add_i32 s14, s13, -8
	ds_write_b64 v30, v[18:19]
	v_mov_b32_e32 v30, s14
	ds_read2_b64 v[30:33], v30 offset1:1
	s_waitcnt lgkmcnt(2)
	v_fma_f64 v[20:21], -v[18:19], v[28:29], v[20:21]
	v_mul_f64 v[20:21], v[20:21], v[26:27]
	v_add_u32_e32 v26, s12, v1
	s_sub_i32 s12, s13, 24
	ds_write_b64 v26, v[20:21]
	v_mov_b32_e32 v26, s12
	ds_read2_b64 v[26:29], v26 offset1:1
	s_lshl_b32 s8, s8, 3
	s_add_i32 s8, s9, s8
	s_waitcnt lgkmcnt(2)
	v_fma_f64 v[24:25], -v[8:9], v[32:33], v[24:25]
	v_mov_b32_e32 v34, s8
	v_fma_f64 v[24:25], -v[12:13], v[30:31], v[24:25]
	ds_read2_b64 v[34:37], v34 offset1:1
	s_waitcnt lgkmcnt(1)
	v_fma_f64 v[24:25], -v[14:15], v[28:29], v[24:25]
	s_add_i32 s8, s5, -6
	v_fma_f64 v[24:25], -v[18:19], v[26:27], v[24:25]
	v_add_u32_e32 v26, s9, v1
	s_lshl_b32 s9, s8, 7
	s_add_i32 s12, s9, s7
	v_mov_b32_e32 v27, s12
	ds_read_b64 v[30:31], v27
	s_waitcnt lgkmcnt(1)
	v_fma_f64 v[24:25], -v[20:21], v[36:37], v[24:25]
	s_lshl_b32 s8, s8, 3
	v_mul_f64 v[24:25], v[24:25], v[34:35]
	s_add_i32 s13, s12, -16
	s_add_i32 s8, s9, s8
	ds_write_b64 v26, v[24:25]
	v_mov_b32_e32 v26, s13
	v_mov_b32_e32 v34, s8
	s_sub_i32 s12, s12, 32
	ds_read2_b64 v[34:37], v34 offset1:1
	ds_read2_b64 v[26:29], v26 offset1:1
	s_waitcnt lgkmcnt(3)
	v_fma_f64 v[22:23], -v[8:9], v[30:31], v[22:23]
	v_mov_b32_e32 v30, s12
	ds_read2_b64 v[30:33], v30 offset1:1
	s_add_i32 s8, s5, -7
	s_waitcnt lgkmcnt(1)
	v_fma_f64 v[22:23], -v[12:13], v[28:29], v[22:23]
	v_fma_f64 v[22:23], -v[14:15], v[26:27], v[22:23]
	s_waitcnt lgkmcnt(0)
	v_fma_f64 v[22:23], -v[18:19], v[32:33], v[22:23]
	v_fma_f64 v[22:23], -v[20:21], v[30:31], v[22:23]
	v_add_u32_e32 v30, s9, v1
	s_lshl_b32 s9, s8, 7
	s_add_i32 s12, s9, s7
	s_add_i32 s13, s12, -8
	v_mov_b32_e32 v26, s13
	ds_read2_b64 v[26:29], v26 offset1:1
	v_fma_f64 v[22:23], -v[24:25], v[36:37], v[22:23]
	v_mul_f64 v[22:23], v[22:23], v[34:35]
	s_sub_i32 s13, s12, 24
	ds_write_b64 v30, v[22:23]
	v_mov_b32_e32 v30, s13
	ds_read2_b64 v[30:33], v30 offset1:1
	s_waitcnt lgkmcnt(2)
	v_fma_f64 v[16:17], -v[8:9], v[28:29], v[16:17]
	s_sub_i32 s12, s12, 40
	v_fma_f64 v[16:17], -v[12:13], v[26:27], v[16:17]
	v_mov_b32_e32 v26, s12
	ds_read2_b64 v[26:29], v26 offset1:1
	s_lshl_b32 s8, s8, 3
	s_add_i32 s8, s9, s8
	v_mov_b32_e32 v34, s8
	s_waitcnt lgkmcnt(1)
	v_fma_f64 v[16:17], -v[14:15], v[32:33], v[16:17]
	ds_read2_b64 v[34:37], v34 offset1:1
	v_fma_f64 v[16:17], -v[18:19], v[30:31], v[16:17]
	s_waitcnt lgkmcnt(1)
	v_fma_f64 v[16:17], -v[20:21], v[28:29], v[16:17]
	s_add_i32 s8, s5, -8
	v_fma_f64 v[16:17], -v[24:25], v[26:27], v[16:17]
	v_add_u32_e32 v26, s9, v1
	s_lshl_b32 s9, s8, 7
	s_add_i32 s12, s9, s7
	v_mov_b32_e32 v27, s12
	s_waitcnt lgkmcnt(0)
	v_fma_f64 v[16:17], -v[22:23], v[36:37], v[16:17]
	ds_read_b64 v[30:31], v27
	v_mul_f64 v[16:17], v[16:17], v[34:35]
	s_add_i32 s13, s12, -16
	ds_write_b64 v26, v[16:17]
	v_mov_b32_e32 v26, s13
	ds_read2_b64 v[26:29], v26 offset1:1
	s_sub_i32 s13, s12, 32
	s_waitcnt lgkmcnt(2)
	v_fma_f64 v[10:11], -v[8:9], v[30:31], v[10:11]
	v_mov_b32_e32 v30, s13
	ds_read2_b64 v[30:33], v30 offset1:1
	s_sub_i32 s12, s12, 48
	v_mov_b32_e32 v34, s12
	s_lshl_b32 s8, s8, 3
	ds_read2_b64 v[34:37], v34 offset1:1
	s_waitcnt lgkmcnt(2)
	v_fma_f64 v[10:11], -v[12:13], v[28:29], v[10:11]
	s_add_i32 s8, s9, s8
	v_fma_f64 v[10:11], -v[14:15], v[26:27], v[10:11]
	v_mov_b32_e32 v26, s8
	ds_read2_b64 v[26:29], v26 offset1:1
	s_waitcnt lgkmcnt(2)
	v_fma_f64 v[10:11], -v[18:19], v[32:33], v[10:11]
	s_add_i32 s8, s5, -9
	v_fma_f64 v[10:11], -v[20:21], v[30:31], v[10:11]
	s_lshl_b32 s12, s8, 7
	s_waitcnt lgkmcnt(1)
	v_fma_f64 v[10:11], -v[24:25], v[36:37], v[10:11]
	s_add_i32 s13, s12, s7
	v_fma_f64 v[10:11], -v[22:23], v[34:35], v[10:11]
	s_add_i32 s14, s13, -8
	v_mov_b32_e32 v30, s14
	s_waitcnt lgkmcnt(0)
	v_fma_f64 v[10:11], -v[16:17], v[28:29], v[10:11]
	ds_read2_b64 v[30:33], v30 offset1:1
	v_mul_f64 v[38:39], v[10:11], v[26:27]
	v_add_u32_e32 v10, s9, v1
	s_sub_i32 s9, s13, 24
	ds_write_b64 v10, v[38:39]
	v_mov_b32_e32 v10, s9
	ds_read2_b64 v[26:29], v10 offset1:1
	s_sub_i32 s9, s13, 40
	s_waitcnt lgkmcnt(2)
	v_fma_f64 v[6:7], -v[8:9], v[32:33], v[6:7]
	v_mov_b32_e32 v10, s9
	v_fma_f64 v[6:7], -v[12:13], v[30:31], v[6:7]
	ds_read2_b64 v[30:33], v10 offset1:1
	s_sub_i32 s9, s13, 56
	s_waitcnt lgkmcnt(1)
	v_fma_f64 v[6:7], -v[14:15], v[28:29], v[6:7]
	v_mov_b32_e32 v10, s9
	v_fma_f64 v[6:7], -v[18:19], v[26:27], v[6:7]
	ds_read2_b64 v[26:29], v10 offset1:1
	s_lshl_b32 s8, s8, 3
	s_add_i32 s8, s12, s8
	v_mov_b32_e32 v10, s8
	s_add_i32 s8, s5, -10
	s_waitcnt lgkmcnt(1)
	v_fma_f64 v[6:7], -v[20:21], v[32:33], v[6:7]
	s_lshl_b32 s9, s8, 7
	v_fma_f64 v[6:7], -v[24:25], v[30:31], v[6:7]
	s_add_i32 s13, s9, s7
	ds_read2_b64 v[34:37], v10 offset1:1
	s_waitcnt lgkmcnt(1)
	v_fma_f64 v[6:7], -v[22:23], v[28:29], v[6:7]
	s_add_i32 s14, s13, -16
	v_fma_f64 v[6:7], -v[16:17], v[26:27], v[6:7]
	v_mov_b32_e32 v10, s13
	v_mov_b32_e32 v26, s14
	ds_read_b64 v[10:11], v10
	ds_read2_b64 v[26:29], v26 offset1:1
	s_waitcnt lgkmcnt(2)
	v_fma_f64 v[6:7], -v[38:39], v[36:37], v[6:7]
	v_mul_f64 v[34:35], v[6:7], v[34:35]
	v_add_u32_e32 v6, s12, v1
	s_waitcnt lgkmcnt(1)
	v_fma_f64 v[4:5], -v[8:9], v[10:11], v[4:5]
	s_sub_i32 s12, s13, 32
	s_waitcnt lgkmcnt(0)
	v_fma_f64 v[10:11], -v[12:13], v[28:29], v[4:5]
	v_mov_b32_e32 v4, s12
	ds_write_b64 v6, v[34:35]
	ds_read2_b64 v[4:7], v4 offset1:1
	s_sub_i32 s12, s13, 48
	v_fma_f64 v[10:11], -v[14:15], v[26:27], v[10:11]
	v_mov_b32_e32 v26, s12
	ds_read2_b64 v[26:29], v26 offset1:1
	s_waitcnt lgkmcnt(1)
	v_fma_f64 v[6:7], -v[18:19], v[6:7], v[10:11]
	s_sub_i32 s12, s13, 64
	v_fma_f64 v[10:11], -v[20:21], v[4:5], v[6:7]
	v_mov_b32_e32 v4, s12
	s_lshl_b32 s8, s8, 3
	ds_read2_b64 v[4:7], v4 offset1:1
	s_add_i32 s8, s9, s8
	v_mov_b32_e32 v30, s8
	ds_read2_b64 v[30:33], v30 offset1:1
	s_waitcnt lgkmcnt(2)
	v_fma_f64 v[10:11], -v[24:25], v[28:29], v[10:11]
	v_fma_f64 v[10:11], -v[22:23], v[26:27], v[10:11]
	s_add_i32 s8, s5, -11
	s_waitcnt lgkmcnt(1)
	v_fma_f64 v[6:7], -v[16:17], v[6:7], v[10:11]
	s_lshl_b32 s12, s8, 7
	v_fma_f64 v[4:5], -v[38:39], v[4:5], v[6:7]
	s_add_i32 s7, s12, s7
	s_waitcnt lgkmcnt(0)
	v_fma_f64 v[4:5], -v[34:35], v[32:33], v[4:5]
	s_add_i32 s13, s7, -8
	v_mul_f64 v[30:31], v[4:5], v[30:31]
	v_mov_b32_e32 v4, s13
	ds_read2_b64 v[4:7], v4 offset1:1
	s_sub_i32 s13, s7, 24
	v_mov_b32_e32 v10, s13
	ds_read2_b64 v[26:29], v10 offset1:1
	v_add_u32_e32 v10, s9, v1
	s_waitcnt lgkmcnt(1)
	v_fma_f64 v[2:3], -v[8:9], v[6:7], v[2:3]
	v_fma_f64 v[2:3], -v[12:13], v[4:5], v[2:3]
	s_sub_i32 s9, s7, 40
	s_waitcnt lgkmcnt(0)
	v_fma_f64 v[6:7], -v[14:15], v[28:29], v[2:3]
	v_mov_b32_e32 v2, s9
	ds_read2_b64 v[2:5], v2 offset1:1
	s_sub_i32 s9, s7, 56
	ds_write_b64 v10, v[30:31]
	v_fma_f64 v[10:11], -v[18:19], v[26:27], v[6:7]
	v_mov_b32_e32 v6, s9
	ds_read2_b64 v[6:9], v6 offset1:1
	s_waitcnt lgkmcnt(2)
	v_fma_f64 v[4:5], -v[20:21], v[4:5], v[10:11]
	s_addk_i32 s7, 0xffb8
	v_fma_f64 v[14:15], -v[24:25], v[2:3], v[4:5]
	v_mov_b32_e32 v2, s7
	s_lshl_b32 s7, s8, 3
	ds_read2_b64 v[2:5], v2 offset1:1
	s_add_i32 s7, s12, s7
	v_mov_b32_e32 v10, s7
	ds_read2_b64 v[10:13], v10 offset1:1
	s_waitcnt lgkmcnt(2)
	v_fma_f64 v[8:9], -v[22:23], v[8:9], v[14:15]
	v_fma_f64 v[6:7], -v[16:17], v[6:7], v[8:9]
	s_waitcnt lgkmcnt(1)
	v_fma_f64 v[4:5], -v[38:39], v[4:5], v[6:7]
	v_fma_f64 v[2:3], -v[34:35], v[2:3], v[4:5]
	s_waitcnt lgkmcnt(0)
	v_fma_f64 v[2:3], -v[30:31], v[12:13], v[2:3]
	v_mul_f64 v[2:3], v[2:3], v[10:11]
	v_add_u32_e32 v4, s12, v1
	s_add_i32 s5, s5, -12
	ds_write_b64 v4, v[2:3]
.LBB84_18:
	s_cmp_lt_i32 s5, 0
	s_cbranch_scc1 .LBB84_35
; %bb.19:
	s_and_b32 s7, s5, 3
	s_cmp_eq_u32 s7, 3
	v_lshlrev_b32_e32 v4, 3, v0
	s_mov_b32 s7, s5
	s_cbranch_scc1 .LBB84_24
; %bb.20:
	s_add_i32 s7, s5, 1
	s_and_b32 s8, s7, 3
	s_lshl_b32 s7, s5, 7
	s_lshl_b32 s9, s22, 3
	s_add_i32 s7, s7, s9
	v_lshl_or_b32 v2, s22, 7, v4
	s_add_i32 s9, s7, -8
	v_add_u32_e32 v5, 0x780, v2
	s_mov_b32 s12, 0
	s_mov_b32 s7, s5
	s_branch .LBB84_22
.LBB84_21:                              ;   in Loop: Header=BB84_22 Depth=1
	s_mul_i32 s13, s7, 0x88
	v_mov_b32_e32 v7, s13
	ds_read_b64 v[8:9], v7
	s_add_i32 s7, s7, -1
	s_add_i32 s12, s12, 1
	s_addk_i32 s9, 0xff80
	s_cmp_lg_u32 s12, s8
	s_waitcnt lgkmcnt(0)
	v_mul_f64 v[2:3], v[2:3], v[8:9]
	ds_write_b64 v6, v[2:3]
	s_cbranch_scc0 .LBB84_24
.LBB84_22:                              ; =>This Loop Header: Depth=1
                                        ;     Child Loop BB84_23 Depth 2
	s_lshl_b32 s13, s7, 7
	v_add_u32_e32 v6, s13, v1
	ds_read_b64 v[2:3], v6
	s_cmp_le_i32 s4, s7
	v_mov_b32_e32 v7, v5
	s_mov_b32 s13, s9
	s_mov_b32 s14, s4
	s_cbranch_scc1 .LBB84_21
.LBB84_23:                              ;   Parent Loop BB84_22 Depth=1
                                        ; =>  This Inner Loop Header: Depth=2
	v_mov_b32_e32 v10, s13
	ds_read_b64 v[8:9], v7
	ds_read_b64 v[10:11], v10
	s_add_i32 s14, s14, -1
	s_add_i32 s13, s13, -8
	v_add_u32_e32 v7, 0xffffff80, v7
	s_cmp_gt_i32 s14, s7
	s_waitcnt lgkmcnt(0)
	v_fma_f64 v[2:3], -v[8:9], v[10:11], v[2:3]
	s_cbranch_scc1 .LBB84_23
	s_branch .LBB84_21
.LBB84_24:
	s_cmp_lt_u32 s5, 3
	s_cbranch_scc1 .LBB84_35
; %bb.25:
	s_lshl_b32 s5, s7, 7
	s_lshl_b32 s8, s22, 3
	s_add_i32 s12, s5, s8
	v_lshl_or_b32 v2, s22, 7, v4
	s_add_i32 s5, s12, -8
	v_add_u32_e32 v6, 0x780, v2
	s_add_i32 s8, s12, 0xffffff78
	s_add_i32 s9, s12, 0xfffffef8
	s_addk_i32 s12, 0xfe78
	s_branch .LBB84_27
.LBB84_26:                              ;   in Loop: Header=BB84_27 Depth=1
	s_addk_i32 s13, 0xff78
	v_mov_b32_e32 v2, s13
	ds_read_b64 v[2:3], v2
	s_add_i32 s13, s7, -4
	s_addk_i32 s5, 0xfe00
	s_addk_i32 s8, 0xfe00
	;; [unrolled: 1-line block ×4, first 2 shown]
	s_waitcnt lgkmcnt(0)
	v_mul_f64 v[2:3], v[4:5], v[2:3]
	s_cmp_lt_i32 s7, 4
	s_mov_b32 s7, s13
	ds_write_b64 v8, v[2:3]
	s_cbranch_scc1 .LBB84_35
.LBB84_27:                              ; =>This Loop Header: Depth=1
                                        ;     Child Loop BB84_28 Depth 2
                                        ;     Child Loop BB84_30 Depth 2
                                        ;     Child Loop BB84_32 Depth 2
                                        ;     Child Loop BB84_34 Depth 2
	s_lshl_b32 s14, s7, 7
	v_add_u32_e32 v7, s14, v1
	ds_read_b64 v[2:3], v7
	s_cmp_le_i32 s4, s7
	v_mov_b32_e32 v4, v6
	s_mov_b32 s13, s5
	s_mov_b32 s15, s4
	s_cbranch_scc1 .LBB84_29
.LBB84_28:                              ;   Parent Loop BB84_27 Depth=1
                                        ; =>  This Inner Loop Header: Depth=2
	v_mov_b32_e32 v5, s13
	ds_read_b64 v[8:9], v4
	ds_read_b64 v[10:11], v5
	s_add_i32 s15, s15, -1
	s_add_i32 s13, s13, -8
	v_add_u32_e32 v4, 0xffffff80, v4
	s_cmp_gt_i32 s15, s7
	s_waitcnt lgkmcnt(0)
	v_fma_f64 v[2:3], -v[8:9], v[10:11], v[2:3]
	s_cbranch_scc1 .LBB84_28
.LBB84_29:                              ;   in Loop: Header=BB84_27 Depth=1
	s_mul_i32 s13, s7, 0x88
	v_mov_b32_e32 v4, s13
	ds_read_b64 v[10:11], v4
	s_addk_i32 s14, 0xff80
	v_add_u32_e32 v8, s14, v1
	ds_read_b64 v[4:5], v8
	s_cmp_le_i32 s22, s7
	s_waitcnt lgkmcnt(1)
	v_mul_f64 v[2:3], v[2:3], v[10:11]
	ds_write_b64 v7, v[2:3]
	v_mov_b32_e32 v2, v6
	s_mov_b32 s14, s8
	s_mov_b32 s15, s22
	s_cbranch_scc1 .LBB84_31
.LBB84_30:                              ;   Parent Loop BB84_27 Depth=1
                                        ; =>  This Inner Loop Header: Depth=2
	v_mov_b32_e32 v3, s14
	ds_read_b64 v[10:11], v2
	ds_read_b64 v[12:13], v3
	s_add_i32 s15, s15, -1
	s_add_i32 s14, s14, -8
	v_add_u32_e32 v2, 0xffffff80, v2
	s_cmp_gt_i32 s15, s7
	s_waitcnt lgkmcnt(0)
	v_fma_f64 v[4:5], -v[10:11], v[12:13], v[4:5]
	s_cbranch_scc1 .LBB84_30
.LBB84_31:                              ;   in Loop: Header=BB84_27 Depth=1
	s_addk_i32 s13, 0xff78
	v_mov_b32_e32 v2, s13
	s_add_i32 s14, s7, -2
	ds_read_b64 v[10:11], v2
	s_lshl_b32 s15, s14, 7
	v_add_u32_e32 v7, s15, v1
	ds_read_b64 v[2:3], v7
	s_cmp_le_i32 s4, s14
	s_waitcnt lgkmcnt(1)
	v_mul_f64 v[4:5], v[4:5], v[10:11]
	ds_write_b64 v8, v[4:5]
	v_mov_b32_e32 v4, v6
	s_mov_b32 s15, s9
	s_mov_b32 s17, s4
	s_cbranch_scc1 .LBB84_33
.LBB84_32:                              ;   Parent Loop BB84_27 Depth=1
                                        ; =>  This Inner Loop Header: Depth=2
	v_mov_b32_e32 v5, s15
	ds_read_b64 v[8:9], v4
	ds_read_b64 v[10:11], v5
	s_add_i32 s17, s17, -1
	s_add_i32 s15, s15, -8
	v_add_u32_e32 v4, 0xffffff80, v4
	s_cmp_gt_i32 s17, s14
	s_waitcnt lgkmcnt(0)
	v_fma_f64 v[2:3], -v[8:9], v[10:11], v[2:3]
	s_cbranch_scc1 .LBB84_32
.LBB84_33:                              ;   in Loop: Header=BB84_27 Depth=1
	s_addk_i32 s13, 0xff78
	v_mov_b32_e32 v4, s13
	s_add_i32 s14, s7, -3
	ds_read_b64 v[10:11], v4
	s_lshl_b32 s15, s14, 7
	v_add_u32_e32 v8, s15, v1
	ds_read_b64 v[4:5], v8
	s_cmp_le_i32 s4, s14
	s_waitcnt lgkmcnt(1)
	v_mul_f64 v[2:3], v[2:3], v[10:11]
	ds_write_b64 v7, v[2:3]
	v_mov_b32_e32 v2, v6
	s_mov_b32 s15, s12
	s_mov_b32 s17, s4
	s_cbranch_scc1 .LBB84_26
.LBB84_34:                              ;   Parent Loop BB84_27 Depth=1
                                        ; =>  This Inner Loop Header: Depth=2
	v_mov_b32_e32 v3, s15
	ds_read_b64 v[10:11], v2
	ds_read_b64 v[12:13], v3
	s_add_i32 s17, s17, -1
	s_add_i32 s15, s15, -8
	v_add_u32_e32 v2, 0xffffff80, v2
	s_cmp_gt_i32 s17, s14
	s_waitcnt lgkmcnt(0)
	v_fma_f64 v[4:5], -v[10:11], v[12:13], v[4:5]
	s_cbranch_scc1 .LBB84_34
	s_branch .LBB84_26
.LBB84_35:
	s_mov_b64 s[4:5], 0
.LBB84_36:
	s_and_b64 vcc, exec, s[4:5]
	s_cbranch_vccz .LBB84_50
; %bb.37:
	s_cmp_gt_i32 s6, 15
	s_cselect_b64 s[4:5], -1, 0
	s_and_b64 vcc, exec, s[4:5]
	s_cbranch_vccz .LBB84_39
; %bb.38:
	v_mov_b32_e32 v52, 0
	ds_read2_b64 v[6:9], v1 offset1:16
	ds_read2_b64 v[10:13], v1 offset0:32 offset1:48
	ds_read2_b64 v[14:17], v1 offset0:64 offset1:80
	;; [unrolled: 1-line block ×7, first 2 shown]
	ds_read_b128 v[26:29], v52
	s_mov_b32 s6, 16
	s_waitcnt lgkmcnt(0)
	v_mul_f64 v[48:49], v[6:7], v[26:27]
	v_fma_f64 v[26:27], -v[48:49], v[28:29], v[8:9]
	ds_read2_b64 v[6:9], v52 offset0:17 offset1:18
	s_waitcnt lgkmcnt(0)
	v_mul_f64 v[28:29], v[26:27], v[6:7]
	ds_write2_b64 v1, v[48:49], v[28:29] offset1:16
	ds_read_b128 v[30:33], v52 offset:16
	ds_read_b128 v[38:41], v52 offset:32
	s_waitcnt lgkmcnt(1)
	v_fma_f64 v[6:7], -v[48:49], v[30:31], v[10:11]
	v_fma_f64 v[10:11], -v[28:29], v[8:9], v[6:7]
	ds_read_b128 v[6:9], v52 offset:272
	s_waitcnt lgkmcnt(0)
	v_mul_f64 v[30:31], v[10:11], v[6:7]
	v_fma_f64 v[6:7], -v[48:49], v[32:33], v[12:13]
	ds_read2_b64 v[10:13], v52 offset0:19 offset1:20
	s_waitcnt lgkmcnt(0)
	v_fma_f64 v[6:7], -v[28:29], v[10:11], v[6:7]
	v_fma_f64 v[10:11], -v[30:31], v[8:9], v[6:7]
	ds_read2_b64 v[6:9], v52 offset0:51 offset1:52
	s_waitcnt lgkmcnt(0)
	v_mul_f64 v[34:35], v[10:11], v[6:7]
	v_fma_f64 v[6:7], -v[48:49], v[38:39], v[14:15]
	v_fma_f64 v[6:7], -v[28:29], v[12:13], v[6:7]
	ds_read_b128 v[10:13], v52 offset:288
	ds_write2_b64 v1, v[30:31], v[34:35] offset0:32 offset1:48
	s_waitcnt lgkmcnt(1)
	v_fma_f64 v[6:7], -v[30:31], v[10:11], v[6:7]
	v_fma_f64 v[10:11], -v[34:35], v[8:9], v[6:7]
	ds_read_b128 v[6:9], v52 offset:544
	s_waitcnt lgkmcnt(0)
	v_mul_f64 v[38:39], v[10:11], v[6:7]
	v_fma_f64 v[6:7], -v[48:49], v[40:41], v[16:17]
	ds_read2_b64 v[14:17], v52 offset0:21 offset1:22
	s_waitcnt lgkmcnt(0)
	v_fma_f64 v[6:7], -v[28:29], v[14:15], v[6:7]
	v_fma_f64 v[6:7], -v[30:31], v[12:13], v[6:7]
	ds_read2_b64 v[10:13], v52 offset0:53 offset1:54
	s_waitcnt lgkmcnt(0)
	v_fma_f64 v[6:7], -v[34:35], v[10:11], v[6:7]
	v_fma_f64 v[10:11], -v[38:39], v[8:9], v[6:7]
	ds_read2_b64 v[6:9], v52 offset0:85 offset1:86
	s_waitcnt lgkmcnt(0)
	v_mul_f64 v[32:33], v[10:11], v[6:7]
	ds_write2_b64 v1, v[38:39], v[32:33] offset0:64 offset1:80
	ds_read_b128 v[40:43], v52 offset:48
	ds_read_b128 v[44:47], v52 offset:64
	s_waitcnt lgkmcnt(1)
	v_fma_f64 v[6:7], -v[48:49], v[40:41], v[18:19]
	v_fma_f64 v[6:7], -v[28:29], v[16:17], v[6:7]
	ds_read_b128 v[14:17], v52 offset:304
	s_waitcnt lgkmcnt(0)
	v_fma_f64 v[6:7], -v[30:31], v[14:15], v[6:7]
	v_fma_f64 v[6:7], -v[34:35], v[12:13], v[6:7]
	;; [unrolled: 4-line block ×3, first 2 shown]
	ds_read_b128 v[6:9], v52 offset:816
	s_waitcnt lgkmcnt(0)
	v_mul_f64 v[36:37], v[10:11], v[6:7]
	v_fma_f64 v[6:7], -v[48:49], v[42:43], v[20:21]
	ds_read2_b64 v[18:21], v52 offset0:23 offset1:24
	s_waitcnt lgkmcnt(0)
	v_fma_f64 v[6:7], -v[28:29], v[18:19], v[6:7]
	v_fma_f64 v[6:7], -v[30:31], v[16:17], v[6:7]
	ds_read2_b64 v[14:17], v52 offset0:55 offset1:56
	s_waitcnt lgkmcnt(0)
	v_fma_f64 v[6:7], -v[34:35], v[14:15], v[6:7]
	v_fma_f64 v[6:7], -v[38:39], v[12:13], v[6:7]
	ds_read2_b64 v[10:13], v52 offset0:87 offset1:88
	s_waitcnt lgkmcnt(0)
	v_fma_f64 v[6:7], -v[32:33], v[10:11], v[6:7]
	v_fma_f64 v[10:11], -v[36:37], v[8:9], v[6:7]
	ds_read2_b64 v[6:9], v52 offset0:119 offset1:120
	s_waitcnt lgkmcnt(0)
	v_mul_f64 v[40:41], v[10:11], v[6:7]
	v_fma_f64 v[6:7], -v[48:49], v[44:45], v[22:23]
	v_fma_f64 v[6:7], -v[28:29], v[20:21], v[6:7]
	ds_read_b128 v[18:21], v52 offset:320
	ds_write2_b64 v1, v[36:37], v[40:41] offset0:96 offset1:112
	s_waitcnt lgkmcnt(1)
	v_fma_f64 v[6:7], -v[30:31], v[18:19], v[6:7]
	v_fma_f64 v[6:7], -v[34:35], v[16:17], v[6:7]
	ds_read_b128 v[14:17], v52 offset:576
	s_waitcnt lgkmcnt(0)
	v_fma_f64 v[6:7], -v[38:39], v[14:15], v[6:7]
	v_fma_f64 v[6:7], -v[32:33], v[12:13], v[6:7]
	ds_read_b128 v[10:13], v52 offset:832
	;; [unrolled: 4-line block ×3, first 2 shown]
	s_waitcnt lgkmcnt(0)
	v_mul_f64 v[42:43], v[10:11], v[6:7]
	v_fma_f64 v[6:7], -v[48:49], v[46:47], v[24:25]
	ds_read2_b64 v[22:25], v52 offset0:25 offset1:26
	s_waitcnt lgkmcnt(0)
	v_fma_f64 v[6:7], -v[28:29], v[22:23], v[6:7]
	v_fma_f64 v[6:7], -v[30:31], v[20:21], v[6:7]
	ds_read2_b64 v[18:21], v52 offset0:57 offset1:58
	s_waitcnt lgkmcnt(0)
	v_fma_f64 v[6:7], -v[34:35], v[18:19], v[6:7]
	;; [unrolled: 4-line block ×4, first 2 shown]
	v_fma_f64 v[10:11], -v[42:43], v[8:9], v[6:7]
	ds_read2_b64 v[6:9], v52 offset0:153 offset1:154
	s_waitcnt lgkmcnt(0)
	v_mul_f64 v[44:45], v[10:11], v[6:7]
	ds_write2_b64 v1, v[42:43], v[44:45] offset0:128 offset1:144
	ds_read_b128 v[62:65], v52 offset:80
	ds_read_b128 v[66:69], v52 offset:96
	ds_read2_b64 v[70:73], v52 offset0:187 offset1:188
	s_waitcnt lgkmcnt(2)
	v_fma_f64 v[6:7], -v[48:49], v[62:63], v[54:55]
	v_fma_f64 v[6:7], -v[28:29], v[24:25], v[6:7]
	ds_read_b128 v[22:25], v52 offset:336
	s_waitcnt lgkmcnt(0)
	v_fma_f64 v[6:7], -v[30:31], v[22:23], v[6:7]
	v_fma_f64 v[6:7], -v[34:35], v[20:21], v[6:7]
	ds_read_b128 v[18:21], v52 offset:592
	;; [unrolled: 4-line block ×5, first 2 shown]
	s_waitcnt lgkmcnt(0)
	v_mul_f64 v[46:47], v[10:11], v[6:7]
	v_fma_f64 v[6:7], -v[48:49], v[64:65], v[56:57]
	ds_read2_b64 v[54:57], v52 offset0:27 offset1:28
	ds_read2_b64 v[62:65], v52 offset0:91 offset1:92
	s_waitcnt lgkmcnt(1)
	v_fma_f64 v[6:7], -v[28:29], v[54:55], v[6:7]
	v_fma_f64 v[6:7], -v[30:31], v[24:25], v[6:7]
	ds_read2_b64 v[22:25], v52 offset0:59 offset1:60
	s_waitcnt lgkmcnt(0)
	v_fma_f64 v[6:7], -v[34:35], v[22:23], v[6:7]
	v_fma_f64 v[6:7], -v[38:39], v[20:21], v[6:7]
	;; [unrolled: 1-line block ×4, first 2 shown]
	ds_read2_b64 v[14:17], v52 offset0:123 offset1:124
	ds_read_b128 v[20:23], v52 offset:352
	s_waitcnt lgkmcnt(1)
	v_fma_f64 v[6:7], -v[40:41], v[14:15], v[6:7]
	v_fma_f64 v[6:7], -v[42:43], v[12:13], v[6:7]
	ds_read2_b64 v[12:15], v52 offset0:155 offset1:156
	s_waitcnt lgkmcnt(0)
	v_fma_f64 v[6:7], -v[44:45], v[12:13], v[6:7]
	v_fma_f64 v[6:7], -v[46:47], v[8:9], v[6:7]
	v_mul_f64 v[50:51], v[6:7], v[70:71]
	v_fma_f64 v[6:7], -v[48:49], v[66:67], v[58:59]
	v_fma_f64 v[6:7], -v[28:29], v[56:57], v[6:7]
	;; [unrolled: 1-line block ×4, first 2 shown]
	ds_read_b128 v[24:27], v52 offset:608
	ds_read_b128 v[18:21], v52 offset:1632
	ds_read2_b64 v[54:57], v52 offset0:29 offset1:30
	ds_write2_b64 v1, v[46:47], v[50:51] offset0:160 offset1:176
	s_waitcnt lgkmcnt(3)
	v_fma_f64 v[6:7], -v[38:39], v[24:25], v[6:7]
	v_fma_f64 v[10:11], -v[32:33], v[64:65], v[6:7]
	ds_read_b128 v[6:9], v52 offset:864
	ds_read_b128 v[62:65], v52 offset:112
	s_waitcnt lgkmcnt(1)
	v_fma_f64 v[6:7], -v[36:37], v[6:7], v[10:11]
	ds_read_b128 v[10:13], v52 offset:1120
	v_fma_f64 v[6:7], -v[40:41], v[16:17], v[6:7]
	s_waitcnt lgkmcnt(1)
	v_fma_f64 v[2:3], -v[48:49], v[62:63], v[2:3]
	v_fma_f64 v[2:3], -v[28:29], v[56:57], v[2:3]
	s_waitcnt lgkmcnt(0)
	v_fma_f64 v[6:7], -v[42:43], v[10:11], v[6:7]
	v_fma_f64 v[10:11], -v[48:49], v[68:69], v[60:61]
	;; [unrolled: 1-line block ×4, first 2 shown]
	ds_read2_b64 v[22:25], v52 offset0:61 offset1:62
	ds_read_b128 v[54:57], v52 offset:368
	ds_read2_b64 v[58:61], v52 offset0:93 offset1:94
	v_fma_f64 v[6:7], -v[44:45], v[14:15], v[6:7]
	ds_read_b128 v[14:17], v52 offset:1376
	s_waitcnt lgkmcnt(3)
	v_fma_f64 v[10:11], -v[34:35], v[22:23], v[10:11]
	v_fma_f64 v[10:11], -v[38:39], v[26:27], v[10:11]
	s_waitcnt lgkmcnt(2)
	v_fma_f64 v[2:3], -v[30:31], v[54:55], v[2:3]
	v_fma_f64 v[2:3], -v[34:35], v[24:25], v[2:3]
	ds_read_b128 v[24:27], v52 offset:624
	s_waitcnt lgkmcnt(2)
	v_fma_f64 v[10:11], -v[32:33], v[58:59], v[10:11]
	s_waitcnt lgkmcnt(1)
	v_fma_f64 v[6:7], -v[46:47], v[14:15], v[6:7]
	v_fma_f64 v[14:15], -v[36:37], v[8:9], v[10:11]
	ds_read2_b64 v[8:11], v52 offset0:125 offset1:126
	s_waitcnt lgkmcnt(1)
	v_fma_f64 v[2:3], -v[38:39], v[24:25], v[2:3]
	v_fma_f64 v[2:3], -v[32:33], v[60:61], v[2:3]
	ds_read_b128 v[58:61], v52 offset:880
	v_fma_f64 v[6:7], -v[50:51], v[72:73], v[6:7]
	s_waitcnt lgkmcnt(1)
	v_fma_f64 v[8:9], -v[40:41], v[8:9], v[14:15]
	v_fma_f64 v[8:9], -v[42:43], v[12:13], v[8:9]
	ds_read2_b64 v[12:15], v52 offset0:157 offset1:158
	s_waitcnt lgkmcnt(1)
	v_fma_f64 v[2:3], -v[36:37], v[58:59], v[2:3]
	v_mul_f64 v[6:7], v[6:7], v[18:19]
	v_fma_f64 v[2:3], -v[40:41], v[10:11], v[2:3]
	s_waitcnt lgkmcnt(0)
	v_fma_f64 v[8:9], -v[44:45], v[12:13], v[8:9]
	v_fma_f64 v[8:9], -v[46:47], v[16:17], v[8:9]
	ds_read2_b64 v[16:19], v52 offset0:189 offset1:190
	ds_read_b128 v[10:13], v52 offset:1136
	s_waitcnt lgkmcnt(1)
	v_fma_f64 v[8:9], -v[50:51], v[16:17], v[8:9]
	s_waitcnt lgkmcnt(0)
	v_fma_f64 v[2:3], -v[42:43], v[10:11], v[2:3]
	v_fma_f64 v[8:9], -v[6:7], v[20:21], v[8:9]
	ds_read2_b64 v[20:23], v52 offset0:221 offset1:222
	v_fma_f64 v[2:3], -v[44:45], v[14:15], v[2:3]
	ds_read_b128 v[14:17], v52 offset:1392
	s_waitcnt lgkmcnt(1)
	v_mul_f64 v[8:9], v[8:9], v[20:21]
	ds_write2_b64 v1, v[6:7], v[8:9] offset0:192 offset1:208
	s_waitcnt lgkmcnt(1)
	v_fma_f64 v[2:3], -v[46:47], v[14:15], v[2:3]
	v_fma_f64 v[2:3], -v[50:51], v[18:19], v[2:3]
	ds_read_b128 v[18:21], v52 offset:1648
	v_fma_f64 v[14:15], -v[48:49], v[64:65], v[4:5]
	s_waitcnt lgkmcnt(0)
	v_fma_f64 v[2:3], -v[6:7], v[18:19], v[2:3]
	v_fma_f64 v[2:3], -v[8:9], v[22:23], v[2:3]
	ds_read_b128 v[22:25], v52 offset:1904
	s_waitcnt lgkmcnt(0)
	v_mul_f64 v[10:11], v[2:3], v[22:23]
	ds_read2_b64 v[2:5], v52 offset0:31 offset1:63
	s_waitcnt lgkmcnt(0)
	v_fma_f64 v[2:3], -v[28:29], v[2:3], v[14:15]
	v_fma_f64 v[2:3], -v[30:31], v[56:57], v[2:3]
	v_fma_f64 v[2:3], -v[34:35], v[4:5], v[2:3]
	v_fma_f64 v[14:15], -v[38:39], v[26:27], v[2:3]
	ds_read2_b64 v[2:5], v52 offset0:95 offset1:127
	s_waitcnt lgkmcnt(0)
	v_fma_f64 v[2:3], -v[32:33], v[2:3], v[14:15]
	v_fma_f64 v[2:3], -v[36:37], v[60:61], v[2:3]
	v_fma_f64 v[2:3], -v[40:41], v[4:5], v[2:3]
	v_fma_f64 v[12:13], -v[42:43], v[12:13], v[2:3]
	;; [unrolled: 6-line block ×3, first 2 shown]
	ds_read2_b64 v[2:5], v52 offset0:223 offset1:255
	s_waitcnt lgkmcnt(0)
	v_fma_f64 v[2:3], -v[8:9], v[2:3], v[6:7]
	v_fma_f64 v[2:3], -v[10:11], v[24:25], v[2:3]
	v_mul_f64 v[2:3], v[2:3], v[4:5]
	ds_write2_b64 v1, v[10:11], v[2:3] offset0:224 offset1:240
	s_cmp_lt_i32 s6, s22
	s_cbranch_scc1 .LBB84_40
	s_branch .LBB84_50
.LBB84_39:
	s_mov_b32 s6, 0
	s_cmp_lt_i32 s6, s22
	s_cbranch_scc0 .LBB84_50
.LBB84_40:
	s_or_b32 s8, s6, 11
	s_cmp_ge_u32 s8, s22
	s_cbranch_scc1 .LBB84_45
; %bb.41:
	s_lshl_b32 s7, s6, 7
	v_add_u32_e32 v36, s7, v1
	ds_read2_b64 v[18:21], v36 offset1:16
	ds_read2_b64 v[14:17], v36 offset0:32 offset1:48
	ds_read2_b64 v[10:13], v36 offset0:64 offset1:80
	;; [unrolled: 1-line block ×4, first 2 shown]
	s_lshl_b32 s8, s8, 7
	v_add_u32_e32 v34, s8, v1
	ds_read_b64 v[24:25], v36 offset:1280
	ds_read_b64 v[22:23], v34
	s_andn2_b64 vcc, exec, s[4:5]
	s_lshl_b32 s4, s6, 3
	s_cbranch_vccnz .LBB84_44
; %bb.42:
	v_mov_b32_e32 v26, 0x800
	v_lshl_or_b32 v26, v0, 3, v26
	s_mov_b32 s5, s4
	s_mov_b32 s8, s6
.LBB84_43:                              ; =>This Inner Loop Header: Depth=1
	v_mov_b32_e32 v27, s5
	ds_read_b64 v[32:33], v26
	ds_read_b128 v[28:31], v27
	ds_read_b128 v[38:41], v27 offset:16
	ds_read_b128 v[42:45], v27 offset:32
	;; [unrolled: 1-line block ×5, first 2 shown]
	s_add_i32 s8, s8, -1
	s_addk_i32 s5, 0x80
	v_add_u32_e32 v26, 0x80, v26
	s_cmp_lg_u32 s8, 0
	s_waitcnt lgkmcnt(5)
	v_fma_f64 v[18:19], -v[32:33], v[28:29], v[18:19]
	v_fma_f64 v[20:21], -v[32:33], v[30:31], v[20:21]
	s_waitcnt lgkmcnt(4)
	v_fma_f64 v[14:15], -v[32:33], v[38:39], v[14:15]
	v_fma_f64 v[16:17], -v[32:33], v[40:41], v[16:17]
	;; [unrolled: 3-line block ×6, first 2 shown]
	s_cbranch_scc1 .LBB84_43
.LBB84_44:
	s_add_i32 s5, s4, s7
	v_mov_b32_e32 v35, s5
	ds_read_b128 v[26:29], v35
	ds_read_b128 v[38:41], v35 offset:16
	ds_read_b128 v[42:45], v35 offset:32
	s_or_b32 s5, s7, 0x80
	s_or_b32 s8, s7, 0x100
	s_waitcnt lgkmcnt(2)
	v_mul_f64 v[32:33], v[18:19], v[26:27]
	v_fma_f64 v[26:27], -v[32:33], v[28:29], v[20:21]
	ds_read2_b64 v[18:21], v35 offset0:17 offset1:18
	s_waitcnt lgkmcnt(2)
	v_fma_f64 v[14:15], -v[32:33], v[38:39], v[14:15]
	s_waitcnt lgkmcnt(1)
	v_fma_f64 v[10:11], -v[32:33], v[42:43], v[10:11]
	v_fma_f64 v[12:13], -v[32:33], v[44:45], v[12:13]
	ds_write_b64 v36, v[32:33]
	s_waitcnt lgkmcnt(1)
	v_mul_f64 v[18:19], v[26:27], v[18:19]
	v_add_u32_e32 v26, s5, v1
	ds_write_b64 v26, v[18:19]
	ds_read_b128 v[26:29], v35 offset:272
	s_add_i32 s5, s4, s5
	v_fma_f64 v[14:15], -v[18:19], v[20:21], v[14:15]
	v_mov_b32_e32 v37, s5
	ds_read2_b64 v[42:45], v37 offset0:5 offset1:6
	s_waitcnt lgkmcnt(1)
	v_mul_f64 v[20:21], v[14:15], v[26:27]
	v_add_u32_e32 v14, s8, v1
	ds_write_b64 v14, v[20:21]
	v_fma_f64 v[26:27], -v[32:33], v[40:41], v[16:17]
	ds_read2_b64 v[14:17], v37 offset0:3 offset1:4
	s_add_i32 s5, s4, s8
	v_mov_b32_e32 v62, s5
	ds_read_b128 v[38:41], v62 offset:32
	s_or_b32 s8, s7, 0x180
	s_waitcnt lgkmcnt(1)
	v_fma_f64 v[14:15], -v[18:19], v[14:15], v[26:27]
	v_fma_f64 v[14:15], -v[20:21], v[28:29], v[14:15]
	ds_read2_b64 v[26:29], v35 offset0:51 offset1:52
	v_fma_f64 v[10:11], -v[18:19], v[16:17], v[10:11]
	s_add_i32 s5, s4, s8
	s_waitcnt lgkmcnt(1)
	v_fma_f64 v[10:11], -v[20:21], v[38:39], v[10:11]
	v_fma_f64 v[12:13], -v[18:19], v[42:43], v[12:13]
	s_waitcnt lgkmcnt(0)
	v_mul_f64 v[14:15], v[14:15], v[26:27]
	v_add_u32_e32 v26, s8, v1
	v_mov_b32_e32 v63, s5
	ds_write_b64 v26, v[14:15]
	v_fma_f64 v[10:11], -v[14:15], v[28:29], v[10:11]
	ds_read_b128 v[26:29], v35 offset:544
	v_fma_f64 v[12:13], -v[20:21], v[40:41], v[12:13]
	ds_read2_b64 v[38:41], v63 offset0:5 offset1:6
	s_or_b32 s8, s7, 0x200
	v_add_u32_e32 v16, s8, v1
	s_waitcnt lgkmcnt(1)
	v_mul_f64 v[10:11], v[10:11], v[26:27]
	s_add_i32 s5, s4, s8
	s_waitcnt lgkmcnt(0)
	v_fma_f64 v[12:13], -v[14:15], v[38:39], v[12:13]
	v_fma_f64 v[12:13], -v[10:11], v[28:29], v[12:13]
	ds_read2_b64 v[26:29], v35 offset0:85 offset1:86
	s_or_b32 s8, s7, 0x280
	ds_write_b64 v16, v[10:11]
	v_add_u32_e32 v16, s8, v1
	v_mov_b32_e32 v64, s5
	s_waitcnt lgkmcnt(1)
	v_mul_f64 v[12:13], v[12:13], v[26:27]
	ds_write_b64 v16, v[12:13]
	ds_read_b128 v[46:49], v35 offset:48
	ds_read_b128 v[50:53], v35 offset:64
	s_add_i32 s5, s4, s8
	s_or_b32 s8, s7, 0x300
	v_mov_b32_e32 v65, s5
	s_waitcnt lgkmcnt(1)
	v_fma_f64 v[6:7], -v[32:33], v[46:47], v[6:7]
	v_fma_f64 v[6:7], -v[18:19], v[44:45], v[6:7]
	ds_read_b128 v[42:45], v62 offset:48
	ds_read_b128 v[54:57], v62 offset:64
	v_fma_f64 v[16:17], -v[32:33], v[48:49], v[8:9]
	s_waitcnt lgkmcnt(2)
	v_fma_f64 v[2:3], -v[32:33], v[50:51], v[2:3]
	s_add_i32 s5, s4, s8
	s_waitcnt lgkmcnt(1)
	v_fma_f64 v[6:7], -v[20:21], v[42:43], v[6:7]
	v_fma_f64 v[6:7], -v[14:15], v[40:41], v[6:7]
	ds_read_b128 v[38:41], v64 offset:48
	ds_read_b128 v[58:61], v64 offset:64
	ds_read2_b64 v[46:49], v65 offset0:9 offset1:10
	v_mov_b32_e32 v66, s5
	s_or_b32 s6, s6, 12
	s_waitcnt lgkmcnt(2)
	v_fma_f64 v[6:7], -v[10:11], v[38:39], v[6:7]
	v_fma_f64 v[6:7], -v[12:13], v[28:29], v[6:7]
	ds_read_b128 v[26:29], v35 offset:816
	s_waitcnt lgkmcnt(0)
	v_mul_f64 v[30:31], v[6:7], v[26:27]
	v_add_u32_e32 v6, s8, v1
	ds_write_b64 v6, v[30:31]
	ds_read2_b64 v[6:9], v37 offset0:7 offset1:8
	s_or_b32 s8, s7, 0x380
	s_add_i32 s5, s4, s8
	s_waitcnt lgkmcnt(0)
	v_fma_f64 v[6:7], -v[18:19], v[6:7], v[16:17]
	v_fma_f64 v[6:7], -v[20:21], v[44:45], v[6:7]
	ds_read2_b64 v[42:45], v63 offset0:7 offset1:8
	v_fma_f64 v[2:3], -v[18:19], v[8:9], v[2:3]
	v_fma_f64 v[2:3], -v[20:21], v[54:55], v[2:3]
	s_waitcnt lgkmcnt(0)
	v_fma_f64 v[6:7], -v[14:15], v[42:43], v[6:7]
	v_fma_f64 v[6:7], -v[10:11], v[40:41], v[6:7]
	ds_read2_b64 v[38:41], v65 offset0:7 offset1:8
	v_fma_f64 v[2:3], -v[14:15], v[44:45], v[2:3]
	v_fma_f64 v[2:3], -v[10:11], v[58:59], v[2:3]
	ds_read2_b64 v[42:45], v63 offset0:9 offset1:10
	s_waitcnt lgkmcnt(1)
	v_fma_f64 v[6:7], -v[12:13], v[38:39], v[6:7]
	v_fma_f64 v[6:7], -v[30:31], v[28:29], v[6:7]
	ds_read2_b64 v[26:29], v35 offset0:119 offset1:120
	v_fma_f64 v[2:3], -v[12:13], v[40:41], v[2:3]
	ds_read_b128 v[38:41], v35 offset:1088
	s_waitcnt lgkmcnt(1)
	v_mul_f64 v[26:27], v[6:7], v[26:27]
	v_add_u32_e32 v6, s8, v1
	ds_write_b64 v6, v[26:27]
	ds_read_b128 v[6:9], v66 offset:64
	s_or_b32 s8, s7, 0x400
	s_or_b32 s7, s7, 0x480
	s_waitcnt lgkmcnt(0)
	v_fma_f64 v[2:3], -v[30:31], v[6:7], v[2:3]
	v_fma_f64 v[2:3], -v[26:27], v[28:29], v[2:3]
	v_mul_f64 v[28:29], v[2:3], v[38:39]
	v_add_u32_e32 v2, s8, v1
	ds_write_b64 v2, v[28:29]
	v_fma_f64 v[6:7], -v[32:33], v[52:53], v[4:5]
	ds_read2_b64 v[2:5], v37 offset0:9 offset1:10
	s_waitcnt lgkmcnt(0)
	v_fma_f64 v[2:3], -v[18:19], v[2:3], v[6:7]
	v_fma_f64 v[2:3], -v[20:21], v[56:57], v[2:3]
	v_fma_f64 v[2:3], -v[14:15], v[42:43], v[2:3]
	v_fma_f64 v[2:3], -v[10:11], v[60:61], v[2:3]
	v_fma_f64 v[2:3], -v[12:13], v[46:47], v[2:3]
	v_mov_b32_e32 v46, s5
	ds_read2_b64 v[50:53], v46 offset0:9 offset1:10
	ds_read_b128 v[58:61], v62 offset:80
	v_fma_f64 v[2:3], -v[30:31], v[8:9], v[2:3]
	ds_read_b128 v[54:57], v35 offset:80
	ds_read_b128 v[6:9], v66 offset:80
	s_waitcnt lgkmcnt(3)
	v_fma_f64 v[2:3], -v[26:27], v[50:51], v[2:3]
	v_fma_f64 v[2:3], -v[28:29], v[40:41], v[2:3]
	ds_read2_b64 v[38:41], v35 offset0:153 offset1:154
	s_add_i32 s5, s4, s8
	s_waitcnt lgkmcnt(2)
	v_fma_f64 v[22:23], -v[32:33], v[56:57], v[22:23]
	s_add_i32 s4, s4, s7
	s_waitcnt lgkmcnt(0)
	v_mul_f64 v[16:17], v[2:3], v[38:39]
	v_add_u32_e32 v2, s7, v1
	ds_write_b64 v2, v[16:17]
	v_fma_f64 v[2:3], -v[32:33], v[54:55], v[24:25]
	v_fma_f64 v[2:3], -v[18:19], v[4:5], v[2:3]
	;; [unrolled: 1-line block ×4, first 2 shown]
	ds_read_b128 v[42:45], v64 offset:80
	v_mov_b32_e32 v4, s5
	s_waitcnt lgkmcnt(0)
	v_fma_f64 v[2:3], -v[10:11], v[42:43], v[2:3]
	v_fma_f64 v[2:3], -v[12:13], v[48:49], v[2:3]
	;; [unrolled: 1-line block ×3, first 2 shown]
	ds_read_b128 v[4:7], v4 offset:80
	v_fma_f64 v[2:3], -v[26:27], v[52:53], v[2:3]
	s_waitcnt lgkmcnt(0)
	v_fma_f64 v[2:3], -v[28:29], v[4:5], v[2:3]
	v_fma_f64 v[24:25], -v[16:17], v[40:41], v[2:3]
	ds_read_b128 v[2:5], v35 offset:1360
	s_waitcnt lgkmcnt(0)
	v_mul_f64 v[2:3], v[24:25], v[2:3]
	ds_read_b64 v[24:25], v37 offset:88
	ds_write_b64 v36, v[2:3] offset:1280
	s_waitcnt lgkmcnt(1)
	v_fma_f64 v[18:19], -v[18:19], v[24:25], v[22:23]
	v_fma_f64 v[18:19], -v[20:21], v[60:61], v[18:19]
	ds_read_b64 v[20:21], v63 offset:88
	s_waitcnt lgkmcnt(0)
	v_fma_f64 v[14:15], -v[14:15], v[20:21], v[18:19]
	v_fma_f64 v[10:11], -v[10:11], v[44:45], v[14:15]
	ds_read_b64 v[14:15], v65 offset:88
	;; [unrolled: 4-line block ×3, first 2 shown]
	s_waitcnt lgkmcnt(0)
	v_fma_f64 v[8:9], -v[26:27], v[10:11], v[8:9]
	v_fma_f64 v[6:7], -v[28:29], v[6:7], v[8:9]
	v_mov_b32_e32 v8, s4
	ds_read_b64 v[8:9], v8 offset:88
	s_waitcnt lgkmcnt(0)
	v_fma_f64 v[6:7], -v[16:17], v[8:9], v[6:7]
	v_fma_f64 v[2:3], -v[2:3], v[4:5], v[6:7]
	ds_read_b64 v[4:5], v35 offset:1496
	s_waitcnt lgkmcnt(0)
	v_mul_f64 v[2:3], v[2:3], v[4:5]
	ds_write_b64 v34, v[2:3]
.LBB84_45:
	s_cmp_ge_i32 s6, s22
	s_cbranch_scc1 .LBB84_50
; %bb.46:
	v_mov_b32_e32 v2, 0x800
	s_lshl_b32 s4, s6, 3
	v_lshl_or_b32 v4, v0, 3, v2
	s_branch .LBB84_48
.LBB84_47:                              ;   in Loop: Header=BB84_48 Depth=1
	s_lshl_b32 s7, s6, 3
	s_add_i32 s5, s7, s5
	v_mov_b32_e32 v6, s5
	ds_read_b64 v[6:7], v6
	s_add_i32 s6, s6, 1
	s_add_i32 s4, s4, 8
	s_cmp_ge_i32 s6, s22
	s_waitcnt lgkmcnt(0)
	v_mul_f64 v[2:3], v[2:3], v[6:7]
	ds_write_b64 v5, v[2:3]
	s_cbranch_scc1 .LBB84_50
.LBB84_48:                              ; =>This Loop Header: Depth=1
                                        ;     Child Loop BB84_49 Depth 2
	s_lshl_b32 s5, s6, 7
	v_add_u32_e32 v5, s5, v1
	ds_read_b64 v[2:3], v5
	s_cmp_eq_u32 s6, 0
	v_mov_b32_e32 v6, v4
	s_mov_b32 s7, s4
	s_mov_b32 s8, s6
	s_cbranch_scc1 .LBB84_47
.LBB84_49:                              ;   Parent Loop BB84_48 Depth=1
                                        ; =>  This Inner Loop Header: Depth=2
	v_mov_b32_e32 v7, s7
	ds_read_b64 v[8:9], v6
	ds_read_b64 v[10:11], v7
	s_add_i32 s8, s8, -1
	s_addk_i32 s7, 0x80
	v_add_u32_e32 v6, 0x80, v6
	s_cmp_lg_u32 s8, 0
	s_waitcnt lgkmcnt(0)
	v_fma_f64 v[2:3], -v[8:9], v[10:11], v[2:3]
	s_cbranch_scc1 .LBB84_49
	s_branch .LBB84_47
.LBB84_50:
	s_waitcnt lgkmcnt(0)
	; wave barrier
	s_and_saveexec_b64 s[4:5], s[0:1]
	s_cbranch_execz .LBB84_54
; %bb.51:
	s_andn2_b64 vcc, exec, s[10:11]
	s_cbranch_vccnz .LBB84_54
; %bb.52:
	v_mad_i64_i32 v[2:3], s[0:1], s16, v0, 0
	v_mov_b32_e32 v1, 0x800
	v_lshl_add_u64 v[2:3], v[2:3], 3, s[2:3]
	v_lshl_or_b32 v0, v0, 3, v1
.LBB84_53:                              ; =>This Inner Loop Header: Depth=1
	ds_read_b64 v[4:5], v0
	s_add_i32 s22, s22, -1
	v_add_u32_e32 v0, 0x80, v0
	s_cmp_lg_u32 s22, 0
	s_waitcnt lgkmcnt(0)
	flat_store_dwordx2 v[2:3], v[4:5]
	v_lshl_add_u64 v[2:3], v[2:3], 0, 8
	s_cbranch_scc1 .LBB84_53
.LBB84_54:
	s_endpgm
	.section	.rodata,"a",@progbits
	.p2align	6, 0x0
	.amdhsa_kernel _ZL38rocblas_trsm_small_left_device_sharedBILi16ELi16ELb1EddPKPKdPKPdEv13rocblas_fill_18rocblas_operation_17rocblas_diagonal_iiT3_T4_lilT5_lili
		.amdhsa_group_segment_fixed_size 4096
		.amdhsa_private_segment_fixed_size 0
		.amdhsa_kernarg_size 360
		.amdhsa_user_sgpr_count 2
		.amdhsa_user_sgpr_dispatch_ptr 0
		.amdhsa_user_sgpr_queue_ptr 0
		.amdhsa_user_sgpr_kernarg_segment_ptr 1
		.amdhsa_user_sgpr_dispatch_id 0
		.amdhsa_user_sgpr_kernarg_preload_length 0
		.amdhsa_user_sgpr_kernarg_preload_offset 0
		.amdhsa_user_sgpr_private_segment_size 0
		.amdhsa_uses_dynamic_stack 0
		.amdhsa_enable_private_segment 0
		.amdhsa_system_sgpr_workgroup_id_x 1
		.amdhsa_system_sgpr_workgroup_id_y 0
		.amdhsa_system_sgpr_workgroup_id_z 1
		.amdhsa_system_sgpr_workgroup_info 0
		.amdhsa_system_vgpr_workitem_id 0
		.amdhsa_next_free_vgpr 74
		.amdhsa_next_free_sgpr 26
		.amdhsa_accum_offset 76
		.amdhsa_reserve_vcc 1
		.amdhsa_float_round_mode_32 0
		.amdhsa_float_round_mode_16_64 0
		.amdhsa_float_denorm_mode_32 3
		.amdhsa_float_denorm_mode_16_64 3
		.amdhsa_dx10_clamp 1
		.amdhsa_ieee_mode 1
		.amdhsa_fp16_overflow 0
		.amdhsa_tg_split 0
		.amdhsa_exception_fp_ieee_invalid_op 0
		.amdhsa_exception_fp_denorm_src 0
		.amdhsa_exception_fp_ieee_div_zero 0
		.amdhsa_exception_fp_ieee_overflow 0
		.amdhsa_exception_fp_ieee_underflow 0
		.amdhsa_exception_fp_ieee_inexact 0
		.amdhsa_exception_int_div_zero 0
	.end_amdhsa_kernel
	.section	.text._ZL38rocblas_trsm_small_left_device_sharedBILi16ELi16ELb1EddPKPKdPKPdEv13rocblas_fill_18rocblas_operation_17rocblas_diagonal_iiT3_T4_lilT5_lili,"axG",@progbits,_ZL38rocblas_trsm_small_left_device_sharedBILi16ELi16ELb1EddPKPKdPKPdEv13rocblas_fill_18rocblas_operation_17rocblas_diagonal_iiT3_T4_lilT5_lili,comdat
.Lfunc_end84:
	.size	_ZL38rocblas_trsm_small_left_device_sharedBILi16ELi16ELb1EddPKPKdPKPdEv13rocblas_fill_18rocblas_operation_17rocblas_diagonal_iiT3_T4_lilT5_lili, .Lfunc_end84-_ZL38rocblas_trsm_small_left_device_sharedBILi16ELi16ELb1EddPKPKdPKPdEv13rocblas_fill_18rocblas_operation_17rocblas_diagonal_iiT3_T4_lilT5_lili
                                        ; -- End function
	.set _ZL38rocblas_trsm_small_left_device_sharedBILi16ELi16ELb1EddPKPKdPKPdEv13rocblas_fill_18rocblas_operation_17rocblas_diagonal_iiT3_T4_lilT5_lili.num_vgpr, 74
	.set _ZL38rocblas_trsm_small_left_device_sharedBILi16ELi16ELb1EddPKPKdPKPdEv13rocblas_fill_18rocblas_operation_17rocblas_diagonal_iiT3_T4_lilT5_lili.num_agpr, 0
	.set _ZL38rocblas_trsm_small_left_device_sharedBILi16ELi16ELb1EddPKPKdPKPdEv13rocblas_fill_18rocblas_operation_17rocblas_diagonal_iiT3_T4_lilT5_lili.numbered_sgpr, 26
	.set _ZL38rocblas_trsm_small_left_device_sharedBILi16ELi16ELb1EddPKPKdPKPdEv13rocblas_fill_18rocblas_operation_17rocblas_diagonal_iiT3_T4_lilT5_lili.num_named_barrier, 0
	.set _ZL38rocblas_trsm_small_left_device_sharedBILi16ELi16ELb1EddPKPKdPKPdEv13rocblas_fill_18rocblas_operation_17rocblas_diagonal_iiT3_T4_lilT5_lili.private_seg_size, 0
	.set _ZL38rocblas_trsm_small_left_device_sharedBILi16ELi16ELb1EddPKPKdPKPdEv13rocblas_fill_18rocblas_operation_17rocblas_diagonal_iiT3_T4_lilT5_lili.uses_vcc, 1
	.set _ZL38rocblas_trsm_small_left_device_sharedBILi16ELi16ELb1EddPKPKdPKPdEv13rocblas_fill_18rocblas_operation_17rocblas_diagonal_iiT3_T4_lilT5_lili.uses_flat_scratch, 0
	.set _ZL38rocblas_trsm_small_left_device_sharedBILi16ELi16ELb1EddPKPKdPKPdEv13rocblas_fill_18rocblas_operation_17rocblas_diagonal_iiT3_T4_lilT5_lili.has_dyn_sized_stack, 0
	.set _ZL38rocblas_trsm_small_left_device_sharedBILi16ELi16ELb1EddPKPKdPKPdEv13rocblas_fill_18rocblas_operation_17rocblas_diagonal_iiT3_T4_lilT5_lili.has_recursion, 0
	.set _ZL38rocblas_trsm_small_left_device_sharedBILi16ELi16ELb1EddPKPKdPKPdEv13rocblas_fill_18rocblas_operation_17rocblas_diagonal_iiT3_T4_lilT5_lili.has_indirect_call, 0
	.section	.AMDGPU.csdata,"",@progbits
; Kernel info:
; codeLenInByte = 9728
; TotalNumSgprs: 32
; NumVgprs: 74
; NumAgprs: 0
; TotalNumVgprs: 74
; ScratchSize: 0
; MemoryBound: 0
; FloatMode: 240
; IeeeMode: 1
; LDSByteSize: 4096 bytes/workgroup (compile time only)
; SGPRBlocks: 3
; VGPRBlocks: 9
; NumSGPRsForWavesPerEU: 32
; NumVGPRsForWavesPerEU: 74
; AccumOffset: 76
; Occupancy: 6
; WaveLimiterHint : 0
; COMPUTE_PGM_RSRC2:SCRATCH_EN: 0
; COMPUTE_PGM_RSRC2:USER_SGPR: 2
; COMPUTE_PGM_RSRC2:TRAP_HANDLER: 0
; COMPUTE_PGM_RSRC2:TGID_X_EN: 1
; COMPUTE_PGM_RSRC2:TGID_Y_EN: 0
; COMPUTE_PGM_RSRC2:TGID_Z_EN: 1
; COMPUTE_PGM_RSRC2:TIDIG_COMP_CNT: 0
; COMPUTE_PGM_RSRC3_GFX90A:ACCUM_OFFSET: 18
; COMPUTE_PGM_RSRC3_GFX90A:TG_SPLIT: 0
	.section	.text._ZL30rocblas_trsm_small_left_deviceILi16ELi16ELb1EddPKPKdPKPdEv13rocblas_fill_18rocblas_operation_17rocblas_diagonal_iiT3_T4_lilT5_lili,"axG",@progbits,_ZL30rocblas_trsm_small_left_deviceILi16ELi16ELb1EddPKPKdPKPdEv13rocblas_fill_18rocblas_operation_17rocblas_diagonal_iiT3_T4_lilT5_lili,comdat
	.globl	_ZL30rocblas_trsm_small_left_deviceILi16ELi16ELb1EddPKPKdPKPdEv13rocblas_fill_18rocblas_operation_17rocblas_diagonal_iiT3_T4_lilT5_lili ; -- Begin function _ZL30rocblas_trsm_small_left_deviceILi16ELi16ELb1EddPKPKdPKPdEv13rocblas_fill_18rocblas_operation_17rocblas_diagonal_iiT3_T4_lilT5_lili
	.p2align	8
	.type	_ZL30rocblas_trsm_small_left_deviceILi16ELi16ELb1EddPKPKdPKPdEv13rocblas_fill_18rocblas_operation_17rocblas_diagonal_iiT3_T4_lilT5_lili,@function
_ZL30rocblas_trsm_small_left_deviceILi16ELi16ELb1EddPKPKdPKPdEv13rocblas_fill_18rocblas_operation_17rocblas_diagonal_iiT3_T4_lilT5_lili: ; @_ZL30rocblas_trsm_small_left_deviceILi16ELi16ELb1EddPKPKdPKPdEv13rocblas_fill_18rocblas_operation_17rocblas_diagonal_iiT3_T4_lilT5_lili
; %bb.0:
	s_load_dwordx2 s[18:19], s[0:1], 0x28
	s_load_dwordx4 s[12:15], s[0:1], 0x40
	s_load_dwordx4 s[8:11], s[0:1], 0x4
	;; [unrolled: 1-line block ×3, first 2 shown]
	s_mov_b32 s16, s3
	s_mov_b32 s17, 0
	s_lshl_b64 s[20:21], s[16:17], 3
	s_waitcnt lgkmcnt(0)
	s_add_u32 s12, s12, s20
	s_addc_u32 s13, s13, s21
	s_load_dwordx2 s[12:13], s[12:13], 0x0
	s_min_i32 s22, s10, 16
	v_cmp_gt_i32_e32 vcc, s22, v0
	s_and_saveexec_b64 s[16:17], vcc
	s_cbranch_execz .LBB85_6
; %bb.1:
	s_load_dword s24, s[0:1], 0x30
	v_lshlrev_b32_e32 v2, 3, v0
	v_mov_b32_e32 v3, 0
	v_mov_b32_e32 v1, v2
	s_mov_b32 s3, s22
	s_waitcnt lgkmcnt(0)
	s_ashr_i32 s25, s24, 31
	s_add_u32 s6, s6, s20
	s_addc_u32 s7, s7, s21
	s_load_dwordx2 s[6:7], s[6:7], 0x0
	s_lshl_b64 s[18:19], s[18:19], 3
	s_waitcnt lgkmcnt(0)
	s_add_u32 s18, s6, s18
	s_addc_u32 s19, s7, s19
	s_lshl_b64 s[6:7], s[24:25], 3
	v_lshl_add_u64 v[4:5], s[18:19], 0, v[2:3]
.LBB85_2:                               ; =>This Inner Loop Header: Depth=1
	flat_load_dwordx2 v[6:7], v[4:5]
	s_add_i32 s3, s3, -1
	v_lshl_add_u64 v[4:5], v[4:5], 0, s[6:7]
	s_cmp_eq_u32 s3, 0
	s_waitcnt vmcnt(0) lgkmcnt(0)
	ds_write_b64 v1, v[6:7]
	v_add_u32_e32 v1, 0x80, v1
	s_cbranch_scc0 .LBB85_2
; %bb.3:
	v_lshlrev_b32_e32 v1, 7, v0
	s_cmpk_lg_i32 s9, 0x84
	v_mov_b64_e32 v[4:5], 1.0
	v_add_u32_e32 v1, v2, v1
	s_cbranch_scc0 .LBB85_5
; %bb.4:
	ds_read_b64 v[2:3], v1
	s_waitcnt lgkmcnt(0)
	v_div_scale_f64 v[4:5], s[6:7], v[2:3], v[2:3], 1.0
	v_rcp_f64_e32 v[6:7], v[4:5]
	v_div_scale_f64 v[8:9], vcc, 1.0, v[2:3], 1.0
	v_fma_f64 v[10:11], -v[4:5], v[6:7], 1.0
	v_fmac_f64_e32 v[6:7], v[6:7], v[10:11]
	v_fma_f64 v[10:11], -v[4:5], v[6:7], 1.0
	v_fmac_f64_e32 v[6:7], v[6:7], v[10:11]
	v_mul_f64 v[10:11], v[8:9], v[6:7]
	v_fma_f64 v[4:5], -v[4:5], v[10:11], v[8:9]
	v_div_fmas_f64 v[4:5], v[4:5], v[6:7], v[10:11]
	v_div_fixup_f64 v[4:5], v[4:5], v[2:3], 1.0
.LBB85_5:
	ds_write_b64 v1, v[4:5]
.LBB85_6:
	s_or_b64 exec, exec, s[16:17]
	s_load_dword s3, s[0:1], 0x68
	s_waitcnt lgkmcnt(0)
	; wave barrier
	s_add_i32 s6, s3, -1
	s_lshl_b32 s3, s2, 4
	s_sub_i32 s7, s11, s3
	s_cmp_ge_u32 s2, s6
	s_cselect_b32 s2, s7, 16
	v_cmp_gt_i32_e32 vcc, s2, v0
	s_and_saveexec_b64 s[6:7], vcc
	s_cbranch_execz .LBB85_48
; %bb.7:
	s_load_dword s2, s[0:1], 0x50
	s_lshl_b64 s[0:1], s[14:15], 3
	s_add_u32 s0, s12, s0
	v_add_u32_e32 v0, s3, v0
	s_addc_u32 s1, s13, s1
	s_waitcnt lgkmcnt(0)
	v_mad_i64_i32 v[0:1], s[2:3], s2, v0, 0
	v_lshl_add_u64 v[8:9], v[0:1], 3, s[0:1]
	s_cmpk_eq_i32 s8, 0x6f
	s_mov_b64 s[0:1], -1
	s_cbranch_scc1 .LBB85_34
; %bb.8:
	s_add_i32 s8, s22, -1
	s_cmp_gt_i32 s10, 15
	s_mov_b32 s0, -1
	s_cbranch_scc0 .LBB85_10
; %bb.9:
	flat_load_dwordx4 v[0:3], v[8:9] offset:112
	flat_load_dwordx4 v[4:7], v[8:9] offset:96
	;; [unrolled: 1-line block ×4, first 2 shown]
	v_mov_b32_e32 v32, 0
	ds_read_b64 v[10:11], v32 offset:2040
	flat_load_dwordx4 v[28:31], v[8:9] offset:48
	s_waitcnt vmcnt(0) lgkmcnt(0)
	v_mul_f64 v[2:3], s[4:5], v[2:3]
	v_mul_f64 v[12:13], v[2:3], v[10:11]
	flat_store_dwordx2 v[8:9], v[12:13] offset:120
	ds_read_b128 v[14:17], v32 offset:1904
	s_waitcnt lgkmcnt(0)
	v_mul_f64 v[2:3], v[12:13], v[16:17]
	v_fma_f64 v[0:1], s[4:5], v[0:1], -v[2:3]
	v_mul_f64 v[10:11], v[0:1], v[14:15]
	flat_store_dwordx2 v[8:9], v[10:11] offset:112
	ds_read_b64 v[14:15], v32 offset:1784
	ds_read2_b64 v[0:3], v32 offset0:221 offset1:222
	s_waitcnt lgkmcnt(0)
	v_mul_f64 v[14:15], v[12:13], v[14:15]
	v_fma_f64 v[6:7], s[4:5], v[6:7], -v[14:15]
	v_fma_f64 v[2:3], -v[10:11], v[2:3], v[6:7]
	v_mul_f64 v[14:15], v[2:3], v[0:1]
	flat_store_dwordx2 v[8:9], v[14:15] offset:104
	ds_read_b128 v[0:3], v32 offset:1648
	ds_read_b128 v[16:19], v32 offset:1632
	s_waitcnt lgkmcnt(0)
	v_mul_f64 v[2:3], v[12:13], v[2:3]
	v_fma_f64 v[2:3], s[4:5], v[4:5], -v[2:3]
	v_fma_f64 v[0:1], -v[10:11], v[0:1], v[2:3]
	v_fma_f64 v[0:1], -v[14:15], v[18:19], v[0:1]
	v_mul_f64 v[16:17], v[0:1], v[16:17]
	flat_store_dwordx2 v[8:9], v[16:17] offset:96
	ds_read_b64 v[18:19], v32 offset:1528
	ds_read2_b64 v[0:3], v32 offset0:189 offset1:190
	ds_read2_b64 v[4:7], v32 offset0:187 offset1:188
	flat_load_dwordx4 v[34:37], v[8:9] offset:32
	s_waitcnt lgkmcnt(0)
	v_mul_f64 v[18:19], v[12:13], v[18:19]
	v_fma_f64 v[18:19], s[4:5], v[22:23], -v[18:19]
	v_fma_f64 v[2:3], -v[10:11], v[2:3], v[18:19]
	v_fma_f64 v[0:1], -v[14:15], v[0:1], v[2:3]
	;; [unrolled: 1-line block ×3, first 2 shown]
	v_mul_f64 v[18:19], v[0:1], v[4:5]
	flat_store_dwordx2 v[8:9], v[18:19] offset:88
	ds_read_b128 v[0:3], v32 offset:1392
	ds_read_b128 v[4:7], v32 offset:1376
	;; [unrolled: 1-line block ×3, first 2 shown]
	s_waitcnt lgkmcnt(0)
	v_mul_f64 v[2:3], v[12:13], v[2:3]
	v_fma_f64 v[2:3], s[4:5], v[20:21], -v[2:3]
	v_fma_f64 v[0:1], -v[10:11], v[0:1], v[2:3]
	v_fma_f64 v[0:1], -v[14:15], v[6:7], v[0:1]
	;; [unrolled: 1-line block ×4, first 2 shown]
	v_mul_f64 v[20:21], v[0:1], v[38:39]
	flat_store_dwordx2 v[8:9], v[20:21] offset:80
	ds_read_b64 v[22:23], v32 offset:1272
	ds_read2_b64 v[0:3], v32 offset0:157 offset1:158
	ds_read2_b64 v[4:7], v32 offset0:155 offset1:156
	;; [unrolled: 1-line block ×3, first 2 shown]
	s_waitcnt lgkmcnt(0)
	v_mul_f64 v[22:23], v[12:13], v[22:23]
	v_fma_f64 v[22:23], s[4:5], v[26:27], -v[22:23]
	v_fma_f64 v[2:3], -v[10:11], v[2:3], v[22:23]
	v_fma_f64 v[0:1], -v[14:15], v[0:1], v[2:3]
	;; [unrolled: 1-line block ×5, first 2 shown]
	v_mul_f64 v[22:23], v[0:1], v[38:39]
	flat_store_dwordx2 v[8:9], v[22:23] offset:72
	ds_read_b128 v[38:41], v32 offset:1120
	ds_read_b128 v[42:45], v32 offset:1136
	flat_load_dwordx4 v[4:7], v[8:9] offset:16
	flat_load_dwordx4 v[0:3], v[8:9]
	ds_read_b128 v[46:49], v32 offset:1088
	ds_read_b128 v[50:53], v32 offset:1104
	s_waitcnt lgkmcnt(0)
	v_mul_f64 v[26:27], v[12:13], v[44:45]
	v_fma_f64 v[24:25], s[4:5], v[24:25], -v[26:27]
	v_fma_f64 v[24:25], -v[10:11], v[42:43], v[24:25]
	v_fma_f64 v[24:25], -v[14:15], v[40:41], v[24:25]
	;; [unrolled: 1-line block ×6, first 2 shown]
	v_mul_f64 v[24:25], v[24:25], v[46:47]
	flat_store_dwordx2 v[8:9], v[24:25] offset:64
	ds_read_b64 v[26:27], v32 offset:1016
	ds_read2_b64 v[38:41], v32 offset0:125 offset1:126
	ds_read2_b64 v[42:45], v32 offset0:123 offset1:124
	;; [unrolled: 1-line block ×4, first 2 shown]
	s_waitcnt lgkmcnt(0)
	v_mul_f64 v[26:27], v[12:13], v[26:27]
	v_fma_f64 v[26:27], s[4:5], v[30:31], -v[26:27]
	v_fma_f64 v[26:27], -v[10:11], v[40:41], v[26:27]
	v_fma_f64 v[26:27], -v[14:15], v[38:39], v[26:27]
	;; [unrolled: 1-line block ×7, first 2 shown]
	v_mul_f64 v[26:27], v[26:27], v[50:51]
	flat_store_dwordx2 v[8:9], v[26:27] offset:56
	ds_read_b128 v[38:41], v32 offset:880
	ds_read_b128 v[42:45], v32 offset:848
	;; [unrolled: 1-line block ×5, first 2 shown]
	s_waitcnt lgkmcnt(0)
	v_mul_f64 v[30:31], v[12:13], v[40:41]
	v_fma_f64 v[28:29], s[4:5], v[28:29], -v[30:31]
	v_fma_f64 v[28:29], -v[10:11], v[38:39], v[28:29]
	v_fma_f64 v[28:29], -v[14:15], v[48:49], v[28:29]
	;; [unrolled: 1-line block ×8, first 2 shown]
	v_mul_f64 v[28:29], v[28:29], v[50:51]
	flat_store_dwordx2 v[8:9], v[28:29] offset:48
	ds_read_b64 v[30:31], v32 offset:760
	ds_read2_b64 v[38:41], v32 offset0:93 offset1:94
	ds_read2_b64 v[42:45], v32 offset0:91 offset1:92
	ds_read2_b64 v[46:49], v32 offset0:89 offset1:90
	ds_read2_b64 v[50:53], v32 offset0:87 offset1:88
	ds_read2_b64 v[54:57], v32 offset0:85 offset1:86
	s_waitcnt lgkmcnt(0)
	v_mul_f64 v[30:31], v[12:13], v[30:31]
	s_waitcnt vmcnt(0)
	v_fma_f64 v[30:31], s[4:5], v[36:37], -v[30:31]
	v_fma_f64 v[30:31], -v[10:11], v[40:41], v[30:31]
	v_fma_f64 v[30:31], -v[14:15], v[38:39], v[30:31]
	;; [unrolled: 1-line block ×9, first 2 shown]
	v_mul_f64 v[30:31], v[30:31], v[54:55]
	flat_store_dwordx2 v[8:9], v[30:31] offset:40
	ds_read_b128 v[36:39], v32 offset:624
	ds_read_b128 v[40:43], v32 offset:608
	;; [unrolled: 1-line block ×6, first 2 shown]
	s_waitcnt lgkmcnt(0)
	v_mul_f64 v[38:39], v[12:13], v[38:39]
	v_fma_f64 v[34:35], s[4:5], v[34:35], -v[38:39]
	v_fma_f64 v[34:35], -v[10:11], v[36:37], v[34:35]
	v_fma_f64 v[34:35], -v[14:15], v[42:43], v[34:35]
	;; [unrolled: 1-line block ×10, first 2 shown]
	v_mul_f64 v[54:55], v[34:35], v[52:53]
	flat_store_dwordx2 v[8:9], v[54:55] offset:32
	ds_read_b64 v[50:51], v32 offset:504
	ds_read2_b64 v[34:37], v32 offset0:61 offset1:62
	ds_read2_b64 v[38:41], v32 offset0:59 offset1:60
	;; [unrolled: 1-line block ×4, first 2 shown]
	s_waitcnt lgkmcnt(0)
	v_mul_f64 v[50:51], v[12:13], v[50:51]
	v_fma_f64 v[6:7], s[4:5], v[6:7], -v[50:51]
	v_fma_f64 v[6:7], -v[10:11], v[36:37], v[6:7]
	v_fma_f64 v[6:7], -v[14:15], v[34:35], v[6:7]
	;; [unrolled: 1-line block ×4, first 2 shown]
	ds_read2_b64 v[34:37], v32 offset0:53 offset1:54
	ds_read2_b64 v[50:53], v32 offset0:51 offset1:52
	v_fma_f64 v[6:7], -v[20:21], v[44:45], v[6:7]
	v_fma_f64 v[6:7], -v[22:23], v[42:43], v[6:7]
	;; [unrolled: 1-line block ×4, first 2 shown]
	s_waitcnt lgkmcnt(0)
	v_fma_f64 v[6:7], -v[28:29], v[36:37], v[6:7]
	v_fma_f64 v[6:7], -v[30:31], v[34:35], v[6:7]
	;; [unrolled: 1-line block ×3, first 2 shown]
	v_mul_f64 v[56:57], v[6:7], v[50:51]
	flat_store_dwordx2 v[8:9], v[56:57] offset:24
	ds_read_b128 v[34:37], v32 offset:368
	ds_read_b128 v[38:41], v32 offset:352
	ds_read_b128 v[42:45], v32 offset:336
	ds_read_b128 v[46:49], v32 offset:272
	ds_read_b128 v[50:53], v32 offset:288
	s_waitcnt lgkmcnt(0)
	v_mul_f64 v[6:7], v[12:13], v[36:37]
	v_fma_f64 v[4:5], s[4:5], v[4:5], -v[6:7]
	v_fma_f64 v[58:59], -v[10:11], v[34:35], v[4:5]
	ds_read_b128 v[4:7], v32 offset:304
	ds_read_b128 v[34:37], v32 offset:320
	v_fma_f64 v[40:41], -v[14:15], v[40:41], v[58:59]
	v_fma_f64 v[38:39], -v[16:17], v[38:39], v[40:41]
	;; [unrolled: 1-line block ×4, first 2 shown]
	s_waitcnt lgkmcnt(0)
	v_fma_f64 v[36:37], -v[22:23], v[36:37], v[38:39]
	v_fma_f64 v[34:35], -v[24:25], v[34:35], v[36:37]
	;; [unrolled: 1-line block ×7, first 2 shown]
	v_mul_f64 v[50:51], v[4:5], v[46:47]
	flat_store_dwordx2 v[8:9], v[50:51] offset:16
	ds_read_b64 v[52:53], v32 offset:248
	ds_read2_b64 v[4:7], v32 offset0:29 offset1:30
	ds_read2_b64 v[34:37], v32 offset0:27 offset1:28
	;; [unrolled: 1-line block ×5, first 2 shown]
	s_waitcnt lgkmcnt(0)
	v_mul_f64 v[52:53], v[12:13], v[52:53]
	v_fma_f64 v[2:3], s[4:5], v[2:3], -v[52:53]
	v_fma_f64 v[2:3], -v[10:11], v[6:7], v[2:3]
	v_fma_f64 v[2:3], -v[14:15], v[4:5], v[2:3]
	;; [unrolled: 1-line block ×6, first 2 shown]
	ds_read2_b64 v[2:5], v32 offset0:19 offset1:20
	ds_read2_b64 v[34:37], v32 offset0:17 offset1:18
	v_fma_f64 v[6:7], -v[24:25], v[44:45], v[6:7]
	v_fma_f64 v[6:7], -v[26:27], v[42:43], v[6:7]
	v_fma_f64 v[6:7], -v[28:29], v[48:49], v[6:7]
	v_fma_f64 v[6:7], -v[30:31], v[46:47], v[6:7]
	s_waitcnt lgkmcnt(0)
	v_fma_f64 v[4:5], -v[54:55], v[4:5], v[6:7]
	v_fma_f64 v[2:3], -v[56:57], v[2:3], v[4:5]
	;; [unrolled: 1-line block ×3, first 2 shown]
	v_mul_f64 v[52:53], v[2:3], v[34:35]
	flat_store_dwordx2 v[8:9], v[52:53] offset:8
	ds_read_b128 v[2:5], v32 offset:112
	ds_read_b128 v[34:37], v32 offset:96
	;; [unrolled: 1-line block ×4, first 2 shown]
	s_waitcnt lgkmcnt(0)
	v_mul_f64 v[4:5], v[12:13], v[4:5]
	v_fma_f64 v[0:1], s[4:5], v[0:1], -v[4:5]
	v_fma_f64 v[0:1], -v[10:11], v[2:3], v[0:1]
	v_fma_f64 v[0:1], -v[14:15], v[36:37], v[0:1]
	ds_read_b128 v[4:7], v32 offset:32
	ds_read_b128 v[46:49], v32 offset:48
	v_fma_f64 v[0:1], -v[16:17], v[34:35], v[0:1]
	v_fma_f64 v[0:1], -v[18:19], v[40:41], v[0:1]
	;; [unrolled: 1-line block ×5, first 2 shown]
	ds_read_b128 v[0:3], v32
	ds_read_b128 v[10:13], v32 offset:16
	s_waitcnt lgkmcnt(0)
	v_fma_f64 v[14:15], -v[26:27], v[48:49], v[14:15]
	v_fma_f64 v[14:15], -v[28:29], v[46:47], v[14:15]
	v_fma_f64 v[6:7], -v[30:31], v[6:7], v[14:15]
	v_fma_f64 v[4:5], -v[54:55], v[4:5], v[6:7]
	v_fma_f64 v[4:5], -v[56:57], v[12:13], v[4:5]
	v_fma_f64 v[4:5], -v[50:51], v[10:11], v[4:5]
	v_fma_f64 v[2:3], -v[52:53], v[2:3], v[4:5]
	v_mul_f64 v[0:1], v[2:3], v[0:1]
	flat_store_dwordx2 v[8:9], v[0:1]
	s_cmp_gt_i32 s0, -1
	s_cbranch_scc1 .LBB85_11
	s_branch .LBB85_33
.LBB85_10:
	s_mov_b32 s0, s8
	s_cmp_gt_i32 s0, -1
	s_cbranch_scc0 .LBB85_33
.LBB85_11:
	s_cmp_lt_u32 s0, 11
	s_cbranch_scc1 .LBB85_16
; %bb.12:
	s_mov_b32 s3, 0
	s_mov_b32 s1, s3
	v_lshl_add_u64 v[10:11], s[0:1], 3, v[8:9]
	v_add_co_u32_e32 v4, vcc, -8, v10
	s_cmp_le_i32 s8, s0
	s_nop 0
	v_addc_co_u32_e32 v5, vcc, -1, v11, vcc
	v_add_co_u32_e32 v6, vcc, 0xffffffe8, v10
	s_nop 1
	v_addc_co_u32_e32 v7, vcc, -1, v11, vcc
	flat_load_dwordx4 v[0:3], v[4:5]
	flat_load_dwordx4 v[12:15], v[6:7]
	v_add_co_u32_e32 v4, vcc, 0xffffffd8, v10
	s_waitcnt vmcnt(0) lgkmcnt(0)
	v_mul_f64 v[26:27], s[4:5], v[0:1]
	v_addc_co_u32_e32 v5, vcc, -1, v11, vcc
	v_add_co_u32_e32 v6, vcc, 0xffffffc8, v10
	v_mul_f64 v[14:15], s[4:5], v[14:15]
	s_nop 0
	v_addc_co_u32_e32 v7, vcc, -1, v11, vcc
	flat_load_dwordx4 v[18:21], v[4:5]
	flat_load_dwordx4 v[28:31], v[6:7]
	v_add_co_u32_e32 v4, vcc, 0xffffffb8, v10
	v_mul_f64 v[6:7], s[4:5], v[2:3]
	s_nop 0
	v_addc_co_u32_e32 v5, vcc, -1, v11, vcc
	flat_load_dwordx4 v[32:35], v[4:5]
	v_add_co_u32_e32 v4, vcc, 0xffffffa8, v10
	v_mul_f64 v[16:17], s[4:5], v[12:13]
	s_nop 0
	v_addc_co_u32_e32 v5, vcc, -1, v11, vcc
	flat_load_dwordx4 v[36:39], v[4:5]
	s_waitcnt vmcnt(0) lgkmcnt(0)
	v_mul_f64 v[20:21], s[4:5], v[20:21]
	v_mul_f64 v[22:23], s[4:5], v[18:19]
	;; [unrolled: 1-line block ×8, first 2 shown]
	s_cbranch_scc1 .LBB85_15
; %bb.13:
	s_lshl_b32 s1, s0, 7
	s_lshl_b32 s2, s22, 3
	s_add_i32 s1, s1, s2
	s_addk_i32 s1, 0xfa78
	s_mov_b32 s2, s8
.LBB85_14:                              ; =>This Inner Loop Header: Depth=1
	v_lshl_add_u64 v[28:29], s[2:3], 3, v[8:9]
	flat_load_dwordx2 v[52:53], v[28:29]
	v_mov_b32_e32 v48, s1
	ds_read2_b64 v[28:31], v48 offset0:160 offset1:176
	ds_read2_b64 v[32:35], v48 offset0:128 offset1:144
	;; [unrolled: 1-line block ×5, first 2 shown]
	ds_read2_b64 v[48:51], v48 offset1:16
	s_add_i32 s2, s2, -1
	s_add_i32 s1, s1, -8
	s_cmp_gt_i32 s2, s0
	s_waitcnt vmcnt(0) lgkmcnt(0)
	v_fma_f64 v[6:7], -v[52:53], v[30:31], v[6:7]
	v_fma_f64 v[26:27], -v[52:53], v[28:29], v[26:27]
	;; [unrolled: 1-line block ×12, first 2 shown]
	s_cbranch_scc1 .LBB85_14
.LBB85_15:
	s_mul_i32 s1, s0, 0x88
	v_mov_b32_e32 v28, s1
	ds_read_b64 v[28:29], v28
	s_add_i32 s2, s0, -1
	s_lshl_b32 s1, s2, 7
	s_lshl_b32 s3, s2, 3
	s_add_i32 s1, s1, s3
	s_waitcnt lgkmcnt(0)
	v_mul_f64 v[6:7], v[6:7], v[28:29]
	flat_store_dwordx2 v[10:11], v[6:7]
	v_mov_b32_e32 v10, s1
	ds_read2_b64 v[28:31], v10 offset1:1
	s_mov_b32 s3, 0
	v_lshl_add_u64 v[32:33], s[2:3], 3, v[8:9]
	s_add_i32 s2, s0, -2
	s_lshl_b32 s6, s2, 7
	s_lshl_b32 s1, s0, 3
	s_add_i32 s7, s6, s1
	s_waitcnt lgkmcnt(0)
	v_fma_f64 v[10:11], -v[6:7], v[30:31], v[26:27]
	v_mov_b32_e32 v26, s7
	s_lshl_b32 s7, s2, 3
	v_mul_f64 v[10:11], v[10:11], v[28:29]
	s_add_i32 s6, s6, s7
	flat_store_dwordx2 v[32:33], v[10:11]
	v_mov_b32_e32 v27, s6
	ds_read_b64 v[30:31], v26
	ds_read2_b64 v[26:29], v27 offset1:1
	s_waitcnt lgkmcnt(0)
	v_fma_f64 v[14:15], -v[6:7], v[30:31], v[14:15]
	v_fma_f64 v[14:15], -v[10:11], v[28:29], v[14:15]
	v_mul_f64 v[14:15], v[14:15], v[26:27]
	v_lshl_add_u64 v[26:27], s[2:3], 3, v[8:9]
	s_add_i32 s2, s0, -3
	s_lshl_b32 s6, s2, 7
	s_add_i32 s7, s6, s1
	s_add_i32 s7, s7, -8
	flat_store_dwordx2 v[26:27], v[14:15]
	v_mov_b32_e32 v26, s7
	s_lshl_b32 s7, s2, 3
	ds_read2_b64 v[26:29], v26 offset1:1
	s_add_i32 s6, s6, s7
	v_mov_b32_e32 v30, s6
	ds_read2_b64 v[30:33], v30 offset1:1
	s_waitcnt lgkmcnt(0)
	v_fma_f64 v[16:17], -v[6:7], v[28:29], v[16:17]
	v_fma_f64 v[16:17], -v[10:11], v[26:27], v[16:17]
	v_lshl_add_u64 v[26:27], s[2:3], 3, v[8:9]
	s_add_i32 s2, s0, -4
	v_fma_f64 v[16:17], -v[14:15], v[32:33], v[16:17]
	s_lshl_b32 s6, s2, 7
	v_mul_f64 v[16:17], v[16:17], v[30:31]
	s_add_i32 s7, s6, s1
	flat_store_dwordx2 v[26:27], v[16:17]
	v_mov_b32_e32 v26, s7
	s_add_i32 s7, s7, -16
	v_mov_b32_e32 v27, s7
	ds_read_b64 v[34:35], v26
	ds_read2_b64 v[26:29], v27 offset1:1
	s_lshl_b32 s7, s2, 3
	s_add_i32 s6, s6, s7
	v_mov_b32_e32 v30, s6
	ds_read2_b64 v[30:33], v30 offset1:1
	s_waitcnt lgkmcnt(0)
	v_fma_f64 v[20:21], -v[6:7], v[34:35], v[20:21]
	v_fma_f64 v[20:21], -v[10:11], v[28:29], v[20:21]
	;; [unrolled: 1-line block ×3, first 2 shown]
	v_lshl_add_u64 v[26:27], s[2:3], 3, v[8:9]
	s_add_i32 s2, s0, -5
	s_lshl_b32 s6, s2, 7
	v_fma_f64 v[20:21], -v[16:17], v[32:33], v[20:21]
	s_add_i32 s7, s6, s1
	v_mul_f64 v[20:21], v[20:21], v[30:31]
	s_add_i32 s9, s7, -8
	s_sub_i32 s7, s7, 24
	flat_store_dwordx2 v[26:27], v[20:21]
	v_mov_b32_e32 v26, s9
	v_mov_b32_e32 v30, s7
	ds_read2_b64 v[26:29], v26 offset1:1
	ds_read2_b64 v[30:33], v30 offset1:1
	s_lshl_b32 s7, s2, 3
	s_add_i32 s6, s6, s7
	v_mov_b32_e32 v34, s6
	ds_read2_b64 v[34:37], v34 offset1:1
	s_waitcnt lgkmcnt(0)
	v_fma_f64 v[22:23], -v[6:7], v[28:29], v[22:23]
	v_fma_f64 v[22:23], -v[10:11], v[26:27], v[22:23]
	;; [unrolled: 1-line block ×4, first 2 shown]
	v_lshl_add_u64 v[26:27], s[2:3], 3, v[8:9]
	s_add_i32 s2, s0, -6
	v_fma_f64 v[22:23], -v[20:21], v[36:37], v[22:23]
	s_lshl_b32 s6, s2, 7
	v_mul_f64 v[22:23], v[22:23], v[34:35]
	s_add_i32 s7, s6, s1
	flat_store_dwordx2 v[26:27], v[22:23]
	v_mov_b32_e32 v26, s7
	ds_read_b64 v[30:31], v26
	s_add_i32 s9, s7, -16
	v_mov_b32_e32 v26, s9
	ds_read2_b64 v[26:29], v26 offset1:1
	s_sub_i32 s7, s7, 32
	s_waitcnt lgkmcnt(0)
	v_fma_f64 v[24:25], -v[6:7], v[30:31], v[24:25]
	v_mov_b32_e32 v30, s7
	s_lshl_b32 s7, s2, 3
	ds_read2_b64 v[30:33], v30 offset1:1
	s_add_i32 s6, s6, s7
	v_mov_b32_e32 v34, s6
	ds_read2_b64 v[34:37], v34 offset1:1
	v_fma_f64 v[24:25], -v[10:11], v[28:29], v[24:25]
	v_fma_f64 v[24:25], -v[14:15], v[26:27], v[24:25]
	s_waitcnt lgkmcnt(0)
	v_fma_f64 v[24:25], -v[16:17], v[32:33], v[24:25]
	v_lshl_add_u64 v[26:27], s[2:3], 3, v[8:9]
	s_add_i32 s2, s0, -7
	v_fma_f64 v[24:25], -v[20:21], v[30:31], v[24:25]
	s_lshl_b32 s6, s2, 7
	v_fma_f64 v[24:25], -v[22:23], v[36:37], v[24:25]
	s_add_i32 s7, s6, s1
	v_mul_f64 v[24:25], v[24:25], v[34:35]
	s_add_i32 s9, s7, -8
	flat_store_dwordx2 v[26:27], v[24:25]
	v_mov_b32_e32 v26, s9
	ds_read2_b64 v[26:29], v26 offset1:1
	s_sub_i32 s9, s7, 24
	v_mov_b32_e32 v30, s9
	ds_read2_b64 v[30:33], v30 offset1:1
	s_sub_i32 s7, s7, 40
	s_waitcnt lgkmcnt(0)
	v_fma_f64 v[18:19], -v[6:7], v[28:29], v[18:19]
	v_fma_f64 v[18:19], -v[10:11], v[26:27], v[18:19]
	v_mov_b32_e32 v26, s7
	ds_read2_b64 v[26:29], v26 offset1:1
	s_lshl_b32 s7, s2, 3
	s_add_i32 s6, s6, s7
	v_mov_b32_e32 v34, s6
	ds_read2_b64 v[34:37], v34 offset1:1
	v_fma_f64 v[18:19], -v[14:15], v[32:33], v[18:19]
	v_fma_f64 v[18:19], -v[16:17], v[30:31], v[18:19]
	s_waitcnt lgkmcnt(0)
	v_fma_f64 v[18:19], -v[20:21], v[28:29], v[18:19]
	v_fma_f64 v[18:19], -v[22:23], v[26:27], v[18:19]
	v_lshl_add_u64 v[26:27], s[2:3], 3, v[8:9]
	s_add_i32 s2, s0, -8
	s_lshl_b32 s6, s2, 7
	v_fma_f64 v[18:19], -v[24:25], v[36:37], v[18:19]
	s_add_i32 s7, s6, s1
	v_mul_f64 v[18:19], v[18:19], v[34:35]
	s_add_i32 s9, s7, -16
	flat_store_dwordx2 v[26:27], v[18:19]
	v_mov_b32_e32 v26, s7
	v_mov_b32_e32 v27, s9
	ds_read_b64 v[30:31], v26
	ds_read2_b64 v[26:29], v27 offset1:1
	s_sub_i32 s9, s7, 32
	s_sub_i32 s7, s7, 48
	s_waitcnt lgkmcnt(0)
	v_fma_f64 v[12:13], -v[6:7], v[30:31], v[12:13]
	v_fma_f64 v[12:13], -v[10:11], v[28:29], v[12:13]
	;; [unrolled: 1-line block ×3, first 2 shown]
	v_mov_b32_e32 v26, s9
	v_mov_b32_e32 v30, s7
	ds_read2_b64 v[26:29], v26 offset1:1
	ds_read2_b64 v[30:33], v30 offset1:1
	s_lshl_b32 s7, s2, 3
	s_add_i32 s6, s6, s7
	v_mov_b32_e32 v34, s6
	ds_read2_b64 v[34:37], v34 offset1:1
	s_waitcnt lgkmcnt(0)
	v_fma_f64 v[12:13], -v[16:17], v[28:29], v[12:13]
	v_fma_f64 v[12:13], -v[20:21], v[26:27], v[12:13]
	;; [unrolled: 1-line block ×5, first 2 shown]
	v_mul_f64 v[38:39], v[12:13], v[34:35]
	v_lshl_add_u64 v[12:13], s[2:3], 3, v[8:9]
	s_add_i32 s2, s0, -9
	s_lshl_b32 s6, s2, 7
	s_add_i32 s7, s6, s1
	s_add_i32 s9, s7, -8
	flat_store_dwordx2 v[12:13], v[38:39]
	v_mov_b32_e32 v12, s9
	ds_read2_b64 v[26:29], v12 offset1:1
	s_sub_i32 s9, s7, 24
	v_mov_b32_e32 v12, s9
	ds_read2_b64 v[30:33], v12 offset1:1
	s_sub_i32 s9, s7, 40
	s_waitcnt lgkmcnt(0)
	v_fma_f64 v[4:5], -v[6:7], v[28:29], v[4:5]
	v_fma_f64 v[4:5], -v[10:11], v[26:27], v[4:5]
	v_mov_b32_e32 v12, s9
	v_fma_f64 v[4:5], -v[14:15], v[32:33], v[4:5]
	s_sub_i32 s7, s7, 56
	v_fma_f64 v[4:5], -v[16:17], v[30:31], v[4:5]
	v_mov_b32_e32 v13, s7
	ds_read2_b64 v[26:29], v12 offset1:1
	ds_read2_b64 v[30:33], v13 offset1:1
	s_lshl_b32 s7, s2, 3
	s_add_i32 s6, s6, s7
	v_mov_b32_e32 v12, s6
	ds_read2_b64 v[34:37], v12 offset1:1
	s_waitcnt lgkmcnt(0)
	v_fma_f64 v[4:5], -v[20:21], v[28:29], v[4:5]
	v_fma_f64 v[4:5], -v[22:23], v[26:27], v[4:5]
	;; [unrolled: 1-line block ×5, first 2 shown]
	v_mul_f64 v[34:35], v[4:5], v[34:35]
	v_lshl_add_u64 v[4:5], s[2:3], 3, v[8:9]
	s_add_i32 s2, s0, -10
	s_lshl_b32 s6, s2, 7
	s_add_i32 s7, s6, s1
	flat_store_dwordx2 v[4:5], v[34:35]
	v_mov_b32_e32 v4, s7
	s_add_i32 s9, s7, -16
	v_mov_b32_e32 v12, s9
	ds_read_b64 v[4:5], v4
	ds_read2_b64 v[26:29], v12 offset1:1
	s_sub_i32 s9, s7, 32
	s_waitcnt lgkmcnt(0)
	v_fma_f64 v[2:3], -v[6:7], v[4:5], v[2:3]
	v_fma_f64 v[12:13], -v[10:11], v[28:29], v[2:3]
	v_mov_b32_e32 v2, s9
	ds_read2_b64 v[2:5], v2 offset1:1
	s_sub_i32 s9, s7, 48
	v_fma_f64 v[12:13], -v[14:15], v[26:27], v[12:13]
	v_mov_b32_e32 v26, s9
	ds_read2_b64 v[26:29], v26 offset1:1
	s_waitcnt lgkmcnt(0)
	v_fma_f64 v[4:5], -v[16:17], v[4:5], v[12:13]
	s_sub_i32 s7, s7, 64
	v_fma_f64 v[12:13], -v[20:21], v[2:3], v[4:5]
	v_mov_b32_e32 v2, s7
	s_lshl_b32 s7, s2, 3
	ds_read2_b64 v[2:5], v2 offset1:1
	s_add_i32 s6, s6, s7
	v_mov_b32_e32 v30, s6
	ds_read2_b64 v[30:33], v30 offset1:1
	v_fma_f64 v[12:13], -v[22:23], v[28:29], v[12:13]
	v_fma_f64 v[12:13], -v[24:25], v[26:27], v[12:13]
	s_waitcnt lgkmcnt(0)
	v_fma_f64 v[4:5], -v[18:19], v[4:5], v[12:13]
	v_fma_f64 v[2:3], -v[38:39], v[2:3], v[4:5]
	v_fma_f64 v[2:3], -v[34:35], v[32:33], v[2:3]
	v_mul_f64 v[30:31], v[2:3], v[30:31]
	v_lshl_add_u64 v[2:3], s[2:3], 3, v[8:9]
	s_add_i32 s2, s0, -11
	s_lshl_b32 s6, s2, 7
	s_add_i32 s1, s6, s1
	s_add_i32 s7, s1, -8
	flat_store_dwordx2 v[2:3], v[30:31]
	v_mov_b32_e32 v2, s7
	ds_read2_b64 v[2:5], v2 offset1:1
	s_sub_i32 s7, s1, 24
	v_mov_b32_e32 v12, s7
	ds_read2_b64 v[26:29], v12 offset1:1
	s_sub_i32 s7, s1, 40
	s_waitcnt lgkmcnt(0)
	v_fma_f64 v[0:1], -v[6:7], v[4:5], v[0:1]
	v_fma_f64 v[0:1], -v[10:11], v[2:3], v[0:1]
	s_add_i32 s0, s0, -12
	v_fma_f64 v[4:5], -v[14:15], v[28:29], v[0:1]
	v_mov_b32_e32 v0, s7
	ds_read2_b64 v[0:3], v0 offset1:1
	s_sub_i32 s7, s1, 56
	v_fma_f64 v[10:11], -v[16:17], v[26:27], v[4:5]
	v_mov_b32_e32 v4, s7
	ds_read2_b64 v[4:7], v4 offset1:1
	s_waitcnt lgkmcnt(0)
	v_fma_f64 v[2:3], -v[20:21], v[2:3], v[10:11]
	s_addk_i32 s1, 0xffb8
	v_fma_f64 v[14:15], -v[22:23], v[0:1], v[2:3]
	v_mov_b32_e32 v0, s1
	s_lshl_b32 s1, s2, 3
	ds_read2_b64 v[0:3], v0 offset1:1
	s_add_i32 s1, s6, s1
	v_mov_b32_e32 v10, s1
	ds_read2_b64 v[10:13], v10 offset1:1
	v_fma_f64 v[6:7], -v[24:25], v[6:7], v[14:15]
	v_fma_f64 v[4:5], -v[18:19], v[4:5], v[6:7]
	s_waitcnt lgkmcnt(0)
	v_fma_f64 v[2:3], -v[38:39], v[2:3], v[4:5]
	v_fma_f64 v[0:1], -v[34:35], v[0:1], v[2:3]
	;; [unrolled: 1-line block ×3, first 2 shown]
	v_mul_f64 v[0:1], v[0:1], v[10:11]
	v_lshl_add_u64 v[2:3], s[2:3], 3, v[8:9]
	flat_store_dwordx2 v[2:3], v[0:1]
.LBB85_16:
	s_cmp_lt_i32 s0, 0
	s_cbranch_scc1 .LBB85_33
; %bb.17:
	s_and_b32 s1, s0, 3
	s_cmp_eq_u32 s1, 3
	s_mov_b32 s2, s0
	s_cbranch_scc1 .LBB85_22
; %bb.18:
	s_lshl_b32 s2, s0, 7
	s_lshl_b32 s3, s22, 3
	s_add_i32 s1, s0, 1
	s_add_i32 s2, s2, s3
	s_and_b32 s1, s1, 3
	s_add_i32 s9, s2, -8
	s_mov_b32 s7, 0
	s_mov_b32 s2, s0
	s_mov_b32 s11, 0
	s_branch .LBB85_20
.LBB85_19:                              ;   in Loop: Header=BB85_20 Depth=1
	s_mul_i32 s3, s2, 0x88
	v_mov_b32_e32 v4, s3
	ds_read_b64 v[4:5], v4
	s_add_i32 s2, s2, -1
	s_add_i32 s11, s11, 1
	s_addk_i32 s9, 0xff80
	s_cmp_lg_u32 s11, s1
	s_waitcnt lgkmcnt(0)
	v_mul_f64 v[2:3], v[2:3], v[4:5]
	flat_store_dwordx2 v[0:1], v[2:3]
	s_cbranch_scc0 .LBB85_22
.LBB85_20:                              ; =>This Loop Header: Depth=1
                                        ;     Child Loop BB85_21 Depth 2
	s_mov_b32 s3, s7
	v_lshl_add_u64 v[0:1], s[2:3], 3, v[8:9]
	flat_load_dwordx2 v[2:3], v[0:1]
	s_cmp_le_i32 s8, s2
	s_mov_b32 s3, s9
	s_mov_b32 s6, s8
	s_waitcnt vmcnt(0) lgkmcnt(0)
	v_mul_f64 v[2:3], s[4:5], v[2:3]
	s_cbranch_scc1 .LBB85_19
.LBB85_21:                              ;   Parent Loop BB85_20 Depth=1
                                        ; =>  This Inner Loop Header: Depth=2
	v_lshl_add_u64 v[4:5], s[6:7], 3, v[8:9]
	flat_load_dwordx2 v[4:5], v[4:5]
	v_mov_b32_e32 v6, s3
	ds_read_b64 v[6:7], v6
	s_add_i32 s6, s6, -1
	s_add_i32 s3, s3, -8
	s_cmp_gt_i32 s6, s2
	s_waitcnt vmcnt(0) lgkmcnt(0)
	v_fma_f64 v[2:3], -v[4:5], v[6:7], v[2:3]
	s_cbranch_scc1 .LBB85_21
	s_branch .LBB85_19
.LBB85_22:
	s_cmp_lt_u32 s0, 3
	s_cbranch_scc1 .LBB85_33
; %bb.23:
	s_lshl_b32 s0, s2, 7
	s_lshl_b32 s1, s22, 3
	s_add_i32 s0, s0, s1
	s_add_i32 s9, s0, -8
	s_add_i32 s11, s0, 0xffffff78
	s_add_i32 s12, s0, 0xfffffef8
	;; [unrolled: 1-line block ×3, first 2 shown]
	s_mov_b32 s1, 0
	s_branch .LBB85_25
.LBB85_24:                              ;   in Loop: Header=BB85_25 Depth=1
	s_add_i32 s0, s3, 0xffffff78
	v_mov_b32_e32 v4, s0
	ds_read_b64 v[4:5], v4
	s_add_i32 s0, s2, -4
	s_addk_i32 s9, 0xfe00
	s_addk_i32 s11, 0xfe00
	s_addk_i32 s12, 0xfe00
	s_addk_i32 s13, 0xfe00
	s_waitcnt lgkmcnt(0)
	v_mul_f64 v[2:3], v[2:3], v[4:5]
	s_cmp_lt_i32 s2, 4
	s_mov_b32 s2, s0
	flat_store_dwordx2 v[0:1], v[2:3]
	s_cbranch_scc1 .LBB85_33
.LBB85_25:                              ; =>This Loop Header: Depth=1
                                        ;     Child Loop BB85_26 Depth 2
                                        ;     Child Loop BB85_28 Depth 2
	;; [unrolled: 1-line block ×4, first 2 shown]
	s_mov_b32 s3, s1
	v_lshl_add_u64 v[2:3], s[2:3], 3, v[8:9]
	flat_load_dwordx2 v[0:1], v[2:3]
	s_cmp_le_i32 s8, s2
	s_mov_b32 s3, s9
	s_mov_b32 s0, s8
	s_waitcnt vmcnt(0) lgkmcnt(0)
	v_mul_f64 v[4:5], s[4:5], v[0:1]
	s_cbranch_scc1 .LBB85_27
.LBB85_26:                              ;   Parent Loop BB85_25 Depth=1
                                        ; =>  This Inner Loop Header: Depth=2
	v_lshl_add_u64 v[0:1], s[0:1], 3, v[8:9]
	flat_load_dwordx2 v[0:1], v[0:1]
	v_mov_b32_e32 v6, s3
	ds_read_b64 v[6:7], v6
	s_add_i32 s0, s0, -1
	s_add_i32 s3, s3, -8
	s_cmp_gt_i32 s0, s2
	s_waitcnt vmcnt(0) lgkmcnt(0)
	v_fma_f64 v[4:5], -v[0:1], v[6:7], v[4:5]
	s_cbranch_scc1 .LBB85_26
.LBB85_27:                              ;   in Loop: Header=BB85_25 Depth=1
	s_add_i32 s0, s2, -1
	v_lshl_add_u64 v[0:1], s[0:1], 3, v[8:9]
	flat_load_dwordx2 v[6:7], v[0:1]
	s_mul_i32 s3, s2, 0x88
	v_mov_b32_e32 v10, s3
	ds_read_b64 v[10:11], v10
	s_mov_b32 s6, s11
	s_cmp_le_i32 s22, s2
	s_mov_b32 s0, s22
	s_waitcnt lgkmcnt(0)
	v_mul_f64 v[4:5], v[4:5], v[10:11]
	flat_store_dwordx2 v[2:3], v[4:5]
	s_waitcnt vmcnt(0)
	v_mul_f64 v[4:5], s[4:5], v[6:7]
	s_cbranch_scc1 .LBB85_29
.LBB85_28:                              ;   Parent Loop BB85_25 Depth=1
                                        ; =>  This Inner Loop Header: Depth=2
	s_add_i32 s0, s0, -1
	v_lshl_add_u64 v[2:3], s[0:1], 3, v[8:9]
	flat_load_dwordx2 v[2:3], v[2:3]
	v_mov_b32_e32 v6, s6
	ds_read_b64 v[6:7], v6
	s_add_i32 s6, s6, -8
	s_cmp_gt_i32 s0, s2
	s_waitcnt vmcnt(0) lgkmcnt(0)
	v_fma_f64 v[4:5], -v[2:3], v[6:7], v[4:5]
	s_cbranch_scc1 .LBB85_28
.LBB85_29:                              ;   in Loop: Header=BB85_25 Depth=1
	s_add_i32 s6, s2, -2
	s_mov_b32 s7, s1
	v_lshl_add_u64 v[2:3], s[6:7], 3, v[8:9]
	flat_load_dwordx2 v[6:7], v[2:3]
	s_addk_i32 s3, 0xff78
	v_mov_b32_e32 v10, s3
	ds_read_b64 v[10:11], v10
	s_mov_b32 s7, s12
	s_cmp_le_i32 s8, s6
	s_mov_b32 s0, s8
	s_waitcnt lgkmcnt(0)
	v_mul_f64 v[4:5], v[4:5], v[10:11]
	flat_store_dwordx2 v[0:1], v[4:5]
	s_waitcnt vmcnt(0)
	v_mul_f64 v[4:5], s[4:5], v[6:7]
	s_cbranch_scc1 .LBB85_31
.LBB85_30:                              ;   Parent Loop BB85_25 Depth=1
                                        ; =>  This Inner Loop Header: Depth=2
	v_lshl_add_u64 v[0:1], s[0:1], 3, v[8:9]
	flat_load_dwordx2 v[0:1], v[0:1]
	v_mov_b32_e32 v6, s7
	ds_read_b64 v[6:7], v6
	s_add_i32 s0, s0, -1
	s_add_i32 s7, s7, -8
	s_cmp_gt_i32 s0, s6
	s_waitcnt vmcnt(0) lgkmcnt(0)
	v_fma_f64 v[4:5], -v[0:1], v[6:7], v[4:5]
	s_cbranch_scc1 .LBB85_30
.LBB85_31:                              ;   in Loop: Header=BB85_25 Depth=1
	s_add_i32 s6, s2, -3
	s_mov_b32 s7, s1
	v_lshl_add_u64 v[0:1], s[6:7], 3, v[8:9]
	flat_load_dwordx2 v[6:7], v[0:1]
	s_addk_i32 s3, 0xff78
	v_mov_b32_e32 v10, s3
	ds_read_b64 v[10:11], v10
	s_mov_b32 s7, s13
	s_cmp_le_i32 s8, s6
	s_mov_b32 s0, s8
	s_waitcnt lgkmcnt(0)
	v_mul_f64 v[4:5], v[4:5], v[10:11]
	flat_store_dwordx2 v[2:3], v[4:5]
	s_waitcnt vmcnt(0)
	v_mul_f64 v[2:3], s[4:5], v[6:7]
	s_cbranch_scc1 .LBB85_24
.LBB85_32:                              ;   Parent Loop BB85_25 Depth=1
                                        ; =>  This Inner Loop Header: Depth=2
	v_lshl_add_u64 v[4:5], s[0:1], 3, v[8:9]
	flat_load_dwordx2 v[4:5], v[4:5]
	v_mov_b32_e32 v6, s7
	ds_read_b64 v[6:7], v6
	s_add_i32 s0, s0, -1
	s_add_i32 s7, s7, -8
	s_cmp_gt_i32 s0, s6
	s_waitcnt vmcnt(0) lgkmcnt(0)
	v_fma_f64 v[2:3], -v[4:5], v[6:7], v[2:3]
	s_cbranch_scc1 .LBB85_32
	s_branch .LBB85_24
.LBB85_33:
	s_mov_b64 s[0:1], 0
.LBB85_34:
	s_and_b64 vcc, exec, s[0:1]
	s_cbranch_vccz .LBB85_48
; %bb.35:
	s_cmp_gt_i32 s10, 15
	s_cselect_b64 s[2:3], -1, 0
	s_and_b64 vcc, exec, s[2:3]
	s_cbranch_vccz .LBB85_37
; %bb.36:
	flat_load_dwordx4 v[0:3], v[8:9]
	flat_load_dwordx4 v[14:17], v[8:9] offset:16
	flat_load_dwordx4 v[18:21], v[8:9] offset:32
	;; [unrolled: 1-line block ×3, first 2 shown]
	v_mov_b32_e32 v60, 0
	ds_read_b64 v[4:5], v60
	s_mov_b32 s0, 16
	s_waitcnt vmcnt(0) lgkmcnt(0)
	v_mul_f64 v[0:1], s[4:5], v[0:1]
	v_mul_f64 v[12:13], v[0:1], v[4:5]
	flat_store_dwordx2 v[8:9], v[12:13]
	ds_read_b64 v[0:1], v60 offset:8
	ds_read_b64 v[4:5], v60 offset:136
	s_waitcnt lgkmcnt(0)
	v_mul_f64 v[0:1], v[12:13], v[0:1]
	v_fma_f64 v[0:1], s[4:5], v[2:3], -v[0:1]
	v_mul_f64 v[10:11], v[0:1], v[4:5]
	flat_store_dwordx2 v[8:9], v[10:11] offset:8
	ds_read_b64 v[0:1], v60 offset:16
	ds_read_b64 v[2:3], v60 offset:144
	;; [unrolled: 1-line block ×3, first 2 shown]
	flat_load_dwordx4 v[26:29], v[8:9] offset:64
	flat_load_dwordx4 v[30:33], v[8:9] offset:80
	s_waitcnt lgkmcnt(0)
	v_mul_f64 v[0:1], v[12:13], v[0:1]
	v_fma_f64 v[0:1], s[4:5], v[14:15], -v[0:1]
	v_fma_f64 v[0:1], -v[10:11], v[2:3], v[0:1]
	v_mul_f64 v[14:15], v[0:1], v[4:5]
	flat_store_dwordx2 v[8:9], v[14:15] offset:16
	ds_read_b64 v[34:35], v60 offset:24
	flat_load_dwordx4 v[4:7], v[8:9] offset:96
	flat_load_dwordx4 v[0:3], v[8:9] offset:112
	ds_read_b64 v[36:37], v60 offset:152
	ds_read_b64 v[38:39], v60 offset:280
	;; [unrolled: 1-line block ×3, first 2 shown]
	s_waitcnt lgkmcnt(0)
	v_mul_f64 v[34:35], v[12:13], v[34:35]
	v_fma_f64 v[16:17], s[4:5], v[16:17], -v[34:35]
	v_fma_f64 v[16:17], -v[10:11], v[36:37], v[16:17]
	v_fma_f64 v[16:17], -v[14:15], v[38:39], v[16:17]
	v_mul_f64 v[16:17], v[16:17], v[40:41]
	flat_store_dwordx2 v[8:9], v[16:17] offset:24
	ds_read_b64 v[34:35], v60 offset:32
	ds_read_b64 v[36:37], v60 offset:160
	;; [unrolled: 1-line block ×5, first 2 shown]
	s_waitcnt lgkmcnt(0)
	v_mul_f64 v[34:35], v[12:13], v[34:35]
	v_fma_f64 v[18:19], s[4:5], v[18:19], -v[34:35]
	v_fma_f64 v[18:19], -v[10:11], v[36:37], v[18:19]
	v_fma_f64 v[18:19], -v[14:15], v[38:39], v[18:19]
	;; [unrolled: 1-line block ×3, first 2 shown]
	v_mul_f64 v[18:19], v[18:19], v[42:43]
	flat_store_dwordx2 v[8:9], v[18:19] offset:32
	ds_read_b64 v[34:35], v60 offset:40
	ds_read_b64 v[36:37], v60 offset:168
	;; [unrolled: 1-line block ×6, first 2 shown]
	s_waitcnt lgkmcnt(0)
	v_mul_f64 v[34:35], v[12:13], v[34:35]
	v_fma_f64 v[20:21], s[4:5], v[20:21], -v[34:35]
	v_fma_f64 v[20:21], -v[10:11], v[36:37], v[20:21]
	v_fma_f64 v[20:21], -v[14:15], v[38:39], v[20:21]
	v_fma_f64 v[20:21], -v[16:17], v[40:41], v[20:21]
	v_fma_f64 v[20:21], -v[18:19], v[42:43], v[20:21]
	v_mul_f64 v[20:21], v[20:21], v[44:45]
	flat_store_dwordx2 v[8:9], v[20:21] offset:40
	ds_read_b64 v[34:35], v60 offset:48
	ds_read_b64 v[36:37], v60 offset:176
	;; [unrolled: 1-line block ×7, first 2 shown]
	s_waitcnt lgkmcnt(0)
	v_mul_f64 v[34:35], v[12:13], v[34:35]
	v_fma_f64 v[22:23], s[4:5], v[22:23], -v[34:35]
	v_fma_f64 v[22:23], -v[10:11], v[36:37], v[22:23]
	v_fma_f64 v[22:23], -v[14:15], v[38:39], v[22:23]
	;; [unrolled: 1-line block ×5, first 2 shown]
	v_mul_f64 v[22:23], v[22:23], v[46:47]
	flat_store_dwordx2 v[8:9], v[22:23] offset:48
	ds_read_b64 v[34:35], v60 offset:56
	ds_read_b64 v[36:37], v60 offset:184
	;; [unrolled: 1-line block ×8, first 2 shown]
	s_waitcnt lgkmcnt(0)
	v_mul_f64 v[34:35], v[12:13], v[34:35]
	v_fma_f64 v[24:25], s[4:5], v[24:25], -v[34:35]
	v_fma_f64 v[24:25], -v[10:11], v[36:37], v[24:25]
	v_fma_f64 v[24:25], -v[14:15], v[38:39], v[24:25]
	;; [unrolled: 1-line block ×6, first 2 shown]
	v_mul_f64 v[24:25], v[24:25], v[48:49]
	flat_store_dwordx2 v[8:9], v[24:25] offset:56
	ds_read_b64 v[34:35], v60 offset:64
	ds_read_b64 v[36:37], v60 offset:192
	;; [unrolled: 1-line block ×9, first 2 shown]
	s_waitcnt lgkmcnt(0)
	v_mul_f64 v[34:35], v[12:13], v[34:35]
	s_waitcnt vmcnt(0)
	v_fma_f64 v[26:27], s[4:5], v[26:27], -v[34:35]
	v_fma_f64 v[26:27], -v[10:11], v[36:37], v[26:27]
	v_fma_f64 v[26:27], -v[14:15], v[38:39], v[26:27]
	;; [unrolled: 1-line block ×7, first 2 shown]
	v_mul_f64 v[26:27], v[26:27], v[50:51]
	flat_store_dwordx2 v[8:9], v[26:27] offset:64
	ds_read_b64 v[34:35], v60 offset:72
	ds_read_b64 v[36:37], v60 offset:200
	;; [unrolled: 1-line block ×10, first 2 shown]
	s_waitcnt lgkmcnt(0)
	v_mul_f64 v[34:35], v[12:13], v[34:35]
	v_fma_f64 v[28:29], s[4:5], v[28:29], -v[34:35]
	v_fma_f64 v[28:29], -v[10:11], v[36:37], v[28:29]
	v_fma_f64 v[28:29], -v[14:15], v[38:39], v[28:29]
	;; [unrolled: 1-line block ×8, first 2 shown]
	v_mul_f64 v[28:29], v[28:29], v[52:53]
	flat_store_dwordx2 v[8:9], v[28:29] offset:72
	ds_read_b64 v[34:35], v60 offset:80
	ds_read_b64 v[36:37], v60 offset:208
	;; [unrolled: 1-line block ×11, first 2 shown]
	s_waitcnt lgkmcnt(0)
	v_mul_f64 v[34:35], v[12:13], v[34:35]
	v_fma_f64 v[30:31], s[4:5], v[30:31], -v[34:35]
	v_fma_f64 v[30:31], -v[10:11], v[36:37], v[30:31]
	v_fma_f64 v[30:31], -v[14:15], v[38:39], v[30:31]
	;; [unrolled: 1-line block ×9, first 2 shown]
	v_mul_f64 v[30:31], v[30:31], v[54:55]
	flat_store_dwordx2 v[8:9], v[30:31] offset:80
	ds_read_b64 v[34:35], v60 offset:88
	ds_read_b64 v[36:37], v60 offset:216
	;; [unrolled: 1-line block ×8, first 2 shown]
	s_waitcnt lgkmcnt(0)
	v_mul_f64 v[34:35], v[12:13], v[34:35]
	v_fma_f64 v[32:33], s[4:5], v[32:33], -v[34:35]
	v_fma_f64 v[32:33], -v[10:11], v[36:37], v[32:33]
	v_fma_f64 v[32:33], -v[14:15], v[38:39], v[32:33]
	;; [unrolled: 1-line block ×5, first 2 shown]
	ds_read_b64 v[34:35], v60 offset:1112
	ds_read_b64 v[50:51], v60 offset:1240
	;; [unrolled: 1-line block ×4, first 2 shown]
	v_fma_f64 v[32:33], -v[22:23], v[46:47], v[32:33]
	v_fma_f64 v[32:33], -v[24:25], v[48:49], v[32:33]
	s_waitcnt lgkmcnt(0)
	v_fma_f64 v[32:33], -v[26:27], v[34:35], v[32:33]
	v_fma_f64 v[32:33], -v[28:29], v[50:51], v[32:33]
	;; [unrolled: 1-line block ×3, first 2 shown]
	v_mul_f64 v[32:33], v[32:33], v[54:55]
	flat_store_dwordx2 v[8:9], v[32:33] offset:88
	ds_read_b64 v[34:35], v60 offset:96
	ds_read_b64 v[36:37], v60 offset:224
	;; [unrolled: 1-line block ×12, first 2 shown]
	s_waitcnt lgkmcnt(0)
	v_mul_f64 v[34:35], v[12:13], v[34:35]
	v_fma_f64 v[4:5], s[4:5], v[4:5], -v[34:35]
	v_fma_f64 v[4:5], -v[10:11], v[36:37], v[4:5]
	v_fma_f64 v[4:5], -v[14:15], v[38:39], v[4:5]
	;; [unrolled: 1-line block ×6, first 2 shown]
	ds_read_b64 v[34:35], v60 offset:1632
	v_fma_f64 v[4:5], -v[24:25], v[48:49], v[4:5]
	v_fma_f64 v[4:5], -v[26:27], v[50:51], v[4:5]
	v_fma_f64 v[4:5], -v[28:29], v[52:53], v[4:5]
	v_fma_f64 v[4:5], -v[30:31], v[54:55], v[4:5]
	v_fma_f64 v[4:5], -v[32:33], v[56:57], v[4:5]
	s_waitcnt lgkmcnt(0)
	v_mul_f64 v[4:5], v[4:5], v[34:35]
	flat_store_dwordx2 v[8:9], v[4:5] offset:96
	ds_read_b64 v[34:35], v60 offset:104
	ds_read_b64 v[36:37], v60 offset:232
	;; [unrolled: 1-line block ×8, first 2 shown]
	s_waitcnt lgkmcnt(0)
	v_mul_f64 v[34:35], v[12:13], v[34:35]
	v_fma_f64 v[6:7], s[4:5], v[6:7], -v[34:35]
	v_fma_f64 v[6:7], -v[10:11], v[36:37], v[6:7]
	v_fma_f64 v[6:7], -v[14:15], v[38:39], v[6:7]
	;; [unrolled: 1-line block ×5, first 2 shown]
	ds_read_b64 v[34:35], v60 offset:1128
	ds_read_b64 v[50:51], v60 offset:1256
	;; [unrolled: 1-line block ×4, first 2 shown]
	v_fma_f64 v[6:7], -v[22:23], v[46:47], v[6:7]
	v_fma_f64 v[6:7], -v[24:25], v[48:49], v[6:7]
	ds_read_b64 v[36:37], v60 offset:1640
	ds_read_b64 v[56:57], v60 offset:1768
	s_waitcnt lgkmcnt(0)
	v_fma_f64 v[6:7], -v[26:27], v[34:35], v[6:7]
	v_fma_f64 v[6:7], -v[28:29], v[50:51], v[6:7]
	v_fma_f64 v[6:7], -v[30:31], v[52:53], v[6:7]
	v_fma_f64 v[6:7], -v[32:33], v[54:55], v[6:7]
	v_fma_f64 v[6:7], -v[4:5], v[36:37], v[6:7]
	v_mul_f64 v[6:7], v[6:7], v[56:57]
	flat_store_dwordx2 v[8:9], v[6:7] offset:104
	ds_read_b64 v[34:35], v60 offset:112
	ds_read_b64 v[36:37], v60 offset:240
	;; [unrolled: 1-line block ×12, first 2 shown]
	s_waitcnt lgkmcnt(0)
	v_mul_f64 v[34:35], v[12:13], v[34:35]
	v_fma_f64 v[0:1], s[4:5], v[0:1], -v[34:35]
	v_fma_f64 v[0:1], -v[10:11], v[36:37], v[0:1]
	v_fma_f64 v[0:1], -v[14:15], v[38:39], v[0:1]
	;; [unrolled: 1-line block ×8, first 2 shown]
	ds_read_b64 v[34:35], v60 offset:1648
	ds_read_b64 v[36:37], v60 offset:1776
	;; [unrolled: 1-line block ×3, first 2 shown]
	v_fma_f64 v[0:1], -v[28:29], v[52:53], v[0:1]
	v_fma_f64 v[0:1], -v[30:31], v[54:55], v[0:1]
	;; [unrolled: 1-line block ×3, first 2 shown]
	s_waitcnt lgkmcnt(0)
	v_fma_f64 v[0:1], -v[4:5], v[34:35], v[0:1]
	v_fma_f64 v[0:1], -v[6:7], v[36:37], v[0:1]
	v_mul_f64 v[34:35], v[0:1], v[38:39]
	flat_store_dwordx2 v[8:9], v[34:35] offset:112
	ds_read_b64 v[0:1], v60 offset:120
	ds_read_b64 v[36:37], v60 offset:248
	;; [unrolled: 1-line block ×8, first 2 shown]
	s_waitcnt lgkmcnt(0)
	v_mul_f64 v[0:1], v[12:13], v[0:1]
	v_fma_f64 v[0:1], s[4:5], v[2:3], -v[0:1]
	v_fma_f64 v[10:11], -v[10:11], v[36:37], v[0:1]
	v_fma_f64 v[10:11], -v[14:15], v[38:39], v[10:11]
	;; [unrolled: 1-line block ×5, first 2 shown]
	ds_read_b64 v[12:13], v60 offset:1144
	ds_read_b64 v[50:51], v60 offset:1272
	;; [unrolled: 1-line block ×4, first 2 shown]
	v_fma_f64 v[10:11], -v[22:23], v[46:47], v[10:11]
	v_fma_f64 v[10:11], -v[24:25], v[48:49], v[10:11]
	ds_read_b64 v[56:57], v60 offset:1656
	ds_read_b64 v[58:59], v60 offset:1784
	s_waitcnt lgkmcnt(0)
	v_fma_f64 v[10:11], -v[26:27], v[12:13], v[10:11]
	ds_read2_b64 v[0:3], v60 offset0:239 offset1:255
	v_fma_f64 v[10:11], -v[28:29], v[50:51], v[10:11]
	v_fma_f64 v[10:11], -v[30:31], v[52:53], v[10:11]
	;; [unrolled: 1-line block ×5, first 2 shown]
	s_waitcnt lgkmcnt(0)
	v_fma_f64 v[0:1], -v[34:35], v[0:1], v[4:5]
	v_mul_f64 v[0:1], v[0:1], v[2:3]
	flat_store_dwordx2 v[8:9], v[0:1] offset:120
	s_cmp_lt_i32 s0, s22
	s_cbranch_scc1 .LBB85_38
	s_branch .LBB85_48
.LBB85_37:
	s_mov_b32 s0, 0
	s_cmp_lt_i32 s0, s22
	s_cbranch_scc0 .LBB85_48
.LBB85_38:
	s_or_b32 s1, s0, 11
	s_cmp_ge_u32 s1, s22
	s_cbranch_scc1 .LBB85_43
; %bb.39:
	s_lshl_b32 s6, s0, 3
	s_mov_b32 s7, 0
	v_lshl_add_u64 v[0:1], v[8:9], 0, s[6:7]
	flat_load_dwordx4 v[2:5], v[0:1]
	flat_load_dwordx4 v[10:13], v[0:1] offset:16
	flat_load_dwordx4 v[14:17], v[0:1] offset:32
	;; [unrolled: 1-line block ×5, first 2 shown]
	s_andn2_b64 vcc, exec, s[2:3]
	s_waitcnt vmcnt(0) lgkmcnt(0)
	v_mul_f64 v[26:27], s[4:5], v[2:3]
	v_mul_f64 v[24:25], s[4:5], v[4:5]
	;; [unrolled: 1-line block ×12, first 2 shown]
	s_cbranch_vccnz .LBB85_42
; %bb.40:
	v_mov_b64_e32 v[28:29], v[8:9]
	s_mov_b32 s1, s0
.LBB85_41:                              ; =>This Inner Loop Header: Depth=1
	flat_load_dwordx2 v[54:55], v[28:29]
	v_mov_b32_e32 v50, s6
	ds_read_b128 v[30:33], v50
	ds_read_b128 v[34:37], v50 offset:16
	ds_read_b128 v[38:41], v50 offset:32
	;; [unrolled: 1-line block ×5, first 2 shown]
	s_add_i32 s1, s1, -1
	s_addk_i32 s6, 0x80
	v_lshl_add_u64 v[28:29], v[28:29], 0, 8
	s_cmp_lg_u32 s1, 0
	s_waitcnt vmcnt(0) lgkmcnt(0)
	v_fma_f64 v[26:27], -v[54:55], v[30:31], v[26:27]
	v_fma_f64 v[24:25], -v[54:55], v[32:33], v[24:25]
	;; [unrolled: 1-line block ×12, first 2 shown]
	s_cbranch_scc1 .LBB85_41
.LBB85_42:
	s_lshl_b32 s1, s0, 3
	s_lshl_b32 s2, s0, 7
	s_add_i32 s1, s1, s2
	v_mov_b32_e32 v44, s1
	ds_read_b64 v[28:29], v44
	s_or_b32 s0, s0, 12
	s_waitcnt lgkmcnt(0)
	v_mul_f64 v[26:27], v[26:27], v[28:29]
	flat_store_dwordx2 v[0:1], v[26:27]
	ds_read_b64 v[28:29], v44 offset:8
	ds_read_b64 v[30:31], v44 offset:136
	s_waitcnt lgkmcnt(0)
	v_fma_f64 v[24:25], -v[26:27], v[28:29], v[24:25]
	v_mul_f64 v[24:25], v[24:25], v[30:31]
	flat_store_dwordx2 v[0:1], v[24:25] offset:8
	ds_read_b64 v[28:29], v44 offset:16
	ds_read_b64 v[30:31], v44 offset:144
	;; [unrolled: 1-line block ×3, first 2 shown]
	s_waitcnt lgkmcnt(0)
	v_fma_f64 v[22:23], -v[26:27], v[28:29], v[22:23]
	v_fma_f64 v[22:23], -v[24:25], v[30:31], v[22:23]
	v_mul_f64 v[22:23], v[22:23], v[32:33]
	flat_store_dwordx2 v[0:1], v[22:23] offset:16
	ds_read_b64 v[28:29], v44 offset:24
	ds_read_b64 v[30:31], v44 offset:152
	ds_read_b64 v[32:33], v44 offset:280
	ds_read_b64 v[34:35], v44 offset:408
	s_waitcnt lgkmcnt(0)
	v_fma_f64 v[20:21], -v[26:27], v[28:29], v[20:21]
	v_fma_f64 v[20:21], -v[24:25], v[30:31], v[20:21]
	;; [unrolled: 1-line block ×3, first 2 shown]
	v_mul_f64 v[20:21], v[20:21], v[34:35]
	flat_store_dwordx2 v[0:1], v[20:21] offset:24
	ds_read_b64 v[28:29], v44 offset:32
	ds_read_b64 v[30:31], v44 offset:160
	;; [unrolled: 1-line block ×5, first 2 shown]
	s_waitcnt lgkmcnt(0)
	v_fma_f64 v[18:19], -v[26:27], v[28:29], v[18:19]
	v_fma_f64 v[18:19], -v[24:25], v[30:31], v[18:19]
	;; [unrolled: 1-line block ×4, first 2 shown]
	v_mul_f64 v[18:19], v[18:19], v[36:37]
	flat_store_dwordx2 v[0:1], v[18:19] offset:32
	ds_read_b64 v[28:29], v44 offset:40
	ds_read_b64 v[30:31], v44 offset:168
	;; [unrolled: 1-line block ×6, first 2 shown]
	s_waitcnt lgkmcnt(0)
	v_fma_f64 v[16:17], -v[26:27], v[28:29], v[16:17]
	v_fma_f64 v[16:17], -v[24:25], v[30:31], v[16:17]
	;; [unrolled: 1-line block ×5, first 2 shown]
	v_mul_f64 v[16:17], v[16:17], v[38:39]
	flat_store_dwordx2 v[0:1], v[16:17] offset:40
	ds_read_b64 v[28:29], v44 offset:48
	ds_read_b64 v[30:31], v44 offset:176
	;; [unrolled: 1-line block ×7, first 2 shown]
	s_waitcnt lgkmcnt(0)
	v_fma_f64 v[14:15], -v[26:27], v[28:29], v[14:15]
	v_fma_f64 v[14:15], -v[24:25], v[30:31], v[14:15]
	;; [unrolled: 1-line block ×6, first 2 shown]
	v_mul_f64 v[14:15], v[14:15], v[40:41]
	flat_store_dwordx2 v[0:1], v[14:15] offset:48
	ds_read_b64 v[28:29], v44 offset:56
	ds_read_b64 v[30:31], v44 offset:184
	;; [unrolled: 1-line block ×8, first 2 shown]
	s_waitcnt lgkmcnt(0)
	v_fma_f64 v[12:13], -v[26:27], v[28:29], v[12:13]
	v_fma_f64 v[12:13], -v[24:25], v[30:31], v[12:13]
	;; [unrolled: 1-line block ×7, first 2 shown]
	v_mul_f64 v[12:13], v[12:13], v[42:43]
	flat_store_dwordx2 v[0:1], v[12:13] offset:56
	ds_read_b64 v[28:29], v44 offset:64
	ds_read_b64 v[30:31], v44 offset:192
	;; [unrolled: 1-line block ×8, first 2 shown]
	s_waitcnt lgkmcnt(0)
	v_fma_f64 v[10:11], -v[26:27], v[28:29], v[10:11]
	v_fma_f64 v[10:11], -v[24:25], v[30:31], v[10:11]
	;; [unrolled: 1-line block ×4, first 2 shown]
	ds_read_b64 v[28:29], v44 offset:1088
	v_fma_f64 v[10:11], -v[18:19], v[36:37], v[10:11]
	v_fma_f64 v[10:11], -v[16:17], v[38:39], v[10:11]
	;; [unrolled: 1-line block ×4, first 2 shown]
	s_waitcnt lgkmcnt(0)
	v_mul_f64 v[10:11], v[10:11], v[28:29]
	flat_store_dwordx2 v[0:1], v[10:11] offset:64
	ds_read_b64 v[28:29], v44 offset:72
	ds_read_b64 v[30:31], v44 offset:200
	;; [unrolled: 1-line block ×4, first 2 shown]
	s_waitcnt lgkmcnt(0)
	v_fma_f64 v[6:7], -v[26:27], v[28:29], v[6:7]
	ds_read_b64 v[28:29], v44 offset:584
	v_fma_f64 v[6:7], -v[24:25], v[30:31], v[6:7]
	v_fma_f64 v[6:7], -v[22:23], v[32:33], v[6:7]
	;; [unrolled: 1-line block ×3, first 2 shown]
	ds_read_b64 v[30:31], v44 offset:712
	ds_read_b64 v[32:33], v44 offset:840
	;; [unrolled: 1-line block ×3, first 2 shown]
	s_waitcnt lgkmcnt(0)
	v_fma_f64 v[6:7], -v[18:19], v[28:29], v[6:7]
	ds_read_b64 v[28:29], v44 offset:1096
	ds_read_b64 v[36:37], v44 offset:1224
	v_fma_f64 v[6:7], -v[16:17], v[30:31], v[6:7]
	v_fma_f64 v[6:7], -v[14:15], v[32:33], v[6:7]
	;; [unrolled: 1-line block ×3, first 2 shown]
	s_waitcnt lgkmcnt(0)
	v_fma_f64 v[6:7], -v[10:11], v[28:29], v[6:7]
	v_mul_f64 v[6:7], v[6:7], v[36:37]
	flat_store_dwordx2 v[0:1], v[6:7] offset:72
	ds_read_b64 v[28:29], v44 offset:80
	ds_read_b64 v[30:31], v44 offset:208
	;; [unrolled: 1-line block ×4, first 2 shown]
	s_waitcnt lgkmcnt(0)
	v_fma_f64 v[4:5], -v[26:27], v[28:29], v[4:5]
	v_fma_f64 v[4:5], -v[24:25], v[30:31], v[4:5]
	ds_read_b64 v[28:29], v44 offset:592
	ds_read_b64 v[30:31], v44 offset:720
	v_fma_f64 v[4:5], -v[22:23], v[32:33], v[4:5]
	v_fma_f64 v[4:5], -v[20:21], v[34:35], v[4:5]
	ds_read_b64 v[32:33], v44 offset:848
	ds_read_b64 v[34:35], v44 offset:976
	s_waitcnt lgkmcnt(0)
	v_fma_f64 v[4:5], -v[18:19], v[28:29], v[4:5]
	v_fma_f64 v[4:5], -v[16:17], v[30:31], v[4:5]
	ds_read_b64 v[28:29], v44 offset:1104
	ds_read_b64 v[30:31], v44 offset:1232
	;; [unrolled: 1-line block ×3, first 2 shown]
	v_fma_f64 v[4:5], -v[14:15], v[32:33], v[4:5]
	v_fma_f64 v[4:5], -v[12:13], v[34:35], v[4:5]
	s_waitcnt lgkmcnt(0)
	v_fma_f64 v[4:5], -v[10:11], v[28:29], v[4:5]
	v_fma_f64 v[4:5], -v[6:7], v[30:31], v[4:5]
	v_mul_f64 v[28:29], v[4:5], v[36:37]
	flat_store_dwordx2 v[0:1], v[28:29] offset:80
	ds_read_b64 v[4:5], v44 offset:88
	ds_read_b64 v[30:31], v44 offset:216
	;; [unrolled: 1-line block ×4, first 2 shown]
	s_waitcnt lgkmcnt(0)
	v_fma_f64 v[2:3], -v[26:27], v[4:5], v[2:3]
	v_fma_f64 v[2:3], -v[24:25], v[30:31], v[2:3]
	;; [unrolled: 1-line block ×3, first 2 shown]
	ds_read_b64 v[4:5], v44 offset:600
	ds_read_b64 v[22:23], v44 offset:728
	v_fma_f64 v[2:3], -v[20:21], v[34:35], v[2:3]
	ds_read_b64 v[20:21], v44 offset:856
	ds_read_b64 v[24:25], v44 offset:984
	s_waitcnt lgkmcnt(0)
	v_fma_f64 v[2:3], -v[18:19], v[4:5], v[2:3]
	v_fma_f64 v[16:17], -v[16:17], v[22:23], v[2:3]
	ds_read_b64 v[18:19], v44 offset:1112
	ds_read_b64 v[22:23], v44 offset:1240
	ds_read2_b64 v[2:5], v44 offset0:171 offset1:187
	v_fma_f64 v[14:15], -v[14:15], v[20:21], v[16:17]
	v_fma_f64 v[12:13], -v[12:13], v[24:25], v[14:15]
	s_waitcnt lgkmcnt(0)
	v_fma_f64 v[10:11], -v[10:11], v[18:19], v[12:13]
	v_fma_f64 v[6:7], -v[6:7], v[22:23], v[10:11]
	;; [unrolled: 1-line block ×3, first 2 shown]
	v_mul_f64 v[2:3], v[2:3], v[4:5]
	flat_store_dwordx2 v[0:1], v[2:3] offset:88
.LBB85_43:
	s_cmp_ge_i32 s0, s22
	s_cbranch_scc1 .LBB85_48
; %bb.44:
	s_lshl_b32 s2, s0, 3
	s_mov_b32 s1, 0
	s_branch .LBB85_46
.LBB85_45:                              ;   in Loop: Header=BB85_46 Depth=1
	s_mul_i32 s3, s0, 0x88
	v_mov_b32_e32 v4, s3
	ds_read_b64 v[4:5], v4
	s_add_i32 s0, s0, 1
	s_add_i32 s2, s2, 8
	s_cmp_ge_i32 s0, s22
	s_waitcnt lgkmcnt(0)
	v_mul_f64 v[2:3], v[2:3], v[4:5]
	flat_store_dwordx2 v[0:1], v[2:3]
	s_cbranch_scc1 .LBB85_48
.LBB85_46:                              ; =>This Loop Header: Depth=1
                                        ;     Child Loop BB85_47 Depth 2
	v_lshl_add_u64 v[0:1], s[0:1], 3, v[8:9]
	flat_load_dwordx2 v[2:3], v[0:1]
	s_cmp_eq_u32 s0, 0
	v_mov_b64_e32 v[4:5], v[8:9]
	s_mov_b32 s3, s2
	s_mov_b32 s6, s0
	s_waitcnt vmcnt(0) lgkmcnt(0)
	v_mul_f64 v[2:3], s[4:5], v[2:3]
	s_cbranch_scc1 .LBB85_45
.LBB85_47:                              ;   Parent Loop BB85_46 Depth=1
                                        ; =>  This Inner Loop Header: Depth=2
	flat_load_dwordx2 v[6:7], v[4:5]
	v_mov_b32_e32 v10, s3
	ds_read_b64 v[10:11], v10
	s_add_i32 s6, s6, -1
	s_addk_i32 s3, 0x80
	v_lshl_add_u64 v[4:5], v[4:5], 0, 8
	s_cmp_lg_u32 s6, 0
	s_waitcnt vmcnt(0) lgkmcnt(0)
	v_fma_f64 v[2:3], -v[6:7], v[10:11], v[2:3]
	s_cbranch_scc1 .LBB85_47
	s_branch .LBB85_45
.LBB85_48:
	s_endpgm
	.section	.rodata,"a",@progbits
	.p2align	6, 0x0
	.amdhsa_kernel _ZL30rocblas_trsm_small_left_deviceILi16ELi16ELb1EddPKPKdPKPdEv13rocblas_fill_18rocblas_operation_17rocblas_diagonal_iiT3_T4_lilT5_lili
		.amdhsa_group_segment_fixed_size 2048
		.amdhsa_private_segment_fixed_size 0
		.amdhsa_kernarg_size 360
		.amdhsa_user_sgpr_count 2
		.amdhsa_user_sgpr_dispatch_ptr 0
		.amdhsa_user_sgpr_queue_ptr 0
		.amdhsa_user_sgpr_kernarg_segment_ptr 1
		.amdhsa_user_sgpr_dispatch_id 0
		.amdhsa_user_sgpr_kernarg_preload_length 0
		.amdhsa_user_sgpr_kernarg_preload_offset 0
		.amdhsa_user_sgpr_private_segment_size 0
		.amdhsa_uses_dynamic_stack 0
		.amdhsa_enable_private_segment 0
		.amdhsa_system_sgpr_workgroup_id_x 1
		.amdhsa_system_sgpr_workgroup_id_y 0
		.amdhsa_system_sgpr_workgroup_id_z 1
		.amdhsa_system_sgpr_workgroup_info 0
		.amdhsa_system_vgpr_workitem_id 0
		.amdhsa_next_free_vgpr 61
		.amdhsa_next_free_sgpr 26
		.amdhsa_accum_offset 64
		.amdhsa_reserve_vcc 1
		.amdhsa_float_round_mode_32 0
		.amdhsa_float_round_mode_16_64 0
		.amdhsa_float_denorm_mode_32 3
		.amdhsa_float_denorm_mode_16_64 3
		.amdhsa_dx10_clamp 1
		.amdhsa_ieee_mode 1
		.amdhsa_fp16_overflow 0
		.amdhsa_tg_split 0
		.amdhsa_exception_fp_ieee_invalid_op 0
		.amdhsa_exception_fp_denorm_src 0
		.amdhsa_exception_fp_ieee_div_zero 0
		.amdhsa_exception_fp_ieee_overflow 0
		.amdhsa_exception_fp_ieee_underflow 0
		.amdhsa_exception_fp_ieee_inexact 0
		.amdhsa_exception_int_div_zero 0
	.end_amdhsa_kernel
	.section	.text._ZL30rocblas_trsm_small_left_deviceILi16ELi16ELb1EddPKPKdPKPdEv13rocblas_fill_18rocblas_operation_17rocblas_diagonal_iiT3_T4_lilT5_lili,"axG",@progbits,_ZL30rocblas_trsm_small_left_deviceILi16ELi16ELb1EddPKPKdPKPdEv13rocblas_fill_18rocblas_operation_17rocblas_diagonal_iiT3_T4_lilT5_lili,comdat
.Lfunc_end85:
	.size	_ZL30rocblas_trsm_small_left_deviceILi16ELi16ELb1EddPKPKdPKPdEv13rocblas_fill_18rocblas_operation_17rocblas_diagonal_iiT3_T4_lilT5_lili, .Lfunc_end85-_ZL30rocblas_trsm_small_left_deviceILi16ELi16ELb1EddPKPKdPKPdEv13rocblas_fill_18rocblas_operation_17rocblas_diagonal_iiT3_T4_lilT5_lili
                                        ; -- End function
	.set _ZL30rocblas_trsm_small_left_deviceILi16ELi16ELb1EddPKPKdPKPdEv13rocblas_fill_18rocblas_operation_17rocblas_diagonal_iiT3_T4_lilT5_lili.num_vgpr, 61
	.set _ZL30rocblas_trsm_small_left_deviceILi16ELi16ELb1EddPKPKdPKPdEv13rocblas_fill_18rocblas_operation_17rocblas_diagonal_iiT3_T4_lilT5_lili.num_agpr, 0
	.set _ZL30rocblas_trsm_small_left_deviceILi16ELi16ELb1EddPKPKdPKPdEv13rocblas_fill_18rocblas_operation_17rocblas_diagonal_iiT3_T4_lilT5_lili.numbered_sgpr, 26
	.set _ZL30rocblas_trsm_small_left_deviceILi16ELi16ELb1EddPKPKdPKPdEv13rocblas_fill_18rocblas_operation_17rocblas_diagonal_iiT3_T4_lilT5_lili.num_named_barrier, 0
	.set _ZL30rocblas_trsm_small_left_deviceILi16ELi16ELb1EddPKPKdPKPdEv13rocblas_fill_18rocblas_operation_17rocblas_diagonal_iiT3_T4_lilT5_lili.private_seg_size, 0
	.set _ZL30rocblas_trsm_small_left_deviceILi16ELi16ELb1EddPKPKdPKPdEv13rocblas_fill_18rocblas_operation_17rocblas_diagonal_iiT3_T4_lilT5_lili.uses_vcc, 1
	.set _ZL30rocblas_trsm_small_left_deviceILi16ELi16ELb1EddPKPKdPKPdEv13rocblas_fill_18rocblas_operation_17rocblas_diagonal_iiT3_T4_lilT5_lili.uses_flat_scratch, 0
	.set _ZL30rocblas_trsm_small_left_deviceILi16ELi16ELb1EddPKPKdPKPdEv13rocblas_fill_18rocblas_operation_17rocblas_diagonal_iiT3_T4_lilT5_lili.has_dyn_sized_stack, 0
	.set _ZL30rocblas_trsm_small_left_deviceILi16ELi16ELb1EddPKPKdPKPdEv13rocblas_fill_18rocblas_operation_17rocblas_diagonal_iiT3_T4_lilT5_lili.has_recursion, 0
	.set _ZL30rocblas_trsm_small_left_deviceILi16ELi16ELb1EddPKPKdPKPdEv13rocblas_fill_18rocblas_operation_17rocblas_diagonal_iiT3_T4_lilT5_lili.has_indirect_call, 0
	.section	.AMDGPU.csdata,"",@progbits
; Kernel info:
; codeLenInByte = 10276
; TotalNumSgprs: 32
; NumVgprs: 61
; NumAgprs: 0
; TotalNumVgprs: 61
; ScratchSize: 0
; MemoryBound: 0
; FloatMode: 240
; IeeeMode: 1
; LDSByteSize: 2048 bytes/workgroup (compile time only)
; SGPRBlocks: 3
; VGPRBlocks: 7
; NumSGPRsForWavesPerEU: 32
; NumVGPRsForWavesPerEU: 61
; AccumOffset: 64
; Occupancy: 8
; WaveLimiterHint : 1
; COMPUTE_PGM_RSRC2:SCRATCH_EN: 0
; COMPUTE_PGM_RSRC2:USER_SGPR: 2
; COMPUTE_PGM_RSRC2:TRAP_HANDLER: 0
; COMPUTE_PGM_RSRC2:TGID_X_EN: 1
; COMPUTE_PGM_RSRC2:TGID_Y_EN: 0
; COMPUTE_PGM_RSRC2:TGID_Z_EN: 1
; COMPUTE_PGM_RSRC2:TIDIG_COMP_CNT: 0
; COMPUTE_PGM_RSRC3_GFX90A:ACCUM_OFFSET: 15
; COMPUTE_PGM_RSRC3_GFX90A:TG_SPLIT: 0
	.section	.text._ZL31rocblas_trsm_small_right_deviceIddPKPKdPKPdLi16EEv13rocblas_fill_18rocblas_operation_17rocblas_diagonal_iiT0_T1_lilT2_lili,"axG",@progbits,_ZL31rocblas_trsm_small_right_deviceIddPKPKdPKPdLi16EEv13rocblas_fill_18rocblas_operation_17rocblas_diagonal_iiT0_T1_lilT2_lili,comdat
	.globl	_ZL31rocblas_trsm_small_right_deviceIddPKPKdPKPdLi16EEv13rocblas_fill_18rocblas_operation_17rocblas_diagonal_iiT0_T1_lilT2_lili ; -- Begin function _ZL31rocblas_trsm_small_right_deviceIddPKPKdPKPdLi16EEv13rocblas_fill_18rocblas_operation_17rocblas_diagonal_iiT0_T1_lilT2_lili
	.p2align	8
	.type	_ZL31rocblas_trsm_small_right_deviceIddPKPKdPKPdLi16EEv13rocblas_fill_18rocblas_operation_17rocblas_diagonal_iiT0_T1_lilT2_lili,@function
_ZL31rocblas_trsm_small_right_deviceIddPKPKdPKPdLi16EEv13rocblas_fill_18rocblas_operation_17rocblas_diagonal_iiT0_T1_lilT2_lili: ; @_ZL31rocblas_trsm_small_right_deviceIddPKPKdPKPdLi16EEv13rocblas_fill_18rocblas_operation_17rocblas_diagonal_iiT0_T1_lilT2_lili
; %bb.0:
	s_load_dwordx4 s[4:7], s[0:1], 0x0
	s_load_dword s22, s[0:1], 0x10
	s_load_dwordx4 s[12:15], s[0:1], 0x40
	s_load_dwordx4 s[8:11], s[0:1], 0x18
	s_load_dwordx2 s[18:19], s[0:1], 0x28
	s_mov_b32 s16, s3
	s_mov_b32 s17, 0
	s_lshl_b64 s[20:21], s[16:17], 3
	s_waitcnt lgkmcnt(0)
	s_add_u32 s12, s12, s20
	s_addc_u32 s13, s13, s21
	s_load_dwordx2 s[12:13], s[12:13], 0x0
	s_min_i32 s23, s22, 16
	v_cmp_gt_i32_e32 vcc, s23, v0
	s_and_saveexec_b64 s[16:17], vcc
	s_cbranch_execz .LBB86_5
; %bb.1:
	s_load_dword s24, s[0:1], 0x30
	v_lshlrev_b32_e32 v2, 3, v0
	v_mov_b32_e32 v3, 0
	v_mov_b32_e32 v1, v2
	s_mov_b32 s3, s23
	s_waitcnt lgkmcnt(0)
	s_ashr_i32 s25, s24, 31
	s_add_u32 s10, s10, s20
	s_addc_u32 s11, s11, s21
	s_load_dwordx2 s[10:11], s[10:11], 0x0
	s_lshl_b64 s[18:19], s[18:19], 3
	s_waitcnt lgkmcnt(0)
	s_add_u32 s18, s10, s18
	s_addc_u32 s19, s11, s19
	s_lshl_b64 s[10:11], s[24:25], 3
	v_lshl_add_u64 v[4:5], s[18:19], 0, v[2:3]
.LBB86_2:                               ; =>This Inner Loop Header: Depth=1
	flat_load_dwordx2 v[6:7], v[4:5]
	s_add_i32 s3, s3, -1
	v_lshl_add_u64 v[4:5], v[4:5], 0, s[10:11]
	s_cmp_eq_u32 s3, 0
	s_waitcnt vmcnt(0) lgkmcnt(0)
	ds_write_b64 v1, v[6:7]
	v_add_u32_e32 v1, 0x80, v1
	s_cbranch_scc0 .LBB86_2
; %bb.3:
	s_cmpk_eq_i32 s6, 0x84
	s_cbranch_scc0 .LBB86_5
; %bb.4:
	v_lshl_or_b32 v1, v0, 7, v2
	v_mov_b32_e32 v2, 0
	v_mov_b32_e32 v3, 0x3ff00000
	ds_write_b64 v1, v[2:3]
.LBB86_5:
	s_or_b64 exec, exec, s[16:17]
	s_load_dword s3, s[0:1], 0x68
	s_load_dword s6, s[0:1], 0x50
	s_lshl_b64 s[0:1], s[14:15], 3
	s_waitcnt lgkmcnt(0)
	s_add_u32 s10, s12, s0
	s_addc_u32 s11, s13, s1
	s_lshl_b32 s0, s2, 4
	s_add_i32 s3, s3, -1
	s_sub_i32 s0, s7, s0
	s_cmp_ge_u32 s2, s3
	s_cselect_b32 s7, s0, 16
	s_ashr_i32 s3, s2, 31
	s_lshl_b64 s[0:1], s[2:3], 7
	s_add_u32 s2, s10, s0
	s_addc_u32 s3, s11, s1
	v_cmp_gt_i32_e64 s[0:1], s7, v0
	s_and_saveexec_b64 s[10:11], s[0:1]
	s_cbranch_execz .LBB86_9
; %bb.6:
	s_cmp_lt_i32 s22, 1
	s_cbranch_scc1 .LBB86_9
; %bb.7:
	s_ashr_i32 s7, s6, 31
	v_lshlrev_b32_e32 v4, 3, v0
	v_mov_b32_e32 v5, 0
	v_lshl_add_u64 v[2:3], s[2:3], 0, v[4:5]
	s_lshl_b64 s[12:13], s[6:7], 3
	v_or_b32_e32 v1, 0x800, v4
	s_mov_b32 s7, s22
.LBB86_8:                               ; =>This Inner Loop Header: Depth=1
	flat_load_dwordx2 v[4:5], v[2:3]
	s_add_i32 s7, s7, -1
	v_lshl_add_u64 v[2:3], v[2:3], 0, s[12:13]
	s_cmp_lg_u32 s7, 0
	s_waitcnt vmcnt(0) lgkmcnt(0)
	v_mul_f64 v[4:5], s[8:9], v[4:5]
	ds_write_b64 v1, v[4:5]
	v_add_u32_e32 v1, 0x80, v1
	s_cbranch_scc1 .LBB86_8
.LBB86_9:
	s_or_b64 exec, exec, s[10:11]
	s_cmpk_eq_i32 s5, 0x6f
	s_cselect_b64 s[10:11], -1, 0
	s_cmpk_lg_i32 s4, 0x79
	s_cselect_b64 s[8:9], -1, 0
	s_cmpk_eq_i32 s4, 0x79
	s_cselect_b64 s[12:13], -1, 0
	s_and_b64 s[12:13], s[12:13], s[10:11]
	s_andn2_b64 vcc, exec, s[12:13]
	s_mov_b64 s[12:13], -1
	s_waitcnt lgkmcnt(0)
	; wave barrier
	s_cbranch_vccz .LBB86_66
; %bb.10:
	s_cmpk_lg_i32 s4, 0x7a
	s_cselect_b64 s[4:5], -1, 0
	s_xor_b64 s[10:11], s[10:11], -1
	s_add_i32 s7, s23, -1
	s_or_b64 s[10:11], s[4:5], s[10:11]
	v_mov_b32_e32 v1, 0x800
	s_cmp_gt_i32 s22, 3
	v_lshl_or_b32 v1, v0, 3, v1
	s_cselect_b64 s[4:5], -1, 0
	s_and_b64 vcc, exec, s[10:11]
	s_cbranch_vccz .LBB86_45
; %bb.11:
	s_andn2_b64 vcc, exec, s[8:9]
	s_mov_b64 s[8:9], -1
	s_cbranch_vccnz .LBB86_24
; %bb.12:
	s_andn2_b64 vcc, exec, s[4:5]
	s_mov_b32 s10, 0
	s_cbranch_vccnz .LBB86_18
; %bb.13:
	v_mov_b32_e32 v2, 0x800
	v_lshl_or_b32 v10, v0, 3, v2
	s_mov_b32 s8, 0
	s_mov_b32 s9, 0
.LBB86_14:                              ; =>This Loop Header: Depth=1
                                        ;     Child Loop BB86_15 Depth 2
	s_lshl_b32 s11, s9, 7
	s_or_b32 s10, s9, 1
	v_add_u32_e32 v12, s11, v1
	v_lshl_add_u32 v13, s10, 7, v1
	s_or_b32 s12, s11, 0x180
	ds_read2_b64 v[2:5], v12 offset1:32
	v_add_u32_e32 v11, s12, v1
	ds_read_b64 v[8:9], v13
	ds_read_b64 v[6:7], v11
	s_cmp_eq_u32 s9, 0
	v_mov_b32_e32 v14, v10
	s_mov_b32 s12, s8
	s_mov_b32 s13, s9
	s_cbranch_scc1 .LBB86_16
.LBB86_15:                              ;   Parent Loop BB86_14 Depth=1
                                        ; =>  This Inner Loop Header: Depth=2
	v_mov_b32_e32 v15, s12
	ds_read_b64 v[24:25], v14
	ds_read_b128 v[16:19], v15
	ds_read_b128 v[20:23], v15 offset:16
	s_add_i32 s13, s13, -1
	s_addk_i32 s12, 0x80
	v_add_u32_e32 v14, 0x80, v14
	s_cmp_eq_u32 s13, 0
	s_waitcnt lgkmcnt(1)
	v_fma_f64 v[2:3], -v[24:25], v[16:17], v[2:3]
	v_fma_f64 v[8:9], -v[24:25], v[18:19], v[8:9]
	s_waitcnt lgkmcnt(0)
	v_fma_f64 v[4:5], -v[24:25], v[20:21], v[4:5]
	v_fma_f64 v[6:7], -v[24:25], v[22:23], v[6:7]
	s_cbranch_scc0 .LBB86_15
.LBB86_16:                              ;   in Loop: Header=BB86_14 Depth=1
	s_lshl_b32 s14, s9, 3
	s_add_i32 s11, s14, s11
	v_mov_b32_e32 v15, s11
	ds_read_b128 v[16:19], v15
	ds_read_b128 v[20:23], v15 offset:16
	ds_read2_b64 v[24:27], v15 offset0:17 offset1:18
	ds_read_b128 v[28:31], v15 offset:272
	s_addk_i32 s11, 0x88
	s_lshl_b32 s10, s10, 3
	s_waitcnt lgkmcnt(3)
	v_div_scale_f64 v[32:33], s[12:13], v[16:17], v[16:17], v[2:3]
	v_rcp_f64_e32 v[34:35], v[32:33]
	v_div_scale_f64 v[36:37], vcc, v[2:3], v[16:17], v[2:3]
	s_sub_i32 s10, s11, s10
	v_fma_f64 v[38:39], -v[32:33], v[34:35], 1.0
	v_fmac_f64_e32 v[34:35], v[34:35], v[38:39]
	v_fma_f64 v[38:39], -v[32:33], v[34:35], 1.0
	v_fmac_f64_e32 v[34:35], v[34:35], v[38:39]
	v_mul_f64 v[38:39], v[36:37], v[34:35]
	v_fma_f64 v[32:33], -v[32:33], v[38:39], v[36:37]
	v_div_fmas_f64 v[32:33], v[32:33], v[34:35], v[38:39]
	v_div_fixup_f64 v[2:3], v[32:33], v[16:17], v[2:3]
	v_fma_f64 v[8:9], -v[2:3], v[18:19], v[8:9]
	s_waitcnt lgkmcnt(1)
	v_div_scale_f64 v[16:17], s[12:13], v[24:25], v[24:25], v[8:9]
	v_rcp_f64_e32 v[18:19], v[16:17]
	v_fma_f64 v[4:5], -v[2:3], v[20:21], v[4:5]
	s_add_i32 s10, s10, s14
	v_fma_f64 v[6:7], -v[2:3], v[22:23], v[6:7]
	v_fma_f64 v[32:33], -v[16:17], v[18:19], 1.0
	v_fmac_f64_e32 v[18:19], v[18:19], v[32:33]
	v_fma_f64 v[32:33], -v[16:17], v[18:19], 1.0
	v_fmac_f64_e32 v[18:19], v[18:19], v[32:33]
	v_div_scale_f64 v[32:33], vcc, v[8:9], v[24:25], v[8:9]
	v_mul_f64 v[34:35], v[32:33], v[18:19]
	v_fma_f64 v[16:17], -v[16:17], v[34:35], v[32:33]
	v_add_u32_e32 v14, 0x100, v12
	s_nop 0
	v_div_fmas_f64 v[16:17], v[16:17], v[18:19], v[34:35]
	v_div_fixup_f64 v[8:9], v[16:17], v[24:25], v[8:9]
	v_fma_f64 v[4:5], -v[8:9], v[26:27], v[4:5]
	s_waitcnt lgkmcnt(0)
	v_div_scale_f64 v[16:17], s[12:13], v[28:29], v[28:29], v[4:5]
	v_rcp_f64_e32 v[18:19], v[16:17]
	s_add_i32 s8, s8, 32
	v_fma_f64 v[20:21], -v[16:17], v[18:19], 1.0
	v_fmac_f64_e32 v[18:19], v[18:19], v[20:21]
	v_fma_f64 v[20:21], -v[16:17], v[18:19], 1.0
	v_fmac_f64_e32 v[18:19], v[18:19], v[20:21]
	v_div_scale_f64 v[20:21], vcc, v[4:5], v[28:29], v[4:5]
	v_mul_f64 v[24:25], v[20:21], v[18:19]
	v_fma_f64 v[16:17], -v[16:17], v[24:25], v[20:21]
	v_mov_b32_e32 v20, s10
	ds_read_b64 v[20:21], v20 offset:24
	v_div_fmas_f64 v[16:17], v[16:17], v[18:19], v[24:25]
	v_div_fixup_f64 v[4:5], v[16:17], v[28:29], v[4:5]
	ds_read_b64 v[16:17], v15 offset:408
	ds_write_b64 v12, v[2:3]
	ds_write_b64 v13, v[8:9]
	;; [unrolled: 1-line block ×3, first 2 shown]
	s_waitcnt lgkmcnt(4)
	v_fma_f64 v[6:7], -v[8:9], v[20:21], v[6:7]
	v_fma_f64 v[6:7], -v[4:5], v[30:31], v[6:7]
	s_waitcnt lgkmcnt(3)
	v_div_scale_f64 v[18:19], s[10:11], v[16:17], v[16:17], v[6:7]
	v_rcp_f64_e32 v[20:21], v[18:19]
	s_add_i32 s10, s9, 4
	s_add_i32 s9, s9, 7
	s_cmp_ge_i32 s9, s23
	v_fma_f64 v[2:3], -v[18:19], v[20:21], 1.0
	v_fmac_f64_e32 v[20:21], v[20:21], v[2:3]
	v_fma_f64 v[2:3], -v[18:19], v[20:21], 1.0
	v_fmac_f64_e32 v[20:21], v[20:21], v[2:3]
	v_div_scale_f64 v[2:3], vcc, v[6:7], v[16:17], v[6:7]
	v_mul_f64 v[4:5], v[2:3], v[20:21]
	v_fma_f64 v[2:3], -v[18:19], v[4:5], v[2:3]
	s_nop 1
	v_div_fmas_f64 v[2:3], v[2:3], v[20:21], v[4:5]
	v_div_fixup_f64 v[2:3], v[2:3], v[16:17], v[6:7]
	ds_write_b64 v11, v[2:3]
	s_cbranch_scc1 .LBB86_18
; %bb.17:                               ;   in Loop: Header=BB86_14 Depth=1
	s_mov_b32 s9, s10
	s_branch .LBB86_14
.LBB86_18:
	s_cmp_ge_i32 s10, s23
	s_cbranch_scc1 .LBB86_23
; %bb.19:
	v_mov_b32_e32 v2, 0x800
	s_lshl_b32 s8, s10, 3
	v_lshl_or_b32 v4, v0, 3, v2
	s_branch .LBB86_21
.LBB86_20:                              ;   in Loop: Header=BB86_21 Depth=1
	s_lshl_b32 s11, s10, 3
	s_add_i32 s9, s11, s9
	v_mov_b32_e32 v6, s9
	ds_read_b64 v[6:7], v6
	s_add_i32 s10, s10, 1
	s_add_i32 s8, s8, 8
	s_cmp_ge_i32 s10, s23
	s_waitcnt lgkmcnt(0)
	v_div_scale_f64 v[8:9], s[12:13], v[6:7], v[6:7], v[2:3]
	v_rcp_f64_e32 v[10:11], v[8:9]
	v_div_scale_f64 v[12:13], vcc, v[2:3], v[6:7], v[2:3]
	v_fma_f64 v[14:15], -v[8:9], v[10:11], 1.0
	v_fmac_f64_e32 v[10:11], v[10:11], v[14:15]
	v_fma_f64 v[14:15], -v[8:9], v[10:11], 1.0
	v_fmac_f64_e32 v[10:11], v[10:11], v[14:15]
	v_mul_f64 v[14:15], v[12:13], v[10:11]
	v_fma_f64 v[8:9], -v[8:9], v[14:15], v[12:13]
	v_div_fmas_f64 v[8:9], v[8:9], v[10:11], v[14:15]
	v_div_fixup_f64 v[2:3], v[8:9], v[6:7], v[2:3]
	ds_write_b64 v5, v[2:3]
	s_cbranch_scc1 .LBB86_23
.LBB86_21:                              ; =>This Loop Header: Depth=1
                                        ;     Child Loop BB86_22 Depth 2
	s_lshl_b32 s9, s10, 7
	v_add_u32_e32 v5, s9, v1
	ds_read_b64 v[2:3], v5
	s_cmp_eq_u32 s10, 0
	v_mov_b32_e32 v6, v4
	s_mov_b32 s11, s8
	s_mov_b32 s12, s10
	s_cbranch_scc1 .LBB86_20
.LBB86_22:                              ;   Parent Loop BB86_21 Depth=1
                                        ; =>  This Inner Loop Header: Depth=2
	v_mov_b32_e32 v7, s11
	ds_read_b64 v[8:9], v6
	ds_read_b64 v[10:11], v7
	s_add_i32 s12, s12, -1
	s_addk_i32 s11, 0x80
	v_add_u32_e32 v6, 0x80, v6
	s_cmp_eq_u32 s12, 0
	s_waitcnt lgkmcnt(0)
	v_fma_f64 v[2:3], -v[8:9], v[10:11], v[2:3]
	s_cbranch_scc0 .LBB86_22
	s_branch .LBB86_20
.LBB86_23:
	s_mov_b64 s[8:9], 0
.LBB86_24:
	s_and_b64 vcc, exec, s[8:9]
	s_cbranch_vccz .LBB86_44
; %bb.25:
	s_andn2_b64 vcc, exec, s[4:5]
	s_mov_b32 s10, s7
	s_cbranch_vccnz .LBB86_31
; %bb.26:
	v_lshlrev_b32_e32 v2, 3, v0
	s_mul_i32 s8, s23, 0x88
	v_lshl_or_b32 v2, s23, 7, v2
	s_addk_i32 s8, 0xff60
	v_add_u32_e32 v10, 0x780, v2
	s_mov_b32 s9, s7
.LBB86_27:                              ; =>This Loop Header: Depth=1
                                        ;     Child Loop BB86_28 Depth 2
	s_add_i32 s12, s9, -3
	v_lshl_add_u32 v12, s9, 7, v1
	s_add_i32 s11, s9, -1
	s_add_i32 s10, s9, -2
	s_lshl_b32 s13, s12, 7
	v_lshl_add_u32 v13, s11, 7, v1
	v_lshl_add_u32 v14, s10, 7, v1
	v_add_u32_e32 v11, s13, v1
	ds_read_b64 v[8:9], v12
	ds_read_b64 v[6:7], v13
	;; [unrolled: 1-line block ×4, first 2 shown]
	s_cmp_le_i32 s7, s9
	v_mov_b32_e32 v15, v10
	s_mov_b32 s14, s8
	s_mov_b32 s15, s7
	s_cbranch_scc1 .LBB86_29
.LBB86_28:                              ;   Parent Loop BB86_27 Depth=1
                                        ; =>  This Inner Loop Header: Depth=2
	v_mov_b32_e32 v20, s14
	ds_read_b64 v[24:25], v15
	ds_read2_b64 v[16:19], v20 offset0:2 offset1:3
	ds_read2_b64 v[20:23], v20 offset1:1
	s_add_i32 s15, s15, -1
	s_addk_i32 s14, 0xff80
	v_add_u32_e32 v15, 0xffffff80, v15
	s_cmp_le_i32 s15, s9
	s_waitcnt lgkmcnt(1)
	v_fma_f64 v[8:9], -v[24:25], v[18:19], v[8:9]
	v_fma_f64 v[6:7], -v[24:25], v[16:17], v[6:7]
	s_waitcnt lgkmcnt(0)
	v_fma_f64 v[4:5], -v[24:25], v[22:23], v[4:5]
	v_fma_f64 v[2:3], -v[24:25], v[20:21], v[2:3]
	s_cbranch_scc0 .LBB86_28
.LBB86_29:                              ;   in Loop: Header=BB86_27 Depth=1
	s_lshl_b32 s16, s9, 3
	s_lshl_b32 s15, s9, 7
	s_add_i32 s17, s16, s15
	s_add_i32 s15, s17, -8
	v_mov_b32_e32 v15, s15
	ds_read2_b64 v[16:19], v15 offset1:1
	s_lshl_b32 s14, s11, 7
	s_add_i32 s14, s16, s14
	s_add_i32 s18, s14, -8
	v_mov_b32_e32 v15, s18
	s_waitcnt lgkmcnt(0)
	v_div_scale_f64 v[22:23], s[14:15], v[18:19], v[18:19], v[8:9]
	v_rcp_f64_e32 v[24:25], v[22:23]
	ds_read_b64 v[20:21], v15
	s_lshl_b32 s11, s11, 3
	s_sub_i32 s11, s18, s11
	v_fma_f64 v[26:27], -v[22:23], v[24:25], 1.0
	v_fmac_f64_e32 v[24:25], v[24:25], v[26:27]
	v_fma_f64 v[26:27], -v[22:23], v[24:25], 1.0
	v_fmac_f64_e32 v[24:25], v[24:25], v[26:27]
	v_div_scale_f64 v[26:27], vcc, v[8:9], v[18:19], v[8:9]
	v_mul_f64 v[28:29], v[26:27], v[24:25]
	v_fma_f64 v[22:23], -v[22:23], v[28:29], v[26:27]
	s_lshl_b32 s12, s12, 3
	s_nop 0
	v_div_fmas_f64 v[22:23], v[22:23], v[24:25], v[28:29]
	v_div_fixup_f64 v[22:23], v[22:23], v[18:19], v[8:9]
	v_fma_f64 v[24:25], -v[22:23], v[16:17], v[6:7]
	s_waitcnt lgkmcnt(0)
	v_div_scale_f64 v[6:7], s[14:15], v[20:21], v[20:21], v[24:25]
	v_rcp_f64_e32 v[26:27], v[6:7]
	s_lshl_b32 s14, s10, 7
	s_add_i32 s14, s16, s14
	s_add_i32 s16, s16, s13
	v_fma_f64 v[8:9], -v[6:7], v[26:27], 1.0
	v_fmac_f64_e32 v[26:27], v[26:27], v[8:9]
	v_fma_f64 v[8:9], -v[6:7], v[26:27], 1.0
	v_fmac_f64_e32 v[26:27], v[26:27], v[8:9]
	v_div_scale_f64 v[8:9], vcc, v[24:25], v[20:21], v[24:25]
	v_mul_f64 v[28:29], v[8:9], v[26:27]
	s_sub_i32 s13, s17, 24
	v_fma_f64 v[30:31], -v[6:7], v[28:29], v[8:9]
	v_mov_b32_e32 v6, s13
	s_add_i32 s11, s11, s12
	v_mov_b32_e32 v15, s11
	ds_read2_b64 v[6:9], v6 offset1:1
	ds_read2_b64 v[16:19], v15 offset1:1
	s_lshl_b32 s10, s10, 3
	s_sub_i32 s10, s14, s10
	s_add_i32 s10, s10, s12
	v_div_fmas_f64 v[26:27], v[30:31], v[26:27], v[28:29]
	s_add_i32 s10, s10, -16
	v_div_fixup_f64 v[24:25], v[26:27], v[20:21], v[24:25]
	s_waitcnt lgkmcnt(1)
	v_fma_f64 v[4:5], -v[22:23], v[8:9], v[4:5]
	v_mov_b32_e32 v8, s10
	s_waitcnt lgkmcnt(0)
	v_fma_f64 v[4:5], -v[24:25], v[18:19], v[4:5]
	ds_read2_b64 v[18:21], v8 offset1:1
	s_sub_i32 s10, s16, 24
	v_mov_b32_e32 v8, s10
	ds_read_b64 v[8:9], v8
	v_fma_f64 v[2:3], -v[22:23], v[6:7], v[2:3]
	s_waitcnt lgkmcnt(1)
	v_div_scale_f64 v[26:27], s[10:11], v[20:21], v[20:21], v[4:5]
	v_rcp_f64_e32 v[28:29], v[26:27]
	v_fma_f64 v[2:3], -v[24:25], v[16:17], v[2:3]
	s_sub_i32 s8, s8, 32
	v_fma_f64 v[30:31], -v[26:27], v[28:29], 1.0
	v_fmac_f64_e32 v[28:29], v[28:29], v[30:31]
	v_fma_f64 v[30:31], -v[26:27], v[28:29], 1.0
	v_fmac_f64_e32 v[28:29], v[28:29], v[30:31]
	v_div_scale_f64 v[30:31], vcc, v[4:5], v[20:21], v[4:5]
	v_mul_f64 v[32:33], v[30:31], v[28:29]
	v_fma_f64 v[26:27], -v[26:27], v[32:33], v[30:31]
	s_nop 1
	v_div_fmas_f64 v[26:27], v[26:27], v[28:29], v[32:33]
	v_div_fixup_f64 v[4:5], v[26:27], v[20:21], v[4:5]
	v_fma_f64 v[2:3], -v[4:5], v[18:19], v[2:3]
	s_waitcnt lgkmcnt(0)
	v_div_scale_f64 v[6:7], s[10:11], v[8:9], v[8:9], v[2:3]
	v_rcp_f64_e32 v[16:17], v[6:7]
	ds_write_b64 v12, v[22:23]
	ds_write_b64 v13, v[24:25]
	;; [unrolled: 1-line block ×3, first 2 shown]
	s_add_i32 s10, s9, -4
	s_cmp_lt_i32 s9, 7
	v_fma_f64 v[4:5], -v[6:7], v[16:17], 1.0
	v_fmac_f64_e32 v[16:17], v[16:17], v[4:5]
	v_fma_f64 v[4:5], -v[6:7], v[16:17], 1.0
	v_fmac_f64_e32 v[16:17], v[16:17], v[4:5]
	v_div_scale_f64 v[4:5], vcc, v[2:3], v[8:9], v[2:3]
	v_mul_f64 v[12:13], v[4:5], v[16:17]
	v_fma_f64 v[4:5], -v[6:7], v[12:13], v[4:5]
	s_nop 1
	v_div_fmas_f64 v[4:5], v[4:5], v[16:17], v[12:13]
	v_div_fixup_f64 v[2:3], v[4:5], v[8:9], v[2:3]
	ds_write_b64 v11, v[2:3]
	s_cbranch_scc1 .LBB86_31
; %bb.30:                               ;   in Loop: Header=BB86_27 Depth=1
	s_mov_b32 s9, s10
	s_branch .LBB86_27
.LBB86_31:
	s_cmp_lt_i32 s10, 0
	s_cbranch_scc1 .LBB86_44
; %bb.32:
	s_bitcmp1_b32 s10, 0
	s_cselect_b64 s[8:9], -1, 0
	s_and_b64 vcc, exec, s[8:9]
	s_mov_b32 s8, s10
	s_cbranch_vccnz .LBB86_37
; %bb.33:
	s_lshl_b32 s8, s10, 7
	v_add_u32_e32 v4, s8, v1
	ds_read_b64 v[2:3], v4
	s_cmp_le_i32 s7, s10
	s_cbranch_scc1 .LBB86_36
; %bb.34:
	s_lshl_b32 s11, s23, 7
	s_lshl_b32 s9, s10, 3
	s_add_i32 s9, s11, s9
	v_lshl_or_b32 v5, v0, 3, s11
	s_addk_i32 s9, 0xff80
	v_add_u32_e32 v5, 0x780, v5
	s_mov_b32 s11, s7
.LBB86_35:                              ; =>This Inner Loop Header: Depth=1
	v_mov_b32_e32 v8, s9
	ds_read_b64 v[6:7], v5
	ds_read_b64 v[8:9], v8
	s_add_i32 s11, s11, -1
	s_addk_i32 s9, 0xff80
	v_add_u32_e32 v5, 0xffffff80, v5
	s_cmp_gt_u32 s11, s10
	s_waitcnt lgkmcnt(0)
	v_fma_f64 v[2:3], -v[6:7], v[8:9], v[2:3]
	s_cbranch_scc1 .LBB86_35
.LBB86_36:
	s_lshl_b32 s9, s10, 3
	s_add_i32 s8, s9, s8
	v_mov_b32_e32 v5, s8
	ds_read_b64 v[6:7], v5
	s_waitcnt lgkmcnt(0)
	v_div_scale_f64 v[8:9], s[8:9], v[6:7], v[6:7], v[2:3]
	v_rcp_f64_e32 v[10:11], v[8:9]
	v_div_scale_f64 v[12:13], vcc, v[2:3], v[6:7], v[2:3]
	s_add_i32 s8, s10, -1
	v_fma_f64 v[14:15], -v[8:9], v[10:11], 1.0
	v_fmac_f64_e32 v[10:11], v[10:11], v[14:15]
	v_fma_f64 v[14:15], -v[8:9], v[10:11], 1.0
	v_fmac_f64_e32 v[10:11], v[10:11], v[14:15]
	v_mul_f64 v[14:15], v[12:13], v[10:11]
	v_fma_f64 v[8:9], -v[8:9], v[14:15], v[12:13]
	v_div_fmas_f64 v[8:9], v[8:9], v[10:11], v[14:15]
	v_div_fixup_f64 v[2:3], v[8:9], v[6:7], v[2:3]
	ds_write_b64 v4, v[2:3]
.LBB86_37:
	s_cmp_eq_u32 s10, 0
	s_cbranch_scc1 .LBB86_44
; %bb.38:
	s_lshl_b32 s10, s23, 7
	s_lshl_b32 s9, s8, 3
	s_add_i32 s11, s10, s9
	v_lshl_or_b32 v2, v0, 3, s10
	s_add_i32 s9, s11, 0xffffff80
	v_add_u32_e32 v6, 0x780, v2
	s_add_i32 s10, s11, 0xffffff78
	s_branch .LBB86_40
.LBB86_39:                              ;   in Loop: Header=BB86_40 Depth=1
	s_add_i32 s12, s12, s13
	s_add_i32 s12, s12, -8
	v_mov_b32_e32 v4, s12
	ds_read_b64 v[4:5], v4
	s_add_i32 s8, s8, -2
	s_add_i32 s9, s9, -16
	;; [unrolled: 1-line block ×3, first 2 shown]
	s_cmp_eq_u32 s11, 0
	s_waitcnt lgkmcnt(0)
	v_div_scale_f64 v[8:9], s[12:13], v[4:5], v[4:5], v[2:3]
	v_rcp_f64_e32 v[10:11], v[8:9]
	v_div_scale_f64 v[12:13], vcc, v[2:3], v[4:5], v[2:3]
	v_fma_f64 v[14:15], -v[8:9], v[10:11], 1.0
	v_fmac_f64_e32 v[10:11], v[10:11], v[14:15]
	v_fma_f64 v[14:15], -v[8:9], v[10:11], 1.0
	v_fmac_f64_e32 v[10:11], v[10:11], v[14:15]
	v_mul_f64 v[14:15], v[12:13], v[10:11]
	v_fma_f64 v[8:9], -v[8:9], v[14:15], v[12:13]
	v_div_fmas_f64 v[8:9], v[8:9], v[10:11], v[14:15]
	v_div_fixup_f64 v[2:3], v[8:9], v[4:5], v[2:3]
	ds_write_b64 v7, v[2:3]
	s_cbranch_scc1 .LBB86_44
.LBB86_40:                              ; =>This Loop Header: Depth=1
                                        ;     Child Loop BB86_41 Depth 2
                                        ;     Child Loop BB86_43 Depth 2
	s_lshl_b32 s11, s8, 7
	v_add_u32_e32 v8, s11, v1
	ds_read_b64 v[4:5], v8
	s_cmp_le_i32 s7, s8
	v_mov_b32_e32 v2, v6
	s_mov_b32 s12, s9
	s_mov_b32 s13, s7
	s_cbranch_scc1 .LBB86_42
.LBB86_41:                              ;   Parent Loop BB86_40 Depth=1
                                        ; =>  This Inner Loop Header: Depth=2
	v_mov_b32_e32 v3, s12
	ds_read_b64 v[10:11], v2
	ds_read_b64 v[12:13], v3
	s_add_i32 s13, s13, -1
	s_addk_i32 s12, 0xff80
	v_add_u32_e32 v2, 0xffffff80, v2
	s_cmp_le_u32 s13, s8
	s_waitcnt lgkmcnt(0)
	v_fma_f64 v[4:5], -v[10:11], v[12:13], v[4:5]
	s_cbranch_scc0 .LBB86_41
.LBB86_42:                              ;   in Loop: Header=BB86_40 Depth=1
	s_lshl_b32 s12, s8, 3
	s_add_i32 s11, s12, s11
	v_mov_b32_e32 v2, s11
	ds_read_b64 v[10:11], v2
	s_add_i32 s11, s8, -1
	s_lshl_b32 s13, s11, 7
	v_add_u32_e32 v7, s13, v1
	ds_read_b64 v[2:3], v7
	s_waitcnt lgkmcnt(1)
	v_div_scale_f64 v[12:13], s[14:15], v[10:11], v[10:11], v[4:5]
	v_rcp_f64_e32 v[14:15], v[12:13]
	v_div_scale_f64 v[16:17], vcc, v[4:5], v[10:11], v[4:5]
	s_cmp_le_i32 s23, s8
	v_fma_f64 v[18:19], -v[12:13], v[14:15], 1.0
	v_fmac_f64_e32 v[14:15], v[14:15], v[18:19]
	v_fma_f64 v[18:19], -v[12:13], v[14:15], 1.0
	v_fmac_f64_e32 v[14:15], v[14:15], v[18:19]
	v_mul_f64 v[18:19], v[16:17], v[14:15]
	v_fma_f64 v[12:13], -v[12:13], v[18:19], v[16:17]
	v_div_fmas_f64 v[12:13], v[12:13], v[14:15], v[18:19]
	v_div_fixup_f64 v[4:5], v[12:13], v[10:11], v[4:5]
	ds_write_b64 v8, v[4:5]
	v_mov_b32_e32 v4, v6
	s_mov_b32 s14, s10
	s_mov_b32 s15, s7
	s_cbranch_scc1 .LBB86_39
.LBB86_43:                              ;   Parent Loop BB86_40 Depth=1
                                        ; =>  This Inner Loop Header: Depth=2
	v_mov_b32_e32 v5, s14
	ds_read_b64 v[8:9], v4
	ds_read_b64 v[10:11], v5
	s_add_i32 s15, s15, -1
	s_addk_i32 s14, 0xff80
	v_add_u32_e32 v4, 0xffffff80, v4
	s_cmp_gt_u32 s15, s11
	s_waitcnt lgkmcnt(0)
	v_fma_f64 v[2:3], -v[8:9], v[10:11], v[2:3]
	s_cbranch_scc1 .LBB86_43
	s_branch .LBB86_39
.LBB86_44:
	s_mov_b64 s[12:13], 0
.LBB86_45:
	s_andn2_b64 vcc, exec, s[12:13]
	s_cbranch_vccnz .LBB86_65
; %bb.46:
	s_andn2_b64 vcc, exec, s[4:5]
	s_mov_b32 s8, s7
	s_cbranch_vccnz .LBB86_52
; %bb.47:
	v_lshlrev_b32_e32 v2, 3, v0
	v_lshl_or_b32 v2, s23, 7, v2
	s_mul_i32 s4, s23, 0x88
	v_add_u32_e32 v10, 0x780, v2
	s_addk_i32 s4, 0xfdf8
	s_mov_b32 s5, s7
.LBB86_48:                              ; =>This Loop Header: Depth=1
                                        ;     Child Loop BB86_49 Depth 2
	v_lshl_add_u32 v12, s5, 7, v1
	s_add_i32 s10, s5, -1
	s_add_i32 s9, s5, -2
	;; [unrolled: 1-line block ×3, first 2 shown]
	v_lshl_add_u32 v13, s10, 7, v1
	v_lshl_add_u32 v14, s9, 7, v1
	;; [unrolled: 1-line block ×3, first 2 shown]
	ds_read_b64 v[8:9], v12
	ds_read_b64 v[6:7], v13
	;; [unrolled: 1-line block ×4, first 2 shown]
	s_cmp_le_i32 s7, s5
	s_mov_b32 s11, s4
	v_mov_b32_e32 v15, v10
	s_mov_b32 s12, s7
	s_cbranch_scc1 .LBB86_50
.LBB86_49:                              ;   Parent Loop BB86_48 Depth=1
                                        ; =>  This Inner Loop Header: Depth=2
	v_mov_b32_e32 v20, s11
	ds_read_b64 v[24:25], v15
	ds_read2_b64 v[16:19], v20 offset0:32 offset1:48
	ds_read2_b64 v[20:23], v20 offset1:16
	s_add_i32 s12, s12, -1
	s_add_i32 s11, s11, -8
	v_add_u32_e32 v15, 0xffffff80, v15
	s_cmp_le_i32 s12, s5
	s_waitcnt lgkmcnt(1)
	v_fma_f64 v[8:9], -v[24:25], v[18:19], v[8:9]
	v_fma_f64 v[6:7], -v[24:25], v[16:17], v[6:7]
	s_waitcnt lgkmcnt(0)
	v_fma_f64 v[4:5], -v[24:25], v[22:23], v[4:5]
	v_fma_f64 v[2:3], -v[24:25], v[20:21], v[2:3]
	s_cbranch_scc0 .LBB86_49
.LBB86_50:                              ;   in Loop: Header=BB86_48 Depth=1
	s_mul_i32 s14, s5, 0x88
	v_mov_b32_e32 v15, s14
	ds_read_b64 v[20:21], v15
	s_lshl_b32 s13, s10, 4
	s_lshl_b32 s13, s13, 3
	;; [unrolled: 1-line block ×3, first 2 shown]
	s_add_i32 s10, s13, s10
	s_waitcnt lgkmcnt(0)
	v_div_scale_f64 v[22:23], s[14:15], v[20:21], v[20:21], v[8:9]
	v_rcp_f64_e32 v[24:25], v[22:23]
	v_mov_b32_e32 v15, s10
	ds_read2_b64 v[16:19], v15 offset1:1
	s_lshl_b32 s12, s9, 4
	v_fma_f64 v[26:27], -v[22:23], v[24:25], 1.0
	v_fmac_f64_e32 v[24:25], v[24:25], v[26:27]
	v_fma_f64 v[26:27], -v[22:23], v[24:25], 1.0
	v_fmac_f64_e32 v[24:25], v[24:25], v[26:27]
	v_div_scale_f64 v[26:27], vcc, v[8:9], v[20:21], v[8:9]
	v_mul_f64 v[28:29], v[26:27], v[24:25]
	v_fma_f64 v[22:23], -v[22:23], v[28:29], v[26:27]
	s_lshl_b32 s10, s12, 3
	s_nop 0
	v_div_fmas_f64 v[22:23], v[22:23], v[24:25], v[28:29]
	v_div_fixup_f64 v[24:25], v[22:23], v[20:21], v[8:9]
	s_waitcnt lgkmcnt(0)
	v_fma_f64 v[18:19], -v[24:25], v[18:19], v[6:7]
	v_div_scale_f64 v[6:7], s[14:15], v[16:17], v[16:17], v[18:19]
	v_rcp_f64_e32 v[20:21], v[6:7]
	s_lshl_b32 s14, s5, 3
	s_lshl_b32 s9, s9, 3
	s_add_i32 s12, s10, s14
	v_fma_f64 v[8:9], -v[6:7], v[20:21], 1.0
	v_fmac_f64_e32 v[20:21], v[20:21], v[8:9]
	v_fma_f64 v[8:9], -v[6:7], v[20:21], 1.0
	v_fmac_f64_e32 v[20:21], v[20:21], v[8:9]
	v_div_scale_f64 v[8:9], vcc, v[18:19], v[16:17], v[18:19]
	v_mul_f64 v[22:23], v[8:9], v[20:21]
	s_add_i32 s9, s10, s9
	v_fma_f64 v[26:27], -v[6:7], v[22:23], v[8:9]
	v_mov_b32_e32 v6, s12
	v_mov_b32_e32 v7, s9
	ds_read_b64 v[28:29], v6
	ds_read2_b64 v[6:9], v7 offset1:1
	v_div_fmas_f64 v[20:21], v[26:27], v[20:21], v[22:23]
	v_div_fixup_f64 v[26:27], v[20:21], v[16:17], v[18:19]
	s_lshl_b32 s11, s8, 4
	s_waitcnt lgkmcnt(1)
	v_fma_f64 v[4:5], -v[24:25], v[28:29], v[4:5]
	s_waitcnt lgkmcnt(0)
	v_fma_f64 v[4:5], -v[26:27], v[8:9], v[4:5]
	v_div_scale_f64 v[8:9], s[12:13], v[6:7], v[6:7], v[4:5]
	v_rcp_f64_e32 v[28:29], v[8:9]
	s_lshl_b32 s9, s11, 3
	s_add_i32 s10, s9, s14
	s_lshl_b32 s8, s8, 3
	v_fma_f64 v[16:17], -v[8:9], v[28:29], 1.0
	v_fmac_f64_e32 v[28:29], v[28:29], v[16:17]
	v_fma_f64 v[16:17], -v[8:9], v[28:29], 1.0
	v_fmac_f64_e32 v[28:29], v[28:29], v[16:17]
	v_div_scale_f64 v[16:17], vcc, v[4:5], v[6:7], v[4:5]
	s_add_i32 s10, s10, -8
	s_add_i32 s8, s9, s8
	v_mul_f64 v[30:31], v[16:17], v[28:29]
	v_mov_b32_e32 v15, s10
	v_mov_b32_e32 v20, s8
	v_fma_f64 v[8:9], -v[8:9], v[30:31], v[16:17]
	ds_read2_b64 v[16:19], v15 offset1:1
	ds_read2_b64 v[20:23], v20 offset1:1
	v_div_fmas_f64 v[8:9], v[8:9], v[28:29], v[30:31]
	v_div_fixup_f64 v[4:5], v[8:9], v[6:7], v[4:5]
	ds_write_b64 v12, v[24:25]
	ds_write_b64 v13, v[26:27]
	;; [unrolled: 1-line block ×3, first 2 shown]
	s_waitcnt lgkmcnt(4)
	v_fma_f64 v[2:3], -v[24:25], v[18:19], v[2:3]
	v_fma_f64 v[2:3], -v[26:27], v[16:17], v[2:3]
	s_waitcnt lgkmcnt(3)
	v_fma_f64 v[2:3], -v[4:5], v[22:23], v[2:3]
	v_div_scale_f64 v[6:7], s[8:9], v[20:21], v[20:21], v[2:3]
	v_rcp_f64_e32 v[8:9], v[6:7]
	s_add_i32 s8, s5, -4
	s_addk_i32 s4, 0xfe00
	s_cmp_lt_i32 s5, 7
	v_fma_f64 v[4:5], -v[6:7], v[8:9], 1.0
	v_fmac_f64_e32 v[8:9], v[8:9], v[4:5]
	v_fma_f64 v[4:5], -v[6:7], v[8:9], 1.0
	v_fmac_f64_e32 v[8:9], v[8:9], v[4:5]
	v_div_scale_f64 v[4:5], vcc, v[2:3], v[20:21], v[2:3]
	v_mul_f64 v[12:13], v[4:5], v[8:9]
	v_fma_f64 v[4:5], -v[6:7], v[12:13], v[4:5]
	s_nop 1
	v_div_fmas_f64 v[4:5], v[4:5], v[8:9], v[12:13]
	v_div_fixup_f64 v[2:3], v[4:5], v[20:21], v[2:3]
	ds_write_b64 v11, v[2:3]
	s_cbranch_scc1 .LBB86_52
; %bb.51:                               ;   in Loop: Header=BB86_48 Depth=1
	s_mov_b32 s5, s8
	s_branch .LBB86_48
.LBB86_52:
	s_cmp_lt_i32 s8, 0
	s_cbranch_scc1 .LBB86_65
; %bb.53:
	s_bitcmp1_b32 s8, 0
	s_cselect_b64 s[4:5], -1, 0
	s_and_b64 vcc, exec, s[4:5]
	s_mov_b32 s4, s8
	s_cbranch_vccnz .LBB86_58
; %bb.54:
	v_lshl_add_u32 v4, s8, 7, v1
	ds_read_b64 v[2:3], v4
	s_cmp_le_i32 s7, s8
	s_cbranch_scc1 .LBB86_57
; %bb.55:
	s_lshl_b32 s4, s8, 7
	s_lshl_b32 s5, s23, 3
	v_lshlrev_b32_e32 v5, 3, v0
	s_add_i32 s4, s4, s5
	v_lshl_or_b32 v5, s23, 7, v5
	s_add_i32 s4, s4, -8
	v_add_u32_e32 v5, 0x780, v5
	s_mov_b32 s5, s7
.LBB86_56:                              ; =>This Inner Loop Header: Depth=1
	v_mov_b32_e32 v8, s4
	ds_read_b64 v[6:7], v5
	ds_read_b64 v[8:9], v8
	s_add_i32 s5, s5, -1
	s_add_i32 s4, s4, -8
	v_add_u32_e32 v5, 0xffffff80, v5
	s_cmp_gt_u32 s5, s8
	s_waitcnt lgkmcnt(0)
	v_fma_f64 v[2:3], -v[6:7], v[8:9], v[2:3]
	s_cbranch_scc1 .LBB86_56
.LBB86_57:
	s_mul_i32 s4, s8, 0x88
	v_mov_b32_e32 v5, s4
	ds_read_b64 v[6:7], v5
	s_waitcnt lgkmcnt(0)
	v_div_scale_f64 v[8:9], s[4:5], v[6:7], v[6:7], v[2:3]
	v_rcp_f64_e32 v[10:11], v[8:9]
	v_div_scale_f64 v[12:13], vcc, v[2:3], v[6:7], v[2:3]
	s_add_i32 s4, s8, -1
	v_fma_f64 v[14:15], -v[8:9], v[10:11], 1.0
	v_fmac_f64_e32 v[10:11], v[10:11], v[14:15]
	v_fma_f64 v[14:15], -v[8:9], v[10:11], 1.0
	v_fmac_f64_e32 v[10:11], v[10:11], v[14:15]
	v_mul_f64 v[14:15], v[12:13], v[10:11]
	v_fma_f64 v[8:9], -v[8:9], v[14:15], v[12:13]
	v_div_fmas_f64 v[8:9], v[8:9], v[10:11], v[14:15]
	v_div_fixup_f64 v[2:3], v[8:9], v[6:7], v[2:3]
	ds_write_b64 v4, v[2:3]
.LBB86_58:
	s_cmp_eq_u32 s8, 0
	s_cbranch_scc1 .LBB86_65
; %bb.59:
	v_lshlrev_b32_e32 v2, 3, v0
	s_lshl_b32 s5, s4, 7
	s_lshl_b32 s8, s23, 3
	v_lshl_or_b32 v2, s23, 7, v2
	s_add_i32 s8, s5, s8
	v_add_u32_e32 v6, 0x780, v2
	s_add_i32 s5, s8, -8
	s_addk_i32 s8, 0xff78
	s_branch .LBB86_61
.LBB86_60:                              ;   in Loop: Header=BB86_61 Depth=1
	s_addk_i32 s10, 0xff78
	v_mov_b32_e32 v4, s10
	ds_read_b64 v[4:5], v4
	s_add_i32 s4, s4, -2
	s_addk_i32 s5, 0xff00
	s_addk_i32 s8, 0xff00
	s_cmp_eq_u32 s9, 0
	s_waitcnt lgkmcnt(0)
	v_div_scale_f64 v[8:9], s[10:11], v[4:5], v[4:5], v[2:3]
	v_rcp_f64_e32 v[10:11], v[8:9]
	v_div_scale_f64 v[12:13], vcc, v[2:3], v[4:5], v[2:3]
	v_fma_f64 v[14:15], -v[8:9], v[10:11], 1.0
	v_fmac_f64_e32 v[10:11], v[10:11], v[14:15]
	v_fma_f64 v[14:15], -v[8:9], v[10:11], 1.0
	v_fmac_f64_e32 v[10:11], v[10:11], v[14:15]
	v_mul_f64 v[14:15], v[12:13], v[10:11]
	v_fma_f64 v[8:9], -v[8:9], v[14:15], v[12:13]
	v_div_fmas_f64 v[8:9], v[8:9], v[10:11], v[14:15]
	v_div_fixup_f64 v[2:3], v[8:9], v[4:5], v[2:3]
	ds_write_b64 v7, v[2:3]
	s_cbranch_scc1 .LBB86_65
.LBB86_61:                              ; =>This Loop Header: Depth=1
                                        ;     Child Loop BB86_62 Depth 2
                                        ;     Child Loop BB86_64 Depth 2
	v_lshl_add_u32 v8, s4, 7, v1
	ds_read_b64 v[4:5], v8
	s_cmp_le_i32 s7, s4
	s_mov_b32 s9, s5
	v_mov_b32_e32 v2, v6
	s_mov_b32 s10, s7
	s_cbranch_scc1 .LBB86_63
.LBB86_62:                              ;   Parent Loop BB86_61 Depth=1
                                        ; =>  This Inner Loop Header: Depth=2
	v_mov_b32_e32 v3, s9
	ds_read_b64 v[10:11], v2
	ds_read_b64 v[12:13], v3
	s_add_i32 s10, s10, -1
	s_add_i32 s9, s9, -8
	v_add_u32_e32 v2, 0xffffff80, v2
	s_cmp_le_u32 s10, s4
	s_waitcnt lgkmcnt(0)
	v_fma_f64 v[4:5], -v[10:11], v[12:13], v[4:5]
	s_cbranch_scc0 .LBB86_62
.LBB86_63:                              ;   in Loop: Header=BB86_61 Depth=1
	s_mul_i32 s10, s4, 0x88
	v_mov_b32_e32 v2, s10
	ds_read_b64 v[10:11], v2
	s_add_i32 s9, s4, -1
	v_lshl_add_u32 v7, s9, 7, v1
	ds_read_b64 v[2:3], v7
	s_cmp_le_i32 s23, s4
	s_waitcnt lgkmcnt(1)
	v_div_scale_f64 v[12:13], s[12:13], v[10:11], v[10:11], v[4:5]
	v_rcp_f64_e32 v[14:15], v[12:13]
	v_div_scale_f64 v[16:17], vcc, v[4:5], v[10:11], v[4:5]
	s_mov_b32 s11, s8
	v_fma_f64 v[18:19], -v[12:13], v[14:15], 1.0
	v_fmac_f64_e32 v[14:15], v[14:15], v[18:19]
	v_fma_f64 v[18:19], -v[12:13], v[14:15], 1.0
	v_fmac_f64_e32 v[14:15], v[14:15], v[18:19]
	v_mul_f64 v[18:19], v[16:17], v[14:15]
	v_fma_f64 v[12:13], -v[12:13], v[18:19], v[16:17]
	v_div_fmas_f64 v[12:13], v[12:13], v[14:15], v[18:19]
	v_div_fixup_f64 v[4:5], v[12:13], v[10:11], v[4:5]
	ds_write_b64 v8, v[4:5]
	v_mov_b32_e32 v4, v6
	s_mov_b32 s12, s7
	s_cbranch_scc1 .LBB86_60
.LBB86_64:                              ;   Parent Loop BB86_61 Depth=1
                                        ; =>  This Inner Loop Header: Depth=2
	v_mov_b32_e32 v5, s11
	ds_read_b64 v[8:9], v4
	ds_read_b64 v[10:11], v5
	s_add_i32 s12, s12, -1
	s_add_i32 s11, s11, -8
	v_add_u32_e32 v4, 0xffffff80, v4
	s_cmp_gt_u32 s12, s9
	s_waitcnt lgkmcnt(0)
	v_fma_f64 v[2:3], -v[8:9], v[10:11], v[2:3]
	s_cbranch_scc1 .LBB86_64
	s_branch .LBB86_60
.LBB86_65:
	s_mov_b64 s[12:13], 0
.LBB86_66:
	s_andn2_b64 vcc, exec, s[12:13]
	s_cbranch_vccnz .LBB86_78
; %bb.67:
	v_mov_b32_e32 v1, 0x800
	v_lshl_or_b32 v1, v0, 3, v1
	s_cmp_lt_i32 s22, 4
	s_mov_b32 s7, 0
	s_cbranch_scc1 .LBB86_73
; %bb.68:
	s_mov_b32 s4, 0
	s_mov_b32 s5, 0
.LBB86_69:                              ; =>This Loop Header: Depth=1
                                        ;     Child Loop BB86_70 Depth 2
	s_or_b32 s8, s5, 3
	v_lshl_add_u32 v11, s5, 7, v1
	s_or_b32 s9, s5, 1
	s_or_b32 s7, s5, 2
	v_lshl_add_u32 v12, s9, 7, v1
	v_lshl_add_u32 v13, s7, 7, v1
	;; [unrolled: 1-line block ×3, first 2 shown]
	ds_read_b64 v[8:9], v11
	ds_read_b64 v[6:7], v12
	;; [unrolled: 1-line block ×4, first 2 shown]
	s_cmp_eq_u32 s5, 0
	s_mov_b32 s10, s4
	v_mov_b32_e32 v14, v1
	s_mov_b32 s11, s5
	s_cbranch_scc1 .LBB86_71
.LBB86_70:                              ;   Parent Loop BB86_69 Depth=1
                                        ; =>  This Inner Loop Header: Depth=2
	v_mov_b32_e32 v15, s10
	ds_read_b64 v[24:25], v14
	ds_read2_b64 v[16:19], v15 offset1:16
	ds_read2_b64 v[20:23], v15 offset0:32 offset1:48
	s_add_i32 s11, s11, -1
	s_add_i32 s10, s10, 8
	v_add_u32_e32 v14, 0x80, v14
	s_cmp_eq_u32 s11, 0
	s_waitcnt lgkmcnt(1)
	v_fma_f64 v[8:9], -v[24:25], v[16:17], v[8:9]
	v_fma_f64 v[6:7], -v[24:25], v[18:19], v[6:7]
	s_waitcnt lgkmcnt(0)
	v_fma_f64 v[4:5], -v[24:25], v[20:21], v[4:5]
	v_fma_f64 v[2:3], -v[24:25], v[22:23], v[2:3]
	s_cbranch_scc0 .LBB86_70
.LBB86_71:                              ;   in Loop: Header=BB86_69 Depth=1
	s_mul_i32 s11, s5, 0x88
	v_mov_b32_e32 v14, s11
	ds_read_b64 v[18:19], v14
	s_lshl_b32 s10, s9, 4
	s_lshl_b32 s10, s10, 3
	;; [unrolled: 1-line block ×3, first 2 shown]
	s_add_i32 s10, s10, s12
	v_mov_b32_e32 v14, s10
	s_waitcnt lgkmcnt(0)
	v_div_scale_f64 v[20:21], s[10:11], v[18:19], v[18:19], v[8:9]
	v_rcp_f64_e32 v[22:23], v[20:21]
	ds_read_b128 v[14:17], v14
	s_lshl_b32 s9, s7, 4
	s_lshl_b32 s9, s9, 3
	v_fma_f64 v[24:25], -v[20:21], v[22:23], 1.0
	v_fmac_f64_e32 v[22:23], v[22:23], v[24:25]
	v_fma_f64 v[24:25], -v[20:21], v[22:23], 1.0
	v_fmac_f64_e32 v[22:23], v[22:23], v[24:25]
	v_div_scale_f64 v[24:25], vcc, v[8:9], v[18:19], v[8:9]
	v_mul_f64 v[26:27], v[24:25], v[22:23]
	v_fma_f64 v[20:21], -v[20:21], v[26:27], v[24:25]
	s_lshl_b32 s7, s7, 3
	s_nop 0
	v_div_fmas_f64 v[20:21], v[20:21], v[22:23], v[26:27]
	v_div_fixup_f64 v[18:19], v[20:21], v[18:19], v[8:9]
	s_waitcnt lgkmcnt(0)
	v_fma_f64 v[14:15], -v[18:19], v[14:15], v[6:7]
	v_div_scale_f64 v[6:7], s[10:11], v[16:17], v[16:17], v[14:15]
	v_rcp_f64_e32 v[8:9], v[6:7]
	s_add_i32 s10, s9, s12
	s_add_i32 s7, s9, s7
	s_lshl_b32 s8, s8, 4
	v_fma_f64 v[20:21], -v[6:7], v[8:9], 1.0
	v_fmac_f64_e32 v[8:9], v[8:9], v[20:21]
	v_fma_f64 v[20:21], -v[6:7], v[8:9], 1.0
	v_fmac_f64_e32 v[8:9], v[8:9], v[20:21]
	v_div_scale_f64 v[20:21], vcc, v[14:15], v[16:17], v[14:15]
	v_mul_f64 v[22:23], v[20:21], v[8:9]
	v_fma_f64 v[6:7], -v[6:7], v[22:23], v[20:21]
	s_addk_i32 s4, 0x200
	s_nop 0
	v_div_fmas_f64 v[20:21], v[6:7], v[8:9], v[22:23]
	v_mov_b32_e32 v6, s10
	ds_read_b128 v[6:9], v6
	v_mov_b32_e32 v22, s7
	ds_read_b64 v[22:23], v22
	v_div_fixup_f64 v[20:21], v[20:21], v[16:17], v[14:15]
	s_lshl_b32 s7, s8, 3
	s_waitcnt lgkmcnt(1)
	v_fma_f64 v[4:5], -v[18:19], v[6:7], v[4:5]
	v_fma_f64 v[8:9], -v[20:21], v[8:9], v[4:5]
	s_waitcnt lgkmcnt(0)
	v_div_scale_f64 v[4:5], s[10:11], v[22:23], v[22:23], v[8:9]
	v_rcp_f64_e32 v[24:25], v[4:5]
	s_add_i32 s7, s7, s12
	v_mov_b32_e32 v14, s7
	s_add_i32 s7, s5, 4
	v_fma_f64 v[6:7], -v[4:5], v[24:25], 1.0
	v_fmac_f64_e32 v[24:25], v[24:25], v[6:7]
	v_fma_f64 v[6:7], -v[4:5], v[24:25], 1.0
	v_fmac_f64_e32 v[24:25], v[24:25], v[6:7]
	v_div_scale_f64 v[6:7], vcc, v[8:9], v[22:23], v[8:9]
	v_mul_f64 v[26:27], v[6:7], v[24:25]
	v_fma_f64 v[28:29], -v[4:5], v[26:27], v[6:7]
	ds_read_b128 v[4:7], v14
	ds_read_b128 v[14:17], v14 offset:16
	v_div_fmas_f64 v[24:25], v[28:29], v[24:25], v[26:27]
	v_div_fixup_f64 v[8:9], v[24:25], v[22:23], v[8:9]
	ds_write_b64 v11, v[18:19]
	ds_write_b64 v12, v[20:21]
	;; [unrolled: 1-line block ×3, first 2 shown]
	s_waitcnt lgkmcnt(4)
	v_fma_f64 v[2:3], -v[18:19], v[4:5], v[2:3]
	v_fma_f64 v[2:3], -v[20:21], v[6:7], v[2:3]
	s_waitcnt lgkmcnt(3)
	v_fma_f64 v[2:3], -v[8:9], v[14:15], v[2:3]
	v_div_scale_f64 v[4:5], s[8:9], v[16:17], v[16:17], v[2:3]
	v_rcp_f64_e32 v[6:7], v[4:5]
	s_add_i32 s5, s5, 7
	s_cmp_ge_i32 s5, s23
	v_fma_f64 v[8:9], -v[4:5], v[6:7], 1.0
	v_fmac_f64_e32 v[6:7], v[6:7], v[8:9]
	v_fma_f64 v[8:9], -v[4:5], v[6:7], 1.0
	v_fmac_f64_e32 v[6:7], v[6:7], v[8:9]
	v_div_scale_f64 v[8:9], vcc, v[2:3], v[16:17], v[2:3]
	v_mul_f64 v[12:13], v[8:9], v[6:7]
	v_fma_f64 v[4:5], -v[4:5], v[12:13], v[8:9]
	s_nop 1
	v_div_fmas_f64 v[4:5], v[4:5], v[6:7], v[12:13]
	v_div_fixup_f64 v[2:3], v[4:5], v[16:17], v[2:3]
	ds_write_b64 v10, v[2:3]
	s_cbranch_scc1 .LBB86_73
; %bb.72:                               ;   in Loop: Header=BB86_69 Depth=1
	s_mov_b32 s5, s7
	s_branch .LBB86_69
.LBB86_73:
	s_cmp_ge_i32 s7, s23
	s_cbranch_scc1 .LBB86_78
; %bb.74:
	v_mov_b32_e32 v2, 0x800
	v_lshl_or_b32 v4, v0, 3, v2
	s_lshl_b32 s4, s7, 7
	s_branch .LBB86_76
.LBB86_75:                              ;   in Loop: Header=BB86_76 Depth=1
	s_mul_i32 s5, s7, 0x88
	v_mov_b32_e32 v6, s5
	ds_read_b64 v[6:7], v6
	s_add_i32 s7, s7, 1
	s_addk_i32 s4, 0x80
	s_cmp_ge_i32 s7, s23
	s_waitcnt lgkmcnt(0)
	v_div_scale_f64 v[8:9], s[8:9], v[6:7], v[6:7], v[2:3]
	v_rcp_f64_e32 v[10:11], v[8:9]
	v_div_scale_f64 v[12:13], vcc, v[2:3], v[6:7], v[2:3]
	v_fma_f64 v[14:15], -v[8:9], v[10:11], 1.0
	v_fmac_f64_e32 v[10:11], v[10:11], v[14:15]
	v_fma_f64 v[14:15], -v[8:9], v[10:11], 1.0
	v_fmac_f64_e32 v[10:11], v[10:11], v[14:15]
	v_mul_f64 v[14:15], v[12:13], v[10:11]
	v_fma_f64 v[8:9], -v[8:9], v[14:15], v[12:13]
	v_div_fmas_f64 v[8:9], v[8:9], v[10:11], v[14:15]
	v_div_fixup_f64 v[2:3], v[8:9], v[6:7], v[2:3]
	ds_write_b64 v5, v[2:3]
	s_cbranch_scc1 .LBB86_78
.LBB86_76:                              ; =>This Loop Header: Depth=1
                                        ;     Child Loop BB86_77 Depth 2
	v_lshl_add_u32 v5, s7, 7, v1
	ds_read_b64 v[2:3], v5
	s_cmp_eq_u32 s7, 0
	s_mov_b32 s5, s4
	v_mov_b32_e32 v6, v4
	s_mov_b32 s8, s7
	s_cbranch_scc1 .LBB86_75
.LBB86_77:                              ;   Parent Loop BB86_76 Depth=1
                                        ; =>  This Inner Loop Header: Depth=2
	v_mov_b32_e32 v7, s5
	ds_read_b64 v[8:9], v6
	ds_read_b64 v[10:11], v7
	s_add_i32 s8, s8, -1
	s_add_i32 s5, s5, 8
	v_add_u32_e32 v6, 0x80, v6
	s_cmp_eq_u32 s8, 0
	s_waitcnt lgkmcnt(0)
	v_fma_f64 v[2:3], -v[8:9], v[10:11], v[2:3]
	s_cbranch_scc0 .LBB86_77
	s_branch .LBB86_75
.LBB86_78:
	s_and_saveexec_b64 s[4:5], s[0:1]
	s_cbranch_execz .LBB86_82
; %bb.79:
	s_cmp_lt_i32 s22, 1
	s_cbranch_scc1 .LBB86_82
; %bb.80:
	s_ashr_i32 s7, s6, 31
	v_lshlrev_b32_e32 v2, 3, v0
	v_mov_b32_e32 v3, 0
	v_lshl_add_u64 v[0:1], s[2:3], 0, v[2:3]
	s_lshl_b64 s[0:1], s[6:7], 3
	v_or_b32_e32 v2, 0x800, v2
.LBB86_81:                              ; =>This Inner Loop Header: Depth=1
	ds_read_b64 v[4:5], v2
	s_add_i32 s22, s22, -1
	v_add_u32_e32 v2, 0x80, v2
	s_cmp_lg_u32 s22, 0
	s_waitcnt lgkmcnt(0)
	flat_store_dwordx2 v[0:1], v[4:5]
	v_lshl_add_u64 v[0:1], v[0:1], 0, s[0:1]
	s_cbranch_scc1 .LBB86_81
.LBB86_82:
	s_endpgm
	.section	.rodata,"a",@progbits
	.p2align	6, 0x0
	.amdhsa_kernel _ZL31rocblas_trsm_small_right_deviceIddPKPKdPKPdLi16EEv13rocblas_fill_18rocblas_operation_17rocblas_diagonal_iiT0_T1_lilT2_lili
		.amdhsa_group_segment_fixed_size 4096
		.amdhsa_private_segment_fixed_size 0
		.amdhsa_kernarg_size 360
		.amdhsa_user_sgpr_count 2
		.amdhsa_user_sgpr_dispatch_ptr 0
		.amdhsa_user_sgpr_queue_ptr 0
		.amdhsa_user_sgpr_kernarg_segment_ptr 1
		.amdhsa_user_sgpr_dispatch_id 0
		.amdhsa_user_sgpr_kernarg_preload_length 0
		.amdhsa_user_sgpr_kernarg_preload_offset 0
		.amdhsa_user_sgpr_private_segment_size 0
		.amdhsa_uses_dynamic_stack 0
		.amdhsa_enable_private_segment 0
		.amdhsa_system_sgpr_workgroup_id_x 1
		.amdhsa_system_sgpr_workgroup_id_y 0
		.amdhsa_system_sgpr_workgroup_id_z 1
		.amdhsa_system_sgpr_workgroup_info 0
		.amdhsa_system_vgpr_workitem_id 0
		.amdhsa_next_free_vgpr 40
		.amdhsa_next_free_sgpr 26
		.amdhsa_accum_offset 40
		.amdhsa_reserve_vcc 1
		.amdhsa_float_round_mode_32 0
		.amdhsa_float_round_mode_16_64 0
		.amdhsa_float_denorm_mode_32 3
		.amdhsa_float_denorm_mode_16_64 3
		.amdhsa_dx10_clamp 1
		.amdhsa_ieee_mode 1
		.amdhsa_fp16_overflow 0
		.amdhsa_tg_split 0
		.amdhsa_exception_fp_ieee_invalid_op 0
		.amdhsa_exception_fp_denorm_src 0
		.amdhsa_exception_fp_ieee_div_zero 0
		.amdhsa_exception_fp_ieee_overflow 0
		.amdhsa_exception_fp_ieee_underflow 0
		.amdhsa_exception_fp_ieee_inexact 0
		.amdhsa_exception_int_div_zero 0
	.end_amdhsa_kernel
	.section	.text._ZL31rocblas_trsm_small_right_deviceIddPKPKdPKPdLi16EEv13rocblas_fill_18rocblas_operation_17rocblas_diagonal_iiT0_T1_lilT2_lili,"axG",@progbits,_ZL31rocblas_trsm_small_right_deviceIddPKPKdPKPdLi16EEv13rocblas_fill_18rocblas_operation_17rocblas_diagonal_iiT0_T1_lilT2_lili,comdat
.Lfunc_end86:
	.size	_ZL31rocblas_trsm_small_right_deviceIddPKPKdPKPdLi16EEv13rocblas_fill_18rocblas_operation_17rocblas_diagonal_iiT0_T1_lilT2_lili, .Lfunc_end86-_ZL31rocblas_trsm_small_right_deviceIddPKPKdPKPdLi16EEv13rocblas_fill_18rocblas_operation_17rocblas_diagonal_iiT0_T1_lilT2_lili
                                        ; -- End function
	.set _ZL31rocblas_trsm_small_right_deviceIddPKPKdPKPdLi16EEv13rocblas_fill_18rocblas_operation_17rocblas_diagonal_iiT0_T1_lilT2_lili.num_vgpr, 40
	.set _ZL31rocblas_trsm_small_right_deviceIddPKPKdPKPdLi16EEv13rocblas_fill_18rocblas_operation_17rocblas_diagonal_iiT0_T1_lilT2_lili.num_agpr, 0
	.set _ZL31rocblas_trsm_small_right_deviceIddPKPKdPKPdLi16EEv13rocblas_fill_18rocblas_operation_17rocblas_diagonal_iiT0_T1_lilT2_lili.numbered_sgpr, 26
	.set _ZL31rocblas_trsm_small_right_deviceIddPKPKdPKPdLi16EEv13rocblas_fill_18rocblas_operation_17rocblas_diagonal_iiT0_T1_lilT2_lili.num_named_barrier, 0
	.set _ZL31rocblas_trsm_small_right_deviceIddPKPKdPKPdLi16EEv13rocblas_fill_18rocblas_operation_17rocblas_diagonal_iiT0_T1_lilT2_lili.private_seg_size, 0
	.set _ZL31rocblas_trsm_small_right_deviceIddPKPKdPKPdLi16EEv13rocblas_fill_18rocblas_operation_17rocblas_diagonal_iiT0_T1_lilT2_lili.uses_vcc, 1
	.set _ZL31rocblas_trsm_small_right_deviceIddPKPKdPKPdLi16EEv13rocblas_fill_18rocblas_operation_17rocblas_diagonal_iiT0_T1_lilT2_lili.uses_flat_scratch, 0
	.set _ZL31rocblas_trsm_small_right_deviceIddPKPKdPKPdLi16EEv13rocblas_fill_18rocblas_operation_17rocblas_diagonal_iiT0_T1_lilT2_lili.has_dyn_sized_stack, 0
	.set _ZL31rocblas_trsm_small_right_deviceIddPKPKdPKPdLi16EEv13rocblas_fill_18rocblas_operation_17rocblas_diagonal_iiT0_T1_lilT2_lili.has_recursion, 0
	.set _ZL31rocblas_trsm_small_right_deviceIddPKPKdPKPdLi16EEv13rocblas_fill_18rocblas_operation_17rocblas_diagonal_iiT0_T1_lilT2_lili.has_indirect_call, 0
	.section	.AMDGPU.csdata,"",@progbits
; Kernel info:
; codeLenInByte = 5844
; TotalNumSgprs: 32
; NumVgprs: 40
; NumAgprs: 0
; TotalNumVgprs: 40
; ScratchSize: 0
; MemoryBound: 0
; FloatMode: 240
; IeeeMode: 1
; LDSByteSize: 4096 bytes/workgroup (compile time only)
; SGPRBlocks: 3
; VGPRBlocks: 4
; NumSGPRsForWavesPerEU: 32
; NumVGPRsForWavesPerEU: 40
; AccumOffset: 40
; Occupancy: 8
; WaveLimiterHint : 0
; COMPUTE_PGM_RSRC2:SCRATCH_EN: 0
; COMPUTE_PGM_RSRC2:USER_SGPR: 2
; COMPUTE_PGM_RSRC2:TRAP_HANDLER: 0
; COMPUTE_PGM_RSRC2:TGID_X_EN: 1
; COMPUTE_PGM_RSRC2:TGID_Y_EN: 0
; COMPUTE_PGM_RSRC2:TGID_Z_EN: 1
; COMPUTE_PGM_RSRC2:TIDIG_COMP_CNT: 0
; COMPUTE_PGM_RSRC3_GFX90A:ACCUM_OFFSET: 9
; COMPUTE_PGM_RSRC3_GFX90A:TG_SPLIT: 0
	.section	.text._ZL38rocblas_trsm_small_left_device_sharedBILi20ELi20ELb0EddPKPKdPKPdEv13rocblas_fill_18rocblas_operation_17rocblas_diagonal_iiT3_T4_lilT5_lili,"axG",@progbits,_ZL38rocblas_trsm_small_left_device_sharedBILi20ELi20ELb0EddPKPKdPKPdEv13rocblas_fill_18rocblas_operation_17rocblas_diagonal_iiT3_T4_lilT5_lili,comdat
	.globl	_ZL38rocblas_trsm_small_left_device_sharedBILi20ELi20ELb0EddPKPKdPKPdEv13rocblas_fill_18rocblas_operation_17rocblas_diagonal_iiT3_T4_lilT5_lili ; -- Begin function _ZL38rocblas_trsm_small_left_device_sharedBILi20ELi20ELb0EddPKPKdPKPdEv13rocblas_fill_18rocblas_operation_17rocblas_diagonal_iiT3_T4_lilT5_lili
	.p2align	8
	.type	_ZL38rocblas_trsm_small_left_device_sharedBILi20ELi20ELb0EddPKPKdPKPdEv13rocblas_fill_18rocblas_operation_17rocblas_diagonal_iiT3_T4_lilT5_lili,@function
_ZL38rocblas_trsm_small_left_device_sharedBILi20ELi20ELb0EddPKPKdPKPdEv13rocblas_fill_18rocblas_operation_17rocblas_diagonal_iiT3_T4_lilT5_lili: ; @_ZL38rocblas_trsm_small_left_device_sharedBILi20ELi20ELb0EddPKPKdPKPdEv13rocblas_fill_18rocblas_operation_17rocblas_diagonal_iiT3_T4_lilT5_lili
; %bb.0:
	s_load_dwordx2 s[18:19], s[0:1], 0x28
	s_load_dwordx4 s[12:15], s[0:1], 0x40
	s_load_dwordx4 s[4:7], s[0:1], 0x4
	;; [unrolled: 1-line block ×3, first 2 shown]
	s_mov_b32 s16, s3
	s_mov_b32 s17, 0
	s_lshl_b64 s[20:21], s[16:17], 3
	s_waitcnt lgkmcnt(0)
	s_add_u32 s12, s12, s20
	s_addc_u32 s13, s13, s21
	s_load_dwordx2 s[12:13], s[12:13], 0x0
	s_min_i32 s22, s6, 20
	v_cmp_gt_i32_e32 vcc, s22, v0
	s_and_saveexec_b64 s[16:17], vcc
	s_cbranch_execz .LBB87_6
; %bb.1:
	s_load_dword s24, s[0:1], 0x30
	v_lshlrev_b32_e32 v2, 3, v0
	v_mov_b32_e32 v3, 0
	v_mov_b32_e32 v1, v2
	s_mov_b32 s3, s22
	s_waitcnt lgkmcnt(0)
	s_ashr_i32 s25, s24, 31
	s_add_u32 s10, s10, s20
	s_addc_u32 s11, s11, s21
	s_load_dwordx2 s[10:11], s[10:11], 0x0
	s_lshl_b64 s[18:19], s[18:19], 3
	s_waitcnt lgkmcnt(0)
	s_add_u32 s18, s10, s18
	s_addc_u32 s19, s11, s19
	s_lshl_b64 s[10:11], s[24:25], 3
	v_lshl_add_u64 v[4:5], s[18:19], 0, v[2:3]
.LBB87_2:                               ; =>This Inner Loop Header: Depth=1
	flat_load_dwordx2 v[6:7], v[4:5]
	s_add_i32 s3, s3, -1
	v_lshl_add_u64 v[4:5], v[4:5], 0, s[10:11]
	s_cmp_eq_u32 s3, 0
	s_waitcnt vmcnt(0) lgkmcnt(0)
	ds_write_b64 v1, v[6:7]
	v_add_u32_e32 v1, 0xa0, v1
	s_cbranch_scc0 .LBB87_2
; %bb.3:
	v_mul_u32_u24_e32 v1, 0xa0, v0
	s_cmpk_lg_i32 s5, 0x84
	v_mov_b64_e32 v[4:5], 1.0
	v_add_u32_e32 v1, v2, v1
	s_cbranch_scc0 .LBB87_5
; %bb.4:
	ds_read_b64 v[2:3], v1
	s_waitcnt lgkmcnt(0)
	v_div_scale_f64 v[4:5], s[10:11], v[2:3], v[2:3], 1.0
	v_rcp_f64_e32 v[6:7], v[4:5]
	v_div_scale_f64 v[8:9], vcc, 1.0, v[2:3], 1.0
	v_fma_f64 v[10:11], -v[4:5], v[6:7], 1.0
	v_fmac_f64_e32 v[6:7], v[6:7], v[10:11]
	v_fma_f64 v[10:11], -v[4:5], v[6:7], 1.0
	v_fmac_f64_e32 v[6:7], v[6:7], v[10:11]
	v_mul_f64 v[10:11], v[8:9], v[6:7]
	v_fma_f64 v[4:5], -v[4:5], v[10:11], v[8:9]
	v_div_fmas_f64 v[4:5], v[4:5], v[6:7], v[10:11]
	v_div_fixup_f64 v[4:5], v[4:5], v[2:3], 1.0
.LBB87_5:
	ds_write_b64 v1, v[4:5]
.LBB87_6:
	s_or_b64 exec, exec, s[16:17]
	s_load_dword s3, s[0:1], 0x68
	s_load_dword s16, s[0:1], 0x50
	s_lshl_b64 s[0:1], s[14:15], 3
	s_waitcnt lgkmcnt(0)
	s_add_u32 s5, s12, s0
	s_mul_i32 s0, s2, 0xffffffec
	s_addc_u32 s10, s13, s1
	s_add_i32 s3, s3, -1
	s_add_i32 s0, s7, s0
	s_cmp_ge_u32 s2, s3
	s_mul_i32 s2, s2, 20
	s_cselect_b32 s7, s0, 20
	s_mul_hi_i32 s1, s16, s2
	s_mul_i32 s0, s16, s2
	s_lshl_b64 s[0:1], s[0:1], 3
	s_add_u32 s2, s5, s0
	s_addc_u32 s3, s10, s1
	s_cmp_gt_i32 s6, 0
	v_cmp_gt_i32_e64 s[0:1], s7, v0
	s_cselect_b64 s[10:11], -1, 0
	s_and_b64 s[14:15], s[0:1], s[10:11]
	s_and_saveexec_b64 s[12:13], s[14:15]
	s_cbranch_execz .LBB87_9
; %bb.7:
	v_mad_i64_i32 v[2:3], s[14:15], s16, v0, 0
	v_mov_b32_e32 v1, 0xc80
	v_lshl_add_u64 v[2:3], v[2:3], 3, s[2:3]
	v_lshl_add_u32 v1, v0, 3, v1
	s_mov_b32 s5, s22
.LBB87_8:                               ; =>This Inner Loop Header: Depth=1
	flat_load_dwordx2 v[4:5], v[2:3]
	s_add_i32 s5, s5, -1
	v_lshl_add_u64 v[2:3], v[2:3], 0, 8
	s_cmp_lg_u32 s5, 0
	s_waitcnt vmcnt(0) lgkmcnt(0)
	v_mul_f64 v[4:5], s[8:9], v[4:5]
	ds_write_b64 v1, v[4:5]
	v_add_u32_e32 v1, 0xa0, v1
	s_cbranch_scc1 .LBB87_8
.LBB87_9:
	s_or_b64 exec, exec, s[12:13]
	v_mov_b32_e32 v1, 0xc80
	s_cmpk_eq_i32 s4, 0x6f
	v_lshl_add_u32 v1, v0, 3, v1
	s_mov_b64 s[4:5], -1
	s_waitcnt lgkmcnt(0)
	; wave barrier
	s_cbranch_scc1 .LBB87_24
; %bb.10:
	s_cmp_gt_i32 s6, 19
	s_cselect_b64 s[4:5], -1, 0
	s_mov_b32 s8, 0
	s_and_b64 vcc, exec, s[4:5]
	s_cbranch_vccz .LBB87_12
; %bb.11:
	v_add_u32_e32 v64, 0x400, v1
	v_mov_b32_e32 v43, 0
	ds_read2_b64 v[22:25], v1 offset1:20
	ds_read2_b64 v[26:29], v1 offset0:40 offset1:60
	ds_read2_b64 v[30:33], v1 offset0:80 offset1:100
	;; [unrolled: 1-line block ×6, first 2 shown]
	v_add_u32_e32 v42, 0x800, v1
	ds_read2_b64 v[44:47], v43 offset1:42
	ds_read2_b64 v[10:13], v42 offset0:24 offset1:44
	ds_read_b128 v[48:51], v43 offset:160
	ds_read2_b64 v[6:9], v42 offset0:64 offset1:84
	ds_read2_b64 v[2:5], v42 offset0:104 offset1:124
	ds_read_b128 v[52:55], v43 offset:320
	s_waitcnt lgkmcnt(5)
	v_mul_f64 v[22:23], v[44:45], v[22:23]
	s_waitcnt lgkmcnt(3)
	v_fma_f64 v[24:25], -v[22:23], v[48:49], v[24:25]
	v_mul_f64 v[24:25], v[50:51], v[24:25]
	ds_read_b128 v[48:51], v43 offset:480
	s_waitcnt lgkmcnt(1)
	v_fma_f64 v[26:27], -v[22:23], v[52:53], v[26:27]
	v_fma_f64 v[26:27], -v[24:25], v[54:55], v[26:27]
	ds_read_b128 v[52:55], v43 offset:496
	v_mul_f64 v[26:27], v[46:47], v[26:27]
	ds_read_b128 v[44:47], v43 offset:640
	s_waitcnt lgkmcnt(2)
	v_fma_f64 v[28:29], -v[22:23], v[48:49], v[28:29]
	v_fma_f64 v[28:29], -v[24:25], v[50:51], v[28:29]
	ds_read_b128 v[48:51], v43 offset:656
	s_waitcnt lgkmcnt(2)
	v_fma_f64 v[28:29], -v[26:27], v[52:53], v[28:29]
	v_mul_f64 v[28:29], v[54:55], v[28:29]
	ds_write2_b64 v1, v[22:23], v[24:25] offset1:20
	ds_write2_b64 v1, v[26:27], v[28:29] offset0:40 offset1:60
	s_waitcnt lgkmcnt(3)
	v_fma_f64 v[30:31], -v[22:23], v[44:45], v[30:31]
	v_fma_f64 v[30:31], -v[24:25], v[46:47], v[30:31]
	ds_read2_b64 v[44:47], v43 offset0:84 offset1:126
	ds_read_b128 v[52:55], v43 offset:800
	s_waitcnt lgkmcnt(4)
	v_fma_f64 v[30:31], -v[26:27], v[48:49], v[30:31]
	v_fma_f64 v[30:31], -v[28:29], v[50:51], v[30:31]
	ds_read_b128 v[48:51], v43 offset:816
	ds_read_b128 v[56:59], v43 offset:832
	s_waitcnt lgkmcnt(2)
	v_fma_f64 v[32:33], -v[22:23], v[52:53], v[32:33]
	v_fma_f64 v[32:33], -v[24:25], v[54:55], v[32:33]
	v_mul_f64 v[30:31], v[44:45], v[30:31]
	s_waitcnt lgkmcnt(1)
	v_fma_f64 v[32:33], -v[26:27], v[48:49], v[32:33]
	v_fma_f64 v[32:33], -v[28:29], v[50:51], v[32:33]
	ds_read_b128 v[48:51], v43 offset:960
	ds_read_b128 v[52:55], v43 offset:976
	s_waitcnt lgkmcnt(2)
	v_fma_f64 v[32:33], -v[30:31], v[56:57], v[32:33]
	v_mul_f64 v[32:33], v[58:59], v[32:33]
	ds_read_b128 v[56:59], v43 offset:992
	s_waitcnt lgkmcnt(2)
	v_fma_f64 v[34:35], -v[22:23], v[48:49], v[34:35]
	v_fma_f64 v[34:35], -v[24:25], v[50:51], v[34:35]
	s_waitcnt lgkmcnt(1)
	v_fma_f64 v[34:35], -v[26:27], v[52:53], v[34:35]
	ds_read_b128 v[48:51], v43 offset:1120
	v_fma_f64 v[34:35], -v[28:29], v[54:55], v[34:35]
	s_waitcnt lgkmcnt(1)
	v_fma_f64 v[34:35], -v[30:31], v[56:57], v[34:35]
	ds_read_b128 v[52:55], v43 offset:1136
	v_fma_f64 v[34:35], -v[32:33], v[58:59], v[34:35]
	v_mul_f64 v[34:35], v[46:47], v[34:35]
	ds_read_b128 v[44:47], v43 offset:1152
	s_waitcnt lgkmcnt(2)
	v_fma_f64 v[36:37], -v[22:23], v[48:49], v[36:37]
	v_fma_f64 v[36:37], -v[24:25], v[50:51], v[36:37]
	ds_read_b128 v[48:51], v43 offset:1168
	s_waitcnt lgkmcnt(2)
	v_fma_f64 v[36:37], -v[26:27], v[52:53], v[36:37]
	v_fma_f64 v[36:37], -v[28:29], v[54:55], v[36:37]
	s_waitcnt lgkmcnt(1)
	v_fma_f64 v[36:37], -v[30:31], v[44:45], v[36:37]
	v_fma_f64 v[36:37], -v[32:33], v[46:47], v[36:37]
	ds_read_b128 v[44:47], v43 offset:1280
	s_waitcnt lgkmcnt(1)
	v_fma_f64 v[36:37], -v[34:35], v[48:49], v[36:37]
	v_mul_f64 v[36:37], v[50:51], v[36:37]
	ds_read_b128 v[48:51], v43 offset:1296
	ds_read_b128 v[52:55], v43 offset:1312
	s_waitcnt lgkmcnt(2)
	v_fma_f64 v[38:39], -v[22:23], v[44:45], v[38:39]
	v_fma_f64 v[38:39], -v[24:25], v[46:47], v[38:39]
	ds_read_b128 v[44:47], v43 offset:1328
	s_waitcnt lgkmcnt(2)
	v_fma_f64 v[38:39], -v[26:27], v[48:49], v[38:39]
	v_fma_f64 v[38:39], -v[28:29], v[50:51], v[38:39]
	ds_write2_b64 v1, v[30:31], v[32:33] offset0:80 offset1:100
	ds_write2_b64 v1, v[34:35], v[36:37] offset0:120 offset1:140
	s_waitcnt lgkmcnt(3)
	v_fma_f64 v[38:39], -v[30:31], v[52:53], v[38:39]
	v_fma_f64 v[38:39], -v[32:33], v[54:55], v[38:39]
	ds_read2_b64 v[48:51], v43 offset0:168 offset1:210
	ds_read_b128 v[52:55], v43 offset:1440
	s_waitcnt lgkmcnt(4)
	v_fma_f64 v[38:39], -v[34:35], v[44:45], v[38:39]
	v_fma_f64 v[38:39], -v[36:37], v[46:47], v[38:39]
	ds_read_b128 v[44:47], v43 offset:1456
	ds_read_b128 v[56:59], v43 offset:1472
	s_waitcnt lgkmcnt(2)
	v_fma_f64 v[40:41], -v[22:23], v[52:53], v[40:41]
	v_fma_f64 v[40:41], -v[24:25], v[54:55], v[40:41]
	ds_read_b128 v[52:55], v43 offset:1488
	s_waitcnt lgkmcnt(2)
	v_fma_f64 v[40:41], -v[26:27], v[44:45], v[40:41]
	v_fma_f64 v[40:41], -v[28:29], v[46:47], v[40:41]
	;; [unrolled: 4-line block ×3, first 2 shown]
	s_waitcnt lgkmcnt(1)
	v_fma_f64 v[40:41], -v[34:35], v[52:53], v[40:41]
	v_mul_f64 v[38:39], v[48:49], v[38:39]
	v_fma_f64 v[40:41], -v[36:37], v[54:55], v[40:41]
	ds_read_b128 v[52:55], v43 offset:1600
	s_waitcnt lgkmcnt(1)
	v_fma_f64 v[40:41], -v[38:39], v[44:45], v[40:41]
	v_mul_f64 v[40:41], v[46:47], v[40:41]
	ds_write2_b64 v1, v[38:39], v[40:41] offset0:160 offset1:180
	ds_read_b128 v[44:47], v43 offset:1616
	ds_read_b128 v[56:59], v43 offset:1632
	;; [unrolled: 1-line block ×3, first 2 shown]
	s_waitcnt lgkmcnt(4)
	v_fma_f64 v[18:19], -v[22:23], v[52:53], v[18:19]
	v_fma_f64 v[18:19], -v[24:25], v[54:55], v[18:19]
	s_waitcnt lgkmcnt(2)
	v_fma_f64 v[18:19], -v[26:27], v[44:45], v[18:19]
	v_fma_f64 v[18:19], -v[28:29], v[46:47], v[18:19]
	ds_read_b128 v[44:47], v43 offset:1664
	ds_read_b128 v[52:55], v43 offset:1760
	s_waitcnt lgkmcnt(3)
	v_fma_f64 v[18:19], -v[30:31], v[56:57], v[18:19]
	v_fma_f64 v[18:19], -v[32:33], v[58:59], v[18:19]
	s_waitcnt lgkmcnt(2)
	v_fma_f64 v[18:19], -v[34:35], v[60:61], v[18:19]
	v_fma_f64 v[18:19], -v[36:37], v[62:63], v[18:19]
	;; [unrolled: 3-line block ×3, first 2 shown]
	ds_read_b128 v[44:47], v43 offset:1776
	v_mul_f64 v[18:19], v[50:51], v[18:19]
	ds_read_b128 v[48:51], v43 offset:1792
	s_waitcnt lgkmcnt(2)
	v_fma_f64 v[20:21], -v[22:23], v[52:53], v[20:21]
	v_fma_f64 v[20:21], -v[24:25], v[54:55], v[20:21]
	ds_read_b128 v[52:55], v43 offset:1808
	s_waitcnt lgkmcnt(2)
	v_fma_f64 v[20:21], -v[26:27], v[44:45], v[20:21]
	v_fma_f64 v[20:21], -v[28:29], v[46:47], v[20:21]
	;; [unrolled: 4-line block ×4, first 2 shown]
	s_waitcnt lgkmcnt(1)
	v_fma_f64 v[20:21], -v[38:39], v[44:45], v[20:21]
	v_fma_f64 v[20:21], -v[40:41], v[46:47], v[20:21]
	ds_read_b128 v[44:47], v43 offset:1920
	s_waitcnt lgkmcnt(1)
	v_fma_f64 v[20:21], -v[18:19], v[48:49], v[20:21]
	v_mul_f64 v[20:21], v[50:51], v[20:21]
	ds_read_b128 v[48:51], v43 offset:1936
	ds_read_b128 v[52:55], v43 offset:1952
	s_waitcnt lgkmcnt(2)
	v_fma_f64 v[14:15], -v[22:23], v[44:45], v[14:15]
	v_fma_f64 v[14:15], -v[24:25], v[46:47], v[14:15]
	ds_read_b128 v[44:47], v43 offset:1968
	s_waitcnt lgkmcnt(2)
	v_fma_f64 v[14:15], -v[26:27], v[48:49], v[14:15]
	v_fma_f64 v[14:15], -v[28:29], v[50:51], v[14:15]
	s_waitcnt lgkmcnt(1)
	v_fma_f64 v[14:15], -v[30:31], v[52:53], v[14:15]
	ds_read_b128 v[48:51], v43 offset:1984
	v_fma_f64 v[14:15], -v[32:33], v[54:55], v[14:15]
	s_waitcnt lgkmcnt(1)
	v_fma_f64 v[14:15], -v[34:35], v[44:45], v[14:15]
	v_fma_f64 v[14:15], -v[36:37], v[46:47], v[14:15]
	ds_read_b128 v[44:47], v43 offset:2000
	s_waitcnt lgkmcnt(1)
	v_fma_f64 v[14:15], -v[38:39], v[48:49], v[14:15]
	v_fma_f64 v[14:15], -v[40:41], v[50:51], v[14:15]
	s_movk_i32 s8, 0x400
	ds_write2_b64 v1, v[18:19], v[20:21] offset0:200 offset1:220
	s_waitcnt lgkmcnt(1)
	v_fma_f64 v[14:15], -v[18:19], v[44:45], v[14:15]
	v_fma_f64 v[14:15], -v[20:21], v[46:47], v[14:15]
	ds_read_b128 v[44:47], v43 offset:2080
	v_add_u32_e64 v48, s8, 0
	ds_read2_b64 v[52:55], v48 offset0:124 offset1:166
	ds_read_b128 v[48:51], v43 offset:2096
	ds_read_b128 v[56:59], v43 offset:2112
	;; [unrolled: 1-line block ×3, first 2 shown]
	s_movk_i32 s7, 0x800
	s_waitcnt lgkmcnt(4)
	v_fma_f64 v[16:17], -v[22:23], v[44:45], v[16:17]
	v_fma_f64 v[16:17], -v[24:25], v[46:47], v[16:17]
	s_waitcnt lgkmcnt(2)
	v_fma_f64 v[16:17], -v[26:27], v[48:49], v[16:17]
	v_fma_f64 v[16:17], -v[28:29], v[50:51], v[16:17]
	ds_read_b128 v[44:47], v43 offset:2144
	ds_read_b128 v[48:51], v43 offset:2160
	s_waitcnt lgkmcnt(3)
	v_fma_f64 v[16:17], -v[30:31], v[56:57], v[16:17]
	v_fma_f64 v[16:17], -v[32:33], v[58:59], v[16:17]
	s_waitcnt lgkmcnt(2)
	v_fma_f64 v[16:17], -v[34:35], v[60:61], v[16:17]
	v_fma_f64 v[16:17], -v[36:37], v[62:63], v[16:17]
	ds_read_b128 v[56:59], v43 offset:2176
	s_waitcnt lgkmcnt(2)
	v_fma_f64 v[16:17], -v[38:39], v[44:45], v[16:17]
	v_fma_f64 v[16:17], -v[40:41], v[46:47], v[16:17]
	ds_read_b128 v[44:47], v43 offset:2240
	s_waitcnt lgkmcnt(2)
	v_fma_f64 v[16:17], -v[18:19], v[48:49], v[16:17]
	v_mul_f64 v[14:15], v[52:53], v[14:15]
	v_fma_f64 v[16:17], -v[20:21], v[50:51], v[16:17]
	ds_read_b128 v[48:51], v43 offset:2256
	s_waitcnt lgkmcnt(2)
	v_fma_f64 v[16:17], -v[14:15], v[56:57], v[16:17]
	v_mul_f64 v[16:17], v[58:59], v[16:17]
	ds_read_b128 v[56:59], v43 offset:2272
	s_waitcnt lgkmcnt(2)
	v_fma_f64 v[10:11], -v[22:23], v[44:45], v[10:11]
	v_fma_f64 v[10:11], -v[24:25], v[46:47], v[10:11]
	ds_read_b128 v[44:47], v43 offset:2288
	s_waitcnt lgkmcnt(2)
	v_fma_f64 v[10:11], -v[26:27], v[48:49], v[10:11]
	v_fma_f64 v[10:11], -v[28:29], v[50:51], v[10:11]
	;; [unrolled: 4-line block ×5, first 2 shown]
	s_waitcnt lgkmcnt(1)
	v_fma_f64 v[10:11], -v[18:19], v[56:57], v[10:11]
	v_fma_f64 v[10:11], -v[20:21], v[58:59], v[10:11]
	s_waitcnt lgkmcnt(0)
	v_fma_f64 v[10:11], -v[14:15], v[44:45], v[10:11]
	v_fma_f64 v[10:11], -v[16:17], v[46:47], v[10:11]
	ds_read_b128 v[44:47], v43 offset:2400
	ds_write2_b64 v64, v[14:15], v[16:17] offset0:112 offset1:132
	v_mul_f64 v[10:11], v[54:55], v[10:11]
	ds_read_b128 v[48:51], v43 offset:2416
	ds_read_b128 v[52:55], v43 offset:2432
	;; [unrolled: 1-line block ×3, first 2 shown]
	s_mov_b32 s8, 20
	s_waitcnt lgkmcnt(4)
	v_fma_f64 v[12:13], -v[22:23], v[44:45], v[12:13]
	v_fma_f64 v[12:13], -v[24:25], v[46:47], v[12:13]
	s_waitcnt lgkmcnt(2)
	v_fma_f64 v[12:13], -v[26:27], v[48:49], v[12:13]
	v_fma_f64 v[12:13], -v[28:29], v[50:51], v[12:13]
	ds_read_b128 v[44:47], v43 offset:2464
	ds_read_b128 v[48:51], v43 offset:2480
	s_waitcnt lgkmcnt(3)
	v_fma_f64 v[12:13], -v[30:31], v[52:53], v[12:13]
	v_fma_f64 v[12:13], -v[32:33], v[54:55], v[12:13]
	s_waitcnt lgkmcnt(2)
	v_fma_f64 v[12:13], -v[34:35], v[56:57], v[12:13]
	v_fma_f64 v[12:13], -v[36:37], v[58:59], v[12:13]
	ds_read_b128 v[52:55], v43 offset:2496
	s_waitcnt lgkmcnt(2)
	v_fma_f64 v[12:13], -v[38:39], v[44:45], v[12:13]
	v_fma_f64 v[12:13], -v[40:41], v[46:47], v[12:13]
	ds_read_b128 v[44:47], v43 offset:2512
	s_waitcnt lgkmcnt(2)
	v_fma_f64 v[12:13], -v[18:19], v[48:49], v[12:13]
	v_fma_f64 v[12:13], -v[20:21], v[50:51], v[12:13]
	s_waitcnt lgkmcnt(1)
	v_fma_f64 v[12:13], -v[14:15], v[52:53], v[12:13]
	v_fma_f64 v[12:13], -v[16:17], v[54:55], v[12:13]
	ds_read_b128 v[48:51], v43 offset:2560
	s_waitcnt lgkmcnt(1)
	v_fma_f64 v[12:13], -v[10:11], v[44:45], v[12:13]
	v_mul_f64 v[12:13], v[46:47], v[12:13]
	ds_read_b128 v[44:47], v43 offset:2576
	ds_read_b128 v[52:55], v43 offset:2592
	s_waitcnt lgkmcnt(2)
	v_fma_f64 v[6:7], -v[22:23], v[48:49], v[6:7]
	v_fma_f64 v[6:7], -v[24:25], v[50:51], v[6:7]
	ds_read_b128 v[48:51], v43 offset:2608
	s_waitcnt lgkmcnt(2)
	v_fma_f64 v[6:7], -v[26:27], v[44:45], v[6:7]
	v_fma_f64 v[6:7], -v[28:29], v[46:47], v[6:7]
	ds_read_b128 v[44:47], v43 offset:2624
	s_waitcnt lgkmcnt(2)
	v_fma_f64 v[6:7], -v[30:31], v[52:53], v[6:7]
	v_fma_f64 v[6:7], -v[32:33], v[54:55], v[6:7]
	ds_read_b128 v[52:55], v43 offset:2640
	s_waitcnt lgkmcnt(2)
	v_fma_f64 v[6:7], -v[34:35], v[48:49], v[6:7]
	v_fma_f64 v[6:7], -v[36:37], v[50:51], v[6:7]
	ds_read_b128 v[48:51], v43 offset:2656
	s_waitcnt lgkmcnt(2)
	v_fma_f64 v[6:7], -v[38:39], v[44:45], v[6:7]
	v_fma_f64 v[6:7], -v[40:41], v[46:47], v[6:7]
	ds_read_b128 v[44:47], v43 offset:2672
	s_waitcnt lgkmcnt(2)
	v_fma_f64 v[6:7], -v[18:19], v[52:53], v[6:7]
	v_fma_f64 v[6:7], -v[20:21], v[54:55], v[6:7]
	s_waitcnt lgkmcnt(1)
	v_fma_f64 v[6:7], -v[14:15], v[48:49], v[6:7]
	v_fma_f64 v[6:7], -v[16:17], v[50:51], v[6:7]
	v_add_u32_e64 v48, s7, 0
	s_waitcnt lgkmcnt(0)
	v_fma_f64 v[6:7], -v[10:11], v[44:45], v[6:7]
	ds_read2_b64 v[52:55], v48 offset0:80 offset1:122
	v_fma_f64 v[6:7], -v[12:13], v[46:47], v[6:7]
	ds_read_b128 v[44:47], v43 offset:2720
	ds_write2_b64 v42, v[10:11], v[12:13] offset0:24 offset1:44
	ds_read_b128 v[48:51], v43 offset:2736
	ds_read_b128 v[56:59], v43 offset:2752
	;; [unrolled: 1-line block ×3, first 2 shown]
	s_waitcnt lgkmcnt(5)
	v_mul_f64 v[64:65], v[52:53], v[6:7]
	s_waitcnt lgkmcnt(4)
	v_fma_f64 v[6:7], -v[22:23], v[44:45], v[8:9]
	v_fma_f64 v[6:7], -v[24:25], v[46:47], v[6:7]
	s_waitcnt lgkmcnt(2)
	v_fma_f64 v[6:7], -v[26:27], v[48:49], v[6:7]
	v_fma_f64 v[6:7], -v[28:29], v[50:51], v[6:7]
	s_waitcnt lgkmcnt(1)
	v_fma_f64 v[44:45], -v[30:31], v[56:57], v[6:7]
	ds_read_b128 v[6:9], v43 offset:2784
	v_fma_f64 v[44:45], -v[32:33], v[58:59], v[44:45]
	s_waitcnt lgkmcnt(1)
	v_fma_f64 v[48:49], -v[34:35], v[60:61], v[44:45]
	ds_read_b128 v[44:47], v43 offset:2800
	v_fma_f64 v[48:49], -v[36:37], v[62:63], v[48:49]
	s_waitcnt lgkmcnt(1)
	v_fma_f64 v[6:7], -v[38:39], v[6:7], v[48:49]
	ds_read_b128 v[48:51], v43 offset:2816
	v_fma_f64 v[6:7], -v[40:41], v[8:9], v[6:7]
	s_waitcnt lgkmcnt(1)
	v_fma_f64 v[44:45], -v[18:19], v[44:45], v[6:7]
	ds_read_b128 v[6:9], v43 offset:2832
	v_fma_f64 v[44:45], -v[20:21], v[46:47], v[44:45]
	s_waitcnt lgkmcnt(1)
	v_fma_f64 v[48:49], -v[14:15], v[48:49], v[44:45]
	ds_read_b128 v[44:47], v43 offset:2848
	v_fma_f64 v[48:49], -v[16:17], v[50:51], v[48:49]
	s_waitcnt lgkmcnt(1)
	v_fma_f64 v[6:7], -v[10:11], v[6:7], v[48:49]
	v_fma_f64 v[48:49], -v[12:13], v[8:9], v[6:7]
	ds_read_b128 v[6:9], v43 offset:2880
	s_waitcnt lgkmcnt(1)
	v_fma_f64 v[44:45], -v[64:65], v[44:45], v[48:49]
	v_mul_f64 v[56:57], v[46:47], v[44:45]
	ds_read_b128 v[44:47], v43 offset:2896
	ds_read_b128 v[48:51], v43 offset:2912
	s_waitcnt lgkmcnt(2)
	v_fma_f64 v[2:3], -v[22:23], v[6:7], v[2:3]
	v_fma_f64 v[2:3], -v[24:25], v[8:9], v[2:3]
	ds_read_b128 v[6:9], v43 offset:2928
	s_waitcnt lgkmcnt(2)
	v_fma_f64 v[2:3], -v[26:27], v[44:45], v[2:3]
	v_fma_f64 v[2:3], -v[28:29], v[46:47], v[2:3]
	;; [unrolled: 4-line block ×7, first 2 shown]
	s_waitcnt lgkmcnt(1)
	v_fma_f64 v[2:3], -v[10:11], v[44:45], v[2:3]
	ds_read_b128 v[6:9], v43 offset:3040
	v_fma_f64 v[2:3], -v[12:13], v[46:47], v[2:3]
	s_waitcnt lgkmcnt(1)
	v_fma_f64 v[2:3], -v[64:65], v[48:49], v[2:3]
	ds_write2_b64 v42, v[64:65], v[56:57] offset0:64 offset1:84
	v_fma_f64 v[2:3], -v[56:57], v[50:51], v[2:3]
	v_mul_f64 v[58:59], v[54:55], v[2:3]
	ds_read_b128 v[44:47], v43 offset:3056
	ds_read_b128 v[48:51], v43 offset:3072
	;; [unrolled: 1-line block ×3, first 2 shown]
	s_waitcnt lgkmcnt(4)
	v_fma_f64 v[2:3], -v[22:23], v[6:7], v[4:5]
	v_fma_f64 v[2:3], -v[24:25], v[8:9], v[2:3]
	s_waitcnt lgkmcnt(2)
	v_fma_f64 v[2:3], -v[26:27], v[44:45], v[2:3]
	v_fma_f64 v[2:3], -v[28:29], v[46:47], v[2:3]
	s_waitcnt lgkmcnt(1)
	v_fma_f64 v[6:7], -v[30:31], v[48:49], v[2:3]
	ds_read_b128 v[2:5], v43 offset:3104
	v_fma_f64 v[6:7], -v[32:33], v[50:51], v[6:7]
	s_waitcnt lgkmcnt(1)
	v_fma_f64 v[22:23], -v[34:35], v[52:53], v[6:7]
	ds_read_b128 v[6:9], v43 offset:3120
	;; [unrolled: 4-line block ×3, first 2 shown]
	v_fma_f64 v[2:3], -v[40:41], v[4:5], v[2:3]
	s_waitcnt lgkmcnt(1)
	v_fma_f64 v[2:3], -v[18:19], v[6:7], v[2:3]
	v_fma_f64 v[6:7], -v[20:21], v[8:9], v[2:3]
	ds_read_b128 v[2:5], v43 offset:3152
	s_waitcnt lgkmcnt(1)
	v_fma_f64 v[14:15], -v[14:15], v[22:23], v[6:7]
	ds_read_b128 v[6:9], v43 offset:3168
	v_fma_f64 v[18:19], -v[16:17], v[24:25], v[14:15]
	ds_read_b128 v[14:17], v43 offset:3184
	s_waitcnt lgkmcnt(2)
	v_fma_f64 v[2:3], -v[10:11], v[2:3], v[18:19]
	v_fma_f64 v[2:3], -v[12:13], v[4:5], v[2:3]
	s_waitcnt lgkmcnt(1)
	v_fma_f64 v[2:3], -v[64:65], v[6:7], v[2:3]
	v_fma_f64 v[2:3], -v[56:57], v[8:9], v[2:3]
	s_waitcnt lgkmcnt(0)
	v_fma_f64 v[2:3], -v[58:59], v[14:15], v[2:3]
	v_mul_f64 v[2:3], v[16:17], v[2:3]
	ds_write2_b64 v42, v[58:59], v[2:3] offset0:104 offset1:124
.LBB87_12:
	s_cmp_lt_i32 s8, s22
	s_cbranch_scc0 .LBB87_23
; %bb.13:
	s_add_i32 s7, s8, 15
	s_cmp_ge_u32 s7, s22
	s_cbranch_scc1 .LBB87_18
; %bb.14:
	s_mul_i32 s7, s8, 0xa0
	v_add_u32_e32 v34, s7, v1
	ds_read2_b64 v[30:33], v34 offset1:20
	ds_read2_b64 v[26:29], v34 offset0:40 offset1:60
	ds_read2_b64 v[22:25], v34 offset0:80 offset1:100
	;; [unrolled: 1-line block ×5, first 2 shown]
	v_add_u32_e32 v2, 0x400, v34
	ds_read2_b64 v[6:9], v2 offset0:112 offset1:132
	v_add_u32_e32 v2, 0x800, v34
	ds_read2_b64 v[2:5], v2 offset0:24 offset1:44
	s_andn2_b64 vcc, exec, s[4:5]
	s_cbranch_vccnz .LBB87_17
; %bb.15:
	v_mov_b32_e32 v35, 0xc80
	v_lshl_add_u32 v35, v0, 3, v35
	s_mov_b32 s4, s8
	s_mov_b32 s5, s7
.LBB87_16:                              ; =>This Inner Loop Header: Depth=1
	ds_read2_b64 v[36:39], v35 offset1:20
	v_mov_b32_e32 v76, s5
	ds_read_b128 v[40:43], v76
	ds_read_b128 v[44:47], v76 offset:160
	ds_read_b128 v[48:51], v76 offset:320
	;; [unrolled: 1-line block ×8, first 2 shown]
	s_add_i32 s5, s5, 16
	s_add_i32 s4, s4, -2
	s_waitcnt lgkmcnt(8)
	v_fma_f64 v[30:31], -v[36:37], v[40:41], v[30:31]
	s_waitcnt lgkmcnt(7)
	v_fma_f64 v[32:33], -v[36:37], v[44:45], v[32:33]
	;; [unrolled: 2-line block ×7, first 2 shown]
	v_fma_f64 v[30:31], -v[38:39], v[42:43], v[30:31]
	ds_read_b128 v[40:43], v76 offset:1440
	v_fma_f64 v[32:33], -v[38:39], v[46:47], v[32:33]
	ds_read_b128 v[44:47], v76 offset:1600
	;; [unrolled: 2-line block ×7, first 2 shown]
	s_waitcnt lgkmcnt(7)
	v_fma_f64 v[14:15], -v[36:37], v[72:73], v[14:15]
	s_waitcnt lgkmcnt(6)
	v_fma_f64 v[16:17], -v[36:37], v[40:41], v[16:17]
	;; [unrolled: 2-line block ×8, first 2 shown]
	v_fma_f64 v[20:21], -v[36:37], v[68:69], v[20:21]
	v_add_u32_e32 v35, 0x140, v35
	s_cmp_lg_u32 s4, 0
	v_fma_f64 v[20:21], -v[38:39], v[70:71], v[20:21]
	v_fma_f64 v[14:15], -v[38:39], v[74:75], v[14:15]
	;; [unrolled: 1-line block ×9, first 2 shown]
	s_cbranch_scc1 .LBB87_16
.LBB87_17:
	s_lshl_b32 s5, s8, 3
	s_add_i32 s4, s5, s7
	v_mov_b32_e32 v56, s4
	ds_read2_b64 v[36:39], v56 offset1:42
	s_add_i32 s4, s8, 16
	s_add_i32 s8, s7, 0xa0
	;; [unrolled: 1-line block ×3, first 2 shown]
	v_mov_b32_e32 v35, s9
	s_waitcnt lgkmcnt(0)
	v_mul_f64 v[30:31], v[36:37], v[30:31]
	s_add_i32 s9, s7, 0x140
	ds_write_b64 v34, v[30:31]
	ds_read_b128 v[34:37], v35
	s_add_i32 s12, s5, s9
	v_mov_b32_e32 v40, s12
	ds_read_b128 v[40:43], v40
	s_waitcnt lgkmcnt(1)
	v_fma_f64 v[32:33], -v[30:31], v[34:35], v[32:33]
	v_add_u32_e32 v34, s8, v1
	s_add_i32 s8, s7, 0x1e0
	s_add_i32 s12, s5, s8
	v_mul_f64 v[32:33], v[36:37], v[32:33]
	s_waitcnt lgkmcnt(0)
	v_fma_f64 v[26:27], -v[30:31], v[40:41], v[26:27]
	v_mov_b32_e32 v40, s12
	ds_write_b64 v34, v[32:33]
	ds_read_b128 v[34:37], v40
	v_fma_f64 v[26:27], -v[32:33], v[42:43], v[26:27]
	v_mul_f64 v[26:27], v[38:39], v[26:27]
	ds_read_b128 v[38:41], v40 offset:16
	v_add_u32_e32 v42, s9, v1
	s_waitcnt lgkmcnt(1)
	v_fma_f64 v[28:29], -v[30:31], v[34:35], v[28:29]
	s_add_i32 s9, s7, 0x280
	v_fma_f64 v[28:29], -v[32:33], v[36:37], v[28:29]
	s_add_i32 s12, s5, s9
	s_waitcnt lgkmcnt(0)
	v_fma_f64 v[28:29], -v[26:27], v[38:39], v[28:29]
	v_mov_b32_e32 v38, s12
	ds_read_b128 v[34:37], v38
	v_mul_f64 v[28:29], v[40:41], v[28:29]
	ds_read_b128 v[38:41], v38 offset:16
	ds_write_b64 v42, v[26:27]
	v_add_u32_e32 v42, s8, v1
	ds_write_b64 v42, v[28:29]
	ds_read2_b64 v[42:45], v56 offset0:84 offset1:126
	s_waitcnt lgkmcnt(4)
	v_fma_f64 v[22:23], -v[30:31], v[34:35], v[22:23]
	v_fma_f64 v[22:23], -v[32:33], v[36:37], v[22:23]
	s_waitcnt lgkmcnt(3)
	v_fma_f64 v[22:23], -v[26:27], v[38:39], v[22:23]
	s_add_i32 s8, s7, 0x320
	v_fma_f64 v[22:23], -v[28:29], v[40:41], v[22:23]
	s_add_i32 s12, s5, s8
	s_waitcnt lgkmcnt(0)
	v_mul_f64 v[22:23], v[42:43], v[22:23]
	v_mov_b32_e32 v42, s12
	ds_read_b128 v[34:37], v42
	ds_read_b128 v[38:41], v42 offset:16
	v_add_u32_e32 v43, s9, v1
	s_add_i32 s9, s7, 0x3c0
	ds_read_b128 v[46:49], v42 offset:32
	s_add_i32 s12, s5, s9
	s_waitcnt lgkmcnt(2)
	v_fma_f64 v[24:25], -v[30:31], v[34:35], v[24:25]
	v_mov_b32_e32 v42, s12
	v_fma_f64 v[24:25], -v[32:33], v[36:37], v[24:25]
	ds_read_b128 v[34:37], v42
	s_waitcnt lgkmcnt(2)
	v_fma_f64 v[24:25], -v[26:27], v[38:39], v[24:25]
	v_fma_f64 v[24:25], -v[28:29], v[40:41], v[24:25]
	ds_read_b128 v[38:41], v42 offset:16
	s_waitcnt lgkmcnt(2)
	v_fma_f64 v[24:25], -v[22:23], v[46:47], v[24:25]
	v_mul_f64 v[24:25], v[48:49], v[24:25]
	ds_read_b128 v[46:49], v42 offset:32
	s_waitcnt lgkmcnt(2)
	v_fma_f64 v[18:19], -v[30:31], v[34:35], v[18:19]
	v_fma_f64 v[18:19], -v[32:33], v[36:37], v[18:19]
	ds_write_b64 v43, v[22:23]
	v_add_u32_e32 v43, s8, v1
	s_waitcnt lgkmcnt(2)
	v_fma_f64 v[18:19], -v[26:27], v[38:39], v[18:19]
	s_add_i32 s8, s7, 0x460
	v_fma_f64 v[18:19], -v[28:29], v[40:41], v[18:19]
	v_add_u32_e32 v38, s9, v1
	s_add_i32 s9, s5, s8
	s_waitcnt lgkmcnt(1)
	v_fma_f64 v[18:19], -v[22:23], v[46:47], v[18:19]
	v_mov_b32_e32 v46, s9
	ds_read_b128 v[34:37], v46
	v_fma_f64 v[18:19], -v[24:25], v[48:49], v[18:19]
	v_mul_f64 v[18:19], v[44:45], v[18:19]
	ds_write_b64 v43, v[24:25]
	ds_write_b64 v38, v[18:19]
	ds_read_b128 v[38:41], v46 offset:16
	ds_read_b128 v[42:45], v46 offset:32
	;; [unrolled: 1-line block ×3, first 2 shown]
	s_waitcnt lgkmcnt(5)
	v_fma_f64 v[20:21], -v[30:31], v[34:35], v[20:21]
	v_fma_f64 v[20:21], -v[32:33], v[36:37], v[20:21]
	s_waitcnt lgkmcnt(2)
	v_fma_f64 v[20:21], -v[26:27], v[38:39], v[20:21]
	v_fma_f64 v[20:21], -v[28:29], v[40:41], v[20:21]
	s_waitcnt lgkmcnt(1)
	v_fma_f64 v[20:21], -v[22:23], v[42:43], v[20:21]
	v_add_u32_e32 v38, s8, v1
	s_add_i32 s8, s7, 0x500
	v_fma_f64 v[20:21], -v[24:25], v[44:45], v[20:21]
	s_add_i32 s9, s5, s8
	s_waitcnt lgkmcnt(0)
	v_fma_f64 v[20:21], -v[18:19], v[46:47], v[20:21]
	v_mov_b32_e32 v46, s9
	ds_read_b128 v[34:37], v46
	v_mul_f64 v[20:21], v[48:49], v[20:21]
	ds_write_b64 v38, v[20:21]
	ds_read_b128 v[38:41], v46 offset:16
	ds_read_b128 v[42:45], v46 offset:32
	;; [unrolled: 1-line block ×3, first 2 shown]
	s_waitcnt lgkmcnt(4)
	v_fma_f64 v[14:15], -v[30:31], v[34:35], v[14:15]
	v_fma_f64 v[14:15], -v[32:33], v[36:37], v[14:15]
	s_waitcnt lgkmcnt(2)
	v_fma_f64 v[14:15], -v[26:27], v[38:39], v[14:15]
	v_fma_f64 v[14:15], -v[28:29], v[40:41], v[14:15]
	ds_read2_b64 v[34:37], v56 offset0:168 offset1:210
	s_waitcnt lgkmcnt(2)
	v_fma_f64 v[14:15], -v[22:23], v[42:43], v[14:15]
	v_fma_f64 v[14:15], -v[24:25], v[44:45], v[14:15]
	s_waitcnt lgkmcnt(1)
	v_fma_f64 v[14:15], -v[18:19], v[46:47], v[14:15]
	v_fma_f64 v[14:15], -v[20:21], v[48:49], v[14:15]
	s_waitcnt lgkmcnt(0)
	v_mul_f64 v[14:15], v[34:35], v[14:15]
	v_add_u32_e32 v34, s8, v1
	s_add_i32 s8, s7, 0x5a0
	s_add_i32 s9, s5, s8
	v_mov_b32_e32 v35, s9
	ds_read_b128 v[38:41], v35
	ds_write_b64 v34, v[14:15]
	ds_read_b128 v[42:45], v35 offset:16
	ds_read_b128 v[46:49], v35 offset:32
	;; [unrolled: 1-line block ×3, first 2 shown]
	s_add_i32 s9, s7, 0x640
	s_add_i32 s12, s5, s9
	s_waitcnt lgkmcnt(4)
	v_fma_f64 v[16:17], -v[30:31], v[38:39], v[16:17]
	v_fma_f64 v[16:17], -v[32:33], v[40:41], v[16:17]
	s_waitcnt lgkmcnt(2)
	v_fma_f64 v[16:17], -v[26:27], v[42:43], v[16:17]
	v_fma_f64 v[16:17], -v[28:29], v[44:45], v[16:17]
	ds_read_b128 v[38:41], v35 offset:64
	s_waitcnt lgkmcnt(2)
	v_fma_f64 v[16:17], -v[22:23], v[46:47], v[16:17]
	v_fma_f64 v[16:17], -v[24:25], v[48:49], v[16:17]
	s_waitcnt lgkmcnt(1)
	v_fma_f64 v[16:17], -v[18:19], v[50:51], v[16:17]
	v_mov_b32_e32 v34, s12
	v_fma_f64 v[16:17], -v[20:21], v[52:53], v[16:17]
	ds_read_b128 v[42:45], v34
	s_waitcnt lgkmcnt(1)
	v_fma_f64 v[16:17], -v[14:15], v[38:39], v[16:17]
	v_mul_f64 v[16:17], v[40:41], v[16:17]
	v_add_u32_e32 v35, s8, v1
	ds_write_b64 v35, v[16:17]
	ds_read_b128 v[38:41], v34 offset:16
	ds_read_b128 v[46:49], v34 offset:32
	;; [unrolled: 1-line block ×3, first 2 shown]
	s_waitcnt lgkmcnt(4)
	v_fma_f64 v[10:11], -v[30:31], v[42:43], v[10:11]
	v_fma_f64 v[10:11], -v[32:33], v[44:45], v[10:11]
	s_waitcnt lgkmcnt(2)
	v_fma_f64 v[10:11], -v[26:27], v[38:39], v[10:11]
	v_fma_f64 v[10:11], -v[28:29], v[40:41], v[10:11]
	ds_read_b128 v[38:41], v34 offset:64
	s_waitcnt lgkmcnt(2)
	v_fma_f64 v[10:11], -v[22:23], v[46:47], v[10:11]
	v_fma_f64 v[10:11], -v[24:25], v[48:49], v[10:11]
	s_waitcnt lgkmcnt(1)
	v_fma_f64 v[10:11], -v[18:19], v[50:51], v[10:11]
	v_fma_f64 v[10:11], -v[20:21], v[52:53], v[10:11]
	s_add_i32 s8, s7, 0x6e0
	s_waitcnt lgkmcnt(0)
	v_fma_f64 v[10:11], -v[14:15], v[38:39], v[10:11]
	v_add_u32_e32 v38, s9, v1
	s_add_i32 s9, s5, s8
	v_fma_f64 v[10:11], -v[16:17], v[40:41], v[10:11]
	v_mov_b32_e32 v50, s9
	v_mul_f64 v[10:11], v[36:37], v[10:11]
	ds_read_b128 v[34:37], v50
	ds_write_b64 v38, v[10:11]
	ds_read_b128 v[38:41], v50 offset:16
	ds_read_b128 v[42:45], v50 offset:32
	;; [unrolled: 1-line block ×3, first 2 shown]
	s_waitcnt lgkmcnt(4)
	v_fma_f64 v[12:13], -v[30:31], v[34:35], v[12:13]
	v_fma_f64 v[12:13], -v[32:33], v[36:37], v[12:13]
	s_waitcnt lgkmcnt(2)
	v_fma_f64 v[12:13], -v[26:27], v[38:39], v[12:13]
	v_fma_f64 v[12:13], -v[28:29], v[40:41], v[12:13]
	ds_read_b128 v[34:37], v50 offset:64
	ds_read_b128 v[38:41], v50 offset:80
	s_waitcnt lgkmcnt(3)
	v_fma_f64 v[12:13], -v[22:23], v[42:43], v[12:13]
	v_fma_f64 v[12:13], -v[24:25], v[44:45], v[12:13]
	s_waitcnt lgkmcnt(2)
	v_fma_f64 v[12:13], -v[18:19], v[46:47], v[12:13]
	v_fma_f64 v[12:13], -v[20:21], v[48:49], v[12:13]
	;; [unrolled: 3-line block ×3, first 2 shown]
	s_waitcnt lgkmcnt(0)
	v_fma_f64 v[12:13], -v[10:11], v[38:39], v[12:13]
	v_mul_f64 v[54:55], v[40:41], v[12:13]
	v_add_u32_e32 v12, s8, v1
	s_add_i32 s8, s7, 0x780
	s_add_i32 s9, s5, s8
	v_mov_b32_e32 v13, s9
	ds_read_b128 v[34:37], v13
	ds_write_b64 v12, v[54:55]
	ds_read_b128 v[38:41], v13 offset:16
	ds_read_b128 v[42:45], v13 offset:32
	;; [unrolled: 1-line block ×3, first 2 shown]
	v_add_u32_e32 v12, 0x400, v56
	s_waitcnt lgkmcnt(4)
	v_fma_f64 v[6:7], -v[30:31], v[34:35], v[6:7]
	v_fma_f64 v[6:7], -v[32:33], v[36:37], v[6:7]
	s_waitcnt lgkmcnt(2)
	v_fma_f64 v[6:7], -v[26:27], v[38:39], v[6:7]
	v_fma_f64 v[6:7], -v[28:29], v[40:41], v[6:7]
	ds_read_b128 v[34:37], v13 offset:64
	ds_read_b128 v[38:41], v13 offset:80
	s_waitcnt lgkmcnt(3)
	v_fma_f64 v[6:7], -v[22:23], v[42:43], v[6:7]
	v_fma_f64 v[6:7], -v[24:25], v[44:45], v[6:7]
	s_waitcnt lgkmcnt(2)
	v_fma_f64 v[6:7], -v[18:19], v[46:47], v[6:7]
	v_fma_f64 v[6:7], -v[20:21], v[48:49], v[6:7]
	ds_read2_b64 v[42:45], v12 offset0:124 offset1:166
	s_waitcnt lgkmcnt(2)
	v_fma_f64 v[6:7], -v[14:15], v[34:35], v[6:7]
	v_fma_f64 v[6:7], -v[16:17], v[36:37], v[6:7]
	s_waitcnt lgkmcnt(1)
	v_fma_f64 v[6:7], -v[10:11], v[38:39], v[6:7]
	v_fma_f64 v[6:7], -v[54:55], v[40:41], v[6:7]
	s_waitcnt lgkmcnt(0)
	v_mul_f64 v[56:57], v[42:43], v[6:7]
	v_add_u32_e32 v6, s8, v1
	s_add_i32 s8, s7, 0x820
	s_add_i32 s9, s5, s8
	v_mov_b32_e32 v42, s9
	ds_read_b128 v[34:37], v42
	ds_write_b64 v6, v[56:57]
	ds_read_b128 v[38:41], v42 offset:16
	ds_read_b128 v[46:49], v42 offset:32
	;; [unrolled: 1-line block ×3, first 2 shown]
	s_add_i32 s9, s7, 0x8c0
	s_add_i32 s12, s5, s9
	s_waitcnt lgkmcnt(4)
	v_fma_f64 v[6:7], -v[30:31], v[34:35], v[8:9]
	v_fma_f64 v[6:7], -v[32:33], v[36:37], v[6:7]
	s_waitcnt lgkmcnt(2)
	v_fma_f64 v[6:7], -v[26:27], v[38:39], v[6:7]
	v_fma_f64 v[6:7], -v[28:29], v[40:41], v[6:7]
	s_waitcnt lgkmcnt(1)
	v_fma_f64 v[12:13], -v[22:23], v[46:47], v[6:7]
	ds_read_b128 v[6:9], v42 offset:64
	ds_read_b128 v[34:37], v42 offset:80
	v_fma_f64 v[12:13], -v[24:25], v[48:49], v[12:13]
	s_waitcnt lgkmcnt(2)
	v_fma_f64 v[12:13], -v[18:19], v[50:51], v[12:13]
	v_fma_f64 v[12:13], -v[20:21], v[52:53], v[12:13]
	s_waitcnt lgkmcnt(1)
	v_fma_f64 v[6:7], -v[14:15], v[6:7], v[12:13]
	;; [unrolled: 3-line block ×3, first 2 shown]
	v_fma_f64 v[12:13], -v[54:55], v[36:37], v[6:7]
	ds_read_b128 v[6:9], v42 offset:96
	v_mov_b32_e32 v42, s12
	ds_read_b128 v[34:37], v42
	s_addk_i32 s7, 0x960
	s_add_i32 s5, s5, s7
	s_waitcnt lgkmcnt(1)
	v_fma_f64 v[6:7], -v[56:57], v[6:7], v[12:13]
	v_mul_f64 v[50:51], v[8:9], v[6:7]
	v_add_u32_e32 v6, s8, v1
	ds_write_b64 v6, v[50:51]
	ds_read_b128 v[6:9], v42 offset:16
	ds_read_b128 v[38:41], v42 offset:32
	;; [unrolled: 1-line block ×3, first 2 shown]
	s_waitcnt lgkmcnt(4)
	v_fma_f64 v[2:3], -v[30:31], v[34:35], v[2:3]
	v_fma_f64 v[2:3], -v[32:33], v[36:37], v[2:3]
	s_waitcnt lgkmcnt(2)
	v_fma_f64 v[2:3], -v[26:27], v[6:7], v[2:3]
	v_fma_f64 v[2:3], -v[28:29], v[8:9], v[2:3]
	ds_read_b128 v[6:9], v42 offset:64
	ds_read_b128 v[34:37], v42 offset:80
	s_waitcnt lgkmcnt(3)
	v_fma_f64 v[2:3], -v[22:23], v[38:39], v[2:3]
	v_fma_f64 v[2:3], -v[24:25], v[40:41], v[2:3]
	s_waitcnt lgkmcnt(2)
	v_fma_f64 v[2:3], -v[18:19], v[46:47], v[2:3]
	v_fma_f64 v[2:3], -v[20:21], v[48:49], v[2:3]
	ds_read_b128 v[38:41], v42 offset:96
	s_waitcnt lgkmcnt(2)
	v_fma_f64 v[2:3], -v[14:15], v[6:7], v[2:3]
	v_fma_f64 v[2:3], -v[16:17], v[8:9], v[2:3]
	s_waitcnt lgkmcnt(1)
	v_fma_f64 v[2:3], -v[10:11], v[34:35], v[2:3]
	v_fma_f64 v[2:3], -v[54:55], v[36:37], v[2:3]
	v_mov_b32_e32 v48, s5
	ds_read_b128 v[6:9], v48
	s_waitcnt lgkmcnt(1)
	v_fma_f64 v[2:3], -v[56:57], v[38:39], v[2:3]
	v_fma_f64 v[2:3], -v[50:51], v[40:41], v[2:3]
	v_mul_f64 v[46:47], v[44:45], v[2:3]
	v_add_u32_e32 v2, s9, v1
	ds_write_b64 v2, v[46:47]
	ds_read_b128 v[34:37], v48 offset:16
	ds_read_b128 v[38:41], v48 offset:32
	;; [unrolled: 1-line block ×3, first 2 shown]
	s_waitcnt lgkmcnt(4)
	v_fma_f64 v[2:3], -v[30:31], v[6:7], v[4:5]
	v_fma_f64 v[2:3], -v[32:33], v[8:9], v[2:3]
	s_waitcnt lgkmcnt(2)
	v_fma_f64 v[2:3], -v[26:27], v[34:35], v[2:3]
	v_fma_f64 v[2:3], -v[28:29], v[36:37], v[2:3]
	s_waitcnt lgkmcnt(1)
	v_fma_f64 v[6:7], -v[22:23], v[38:39], v[2:3]
	ds_read_b128 v[2:5], v48 offset:64
	v_fma_f64 v[6:7], -v[24:25], v[40:41], v[6:7]
	s_waitcnt lgkmcnt(1)
	v_fma_f64 v[6:7], -v[18:19], v[42:43], v[6:7]
	v_fma_f64 v[12:13], -v[20:21], v[44:45], v[6:7]
	ds_read_b128 v[6:9], v48 offset:80
	s_waitcnt lgkmcnt(1)
	v_fma_f64 v[2:3], -v[14:15], v[2:3], v[12:13]
	ds_read_b128 v[12:15], v48 offset:96
	v_fma_f64 v[16:17], -v[16:17], v[4:5], v[2:3]
	ds_read_b128 v[2:5], v48 offset:112
	s_waitcnt lgkmcnt(2)
	v_fma_f64 v[6:7], -v[10:11], v[6:7], v[16:17]
	v_fma_f64 v[6:7], -v[54:55], v[8:9], v[6:7]
	s_waitcnt lgkmcnt(1)
	v_fma_f64 v[6:7], -v[56:57], v[12:13], v[6:7]
	v_fma_f64 v[6:7], -v[50:51], v[14:15], v[6:7]
	s_waitcnt lgkmcnt(0)
	v_fma_f64 v[2:3], -v[46:47], v[2:3], v[6:7]
	v_mul_f64 v[2:3], v[4:5], v[2:3]
	v_add_u32_e32 v4, s7, v1
	s_mov_b32 s8, s4
	ds_write_b64 v4, v[2:3]
.LBB87_18:
	s_cmp_ge_i32 s8, s22
	s_cbranch_scc1 .LBB87_23
; %bb.19:
	v_mov_b32_e32 v2, 0xc80
	s_mul_i32 s4, s8, 0xa0
	v_lshl_add_u32 v4, v0, 3, v2
	s_branch .LBB87_21
.LBB87_20:                              ;   in Loop: Header=BB87_21 Depth=1
	s_mul_i32 s5, s8, 0xa8
	v_mov_b32_e32 v6, s5
	ds_read_b64 v[6:7], v6
	s_add_i32 s8, s8, 1
	s_addk_i32 s4, 0xa0
	s_cmp_ge_i32 s8, s22
	s_waitcnt lgkmcnt(0)
	v_mul_f64 v[2:3], v[6:7], v[2:3]
	ds_write_b64 v5, v[2:3]
	s_cbranch_scc1 .LBB87_23
.LBB87_21:                              ; =>This Loop Header: Depth=1
                                        ;     Child Loop BB87_22 Depth 2
	s_mul_i32 s5, s8, 0xa0
	v_add_u32_e32 v5, s5, v1
	ds_read_b64 v[2:3], v5
	s_cmp_eq_u32 s8, 0
	v_mov_b32_e32 v6, v4
	s_mov_b32 s5, s8
	s_mov_b32 s7, s4
	s_cbranch_scc1 .LBB87_20
.LBB87_22:                              ;   Parent Loop BB87_21 Depth=1
                                        ; =>  This Inner Loop Header: Depth=2
	v_mov_b32_e32 v7, s7
	ds_read_b64 v[8:9], v6
	ds_read_b64 v[10:11], v7
	s_add_i32 s7, s7, 8
	s_add_i32 s5, s5, -1
	v_add_u32_e32 v6, 0xa0, v6
	s_cmp_lg_u32 s5, 0
	s_waitcnt lgkmcnt(0)
	v_fma_f64 v[2:3], -v[8:9], v[10:11], v[2:3]
	s_cbranch_scc1 .LBB87_22
	s_branch .LBB87_20
.LBB87_23:
	s_mov_b64 s[4:5], 0
.LBB87_24:
	s_and_b64 vcc, exec, s[4:5]
	s_cbranch_vccz .LBB87_50
; %bb.25:
	s_add_i32 s4, s22, -1
	s_cmp_gt_i32 s6, 19
	s_mov_b32 s5, s4
	s_cbranch_scc0 .LBB87_27
; %bb.26:
	v_add_u32_e32 v62, 0x800, v1
	v_add_u32_e32 v61, 0x400, v1
	v_mov_b32_e32 v60, 0
	s_movk_i32 s6, 0x800
	ds_read2_b64 v[42:45], v62 offset0:104 offset1:124
	ds_read2_b64 v[30:33], v62 offset0:64 offset1:84
	;; [unrolled: 1-line block ×8, first 2 shown]
	ds_read_b128 v[46:49], v60 offset:3184
	ds_read2_b64 v[6:9], v1 offset0:40 offset1:60
	v_add_u32_e64 v34, s6, 0
	ds_read2_b64 v[34:37], v34 offset0:80 offset1:122
	ds_read_b128 v[38:41], v60 offset:3168
	ds_read_b128 v[50:53], v60 offset:2848
	;; [unrolled: 1-line block ×3, first 2 shown]
	s_waitcnt lgkmcnt(5)
	v_mul_f64 v[58:59], v[48:49], v[44:45]
	v_fma_f64 v[46:47], -v[58:59], v[46:47], v[42:43]
	ds_read_b128 v[42:45], v60 offset:3008
	s_waitcnt lgkmcnt(3)
	v_fma_f64 v[32:33], -v[58:59], v[40:41], v[32:33]
	v_fma_f64 v[30:31], -v[58:59], v[38:39], v[30:31]
	ds_read_b128 v[38:41], v60 offset:3152
	v_mul_f64 v[36:37], v[36:37], v[46:47]
	ds_read_b128 v[46:49], v60 offset:2992
	s_waitcnt lgkmcnt(2)
	v_fma_f64 v[32:33], -v[36:37], v[44:45], v[32:33]
	v_mul_f64 v[32:33], v[52:53], v[32:33]
	v_fma_f64 v[30:31], -v[36:37], v[42:43], v[30:31]
	v_fma_f64 v[30:31], -v[32:33], v[50:51], v[30:31]
	ds_read_b128 v[42:45], v60 offset:3136
	s_waitcnt lgkmcnt(2)
	v_fma_f64 v[24:25], -v[58:59], v[40:41], v[24:25]
	v_mul_f64 v[30:31], v[34:35], v[30:31]
	s_waitcnt lgkmcnt(1)
	v_fma_f64 v[34:35], -v[36:37], v[48:49], v[24:25]
	ds_read_b128 v[48:51], v60 offset:2832
	ds_read_b128 v[64:67], v60 offset:3120
	v_fma_f64 v[38:39], -v[58:59], v[38:39], v[22:23]
	ds_read_b128 v[22:25], v60 offset:3104
	s_waitcnt lgkmcnt(3)
	v_fma_f64 v[76:77], -v[58:59], v[42:43], v[26:27]
	v_fma_f64 v[28:29], -v[58:59], v[44:45], v[28:29]
	s_waitcnt lgkmcnt(1)
	v_fma_f64 v[78:79], -v[58:59], v[66:67], v[20:21]
	v_fma_f64 v[80:81], -v[58:59], v[64:65], v[18:19]
	ds_read_b128 v[18:21], v60 offset:3088
	ds_read_b128 v[64:67], v60 offset:2672
	s_waitcnt lgkmcnt(2)
	v_fma_f64 v[24:25], -v[58:59], v[24:25], v[16:17]
	v_fma_f64 v[26:27], -v[58:59], v[22:23], v[14:15]
	ds_read_b128 v[14:17], v60 offset:3072
	s_waitcnt lgkmcnt(2)
	v_fma_f64 v[42:43], -v[58:59], v[18:19], v[10:11]
	v_fma_f64 v[10:11], -v[32:33], v[50:51], v[34:35]
	s_waitcnt lgkmcnt(1)
	v_fma_f64 v[18:19], -v[30:31], v[66:67], v[10:11]
	v_fma_f64 v[10:11], -v[36:37], v[46:47], v[38:39]
	;; [unrolled: 1-line block ×4, first 2 shown]
	ds_read_b128 v[10:13], v60 offset:3056
	ds_read_b128 v[50:53], v60 offset:2656
	;; [unrolled: 1-line block ×4, first 2 shown]
	s_waitcnt lgkmcnt(4)
	v_fma_f64 v[44:45], -v[58:59], v[16:17], v[4:5]
	v_fma_f64 v[46:47], -v[58:59], v[14:15], v[2:3]
	ds_read_b128 v[2:5], v60 offset:3040
	v_fma_f64 v[34:35], -v[30:31], v[64:65], v[20:21]
	s_waitcnt lgkmcnt(4)
	v_fma_f64 v[20:21], -v[58:59], v[12:13], v[8:9]
	v_fma_f64 v[22:23], -v[58:59], v[10:11], v[6:7]
	ds_read2_b64 v[6:9], v1 offset1:20
	ds_read_b128 v[12:15], v60 offset:2976
	s_movk_i32 s5, 0x400
	s_waitcnt lgkmcnt(4)
	v_mul_f64 v[10:11], v[74:75], v[18:19]
	v_add_u32_e64 v18, s5, 0
	v_fma_f64 v[16:17], -v[10:11], v[72:73], v[34:35]
	s_waitcnt lgkmcnt(1)
	v_fma_f64 v[34:35], -v[58:59], v[4:5], v[8:9]
	v_fma_f64 v[38:39], -v[58:59], v[2:3], v[6:7]
	ds_read2_b64 v[6:9], v18 offset0:124 offset1:166
	ds_read_b128 v[2:5], v60 offset:2496
	s_waitcnt lgkmcnt(2)
	v_fma_f64 v[14:15], -v[36:37], v[14:15], v[28:29]
	v_fma_f64 v[12:13], -v[36:37], v[12:13], v[76:77]
	ds_read_b128 v[64:67], v60 offset:2960
	s_waitcnt lgkmcnt(2)
	v_mul_f64 v[18:19], v[8:9], v[16:17]
	v_fma_f64 v[8:9], -v[32:33], v[70:71], v[14:15]
	v_fma_f64 v[8:9], -v[30:31], v[52:53], v[8:9]
	s_waitcnt lgkmcnt(1)
	v_fma_f64 v[4:5], -v[10:11], v[4:5], v[8:9]
	v_fma_f64 v[8:9], -v[32:33], v[68:69], v[12:13]
	ds_read_b128 v[12:15], v60 offset:2336
	v_fma_f64 v[8:9], -v[30:31], v[50:51], v[8:9]
	ds_read_b128 v[48:51], v60 offset:2176
	ds_read_b128 v[68:71], v60 offset:2320
	v_fma_f64 v[2:3], -v[10:11], v[2:3], v[8:9]
	s_waitcnt lgkmcnt(3)
	v_fma_f64 v[16:17], -v[36:37], v[66:67], v[78:79]
	v_fma_f64 v[28:29], -v[36:37], v[64:65], v[80:81]
	ds_read_b128 v[64:67], v60 offset:2784
	s_waitcnt lgkmcnt(3)
	v_fma_f64 v[8:9], -v[18:19], v[14:15], v[4:5]
	v_fma_f64 v[12:13], -v[18:19], v[12:13], v[2:3]
	s_waitcnt lgkmcnt(2)
	v_mul_f64 v[14:15], v[50:51], v[8:9]
	v_fma_f64 v[8:9], -v[14:15], v[48:49], v[12:13]
	ds_read_b128 v[48:51], v60 offset:2800
	v_mul_f64 v[12:13], v[6:7], v[8:9]
	ds_read_b128 v[6:9], v60 offset:2640
	ds_read_b128 v[2:5], v60 offset:2240
	v_fma_f64 v[54:55], -v[36:37], v[54:55], v[38:39]
	s_waitcnt lgkmcnt(2)
	v_fma_f64 v[16:17], -v[32:33], v[50:51], v[16:17]
	ds_read_b128 v[50:53], v60 offset:2480
	v_fma_f64 v[28:29], -v[32:33], v[48:49], v[28:29]
	s_waitcnt lgkmcnt(2)
	v_fma_f64 v[8:9], -v[30:31], v[8:9], v[16:17]
	v_fma_f64 v[16:17], -v[30:31], v[6:7], v[28:29]
	s_mov_b32 s5, -1
	s_waitcnt lgkmcnt(0)
	v_fma_f64 v[28:29], -v[10:11], v[52:53], v[8:9]
	ds_read_b128 v[6:9], v60 offset:2160
	v_fma_f64 v[16:17], -v[10:11], v[50:51], v[16:17]
	ds_read_b128 v[48:51], v60 offset:2000
	v_fma_f64 v[28:29], -v[18:19], v[70:71], v[28:29]
	v_fma_f64 v[16:17], -v[18:19], v[68:69], v[16:17]
	s_waitcnt lgkmcnt(1)
	v_fma_f64 v[28:29], -v[14:15], v[8:9], v[28:29]
	v_fma_f64 v[16:17], -v[14:15], v[6:7], v[16:17]
	ds_read_b128 v[6:9], v60 offset:1840
	s_waitcnt lgkmcnt(1)
	v_fma_f64 v[28:29], -v[12:13], v[50:51], v[28:29]
	v_fma_f64 v[52:53], -v[12:13], v[48:49], v[16:17]
	ds_read_b128 v[48:51], v60 offset:2944
	ds_read_b128 v[68:71], v60 offset:2624
	s_waitcnt lgkmcnt(2)
	v_mul_f64 v[16:17], v[8:9], v[28:29]
	v_fma_f64 v[52:53], -v[16:17], v[6:7], v[52:53]
	ds_read_b128 v[6:9], v60 offset:2464
	s_waitcnt lgkmcnt(2)
	v_fma_f64 v[48:49], -v[36:37], v[48:49], v[26:27]
	v_fma_f64 v[28:29], -v[36:37], v[50:51], v[24:25]
	;; [unrolled: 1-line block ×3, first 2 shown]
	ds_read_b128 v[24:27], v60 offset:2144
	v_fma_f64 v[28:29], -v[32:33], v[66:67], v[28:29]
	s_waitcnt lgkmcnt(2)
	v_fma_f64 v[68:69], -v[30:31], v[68:69], v[48:49]
	ds_read_b128 v[48:51], v60 offset:2304
	ds_read_b128 v[64:67], v60 offset:1984
	v_fma_f64 v[28:29], -v[30:31], v[70:71], v[28:29]
	s_waitcnt lgkmcnt(3)
	v_fma_f64 v[28:29], -v[10:11], v[8:9], v[28:29]
	v_fma_f64 v[68:69], -v[10:11], v[6:7], v[68:69]
	ds_read_b128 v[6:9], v60 offset:1824
	s_waitcnt lgkmcnt(2)
	v_fma_f64 v[28:29], -v[18:19], v[50:51], v[28:29]
	v_fma_f64 v[68:69], -v[18:19], v[48:49], v[68:69]
	;; [unrolled: 1-line block ×4, first 2 shown]
	ds_read_b128 v[48:51], v60 offset:2928
	s_waitcnt lgkmcnt(2)
	v_fma_f64 v[68:69], -v[12:13], v[66:67], v[26:27]
	v_fma_f64 v[24:25], -v[12:13], v[64:65], v[24:25]
	ds_read2_b64 v[64:67], v60 offset0:168 offset1:210
	ds_read_b128 v[26:29], v60 offset:1664
	s_waitcnt lgkmcnt(3)
	v_fma_f64 v[68:69], -v[16:17], v[8:9], v[68:69]
	v_fma_f64 v[70:71], -v[16:17], v[6:7], v[24:25]
	ds_read_b128 v[6:9], v60 offset:1504
	s_waitcnt lgkmcnt(2)
	v_mul_f64 v[24:25], v[66:67], v[52:53]
	s_waitcnt lgkmcnt(1)
	v_fma_f64 v[28:29], -v[24:25], v[28:29], v[68:69]
	v_fma_f64 v[52:53], -v[24:25], v[26:27], v[70:71]
	ds_read_b128 v[66:69], v60 offset:2288
	s_waitcnt lgkmcnt(1)
	v_mul_f64 v[26:27], v[8:9], v[28:29]
	v_fma_f64 v[28:29], -v[26:27], v[6:7], v[52:53]
	ds_read_b128 v[6:9], v60 offset:2768
	v_fma_f64 v[50:51], -v[36:37], v[50:51], v[40:41]
	v_fma_f64 v[48:49], -v[36:37], v[48:49], v[42:43]
	ds_read_b128 v[40:43], v60 offset:2608
	v_mul_f64 v[28:29], v[64:65], v[28:29]
	s_waitcnt lgkmcnt(1)
	v_fma_f64 v[52:53], -v[32:33], v[8:9], v[50:51]
	v_fma_f64 v[64:65], -v[32:33], v[6:7], v[48:49]
	ds_read_b128 v[6:9], v60 offset:2912
	ds_read_b128 v[48:51], v60 offset:2752
	s_waitcnt lgkmcnt(2)
	v_fma_f64 v[52:53], -v[30:31], v[42:43], v[52:53]
	v_fma_f64 v[64:65], -v[30:31], v[40:41], v[64:65]
	ds_read_b128 v[40:43], v60 offset:2592
	s_waitcnt lgkmcnt(2)
	v_fma_f64 v[8:9], -v[36:37], v[8:9], v[44:45]
	v_fma_f64 v[6:7], -v[36:37], v[6:7], v[46:47]
	s_waitcnt lgkmcnt(1)
	v_fma_f64 v[8:9], -v[32:33], v[50:51], v[8:9]
	v_fma_f64 v[6:7], -v[32:33], v[48:49], v[6:7]
	ds_read_b128 v[48:51], v60 offset:2896
	ds_read_b128 v[44:47], v60 offset:1648
	s_waitcnt lgkmcnt(2)
	v_fma_f64 v[70:71], -v[30:31], v[42:43], v[8:9]
	v_fma_f64 v[72:73], -v[30:31], v[40:41], v[6:7]
	ds_read_b128 v[6:9], v60 offset:1600
	ds_write2_b64 v62, v[36:37], v[58:59] offset0:104 offset1:124
	ds_write2_b64 v62, v[30:31], v[32:33] offset0:64 offset1:84
	s_waitcnt lgkmcnt(4)
	v_fma_f64 v[42:43], -v[36:37], v[50:51], v[20:21]
	v_fma_f64 v[48:49], -v[36:37], v[48:49], v[22:23]
	ds_read_b128 v[20:23], v60 offset:2736
	v_fma_f64 v[50:51], -v[36:37], v[56:57], v[34:35]
	ds_read_b128 v[34:37], v60 offset:2576
	ds_read_b128 v[38:41], v60 offset:2720
	s_waitcnt lgkmcnt(2)
	v_fma_f64 v[42:43], -v[32:33], v[22:23], v[42:43]
	v_fma_f64 v[48:49], -v[32:33], v[20:21], v[48:49]
	ds_read_b128 v[20:23], v60 offset:2560
	s_waitcnt lgkmcnt(2)
	v_fma_f64 v[56:57], -v[30:31], v[36:37], v[42:43]
	v_fma_f64 v[58:59], -v[30:31], v[34:35], v[48:49]
	;; [unrolled: 4-line block ×4, first 2 shown]
	s_waitcnt lgkmcnt(1)
	v_fma_f64 v[30:31], -v[10:11], v[36:37], v[52:53]
	v_fma_f64 v[36:37], -v[18:19], v[68:69], v[30:31]
	ds_read_b128 v[20:23], v60 offset:2432
	s_waitcnt lgkmcnt(1)
	v_fma_f64 v[52:53], -v[14:15], v[40:41], v[36:37]
	v_fma_f64 v[40:41], -v[10:11], v[34:35], v[64:65]
	ds_read_b128 v[34:37], v60 offset:1968
	v_fma_f64 v[48:49], -v[18:19], v[66:67], v[40:41]
	ds_read_b128 v[40:43], v60 offset:1808
	;; [unrolled: 2-line block ×3, first 2 shown]
	s_waitcnt lgkmcnt(2)
	v_fma_f64 v[36:37], -v[12:13], v[36:37], v[52:53]
	v_fma_f64 v[38:39], -v[12:13], v[34:35], v[38:39]
	s_waitcnt lgkmcnt(1)
	v_fma_f64 v[42:43], -v[16:17], v[42:43], v[36:37]
	ds_read_b128 v[34:37], v60 offset:1488
	v_fma_f64 v[38:39], -v[16:17], v[40:41], v[38:39]
	v_fma_f64 v[42:43], -v[24:25], v[46:47], v[42:43]
	;; [unrolled: 1-line block ×3, first 2 shown]
	ds_read_b128 v[38:41], v60 offset:1328
	s_waitcnt lgkmcnt(1)
	v_fma_f64 v[52:53], -v[26:27], v[36:37], v[42:43]
	ds_read_b128 v[42:45], v60 offset:1168
	v_fma_f64 v[46:47], -v[26:27], v[34:35], v[46:47]
	ds_read_b128 v[30:33], v60 offset:2112
	ds_read_b128 v[34:37], v60 offset:1792
	s_waitcnt lgkmcnt(3)
	v_fma_f64 v[40:41], -v[28:29], v[40:41], v[52:53]
	v_fma_f64 v[38:39], -v[28:29], v[38:39], v[46:47]
	s_waitcnt lgkmcnt(2)
	v_mul_f64 v[64:65], v[44:45], v[40:41]
	v_fma_f64 v[52:53], -v[64:65], v[42:43], v[38:39]
	ds_read_b128 v[38:41], v60 offset:2272
	ds_read_b128 v[42:45], v60 offset:1472
	v_fma_f64 v[46:47], -v[10:11], v[22:23], v[70:71]
	v_fma_f64 v[66:67], -v[10:11], v[20:21], v[72:73]
	ds_read_b128 v[20:23], v60 offset:1312
	s_waitcnt lgkmcnt(2)
	v_fma_f64 v[46:47], -v[18:19], v[40:41], v[46:47]
	v_fma_f64 v[66:67], -v[18:19], v[38:39], v[66:67]
	;; [unrolled: 1-line block ×6, first 2 shown]
	ds_read_b128 v[30:33], v60 offset:1632
	ds_read_b128 v[38:41], v60 offset:1152
	v_fma_f64 v[50:51], -v[16:17], v[36:37], v[46:47]
	v_fma_f64 v[66:67], -v[16:17], v[34:35], v[48:49]
	ds_read2_b64 v[34:37], v60 offset0:84 offset1:126
	ds_read_b128 v[46:49], v60 offset:2256
	s_waitcnt lgkmcnt(3)
	v_fma_f64 v[50:51], -v[24:25], v[32:33], v[50:51]
	v_fma_f64 v[66:67], -v[24:25], v[30:31], v[66:67]
	ds_write2_b64 v62, v[18:19], v[10:11] offset0:24 offset1:44
	s_waitcnt lgkmcnt(2)
	v_mul_f64 v[68:69], v[36:37], v[52:53]
	v_fma_f64 v[36:37], -v[26:27], v[44:45], v[50:51]
	v_fma_f64 v[22:23], -v[28:29], v[22:23], v[36:37]
	;; [unrolled: 1-line block ×4, first 2 shown]
	ds_read_b128 v[40:43], v60 offset:992
	v_fma_f64 v[36:37], -v[28:29], v[20:21], v[22:23]
	ds_read_b128 v[20:23], v60 offset:832
	v_fma_f64 v[50:51], -v[64:65], v[38:39], v[36:37]
	ds_read_b128 v[36:39], v60 offset:976
	s_waitcnt lgkmcnt(2)
	v_fma_f64 v[42:43], -v[68:69], v[42:43], v[44:45]
	v_fma_f64 v[44:45], -v[68:69], v[40:41], v[50:51]
	s_waitcnt lgkmcnt(1)
	v_mul_f64 v[66:67], v[22:23], v[42:43]
	ds_read_b128 v[40:43], v60 offset:2416
	v_fma_f64 v[44:45], -v[66:67], v[20:21], v[44:45]
	v_mul_f64 v[70:71], v[34:35], v[44:45]
	ds_read_b128 v[50:53], v60 offset:2400
	ds_read_b128 v[30:33], v60 offset:1616
	;; [unrolled: 1-line block ×3, first 2 shown]
	s_waitcnt lgkmcnt(3)
	v_fma_f64 v[34:35], -v[10:11], v[42:43], v[56:57]
	v_fma_f64 v[44:45], -v[10:11], v[40:41], v[58:59]
	ds_read_b128 v[40:43], v60 offset:2096
	v_fma_f64 v[34:35], -v[18:19], v[48:49], v[34:35]
	v_fma_f64 v[56:57], -v[18:19], v[46:47], v[44:45]
	ds_read_b128 v[44:47], v60 offset:2080
	s_waitcnt lgkmcnt(1)
	v_fma_f64 v[34:35], -v[14:15], v[42:43], v[34:35]
	v_fma_f64 v[42:43], -v[10:11], v[52:53], v[54:55]
	;; [unrolled: 1-line block ×3, first 2 shown]
	ds_read_b128 v[48:51], v60 offset:1936
	v_fma_f64 v[58:59], -v[18:19], v[4:5], v[42:43]
	v_fma_f64 v[10:11], -v[18:19], v[2:3], v[10:11]
	ds_read_b128 v[2:5], v60 offset:1776
	ds_read_b128 v[52:55], v60 offset:1920
	s_waitcnt lgkmcnt(3)
	v_fma_f64 v[62:63], -v[14:15], v[46:47], v[58:59]
	s_waitcnt lgkmcnt(2)
	v_fma_f64 v[18:19], -v[12:13], v[50:51], v[34:35]
	v_fma_f64 v[34:35], -v[14:15], v[40:41], v[56:57]
	s_waitcnt lgkmcnt(1)
	v_fma_f64 v[4:5], -v[16:17], v[4:5], v[18:19]
	v_fma_f64 v[18:19], -v[12:13], v[48:49], v[34:35]
	ds_read_b128 v[48:51], v60 offset:1456
	v_fma_f64 v[32:33], -v[24:25], v[32:33], v[4:5]
	v_fma_f64 v[18:19], -v[16:17], v[2:3], v[18:19]
	ds_read_b128 v[2:5], v60 offset:1296
	v_fma_f64 v[18:19], -v[24:25], v[30:31], v[18:19]
	s_waitcnt lgkmcnt(1)
	v_fma_f64 v[34:35], -v[26:27], v[50:51], v[32:33]
	ds_read_b128 v[30:33], v60 offset:1136
	v_fma_f64 v[18:19], -v[26:27], v[48:49], v[18:19]
	s_waitcnt lgkmcnt(1)
	v_fma_f64 v[4:5], -v[28:29], v[4:5], v[34:35]
	v_fma_f64 v[18:19], -v[28:29], v[2:3], v[18:19]
	ds_read_b128 v[40:43], v60 offset:1760
	ds_read_b128 v[48:51], v60 offset:1440
	s_waitcnt lgkmcnt(2)
	v_fma_f64 v[32:33], -v[64:65], v[32:33], v[4:5]
	ds_read_b128 v[2:5], v60 offset:816
	v_fma_f64 v[18:19], -v[64:65], v[30:31], v[18:19]
	v_fma_f64 v[34:35], -v[68:69], v[38:39], v[32:33]
	ds_read_b128 v[30:33], v60 offset:656
	v_fma_f64 v[18:19], -v[68:69], v[36:37], v[18:19]
	s_waitcnt lgkmcnt(1)
	v_fma_f64 v[38:39], -v[66:67], v[4:5], v[34:35]
	v_fma_f64 v[18:19], -v[66:67], v[2:3], v[18:19]
	ds_read_b128 v[2:5], v60 offset:496
	ds_read_b128 v[34:37], v60 offset:1280
	v_fma_f64 v[10:11], -v[14:15], v[44:45], v[10:11]
	ds_write2_b64 v61, v[12:13], v[14:15] offset0:112 offset1:132
	v_fma_f64 v[14:15], -v[12:13], v[54:55], v[62:63]
	v_fma_f64 v[52:53], -v[12:13], v[52:53], v[10:11]
	ds_read2_b64 v[10:13], v60 offset1:42
	s_waitcnt lgkmcnt(4)
	v_fma_f64 v[38:39], -v[70:71], v[32:33], v[38:39]
	v_fma_f64 v[18:19], -v[70:71], v[30:31], v[18:19]
	s_waitcnt lgkmcnt(3)
	v_mul_f64 v[38:39], v[4:5], v[38:39]
	ds_read_b128 v[30:33], v60 offset:1120
	v_fma_f64 v[18:19], -v[38:39], v[2:3], v[18:19]
	s_waitcnt lgkmcnt(1)
	v_mul_f64 v[54:55], v[12:13], v[18:19]
	v_fma_f64 v[12:13], -v[16:17], v[42:43], v[14:15]
	v_fma_f64 v[8:9], -v[24:25], v[8:9], v[12:13]
	;; [unrolled: 1-line block ×4, first 2 shown]
	ds_read_b128 v[2:5], v60 offset:800
	s_waitcnt lgkmcnt(1)
	v_fma_f64 v[8:9], -v[64:65], v[32:33], v[8:9]
	v_fma_f64 v[8:9], -v[68:69], v[22:23], v[8:9]
	;; [unrolled: 1-line block ×3, first 2 shown]
	ds_read_b128 v[44:47], v60 offset:640
	ds_read_b128 v[56:59], v60 offset:480
	v_fma_f64 v[6:7], -v[24:25], v[6:7], v[22:23]
	v_fma_f64 v[6:7], -v[26:27], v[48:49], v[6:7]
	ds_write2_b64 v1, v[24:25], v[16:17] offset0:200 offset1:220
	ds_write2_b64 v1, v[28:29], v[26:27] offset0:160 offset1:180
	;; [unrolled: 1-line block ×5, first 2 shown]
	v_fma_f64 v[6:7], -v[28:29], v[34:35], v[6:7]
	ds_read_b128 v[12:15], v60 offset:320
	ds_read_b128 v[16:19], v60 offset:160
	v_fma_f64 v[6:7], -v[64:65], v[30:31], v[6:7]
	s_waitcnt lgkmcnt(9)
	v_fma_f64 v[4:5], -v[66:67], v[4:5], v[8:9]
	v_fma_f64 v[6:7], -v[68:69], v[20:21], v[6:7]
	s_waitcnt lgkmcnt(8)
	v_fma_f64 v[4:5], -v[70:71], v[46:47], v[4:5]
	;; [unrolled: 3-line block ×4, first 2 shown]
	v_fma_f64 v[2:3], -v[38:39], v[56:57], v[2:3]
	s_waitcnt lgkmcnt(0)
	v_mul_f64 v[4:5], v[18:19], v[4:5]
	v_fma_f64 v[2:3], -v[54:55], v[12:13], v[2:3]
	v_fma_f64 v[2:3], -v[4:5], v[16:17], v[2:3]
	v_mul_f64 v[2:3], v[10:11], v[2:3]
	ds_write2_b64 v1, v[2:3], v[4:5] offset1:20
.LBB87_27:
	s_cmp_gt_i32 s5, -1
	s_cbranch_scc0 .LBB87_50
; %bb.28:
	s_cmp_lt_u32 s5, 15
	s_cbranch_scc1 .LBB87_33
; %bb.29:
	s_mul_i32 s6, s5, 0xa0
	v_add_u32_e32 v34, s6, v1
	v_add_u32_e32 v2, 0xffffff60, v34
	v_add_u32_e32 v3, 0xfffffec0, v34
	v_add_u32_e32 v4, 0xfffffe20, v34
	ds_read_b64 v[10:11], v34
	ds_read_b64 v[8:9], v2
	ds_read_b64 v[14:15], v3
	ds_read_b64 v[12:13], v4
	v_add_u32_e32 v2, 0xfffffd80, v34
	v_add_u32_e32 v3, 0xfffffce0, v34
	v_add_u32_e32 v4, 0xfffffc40, v34
	v_add_u32_e32 v5, 0xfffffba0, v34
	ds_read_b64 v[20:21], v2
	ds_read_b64 v[18:19], v3
	ds_read_b64 v[24:25], v4
	ds_read_b64 v[26:27], v5
	;; [unrolled: 8-line block ×4, first 2 shown]
	s_cmp_le_i32 s4, s5
	s_cbranch_scc1 .LBB87_32
; %bb.30:
	s_mul_i32 s7, s22, 0xa0
	s_lshl_b32 s8, s5, 3
	v_lshl_add_u32 v35, v0, 3, s7
	s_add_i32 s7, s7, s8
	v_add_u32_e32 v35, 0xbe0, v35
	s_addk_i32 s7, 0xfee8
	s_mov_b32 s8, s4
.LBB87_31:                              ; =>This Inner Loop Header: Depth=1
	v_mov_b32_e32 v64, s7
	ds_read_b64 v[68:69], v35
	ds_read2_b64 v[36:39], v64 offset0:14 offset1:15
	ds_read2_b64 v[40:43], v64 offset0:12 offset1:13
	;; [unrolled: 1-line block ×7, first 2 shown]
	ds_read2_b64 v[64:67], v64 offset1:1
	s_add_i32 s8, s8, -1
	s_addk_i32 s7, 0xff60
	v_add_u32_e32 v35, 0xffffff60, v35
	s_cmp_gt_i32 s8, s5
	s_waitcnt lgkmcnt(7)
	v_fma_f64 v[10:11], -v[68:69], v[38:39], v[10:11]
	v_fma_f64 v[8:9], -v[68:69], v[36:37], v[8:9]
	s_waitcnt lgkmcnt(6)
	v_fma_f64 v[14:15], -v[68:69], v[42:43], v[14:15]
	v_fma_f64 v[12:13], -v[68:69], v[40:41], v[12:13]
	;; [unrolled: 3-line block ×8, first 2 shown]
	s_cbranch_scc1 .LBB87_31
.LBB87_32:
	s_lshl_b32 s7, s5, 3
	s_add_i32 s8, s7, -8
	s_add_i32 s8, s8, s6
	v_mov_b32_e32 v35, s8
	ds_read2_b64 v[36:39], v35 offset1:1
	s_addk_i32 s8, 0xff60
	v_mov_b32_e32 v35, s8
	ds_read_b64 v[40:41], v35
	s_sub_i32 s12, s7, 24
	s_waitcnt lgkmcnt(1)
	v_mul_f64 v[10:11], v[38:39], v[10:11]
	s_add_i32 s13, s12, s6
	ds_write_b64 v34, v[10:11]
	v_mov_b32_e32 v34, s13
	v_fma_f64 v[8:9], -v[10:11], v[36:37], v[8:9]
	ds_read2_b64 v[34:37], v34 offset1:1
	s_add_i32 s8, s6, 0xffffff60
	s_waitcnt lgkmcnt(2)
	v_mul_f64 v[8:9], v[40:41], v[8:9]
	v_add_u32_e32 v38, s8, v1
	s_add_i32 s9, s12, s8
	ds_write_b64 v38, v[8:9]
	v_mov_b32_e32 v38, s9
	s_add_i32 s9, s6, 0xfffffec0
	s_add_i32 s12, s12, s9
	ds_read2_b64 v[38:41], v38 offset1:1
	s_waitcnt lgkmcnt(2)
	v_fma_f64 v[14:15], -v[10:11], v[36:37], v[14:15]
	v_mov_b32_e32 v36, s12
	ds_read2_b64 v[42:45], v36 offset1:1
	s_add_i32 s12, s13, 0xfffffe20
	v_mov_b32_e32 v36, s12
	ds_read_b64 v[36:37], v36
	s_waitcnt lgkmcnt(2)
	v_fma_f64 v[14:15], -v[8:9], v[40:41], v[14:15]
	v_fma_f64 v[12:13], -v[10:11], v[34:35], v[12:13]
	s_sub_i32 s14, s7, 40
	s_waitcnt lgkmcnt(1)
	v_mul_f64 v[14:15], v[44:45], v[14:15]
	v_fma_f64 v[12:13], -v[8:9], v[38:39], v[12:13]
	s_add_i32 s15, s14, s6
	v_fma_f64 v[12:13], -v[14:15], v[42:43], v[12:13]
	v_mov_b32_e32 v34, s15
	s_waitcnt lgkmcnt(0)
	v_mul_f64 v[12:13], v[36:37], v[12:13]
	ds_read2_b64 v[34:37], v34 offset1:1
	s_add_i32 s12, s6, 0xfffffe20
	v_add_u32_e32 v38, s12, v1
	s_add_i32 s13, s14, s8
	v_add_u32_e32 v40, s9, v1
	ds_write_b64 v38, v[12:13]
	v_mov_b32_e32 v38, s13
	s_add_i32 s13, s14, s9
	ds_write_b64 v40, v[14:15]
	ds_read2_b64 v[38:41], v38 offset1:1
	s_waitcnt lgkmcnt(3)
	v_fma_f64 v[20:21], -v[10:11], v[36:37], v[20:21]
	v_mov_b32_e32 v36, s13
	s_add_i32 s13, s14, s12
	ds_read2_b64 v[42:45], v36 offset1:1
	v_mov_b32_e32 v36, s13
	s_add_i32 s13, s6, 0xfffffd80
	s_add_i32 s14, s14, s13
	ds_read2_b64 v[46:49], v36 offset1:1
	v_mov_b32_e32 v36, s14
	ds_read2_b64 v[50:53], v36 offset1:1
	s_add_i32 s14, s15, 0xfffffce0
	v_mov_b32_e32 v36, s14
	s_waitcnt lgkmcnt(3)
	v_fma_f64 v[20:21], -v[8:9], v[40:41], v[20:21]
	ds_read_b64 v[36:37], v36
	v_fma_f64 v[18:19], -v[10:11], v[34:35], v[18:19]
	s_waitcnt lgkmcnt(3)
	v_fma_f64 v[20:21], -v[14:15], v[44:45], v[20:21]
	v_fma_f64 v[18:19], -v[8:9], v[38:39], v[18:19]
	s_waitcnt lgkmcnt(2)
	v_fma_f64 v[20:21], -v[12:13], v[48:49], v[20:21]
	v_fma_f64 v[18:19], -v[14:15], v[42:43], v[18:19]
	s_sub_i32 s17, s7, 56
	s_waitcnt lgkmcnt(1)
	v_mul_f64 v[20:21], v[52:53], v[20:21]
	v_fma_f64 v[18:19], -v[12:13], v[46:47], v[18:19]
	s_add_i32 s18, s17, s6
	v_fma_f64 v[18:19], -v[20:21], v[50:51], v[18:19]
	v_mov_b32_e32 v34, s18
	s_waitcnt lgkmcnt(0)
	v_mul_f64 v[18:19], v[36:37], v[18:19]
	ds_read2_b64 v[34:37], v34 offset1:1
	s_add_i32 s14, s6, 0xfffffce0
	v_add_u32_e32 v38, s14, v1
	s_add_i32 s15, s17, s8
	v_add_u32_e32 v40, s13, v1
	ds_write_b64 v38, v[18:19]
	v_mov_b32_e32 v38, s15
	s_add_i32 s15, s17, s9
	ds_write_b64 v40, v[20:21]
	ds_read2_b64 v[38:41], v38 offset1:1
	s_waitcnt lgkmcnt(3)
	v_fma_f64 v[24:25], -v[10:11], v[36:37], v[24:25]
	v_mov_b32_e32 v36, s15
	s_add_i32 s15, s17, s12
	ds_read2_b64 v[42:45], v36 offset1:1
	v_mov_b32_e32 v36, s15
	s_add_i32 s15, s17, s13
	ds_read2_b64 v[46:49], v36 offset1:1
	;; [unrolled: 3-line block ×3, first 2 shown]
	v_mov_b32_e32 v36, s15
	s_add_i32 s15, s6, 0xfffffc40
	s_add_i32 s17, s17, s15
	ds_read2_b64 v[54:57], v36 offset1:1
	v_mov_b32_e32 v36, s17
	s_waitcnt lgkmcnt(4)
	v_fma_f64 v[24:25], -v[8:9], v[40:41], v[24:25]
	ds_read2_b64 v[58:61], v36 offset1:1
	s_add_i32 s17, s18, 0xfffffba0
	v_fma_f64 v[26:27], -v[10:11], v[34:35], v[26:27]
	s_waitcnt lgkmcnt(4)
	v_fma_f64 v[24:25], -v[14:15], v[44:45], v[24:25]
	v_mov_b32_e32 v36, s17
	v_fma_f64 v[26:27], -v[8:9], v[38:39], v[26:27]
	s_waitcnt lgkmcnt(3)
	v_fma_f64 v[24:25], -v[12:13], v[48:49], v[24:25]
	ds_read_b64 v[36:37], v36
	v_fma_f64 v[26:27], -v[14:15], v[42:43], v[26:27]
	s_waitcnt lgkmcnt(3)
	v_fma_f64 v[24:25], -v[20:21], v[52:53], v[24:25]
	v_fma_f64 v[26:27], -v[12:13], v[46:47], v[26:27]
	s_waitcnt lgkmcnt(2)
	v_fma_f64 v[24:25], -v[18:19], v[56:57], v[24:25]
	v_fma_f64 v[26:27], -v[20:21], v[50:51], v[26:27]
	s_add_i32 s19, s7, 0xffffffb8
	s_waitcnt lgkmcnt(1)
	v_mul_f64 v[24:25], v[60:61], v[24:25]
	v_fma_f64 v[26:27], -v[18:19], v[54:55], v[26:27]
	s_add_i32 s20, s19, s6
	v_fma_f64 v[26:27], -v[24:25], v[58:59], v[26:27]
	v_mov_b32_e32 v34, s20
	s_waitcnt lgkmcnt(0)
	v_mul_f64 v[26:27], v[36:37], v[26:27]
	ds_read2_b64 v[34:37], v34 offset1:1
	s_add_i32 s17, s6, 0xfffffba0
	v_add_u32_e32 v38, s17, v1
	s_add_i32 s18, s19, s8
	v_add_u32_e32 v40, s15, v1
	ds_write_b64 v38, v[26:27]
	v_mov_b32_e32 v38, s18
	s_add_i32 s18, s19, s9
	ds_write_b64 v40, v[24:25]
	ds_read2_b64 v[38:41], v38 offset1:1
	s_waitcnt lgkmcnt(3)
	v_fma_f64 v[32:33], -v[10:11], v[36:37], v[32:33]
	v_mov_b32_e32 v36, s18
	s_add_i32 s18, s19, s12
	ds_read2_b64 v[42:45], v36 offset1:1
	v_mov_b32_e32 v36, s18
	s_add_i32 s18, s19, s13
	ds_read2_b64 v[46:49], v36 offset1:1
	;; [unrolled: 3-line block ×4, first 2 shown]
	v_mov_b32_e32 v36, s18
	s_waitcnt lgkmcnt(4)
	v_fma_f64 v[32:33], -v[8:9], v[40:41], v[32:33]
	ds_read2_b64 v[58:61], v36 offset1:1
	s_waitcnt lgkmcnt(4)
	v_fma_f64 v[32:33], -v[14:15], v[44:45], v[32:33]
	s_waitcnt lgkmcnt(3)
	v_fma_f64 v[32:33], -v[12:13], v[48:49], v[32:33]
	s_add_i32 s18, s19, s17
	s_waitcnt lgkmcnt(2)
	v_fma_f64 v[32:33], -v[20:21], v[52:53], v[32:33]
	v_mov_b32_e32 v36, s18
	s_add_i32 s18, s6, 0xfffffb00
	s_waitcnt lgkmcnt(1)
	v_fma_f64 v[32:33], -v[18:19], v[56:57], v[32:33]
	s_add_i32 s19, s19, s18
	ds_read2_b64 v[62:65], v36 offset1:1
	s_waitcnt lgkmcnt(1)
	v_fma_f64 v[36:37], -v[24:25], v[60:61], v[32:33]
	v_mov_b32_e32 v32, s19
	v_fma_f64 v[40:41], -v[10:11], v[34:35], v[30:31]
	ds_read2_b64 v[32:35], v32 offset1:1
	s_add_i32 s19, s20, 0xfffffa60
	s_waitcnt lgkmcnt(1)
	v_fma_f64 v[30:31], -v[26:27], v[64:65], v[36:37]
	v_mov_b32_e32 v36, s19
	ds_read_b64 v[36:37], v36
	s_waitcnt lgkmcnt(1)
	v_mul_f64 v[30:31], v[34:35], v[30:31]
	v_add_u32_e32 v34, s18, v1
	ds_write_b64 v34, v[30:31]
	v_fma_f64 v[34:35], -v[8:9], v[38:39], v[40:41]
	v_fma_f64 v[34:35], -v[14:15], v[42:43], v[34:35]
	;; [unrolled: 1-line block ×6, first 2 shown]
	s_add_i32 s21, s7, 0xffffffa8
	v_fma_f64 v[34:35], -v[26:27], v[62:63], v[34:35]
	s_add_i32 s23, s21, s6
	v_fma_f64 v[32:33], -v[30:31], v[32:33], v[34:35]
	v_mov_b32_e32 v34, s23
	s_waitcnt lgkmcnt(1)
	v_mul_f64 v[32:33], v[36:37], v[32:33]
	ds_read2_b64 v[34:37], v34 offset1:1
	s_add_i32 s19, s6, 0xfffffa60
	v_add_u32_e32 v38, s19, v1
	s_add_i32 s20, s21, s8
	ds_write_b64 v38, v[32:33]
	v_mov_b32_e32 v38, s20
	s_add_i32 s20, s21, s9
	ds_read2_b64 v[38:41], v38 offset1:1
	s_waitcnt lgkmcnt(2)
	v_fma_f64 v[28:29], -v[10:11], v[36:37], v[28:29]
	v_mov_b32_e32 v36, s20
	s_add_i32 s20, s21, s12
	ds_read2_b64 v[42:45], v36 offset1:1
	v_mov_b32_e32 v36, s20
	s_add_i32 s20, s21, s13
	ds_read2_b64 v[46:49], v36 offset1:1
	v_mov_b32_e32 v36, s20
	s_add_i32 s20, s21, s14
	v_mov_b32_e32 v37, s20
	s_add_i32 s20, s21, s15
	ds_read2_b64 v[50:53], v36 offset1:1
	ds_read2_b64 v[54:57], v37 offset1:1
	v_mov_b32_e32 v36, s20
	s_add_i32 s20, s21, s17
	s_waitcnt lgkmcnt(4)
	v_fma_f64 v[28:29], -v[8:9], v[40:41], v[28:29]
	v_mov_b32_e32 v37, s20
	s_add_i32 s20, s21, s18
	s_waitcnt lgkmcnt(3)
	v_fma_f64 v[28:29], -v[14:15], v[44:45], v[28:29]
	ds_read2_b64 v[58:61], v36 offset1:1
	ds_read2_b64 v[62:65], v37 offset1:1
	v_mov_b32_e32 v36, s20
	s_waitcnt lgkmcnt(4)
	v_fma_f64 v[28:29], -v[12:13], v[48:49], v[28:29]
	v_fma_f64 v[22:23], -v[10:11], v[34:35], v[22:23]
	ds_read2_b64 v[34:37], v36 offset1:1
	s_waitcnt lgkmcnt(4)
	v_fma_f64 v[28:29], -v[20:21], v[52:53], v[28:29]
	s_add_i32 s20, s21, s19
	s_waitcnt lgkmcnt(3)
	v_fma_f64 v[28:29], -v[18:19], v[56:57], v[28:29]
	v_mov_b32_e32 v40, s20
	s_waitcnt lgkmcnt(2)
	v_fma_f64 v[28:29], -v[24:25], v[60:61], v[28:29]
	v_fma_f64 v[22:23], -v[8:9], v[38:39], v[22:23]
	ds_read2_b64 v[38:41], v40 offset1:1
	s_waitcnt lgkmcnt(2)
	v_fma_f64 v[28:29], -v[26:27], v[64:65], v[28:29]
	s_add_i32 s20, s6, 0xfffff9c0
	s_waitcnt lgkmcnt(1)
	v_fma_f64 v[28:29], -v[30:31], v[36:37], v[28:29]
	s_add_i32 s21, s21, s20
	v_fma_f64 v[36:37], -v[14:15], v[42:43], v[22:23]
	v_mov_b32_e32 v44, s21
	v_fma_f64 v[36:37], -v[12:13], v[46:47], v[36:37]
	ds_read2_b64 v[42:45], v44 offset1:1
	s_add_i32 s21, s23, 0xfffff920
	v_fma_f64 v[36:37], -v[20:21], v[50:51], v[36:37]
	s_waitcnt lgkmcnt(1)
	v_fma_f64 v[22:23], -v[32:33], v[40:41], v[28:29]
	v_mov_b32_e32 v28, s21
	v_fma_f64 v[36:37], -v[18:19], v[54:55], v[36:37]
	ds_read_b64 v[28:29], v28
	v_fma_f64 v[36:37], -v[24:25], v[58:59], v[36:37]
	v_fma_f64 v[36:37], -v[26:27], v[62:63], v[36:37]
	;; [unrolled: 1-line block ×3, first 2 shown]
	s_waitcnt lgkmcnt(1)
	v_mul_f64 v[22:23], v[44:45], v[22:23]
	v_fma_f64 v[34:35], -v[32:33], v[38:39], v[34:35]
	s_add_i32 s23, s7, 0xffffff98
	v_fma_f64 v[34:35], -v[22:23], v[42:43], v[34:35]
	s_add_i32 s24, s23, s6
	s_waitcnt lgkmcnt(0)
	v_mul_f64 v[28:29], v[28:29], v[34:35]
	v_mov_b32_e32 v34, s24
	ds_read2_b64 v[34:37], v34 offset1:1
	s_add_i32 s21, s6, 0xfffff920
	v_add_u32_e32 v38, s21, v1
	s_add_i32 s25, s23, s8
	v_add_u32_e32 v40, s20, v1
	ds_write_b64 v38, v[28:29]
	v_mov_b32_e32 v38, s25
	s_add_i32 s25, s23, s9
	ds_write_b64 v40, v[22:23]
	ds_read2_b64 v[38:41], v38 offset1:1
	s_waitcnt lgkmcnt(3)
	v_fma_f64 v[16:17], -v[10:11], v[36:37], v[16:17]
	v_mov_b32_e32 v36, s25
	s_add_i32 s25, s23, s12
	ds_read2_b64 v[42:45], v36 offset1:1
	v_mov_b32_e32 v36, s25
	s_add_i32 s25, s23, s13
	ds_read2_b64 v[46:49], v36 offset1:1
	;; [unrolled: 3-line block ×4, first 2 shown]
	v_mov_b32_e32 v36, s25
	s_add_i32 s25, s23, s17
	s_waitcnt lgkmcnt(4)
	v_fma_f64 v[16:17], -v[8:9], v[40:41], v[16:17]
	v_mov_b32_e32 v37, s25
	s_add_i32 s25, s23, s18
	s_waitcnt lgkmcnt(3)
	v_fma_f64 v[16:17], -v[14:15], v[44:45], v[16:17]
	ds_read2_b64 v[58:61], v36 offset1:1
	ds_read2_b64 v[62:65], v37 offset1:1
	v_mov_b32_e32 v36, s25
	s_add_i32 s25, s23, s19
	s_waitcnt lgkmcnt(4)
	v_fma_f64 v[16:17], -v[12:13], v[48:49], v[16:17]
	v_mov_b32_e32 v40, s25
	v_fma_f64 v[6:7], -v[10:11], v[34:35], v[6:7]
	s_waitcnt lgkmcnt(3)
	v_fma_f64 v[16:17], -v[20:21], v[52:53], v[16:17]
	v_fma_f64 v[6:7], -v[8:9], v[38:39], v[6:7]
	ds_read2_b64 v[34:37], v36 offset1:1
	ds_read2_b64 v[38:41], v40 offset1:1
	s_waitcnt lgkmcnt(4)
	v_fma_f64 v[16:17], -v[18:19], v[56:57], v[16:17]
	s_waitcnt lgkmcnt(3)
	v_fma_f64 v[16:17], -v[24:25], v[60:61], v[16:17]
	;; [unrolled: 2-line block ×3, first 2 shown]
	s_add_i32 s25, s23, s20
	s_waitcnt lgkmcnt(1)
	v_fma_f64 v[16:17], -v[30:31], v[36:37], v[16:17]
	v_mov_b32_e32 v36, s25
	v_fma_f64 v[6:7], -v[14:15], v[42:43], v[6:7]
	s_add_i32 s25, s23, s21
	s_waitcnt lgkmcnt(0)
	v_fma_f64 v[16:17], -v[32:33], v[40:41], v[16:17]
	ds_read2_b64 v[40:43], v36 offset1:1
	v_mov_b32_e32 v36, s25
	v_fma_f64 v[6:7], -v[12:13], v[46:47], v[6:7]
	s_add_i32 s25, s6, 0xfffff880
	s_add_i32 s23, s23, s25
	v_fma_f64 v[6:7], -v[20:21], v[50:51], v[6:7]
	ds_read2_b64 v[44:47], v36 offset1:1
	v_mov_b32_e32 v36, s23
	v_fma_f64 v[6:7], -v[18:19], v[54:55], v[6:7]
	ds_read2_b64 v[48:51], v36 offset1:1
	s_add_i32 s23, s24, 0xfffff7e0
	v_fma_f64 v[6:7], -v[24:25], v[58:59], v[6:7]
	v_mov_b32_e32 v36, s23
	v_fma_f64 v[6:7], -v[26:27], v[62:63], v[6:7]
	ds_read_b64 v[36:37], v36
	v_fma_f64 v[6:7], -v[30:31], v[34:35], v[6:7]
	s_waitcnt lgkmcnt(3)
	v_fma_f64 v[16:17], -v[22:23], v[42:43], v[16:17]
	v_fma_f64 v[6:7], -v[32:33], v[38:39], v[6:7]
	s_waitcnt lgkmcnt(2)
	v_fma_f64 v[16:17], -v[28:29], v[46:47], v[16:17]
	v_fma_f64 v[6:7], -v[22:23], v[40:41], v[6:7]
	s_waitcnt lgkmcnt(1)
	v_mul_f64 v[16:17], v[50:51], v[16:17]
	v_fma_f64 v[6:7], -v[28:29], v[44:45], v[6:7]
	s_addk_i32 s7, 0xff88
	v_fma_f64 v[6:7], -v[16:17], v[48:49], v[6:7]
	s_add_i32 s24, s7, s6
	s_waitcnt lgkmcnt(0)
	v_mul_f64 v[64:65], v[36:37], v[6:7]
	v_mov_b32_e32 v7, s24
	ds_read2_b64 v[34:37], v7 offset1:1
	s_add_i32 s23, s6, 0xfffff7e0
	v_add_u32_e32 v42, s25, v1
	v_add_u32_e32 v6, s23, v1
	s_add_i32 s8, s7, s8
	ds_write_b64 v42, v[16:17]
	ds_write_b64 v6, v[64:65]
	v_mov_b32_e32 v6, s8
	s_add_i32 s8, s7, s9
	ds_read2_b64 v[38:41], v6 offset1:1
	s_waitcnt lgkmcnt(3)
	v_fma_f64 v[36:37], -v[10:11], v[36:37], v[4:5]
	v_mov_b32_e32 v4, s8
	ds_read2_b64 v[4:7], v4 offset1:1
	s_add_i32 s8, s7, s12
	s_waitcnt lgkmcnt(1)
	v_fma_f64 v[36:37], -v[8:9], v[40:41], v[36:37]
	v_mov_b32_e32 v40, s8
	s_add_i32 s8, s7, s13
	ds_read2_b64 v[40:43], v40 offset1:1
	s_waitcnt lgkmcnt(1)
	v_fma_f64 v[6:7], -v[14:15], v[6:7], v[36:37]
	v_mov_b32_e32 v36, s8
	s_add_i32 s8, s7, s14
	ds_read2_b64 v[44:47], v36 offset1:1
	v_mov_b32_e32 v36, s8
	s_add_i32 s8, s7, s15
	ds_read2_b64 v[48:51], v36 offset1:1
	v_mov_b32_e32 v36, s8
	ds_read2_b64 v[52:55], v36 offset1:1
	s_waitcnt lgkmcnt(3)
	v_fma_f64 v[6:7], -v[12:13], v[42:43], v[6:7]
	s_waitcnt lgkmcnt(2)
	v_fma_f64 v[6:7], -v[20:21], v[46:47], v[6:7]
	s_add_i32 s8, s7, s17
	s_waitcnt lgkmcnt(1)
	v_fma_f64 v[6:7], -v[18:19], v[50:51], v[6:7]
	v_mov_b32_e32 v36, s8
	s_add_i32 s8, s7, s18
	ds_read2_b64 v[56:59], v36 offset1:1
	s_waitcnt lgkmcnt(1)
	v_fma_f64 v[42:43], -v[24:25], v[54:55], v[6:7]
	v_mov_b32_e32 v6, s8
	s_add_i32 s8, s7, s19
	v_mov_b32_e32 v7, s8
	s_add_i32 s8, s7, s20
	v_fma_f64 v[2:3], -v[10:11], v[34:35], v[2:3]
	ds_read2_b64 v[34:37], v6 offset1:1
	ds_read2_b64 v[60:63], v7 offset1:1
	v_mov_b32_e32 v6, s8
	s_add_i32 s8, s7, s21
	v_fma_f64 v[2:3], -v[8:9], v[38:39], v[2:3]
	v_mov_b32_e32 v7, s8
	v_fma_f64 v[14:15], -v[14:15], v[4:5], v[2:3]
	ds_read2_b64 v[2:5], v6 offset1:1
	ds_read2_b64 v[6:9], v7 offset1:1
	s_waitcnt lgkmcnt(4)
	v_fma_f64 v[10:11], -v[26:27], v[58:59], v[42:43]
	s_waitcnt lgkmcnt(3)
	v_fma_f64 v[10:11], -v[30:31], v[36:37], v[10:11]
	;; [unrolled: 2-line block ×4, first 2 shown]
	s_add_i32 s8, s7, s25
	s_waitcnt lgkmcnt(0)
	v_fma_f64 v[4:5], -v[28:29], v[8:9], v[4:5]
	v_mov_b32_e32 v8, s8
	ds_read2_b64 v[8:11], v8 offset1:1
	s_add_i32 s8, s7, s23
	v_mov_b32_e32 v38, s8
	v_fma_f64 v[36:37], -v[12:13], v[40:41], v[14:15]
	ds_read2_b64 v[12:15], v38 offset1:1
	s_waitcnt lgkmcnt(1)
	v_fma_f64 v[4:5], -v[16:17], v[10:11], v[4:5]
	v_fma_f64 v[10:11], -v[20:21], v[44:45], v[36:37]
	s_addk_i32 s6, 0xf740
	v_fma_f64 v[10:11], -v[18:19], v[48:49], v[10:11]
	s_add_i32 s7, s7, s6
	v_fma_f64 v[10:11], -v[24:25], v[52:53], v[10:11]
	v_mov_b32_e32 v38, s7
	v_fma_f64 v[10:11], -v[26:27], v[56:57], v[10:11]
	ds_read2_b64 v[36:39], v38 offset1:1
	s_add_i32 s7, s24, 0xfffff6a0
	v_fma_f64 v[10:11], -v[30:31], v[34:35], v[10:11]
	s_waitcnt lgkmcnt(1)
	v_fma_f64 v[4:5], -v[64:65], v[14:15], v[4:5]
	v_mov_b32_e32 v14, s7
	v_fma_f64 v[10:11], -v[32:33], v[60:61], v[10:11]
	ds_read_b64 v[14:15], v14
	v_fma_f64 v[2:3], -v[22:23], v[2:3], v[10:11]
	v_fma_f64 v[2:3], -v[28:29], v[6:7], v[2:3]
	;; [unrolled: 1-line block ×3, first 2 shown]
	s_waitcnt lgkmcnt(1)
	v_mul_f64 v[4:5], v[38:39], v[4:5]
	v_fma_f64 v[2:3], -v[64:65], v[12:13], v[2:3]
	v_add_u32_e32 v20, s6, v1
	v_fma_f64 v[2:3], -v[4:5], v[36:37], v[2:3]
	ds_write_b64 v20, v[4:5]
	s_waitcnt lgkmcnt(1)
	v_mul_f64 v[2:3], v[14:15], v[2:3]
	v_add_u32_e32 v4, 0xffffff60, v20
	s_add_i32 s5, s5, -16
	ds_write_b64 v4, v[2:3]
.LBB87_33:
	s_cmp_lt_i32 s5, 0
	s_cbranch_scc1 .LBB87_50
; %bb.34:
	s_and_b32 s6, s5, 3
	s_cmp_eq_u32 s6, 3
	s_mul_i32 s7, s22, 0xa0
	s_mov_b32 s6, s5
	s_cbranch_scc1 .LBB87_39
; %bb.35:
	s_add_i32 s6, s5, 1
	s_and_b32 s8, s6, 3
	s_lshl_b32 s6, s5, 3
	s_add_i32 s6, s7, s6
	v_lshl_add_u32 v2, v0, 3, s7
	s_add_i32 s9, s6, 0xffffff60
	v_add_u32_e32 v4, 0xbe0, v2
	s_mov_b32 s12, 0
	s_mov_b32 s6, s5
	s_branch .LBB87_37
.LBB87_36:                              ;   in Loop: Header=BB87_37 Depth=1
	s_mul_i32 s13, s6, 0xa8
	v_mov_b32_e32 v6, s13
	ds_read_b64 v[6:7], v6
	s_add_i32 s6, s6, -1
	s_add_i32 s12, s12, 1
	s_add_i32 s9, s9, -8
	s_cmp_lg_u32 s12, s8
	s_waitcnt lgkmcnt(0)
	v_mul_f64 v[2:3], v[6:7], v[2:3]
	ds_write_b64 v5, v[2:3]
	s_cbranch_scc0 .LBB87_39
.LBB87_37:                              ; =>This Loop Header: Depth=1
                                        ;     Child Loop BB87_38 Depth 2
	s_mul_i32 s13, s6, 0xa0
	v_add_u32_e32 v5, s13, v1
	ds_read_b64 v[2:3], v5
	s_cmp_le_i32 s4, s6
	v_mov_b32_e32 v6, v4
	s_mov_b32 s13, s9
	s_mov_b32 s14, s4
	s_cbranch_scc1 .LBB87_36
.LBB87_38:                              ;   Parent Loop BB87_37 Depth=1
                                        ; =>  This Inner Loop Header: Depth=2
	v_mov_b32_e32 v7, s13
	ds_read_b64 v[8:9], v6
	ds_read_b64 v[10:11], v7
	s_add_i32 s14, s14, -1
	s_addk_i32 s13, 0xff60
	v_add_u32_e32 v6, 0xffffff60, v6
	s_cmp_gt_i32 s14, s6
	s_waitcnt lgkmcnt(0)
	v_fma_f64 v[2:3], -v[8:9], v[10:11], v[2:3]
	s_cbranch_scc1 .LBB87_38
	s_branch .LBB87_36
.LBB87_39:
	s_cmp_lt_u32 s5, 3
	s_cbranch_scc1 .LBB87_50
; %bb.40:
	s_lshl_b32 s5, s6, 3
	s_add_i32 s9, s7, s5
	v_lshl_add_u32 v2, v0, 3, s7
	s_add_i32 s5, s9, 0xffffff60
	v_add_u32_e32 v6, 0xbe0, v2
	s_add_i32 s7, s9, 0xffffff58
	s_add_i32 s8, s9, 0xffffff50
	s_addk_i32 s9, 0xff48
	s_branch .LBB87_42
.LBB87_41:                              ;   in Loop: Header=BB87_42 Depth=1
	s_add_i32 s12, s13, 0xffffff58
	v_mov_b32_e32 v2, s12
	ds_read_b64 v[2:3], v2
	s_add_i32 s12, s6, -4
	s_sub_i32 s5, s5, 32
	s_sub_i32 s7, s7, 32
	;; [unrolled: 1-line block ×4, first 2 shown]
	s_waitcnt lgkmcnt(0)
	v_mul_f64 v[2:3], v[2:3], v[4:5]
	s_cmp_lt_i32 s6, 4
	s_mov_b32 s6, s12
	ds_write_b64 v7, v[2:3]
	s_cbranch_scc1 .LBB87_50
.LBB87_42:                              ; =>This Loop Header: Depth=1
                                        ;     Child Loop BB87_43 Depth 2
                                        ;     Child Loop BB87_45 Depth 2
	;; [unrolled: 1-line block ×4, first 2 shown]
	s_mul_i32 s12, s6, 0xa0
	v_add_u32_e32 v8, s12, v1
	ds_read_b64 v[2:3], v8
	s_cmp_le_i32 s4, s6
	v_mov_b32_e32 v4, v6
	s_mov_b32 s13, s5
	s_mov_b32 s14, s4
	s_cbranch_scc1 .LBB87_44
.LBB87_43:                              ;   Parent Loop BB87_42 Depth=1
                                        ; =>  This Inner Loop Header: Depth=2
	v_mov_b32_e32 v5, s13
	ds_read_b64 v[10:11], v4
	ds_read_b64 v[12:13], v5
	s_add_i32 s14, s14, -1
	s_addk_i32 s13, 0xff60
	v_add_u32_e32 v4, 0xffffff60, v4
	s_cmp_gt_i32 s14, s6
	s_waitcnt lgkmcnt(0)
	v_fma_f64 v[2:3], -v[10:11], v[12:13], v[2:3]
	s_cbranch_scc1 .LBB87_43
.LBB87_44:                              ;   in Loop: Header=BB87_42 Depth=1
	s_mul_i32 s13, s6, 0xa8
	v_mov_b32_e32 v4, s13
	ds_read_b64 v[10:11], v4
	s_addk_i32 s12, 0xff60
	v_add_u32_e32 v7, s12, v1
	ds_read_b64 v[4:5], v7
	s_cmp_le_i32 s22, s6
	s_waitcnt lgkmcnt(1)
	v_mul_f64 v[2:3], v[10:11], v[2:3]
	ds_write_b64 v8, v[2:3]
	v_mov_b32_e32 v2, v6
	s_mov_b32 s14, s7
	s_mov_b32 s15, s22
	s_cbranch_scc1 .LBB87_46
.LBB87_45:                              ;   Parent Loop BB87_42 Depth=1
                                        ; =>  This Inner Loop Header: Depth=2
	v_mov_b32_e32 v3, s14
	ds_read_b64 v[8:9], v2
	ds_read_b64 v[10:11], v3
	s_add_i32 s15, s15, -1
	s_addk_i32 s14, 0xff60
	v_add_u32_e32 v2, 0xffffff60, v2
	s_cmp_gt_i32 s15, s6
	s_waitcnt lgkmcnt(0)
	v_fma_f64 v[4:5], -v[8:9], v[10:11], v[4:5]
	s_cbranch_scc1 .LBB87_45
.LBB87_46:                              ;   in Loop: Header=BB87_42 Depth=1
	s_addk_i32 s13, 0xff58
	v_mov_b32_e32 v2, s13
	ds_read_b64 v[10:11], v2
	s_addk_i32 s12, 0xff60
	v_add_u32_e32 v8, s12, v1
	ds_read_b64 v[2:3], v8
	s_add_i32 s14, s6, -2
	s_waitcnt lgkmcnt(1)
	v_mul_f64 v[4:5], v[10:11], v[4:5]
	ds_write_b64 v7, v[4:5]
	s_cmp_le_i32 s4, s14
	v_mov_b32_e32 v4, v6
	s_mov_b32 s15, s8
	s_mov_b32 s17, s4
	s_cbranch_scc1 .LBB87_48
.LBB87_47:                              ;   Parent Loop BB87_42 Depth=1
                                        ; =>  This Inner Loop Header: Depth=2
	v_mov_b32_e32 v5, s15
	ds_read_b64 v[10:11], v4
	ds_read_b64 v[12:13], v5
	s_add_i32 s17, s17, -1
	s_addk_i32 s15, 0xff60
	v_add_u32_e32 v4, 0xffffff60, v4
	s_cmp_gt_i32 s17, s14
	s_waitcnt lgkmcnt(0)
	v_fma_f64 v[2:3], -v[10:11], v[12:13], v[2:3]
	s_cbranch_scc1 .LBB87_47
.LBB87_48:                              ;   in Loop: Header=BB87_42 Depth=1
	s_addk_i32 s13, 0xff58
	v_mov_b32_e32 v4, s13
	ds_read_b64 v[10:11], v4
	s_addk_i32 s12, 0xff60
	v_add_u32_e32 v7, s12, v1
	ds_read_b64 v[4:5], v7
	s_add_i32 s14, s6, -3
	s_waitcnt lgkmcnt(1)
	v_mul_f64 v[2:3], v[10:11], v[2:3]
	ds_write_b64 v8, v[2:3]
	s_cmp_le_i32 s4, s14
	v_mov_b32_e32 v2, v6
	s_mov_b32 s12, s9
	s_mov_b32 s15, s4
	s_cbranch_scc1 .LBB87_41
.LBB87_49:                              ;   Parent Loop BB87_42 Depth=1
                                        ; =>  This Inner Loop Header: Depth=2
	v_mov_b32_e32 v3, s12
	ds_read_b64 v[8:9], v2
	ds_read_b64 v[10:11], v3
	s_add_i32 s15, s15, -1
	s_addk_i32 s12, 0xff60
	v_add_u32_e32 v2, 0xffffff60, v2
	s_cmp_gt_i32 s15, s14
	s_waitcnt lgkmcnt(0)
	v_fma_f64 v[4:5], -v[8:9], v[10:11], v[4:5]
	s_cbranch_scc1 .LBB87_49
	s_branch .LBB87_41
.LBB87_50:
	s_waitcnt lgkmcnt(0)
	; wave barrier
	s_and_saveexec_b64 s[4:5], s[0:1]
	s_cbranch_execz .LBB87_54
; %bb.51:
	s_andn2_b64 vcc, exec, s[10:11]
	s_cbranch_vccnz .LBB87_54
; %bb.52:
	v_mad_i64_i32 v[2:3], s[0:1], s16, v0, 0
	v_mov_b32_e32 v1, 0xc80
	v_lshl_add_u64 v[2:3], v[2:3], 3, s[2:3]
	v_lshl_add_u32 v0, v0, 3, v1
.LBB87_53:                              ; =>This Inner Loop Header: Depth=1
	ds_read_b64 v[4:5], v0
	s_add_i32 s22, s22, -1
	v_add_u32_e32 v0, 0xa0, v0
	s_cmp_lg_u32 s22, 0
	s_waitcnt lgkmcnt(0)
	flat_store_dwordx2 v[2:3], v[4:5]
	v_lshl_add_u64 v[2:3], v[2:3], 0, 8
	s_cbranch_scc1 .LBB87_53
.LBB87_54:
	s_endpgm
	.section	.rodata,"a",@progbits
	.p2align	6, 0x0
	.amdhsa_kernel _ZL38rocblas_trsm_small_left_device_sharedBILi20ELi20ELb0EddPKPKdPKPdEv13rocblas_fill_18rocblas_operation_17rocblas_diagonal_iiT3_T4_lilT5_lili
		.amdhsa_group_segment_fixed_size 6400
		.amdhsa_private_segment_fixed_size 0
		.amdhsa_kernarg_size 360
		.amdhsa_user_sgpr_count 2
		.amdhsa_user_sgpr_dispatch_ptr 0
		.amdhsa_user_sgpr_queue_ptr 0
		.amdhsa_user_sgpr_kernarg_segment_ptr 1
		.amdhsa_user_sgpr_dispatch_id 0
		.amdhsa_user_sgpr_kernarg_preload_length 0
		.amdhsa_user_sgpr_kernarg_preload_offset 0
		.amdhsa_user_sgpr_private_segment_size 0
		.amdhsa_uses_dynamic_stack 0
		.amdhsa_enable_private_segment 0
		.amdhsa_system_sgpr_workgroup_id_x 1
		.amdhsa_system_sgpr_workgroup_id_y 0
		.amdhsa_system_sgpr_workgroup_id_z 1
		.amdhsa_system_sgpr_workgroup_info 0
		.amdhsa_system_vgpr_workitem_id 0
		.amdhsa_next_free_vgpr 82
		.amdhsa_next_free_sgpr 75
		.amdhsa_accum_offset 84
		.amdhsa_reserve_vcc 1
		.amdhsa_float_round_mode_32 0
		.amdhsa_float_round_mode_16_64 0
		.amdhsa_float_denorm_mode_32 3
		.amdhsa_float_denorm_mode_16_64 3
		.amdhsa_dx10_clamp 1
		.amdhsa_ieee_mode 1
		.amdhsa_fp16_overflow 0
		.amdhsa_tg_split 0
		.amdhsa_exception_fp_ieee_invalid_op 0
		.amdhsa_exception_fp_denorm_src 0
		.amdhsa_exception_fp_ieee_div_zero 0
		.amdhsa_exception_fp_ieee_overflow 0
		.amdhsa_exception_fp_ieee_underflow 0
		.amdhsa_exception_fp_ieee_inexact 0
		.amdhsa_exception_int_div_zero 0
	.end_amdhsa_kernel
	.section	.text._ZL38rocblas_trsm_small_left_device_sharedBILi20ELi20ELb0EddPKPKdPKPdEv13rocblas_fill_18rocblas_operation_17rocblas_diagonal_iiT3_T4_lilT5_lili,"axG",@progbits,_ZL38rocblas_trsm_small_left_device_sharedBILi20ELi20ELb0EddPKPKdPKPdEv13rocblas_fill_18rocblas_operation_17rocblas_diagonal_iiT3_T4_lilT5_lili,comdat
.Lfunc_end87:
	.size	_ZL38rocblas_trsm_small_left_device_sharedBILi20ELi20ELb0EddPKPKdPKPdEv13rocblas_fill_18rocblas_operation_17rocblas_diagonal_iiT3_T4_lilT5_lili, .Lfunc_end87-_ZL38rocblas_trsm_small_left_device_sharedBILi20ELi20ELb0EddPKPKdPKPdEv13rocblas_fill_18rocblas_operation_17rocblas_diagonal_iiT3_T4_lilT5_lili
                                        ; -- End function
	.set _ZL38rocblas_trsm_small_left_device_sharedBILi20ELi20ELb0EddPKPKdPKPdEv13rocblas_fill_18rocblas_operation_17rocblas_diagonal_iiT3_T4_lilT5_lili.num_vgpr, 82
	.set _ZL38rocblas_trsm_small_left_device_sharedBILi20ELi20ELb0EddPKPKdPKPdEv13rocblas_fill_18rocblas_operation_17rocblas_diagonal_iiT3_T4_lilT5_lili.num_agpr, 0
	.set _ZL38rocblas_trsm_small_left_device_sharedBILi20ELi20ELb0EddPKPKdPKPdEv13rocblas_fill_18rocblas_operation_17rocblas_diagonal_iiT3_T4_lilT5_lili.numbered_sgpr, 26
	.set _ZL38rocblas_trsm_small_left_device_sharedBILi20ELi20ELb0EddPKPKdPKPdEv13rocblas_fill_18rocblas_operation_17rocblas_diagonal_iiT3_T4_lilT5_lili.num_named_barrier, 0
	.set _ZL38rocblas_trsm_small_left_device_sharedBILi20ELi20ELb0EddPKPKdPKPdEv13rocblas_fill_18rocblas_operation_17rocblas_diagonal_iiT3_T4_lilT5_lili.private_seg_size, 0
	.set _ZL38rocblas_trsm_small_left_device_sharedBILi20ELi20ELb0EddPKPKdPKPdEv13rocblas_fill_18rocblas_operation_17rocblas_diagonal_iiT3_T4_lilT5_lili.uses_vcc, 1
	.set _ZL38rocblas_trsm_small_left_device_sharedBILi20ELi20ELb0EddPKPKdPKPdEv13rocblas_fill_18rocblas_operation_17rocblas_diagonal_iiT3_T4_lilT5_lili.uses_flat_scratch, 0
	.set _ZL38rocblas_trsm_small_left_device_sharedBILi20ELi20ELb0EddPKPKdPKPdEv13rocblas_fill_18rocblas_operation_17rocblas_diagonal_iiT3_T4_lilT5_lili.has_dyn_sized_stack, 0
	.set _ZL38rocblas_trsm_small_left_device_sharedBILi20ELi20ELb0EddPKPKdPKPdEv13rocblas_fill_18rocblas_operation_17rocblas_diagonal_iiT3_T4_lilT5_lili.has_recursion, 0
	.set _ZL38rocblas_trsm_small_left_device_sharedBILi20ELi20ELb0EddPKPKdPKPdEv13rocblas_fill_18rocblas_operation_17rocblas_diagonal_iiT3_T4_lilT5_lili.has_indirect_call, 0
	.section	.AMDGPU.csdata,"",@progbits
; Kernel info:
; codeLenInByte = 14420
; TotalNumSgprs: 32
; NumVgprs: 82
; NumAgprs: 0
; TotalNumVgprs: 82
; ScratchSize: 0
; MemoryBound: 0
; FloatMode: 240
; IeeeMode: 1
; LDSByteSize: 6400 bytes/workgroup (compile time only)
; SGPRBlocks: 10
; VGPRBlocks: 10
; NumSGPRsForWavesPerEU: 81
; NumVGPRsForWavesPerEU: 82
; AccumOffset: 84
; Occupancy: 5
; WaveLimiterHint : 0
; COMPUTE_PGM_RSRC2:SCRATCH_EN: 0
; COMPUTE_PGM_RSRC2:USER_SGPR: 2
; COMPUTE_PGM_RSRC2:TRAP_HANDLER: 0
; COMPUTE_PGM_RSRC2:TGID_X_EN: 1
; COMPUTE_PGM_RSRC2:TGID_Y_EN: 0
; COMPUTE_PGM_RSRC2:TGID_Z_EN: 1
; COMPUTE_PGM_RSRC2:TIDIG_COMP_CNT: 0
; COMPUTE_PGM_RSRC3_GFX90A:ACCUM_OFFSET: 20
; COMPUTE_PGM_RSRC3_GFX90A:TG_SPLIT: 0
	.section	.text._ZL30rocblas_trsm_small_left_deviceILi20ELi20ELb0EddPKPKdPKPdEv13rocblas_fill_18rocblas_operation_17rocblas_diagonal_iiT3_T4_lilT5_lili,"axG",@progbits,_ZL30rocblas_trsm_small_left_deviceILi20ELi20ELb0EddPKPKdPKPdEv13rocblas_fill_18rocblas_operation_17rocblas_diagonal_iiT3_T4_lilT5_lili,comdat
	.globl	_ZL30rocblas_trsm_small_left_deviceILi20ELi20ELb0EddPKPKdPKPdEv13rocblas_fill_18rocblas_operation_17rocblas_diagonal_iiT3_T4_lilT5_lili ; -- Begin function _ZL30rocblas_trsm_small_left_deviceILi20ELi20ELb0EddPKPKdPKPdEv13rocblas_fill_18rocblas_operation_17rocblas_diagonal_iiT3_T4_lilT5_lili
	.p2align	8
	.type	_ZL30rocblas_trsm_small_left_deviceILi20ELi20ELb0EddPKPKdPKPdEv13rocblas_fill_18rocblas_operation_17rocblas_diagonal_iiT3_T4_lilT5_lili,@function
_ZL30rocblas_trsm_small_left_deviceILi20ELi20ELb0EddPKPKdPKPdEv13rocblas_fill_18rocblas_operation_17rocblas_diagonal_iiT3_T4_lilT5_lili: ; @_ZL30rocblas_trsm_small_left_deviceILi20ELi20ELb0EddPKPKdPKPdEv13rocblas_fill_18rocblas_operation_17rocblas_diagonal_iiT3_T4_lilT5_lili
; %bb.0:
	s_load_dwordx2 s[18:19], s[0:1], 0x28
	s_load_dwordx4 s[12:15], s[0:1], 0x40
	s_load_dwordx4 s[8:11], s[0:1], 0x4
	;; [unrolled: 1-line block ×3, first 2 shown]
	s_mov_b32 s16, s3
	s_mov_b32 s17, 0
	s_lshl_b64 s[20:21], s[16:17], 3
	s_waitcnt lgkmcnt(0)
	s_add_u32 s12, s12, s20
	s_addc_u32 s13, s13, s21
	s_load_dwordx2 s[12:13], s[12:13], 0x0
	s_min_i32 s22, s10, 20
	v_cmp_gt_i32_e32 vcc, s22, v0
	s_and_saveexec_b64 s[16:17], vcc
	s_cbranch_execz .LBB88_6
; %bb.1:
	s_load_dword s24, s[0:1], 0x30
	v_lshlrev_b32_e32 v2, 3, v0
	v_mov_b32_e32 v3, 0
	v_mov_b32_e32 v1, v2
	s_mov_b32 s3, s22
	s_waitcnt lgkmcnt(0)
	s_ashr_i32 s25, s24, 31
	s_add_u32 s6, s6, s20
	s_addc_u32 s7, s7, s21
	s_load_dwordx2 s[6:7], s[6:7], 0x0
	s_lshl_b64 s[18:19], s[18:19], 3
	s_waitcnt lgkmcnt(0)
	s_add_u32 s18, s6, s18
	s_addc_u32 s19, s7, s19
	s_lshl_b64 s[6:7], s[24:25], 3
	v_lshl_add_u64 v[4:5], s[18:19], 0, v[2:3]
.LBB88_2:                               ; =>This Inner Loop Header: Depth=1
	flat_load_dwordx2 v[6:7], v[4:5]
	s_add_i32 s3, s3, -1
	v_lshl_add_u64 v[4:5], v[4:5], 0, s[6:7]
	s_cmp_eq_u32 s3, 0
	s_waitcnt vmcnt(0) lgkmcnt(0)
	ds_write_b64 v1, v[6:7]
	v_add_u32_e32 v1, 0xa0, v1
	s_cbranch_scc0 .LBB88_2
; %bb.3:
	v_mul_u32_u24_e32 v1, 0xa0, v0
	s_cmpk_lg_i32 s9, 0x84
	v_mov_b64_e32 v[4:5], 1.0
	v_add_u32_e32 v1, v2, v1
	s_cbranch_scc0 .LBB88_5
; %bb.4:
	ds_read_b64 v[2:3], v1
	s_waitcnt lgkmcnt(0)
	v_div_scale_f64 v[4:5], s[6:7], v[2:3], v[2:3], 1.0
	v_rcp_f64_e32 v[6:7], v[4:5]
	v_div_scale_f64 v[8:9], vcc, 1.0, v[2:3], 1.0
	v_fma_f64 v[10:11], -v[4:5], v[6:7], 1.0
	v_fmac_f64_e32 v[6:7], v[6:7], v[10:11]
	v_fma_f64 v[10:11], -v[4:5], v[6:7], 1.0
	v_fmac_f64_e32 v[6:7], v[6:7], v[10:11]
	v_mul_f64 v[10:11], v[8:9], v[6:7]
	v_fma_f64 v[4:5], -v[4:5], v[10:11], v[8:9]
	v_div_fmas_f64 v[4:5], v[4:5], v[6:7], v[10:11]
	v_div_fixup_f64 v[4:5], v[4:5], v[2:3], 1.0
.LBB88_5:
	ds_write_b64 v1, v[4:5]
.LBB88_6:
	s_or_b64 exec, exec, s[16:17]
	s_load_dword s3, s[0:1], 0x68
	s_mul_i32 s6, s2, 0xffffffec
	s_add_i32 s6, s11, s6
	s_waitcnt lgkmcnt(0)
	; wave barrier
	s_add_i32 s3, s3, -1
	s_cmp_ge_u32 s2, s3
	s_cselect_b32 s3, s6, 20
	v_cmp_gt_i32_e32 vcc, s3, v0
	s_and_saveexec_b64 s[6:7], vcc
	s_cbranch_execz .LBB88_51
; %bb.7:
	s_load_dword s6, s[0:1], 0x50
	s_lshl_b64 s[0:1], s[14:15], 3
	s_add_u32 s0, s12, s0
	v_mad_u64_u32 v[0:1], s[2:3], s2, 20, v[0:1]
	s_addc_u32 s1, s13, s1
	s_waitcnt lgkmcnt(0)
	v_mad_i64_i32 v[0:1], s[2:3], s6, v0, 0
	v_lshl_add_u64 v[32:33], v[0:1], 3, s[0:1]
	s_cmpk_eq_i32 s8, 0x6f
	s_mov_b64 s[0:1], -1
	s_cbranch_scc1 .LBB88_25
; %bb.8:
	s_cmp_lt_i32 s10, 20
	s_cselect_b64 s[0:1], -1, 0
	s_cmp_gt_i32 s10, 19
	s_mov_b32 s2, 0
	s_cbranch_scc0 .LBB88_10
; %bb.9:
	flat_load_dwordx4 v[0:3], v[32:33]
	flat_load_dwordx4 v[4:7], v[32:33] offset:16
	flat_load_dwordx4 v[22:25], v[32:33] offset:32
	;; [unrolled: 1-line block ×3, first 2 shown]
	v_mov_b32_e32 v42, 0
	ds_read_b64 v[8:9], v42
	flat_load_dwordx4 v[34:37], v[32:33] offset:64
	s_mov_b32 s2, 20
	s_waitcnt vmcnt(0) lgkmcnt(0)
	v_mul_f64 v[0:1], s[4:5], v[0:1]
	v_mul_f64 v[20:21], v[8:9], v[0:1]
	flat_store_dwordx2 v[32:33], v[20:21]
	ds_read_b128 v[8:11], v42 offset:160
	s_waitcnt lgkmcnt(0)
	v_mul_f64 v[0:1], v[20:21], v[8:9]
	v_fma_f64 v[0:1], s[4:5], v[2:3], -v[0:1]
	v_mul_f64 v[14:15], v[10:11], v[0:1]
	flat_store_dwordx2 v[32:33], v[14:15] offset:8
	ds_read_b128 v[0:3], v42 offset:320
	ds_read_b64 v[8:9], v42 offset:336
	s_waitcnt lgkmcnt(0)
	v_mul_f64 v[0:1], v[20:21], v[0:1]
	v_fma_f64 v[0:1], s[4:5], v[4:5], -v[0:1]
	v_fma_f64 v[0:1], -v[14:15], v[2:3], v[0:1]
	v_mul_f64 v[12:13], v[8:9], v[0:1]
	flat_store_dwordx2 v[32:33], v[12:13] offset:16
	ds_read_b128 v[0:3], v42 offset:480
	ds_read_b128 v[8:11], v42 offset:496
	s_waitcnt lgkmcnt(0)
	v_mul_f64 v[0:1], v[20:21], v[0:1]
	v_fma_f64 v[0:1], s[4:5], v[6:7], -v[0:1]
	v_fma_f64 v[0:1], -v[14:15], v[2:3], v[0:1]
	v_fma_f64 v[0:1], -v[12:13], v[8:9], v[0:1]
	v_mul_f64 v[16:17], v[10:11], v[0:1]
	flat_store_dwordx2 v[32:33], v[16:17] offset:24
	ds_read_b128 v[0:3], v42 offset:640
	ds_read_b128 v[4:7], v42 offset:656
	ds_read_b64 v[8:9], v42 offset:672
	s_waitcnt lgkmcnt(0)
	v_mul_f64 v[0:1], v[20:21], v[0:1]
	v_fma_f64 v[0:1], s[4:5], v[22:23], -v[0:1]
	v_fma_f64 v[0:1], -v[14:15], v[2:3], v[0:1]
	v_fma_f64 v[0:1], -v[12:13], v[4:5], v[0:1]
	;; [unrolled: 1-line block ×3, first 2 shown]
	v_mul_f64 v[18:19], v[8:9], v[0:1]
	flat_load_dwordx4 v[8:11], v[32:33] offset:80
	s_nop 0
	flat_store_dwordx2 v[32:33], v[18:19] offset:32
	ds_read_b128 v[0:3], v42 offset:800
	ds_read_b128 v[4:7], v42 offset:816
	;; [unrolled: 1-line block ×3, first 2 shown]
	s_waitcnt lgkmcnt(0)
	v_mul_f64 v[0:1], v[20:21], v[0:1]
	v_fma_f64 v[0:1], s[4:5], v[24:25], -v[0:1]
	v_fma_f64 v[0:1], -v[14:15], v[2:3], v[0:1]
	v_fma_f64 v[0:1], -v[12:13], v[4:5], v[0:1]
	;; [unrolled: 1-line block ×4, first 2 shown]
	v_mul_f64 v[22:23], v[40:41], v[0:1]
	flat_store_dwordx2 v[32:33], v[22:23] offset:40
	ds_read_b128 v[0:3], v42 offset:960
	ds_read_b128 v[4:7], v42 offset:976
	;; [unrolled: 1-line block ×3, first 2 shown]
	ds_read_b64 v[24:25], v42 offset:1008
	s_waitcnt lgkmcnt(0)
	v_mul_f64 v[0:1], v[20:21], v[0:1]
	v_fma_f64 v[0:1], s[4:5], v[26:27], -v[0:1]
	v_fma_f64 v[0:1], -v[14:15], v[2:3], v[0:1]
	v_fma_f64 v[0:1], -v[12:13], v[4:5], v[0:1]
	;; [unrolled: 1-line block ×5, first 2 shown]
	v_mul_f64 v[24:25], v[24:25], v[0:1]
	flat_store_dwordx2 v[32:33], v[24:25] offset:48
	flat_load_dwordx4 v[0:3], v[32:33] offset:96
	ds_read_b128 v[4:7], v42 offset:1120
	ds_read_b128 v[38:41], v42 offset:1136
	;; [unrolled: 1-line block ×4, first 2 shown]
	s_waitcnt lgkmcnt(0)
	v_mul_f64 v[4:5], v[20:21], v[4:5]
	v_fma_f64 v[4:5], s[4:5], v[28:29], -v[4:5]
	v_fma_f64 v[4:5], -v[14:15], v[6:7], v[4:5]
	v_fma_f64 v[4:5], -v[12:13], v[38:39], v[4:5]
	;; [unrolled: 1-line block ×6, first 2 shown]
	v_mul_f64 v[26:27], v[50:51], v[4:5]
	flat_store_dwordx2 v[32:33], v[26:27] offset:56
	ds_read_b128 v[4:7], v42 offset:1280
	ds_read_b128 v[28:31], v42 offset:1296
	;; [unrolled: 1-line block ×4, first 2 shown]
	ds_read_b64 v[48:49], v42 offset:1344
	s_waitcnt lgkmcnt(0)
	v_mul_f64 v[4:5], v[20:21], v[4:5]
	v_fma_f64 v[4:5], s[4:5], v[34:35], -v[4:5]
	v_fma_f64 v[4:5], -v[14:15], v[6:7], v[4:5]
	v_fma_f64 v[4:5], -v[12:13], v[28:29], v[4:5]
	v_fma_f64 v[4:5], -v[16:17], v[30:31], v[4:5]
	v_fma_f64 v[4:5], -v[18:19], v[38:39], v[4:5]
	v_fma_f64 v[4:5], -v[22:23], v[40:41], v[4:5]
	v_fma_f64 v[4:5], -v[24:25], v[44:45], v[4:5]
	v_fma_f64 v[4:5], -v[26:27], v[46:47], v[4:5]
	v_mul_f64 v[28:29], v[48:49], v[4:5]
	flat_store_dwordx2 v[32:33], v[28:29] offset:64
	ds_read_b128 v[4:7], v42 offset:1440
	ds_read_b128 v[38:41], v42 offset:1456
	;; [unrolled: 1-line block ×4, first 2 shown]
	s_waitcnt lgkmcnt(0)
	v_mul_f64 v[4:5], v[20:21], v[4:5]
	v_fma_f64 v[4:5], s[4:5], v[36:37], -v[4:5]
	v_fma_f64 v[4:5], -v[14:15], v[6:7], v[4:5]
	v_fma_f64 v[4:5], -v[12:13], v[38:39], v[4:5]
	ds_read_b128 v[34:37], v42 offset:1504
	v_fma_f64 v[4:5], -v[16:17], v[40:41], v[4:5]
	v_fma_f64 v[4:5], -v[18:19], v[44:45], v[4:5]
	;; [unrolled: 1-line block ×5, first 2 shown]
	s_waitcnt lgkmcnt(0)
	v_fma_f64 v[4:5], -v[28:29], v[34:35], v[4:5]
	v_mul_f64 v[30:31], v[36:37], v[4:5]
	flat_load_dwordx4 v[4:7], v[32:33] offset:112
	s_nop 0
	flat_store_dwordx2 v[32:33], v[30:31] offset:72
	ds_read_b128 v[34:37], v42 offset:1600
	ds_read_b128 v[38:41], v42 offset:1616
	;; [unrolled: 1-line block ×4, first 2 shown]
	s_waitcnt lgkmcnt(0)
	v_mul_f64 v[34:35], v[20:21], v[34:35]
	s_waitcnt vmcnt(0)
	v_fma_f64 v[8:9], s[4:5], v[8:9], -v[34:35]
	v_fma_f64 v[8:9], -v[14:15], v[36:37], v[8:9]
	v_fma_f64 v[8:9], -v[12:13], v[38:39], v[8:9]
	ds_read_b128 v[34:37], v42 offset:1664
	ds_read_b64 v[38:39], v42 offset:1680
	v_fma_f64 v[8:9], -v[16:17], v[40:41], v[8:9]
	v_fma_f64 v[8:9], -v[18:19], v[44:45], v[8:9]
	;; [unrolled: 1-line block ×5, first 2 shown]
	s_waitcnt lgkmcnt(1)
	v_fma_f64 v[8:9], -v[28:29], v[34:35], v[8:9]
	v_fma_f64 v[8:9], -v[30:31], v[36:37], v[8:9]
	s_waitcnt lgkmcnt(0)
	v_mul_f64 v[34:35], v[38:39], v[8:9]
	flat_store_dwordx2 v[32:33], v[34:35] offset:80
	ds_read_b128 v[36:39], v42 offset:1760
	ds_read_b128 v[44:47], v42 offset:1776
	;; [unrolled: 1-line block ×3, first 2 shown]
	s_waitcnt lgkmcnt(0)
	v_mul_f64 v[8:9], v[20:21], v[36:37]
	v_fma_f64 v[36:37], s[4:5], v[10:11], -v[8:9]
	ds_read_b128 v[8:11], v42 offset:1808
	v_fma_f64 v[40:41], -v[14:15], v[38:39], v[36:37]
	v_fma_f64 v[40:41], -v[12:13], v[44:45], v[40:41]
	ds_read_b128 v[36:39], v42 offset:1824
	v_fma_f64 v[40:41], -v[16:17], v[46:47], v[40:41]
	v_fma_f64 v[40:41], -v[18:19], v[48:49], v[40:41]
	ds_read_b128 v[44:47], v42 offset:1840
	v_fma_f64 v[40:41], -v[22:23], v[50:51], v[40:41]
	s_waitcnt lgkmcnt(0)
	v_fma_f64 v[8:9], -v[24:25], v[8:9], v[40:41]
	v_fma_f64 v[8:9], -v[26:27], v[10:11], v[8:9]
	;; [unrolled: 1-line block ×5, first 2 shown]
	v_mul_f64 v[36:37], v[46:47], v[8:9]
	flat_store_dwordx2 v[32:33], v[36:37] offset:88
	ds_read_b128 v[8:11], v42 offset:1920
	ds_read_b128 v[38:41], v42 offset:1936
	;; [unrolled: 1-line block ×4, first 2 shown]
	s_waitcnt lgkmcnt(0)
	v_mul_f64 v[8:9], v[20:21], v[8:9]
	v_fma_f64 v[0:1], s[4:5], v[0:1], -v[8:9]
	v_fma_f64 v[0:1], -v[14:15], v[10:11], v[0:1]
	v_fma_f64 v[0:1], -v[12:13], v[38:39], v[0:1]
	ds_read_b128 v[8:11], v42 offset:1984
	v_fma_f64 v[0:1], -v[16:17], v[40:41], v[0:1]
	v_fma_f64 v[0:1], -v[18:19], v[44:45], v[0:1]
	ds_read_b128 v[38:41], v42 offset:2000
	v_fma_f64 v[0:1], -v[22:23], v[46:47], v[0:1]
	v_fma_f64 v[0:1], -v[24:25], v[48:49], v[0:1]
	ds_read_b64 v[44:45], v42 offset:2016
	v_fma_f64 v[0:1], -v[26:27], v[50:51], v[0:1]
	s_waitcnt lgkmcnt(0)
	v_fma_f64 v[0:1], -v[28:29], v[8:9], v[0:1]
	v_fma_f64 v[0:1], -v[30:31], v[10:11], v[0:1]
	;; [unrolled: 1-line block ×4, first 2 shown]
	v_mul_f64 v[38:39], v[44:45], v[0:1]
	flat_store_dwordx2 v[32:33], v[38:39] offset:96
	flat_load_dwordx4 v[8:11], v[32:33] offset:128
	ds_read_b128 v[44:47], v42 offset:2080
	ds_read_b128 v[48:51], v42 offset:2096
	s_waitcnt lgkmcnt(0)
	v_mul_f64 v[0:1], v[20:21], v[44:45]
	v_fma_f64 v[40:41], s[4:5], v[2:3], -v[0:1]
	ds_read_b128 v[0:3], v42 offset:2112
	v_fma_f64 v[40:41], -v[14:15], v[46:47], v[40:41]
	ds_read_b128 v[44:47], v42 offset:2128
	v_fma_f64 v[40:41], -v[12:13], v[48:49], v[40:41]
	v_fma_f64 v[40:41], -v[16:17], v[50:51], v[40:41]
	ds_read_b128 v[48:51], v42 offset:2144
	s_waitcnt lgkmcnt(0)
	v_fma_f64 v[0:1], -v[18:19], v[0:1], v[40:41]
	v_fma_f64 v[40:41], -v[22:23], v[2:3], v[0:1]
	ds_read_b128 v[0:3], v42 offset:2160
	v_fma_f64 v[40:41], -v[24:25], v[44:45], v[40:41]
	v_fma_f64 v[40:41], -v[26:27], v[46:47], v[40:41]
	ds_read_b128 v[44:47], v42 offset:2176
	v_fma_f64 v[40:41], -v[28:29], v[48:49], v[40:41]
	v_fma_f64 v[40:41], -v[30:31], v[50:51], v[40:41]
	s_waitcnt lgkmcnt(0)
	v_fma_f64 v[0:1], -v[34:35], v[0:1], v[40:41]
	v_fma_f64 v[0:1], -v[36:37], v[2:3], v[0:1]
	;; [unrolled: 1-line block ×3, first 2 shown]
	v_mul_f64 v[40:41], v[46:47], v[0:1]
	flat_store_dwordx2 v[32:33], v[40:41] offset:104
	ds_read_b128 v[0:3], v42 offset:2240
	ds_read_b128 v[44:47], v42 offset:2256
	;; [unrolled: 1-line block ×3, first 2 shown]
	s_waitcnt lgkmcnt(0)
	v_mul_f64 v[0:1], v[20:21], v[0:1]
	v_fma_f64 v[0:1], s[4:5], v[4:5], -v[0:1]
	v_fma_f64 v[4:5], -v[14:15], v[2:3], v[0:1]
	ds_read_b128 v[0:3], v42 offset:2288
	v_fma_f64 v[4:5], -v[12:13], v[44:45], v[4:5]
	v_fma_f64 v[4:5], -v[16:17], v[46:47], v[4:5]
	ds_read_b128 v[44:47], v42 offset:2304
	v_fma_f64 v[4:5], -v[18:19], v[48:49], v[4:5]
	v_fma_f64 v[4:5], -v[22:23], v[50:51], v[4:5]
	ds_read_b128 v[48:51], v42 offset:2320
	s_waitcnt lgkmcnt(0)
	v_fma_f64 v[0:1], -v[24:25], v[0:1], v[4:5]
	v_fma_f64 v[4:5], -v[26:27], v[2:3], v[0:1]
	ds_read_b128 v[0:3], v42 offset:2336
	v_fma_f64 v[4:5], -v[28:29], v[44:45], v[4:5]
	v_fma_f64 v[4:5], -v[30:31], v[46:47], v[4:5]
	ds_read_b64 v[44:45], v42 offset:2352
	v_fma_f64 v[4:5], -v[34:35], v[48:49], v[4:5]
	v_fma_f64 v[4:5], -v[36:37], v[50:51], v[4:5]
	s_waitcnt lgkmcnt(0)
	v_fma_f64 v[0:1], -v[38:39], v[0:1], v[4:5]
	v_fma_f64 v[0:1], -v[40:41], v[2:3], v[0:1]
	v_mul_f64 v[4:5], v[44:45], v[0:1]
	flat_store_dwordx2 v[32:33], v[4:5] offset:112
	ds_read_b128 v[0:3], v42 offset:2400
	ds_read_b128 v[44:47], v42 offset:2416
	;; [unrolled: 1-line block ×3, first 2 shown]
	s_waitcnt lgkmcnt(0)
	v_mul_f64 v[0:1], v[20:21], v[0:1]
	v_fma_f64 v[0:1], s[4:5], v[6:7], -v[0:1]
	v_fma_f64 v[6:7], -v[14:15], v[2:3], v[0:1]
	ds_read_b128 v[0:3], v42 offset:2448
	v_fma_f64 v[6:7], -v[12:13], v[44:45], v[6:7]
	v_fma_f64 v[6:7], -v[16:17], v[46:47], v[6:7]
	ds_read_b128 v[44:47], v42 offset:2464
	v_fma_f64 v[6:7], -v[18:19], v[48:49], v[6:7]
	v_fma_f64 v[6:7], -v[22:23], v[50:51], v[6:7]
	ds_read_b128 v[48:51], v42 offset:2480
	s_waitcnt lgkmcnt(0)
	v_fma_f64 v[0:1], -v[24:25], v[0:1], v[6:7]
	v_fma_f64 v[6:7], -v[26:27], v[2:3], v[0:1]
	ds_read_b128 v[0:3], v42 offset:2496
	v_fma_f64 v[6:7], -v[28:29], v[44:45], v[6:7]
	v_fma_f64 v[6:7], -v[30:31], v[46:47], v[6:7]
	ds_read_b128 v[44:47], v42 offset:2512
	v_fma_f64 v[6:7], -v[34:35], v[48:49], v[6:7]
	v_fma_f64 v[6:7], -v[36:37], v[50:51], v[6:7]
	s_waitcnt lgkmcnt(0)
	v_fma_f64 v[0:1], -v[38:39], v[0:1], v[6:7]
	v_fma_f64 v[0:1], -v[40:41], v[2:3], v[0:1]
	;; [unrolled: 1-line block ×3, first 2 shown]
	v_mul_f64 v[6:7], v[46:47], v[0:1]
	flat_load_dwordx4 v[0:3], v[32:33] offset:144
	s_nop 0
	flat_store_dwordx2 v[32:33], v[6:7] offset:120
	ds_read_b128 v[44:47], v42 offset:2560
	ds_read_b128 v[48:51], v42 offset:2576
	s_waitcnt lgkmcnt(0)
	v_mul_f64 v[44:45], v[20:21], v[44:45]
	s_waitcnt vmcnt(0)
	v_fma_f64 v[8:9], s[4:5], v[8:9], -v[44:45]
	v_fma_f64 v[8:9], -v[14:15], v[46:47], v[8:9]
	ds_read_b128 v[44:47], v42 offset:2592
	v_fma_f64 v[8:9], -v[12:13], v[48:49], v[8:9]
	v_fma_f64 v[8:9], -v[16:17], v[50:51], v[8:9]
	ds_read_b128 v[48:51], v42 offset:2608
	s_waitcnt lgkmcnt(1)
	v_fma_f64 v[8:9], -v[18:19], v[44:45], v[8:9]
	v_fma_f64 v[8:9], -v[22:23], v[46:47], v[8:9]
	ds_read_b128 v[44:47], v42 offset:2624
	s_waitcnt lgkmcnt(1)
	v_fma_f64 v[8:9], -v[24:25], v[48:49], v[8:9]
	v_fma_f64 v[8:9], -v[26:27], v[50:51], v[8:9]
	ds_read_b128 v[48:51], v42 offset:2640
	s_waitcnt lgkmcnt(1)
	v_fma_f64 v[8:9], -v[28:29], v[44:45], v[8:9]
	v_fma_f64 v[8:9], -v[30:31], v[46:47], v[8:9]
	ds_read_b128 v[44:47], v42 offset:2656
	s_waitcnt lgkmcnt(1)
	v_fma_f64 v[8:9], -v[34:35], v[48:49], v[8:9]
	v_fma_f64 v[8:9], -v[36:37], v[50:51], v[8:9]
	ds_read_b128 v[48:51], v42 offset:2672
	s_waitcnt lgkmcnt(1)
	v_fma_f64 v[8:9], -v[38:39], v[44:45], v[8:9]
	ds_read_b64 v[44:45], v42 offset:2688
	v_fma_f64 v[8:9], -v[40:41], v[46:47], v[8:9]
	s_waitcnt lgkmcnt(1)
	v_fma_f64 v[8:9], -v[4:5], v[48:49], v[8:9]
	v_fma_f64 v[8:9], -v[6:7], v[50:51], v[8:9]
	s_waitcnt lgkmcnt(0)
	v_mul_f64 v[8:9], v[44:45], v[8:9]
	flat_store_dwordx2 v[32:33], v[8:9] offset:128
	ds_read_b128 v[44:47], v42 offset:2720
	ds_read_b128 v[48:51], v42 offset:2736
	s_waitcnt lgkmcnt(0)
	v_mul_f64 v[44:45], v[20:21], v[44:45]
	v_fma_f64 v[10:11], s[4:5], v[10:11], -v[44:45]
	v_fma_f64 v[10:11], -v[14:15], v[46:47], v[10:11]
	ds_read_b128 v[44:47], v42 offset:2752
	v_fma_f64 v[10:11], -v[12:13], v[48:49], v[10:11]
	v_fma_f64 v[10:11], -v[16:17], v[50:51], v[10:11]
	ds_read_b128 v[48:51], v42 offset:2768
	s_waitcnt lgkmcnt(0)
	v_fma_f64 v[10:11], -v[18:19], v[44:45], v[10:11]
	v_fma_f64 v[10:11], -v[22:23], v[46:47], v[10:11]
	ds_read_b128 v[44:47], v42 offset:2784
	v_fma_f64 v[10:11], -v[24:25], v[48:49], v[10:11]
	v_fma_f64 v[10:11], -v[26:27], v[50:51], v[10:11]
	ds_read_b128 v[48:51], v42 offset:2800
	s_waitcnt lgkmcnt(0)
	v_fma_f64 v[10:11], -v[28:29], v[44:45], v[10:11]
	;; [unrolled: 7-line block ×3, first 2 shown]
	v_fma_f64 v[10:11], -v[40:41], v[46:47], v[10:11]
	ds_read_b128 v[44:47], v42 offset:2848
	v_fma_f64 v[10:11], -v[4:5], v[48:49], v[10:11]
	v_fma_f64 v[10:11], -v[6:7], v[50:51], v[10:11]
	s_waitcnt lgkmcnt(0)
	v_fma_f64 v[10:11], -v[8:9], v[44:45], v[10:11]
	v_mul_f64 v[52:53], v[46:47], v[10:11]
	flat_store_dwordx2 v[32:33], v[52:53] offset:136
	ds_read_b128 v[44:47], v42 offset:2880
	ds_read_b128 v[48:51], v42 offset:2896
	s_waitcnt lgkmcnt(0)
	v_mul_f64 v[10:11], v[20:21], v[44:45]
	v_fma_f64 v[0:1], s[4:5], v[0:1], -v[10:11]
	v_fma_f64 v[0:1], -v[14:15], v[46:47], v[0:1]
	ds_read_b128 v[44:47], v42 offset:2912
	v_fma_f64 v[0:1], -v[12:13], v[48:49], v[0:1]
	v_fma_f64 v[0:1], -v[16:17], v[50:51], v[0:1]
	ds_read_b128 v[48:51], v42 offset:2928
	ds_read_b64 v[10:11], v42 offset:3024
	s_waitcnt lgkmcnt(0)
	v_fma_f64 v[0:1], -v[18:19], v[44:45], v[0:1]
	v_fma_f64 v[0:1], -v[22:23], v[46:47], v[0:1]
	ds_read_b128 v[44:47], v42 offset:2944
	v_fma_f64 v[0:1], -v[24:25], v[48:49], v[0:1]
	v_fma_f64 v[0:1], -v[26:27], v[50:51], v[0:1]
	ds_read_b128 v[48:51], v42 offset:2960
	s_waitcnt lgkmcnt(0)
	v_fma_f64 v[0:1], -v[28:29], v[44:45], v[0:1]
	v_fma_f64 v[0:1], -v[30:31], v[46:47], v[0:1]
	ds_read_b128 v[44:47], v42 offset:2976
	v_fma_f64 v[0:1], -v[34:35], v[48:49], v[0:1]
	v_fma_f64 v[0:1], -v[36:37], v[50:51], v[0:1]
	ds_read_b128 v[48:51], v42 offset:2992
	s_waitcnt lgkmcnt(0)
	v_fma_f64 v[0:1], -v[38:39], v[44:45], v[0:1]
	v_fma_f64 v[0:1], -v[40:41], v[46:47], v[0:1]
	ds_read_b128 v[44:47], v42 offset:3008
	v_fma_f64 v[0:1], -v[4:5], v[48:49], v[0:1]
	v_fma_f64 v[0:1], -v[6:7], v[50:51], v[0:1]
	s_waitcnt lgkmcnt(0)
	v_fma_f64 v[0:1], -v[8:9], v[44:45], v[0:1]
	v_fma_f64 v[0:1], -v[52:53], v[46:47], v[0:1]
	v_mul_f64 v[54:55], v[10:11], v[0:1]
	flat_store_dwordx2 v[32:33], v[54:55] offset:144
	ds_read_b128 v[44:47], v42 offset:3040
	ds_read_b128 v[48:51], v42 offset:3056
	s_waitcnt lgkmcnt(0)
	v_mul_f64 v[0:1], v[20:21], v[44:45]
	v_fma_f64 v[10:11], s[4:5], v[2:3], -v[0:1]
	ds_read_b128 v[0:3], v42 offset:3072
	v_fma_f64 v[10:11], -v[14:15], v[46:47], v[10:11]
	ds_read_b128 v[44:47], v42 offset:3088
	v_fma_f64 v[14:15], -v[12:13], v[48:49], v[10:11]
	;; [unrolled: 2-line block ×3, first 2 shown]
	s_waitcnt lgkmcnt(0)
	v_fma_f64 v[0:1], -v[18:19], v[0:1], v[20:21]
	ds_read_b128 v[14:17], v42 offset:3120
	v_fma_f64 v[22:23], -v[22:23], v[2:3], v[0:1]
	v_fma_f64 v[44:45], -v[24:25], v[44:45], v[22:23]
	ds_read_b128 v[18:21], v42 offset:3136
	ds_read_b128 v[0:3], v42 offset:3152
	v_fma_f64 v[26:27], -v[26:27], v[46:47], v[44:45]
	v_fma_f64 v[10:11], -v[28:29], v[10:11], v[26:27]
	;; [unrolled: 1-line block ×3, first 2 shown]
	s_waitcnt lgkmcnt(0)
	v_fma_f64 v[10:11], -v[34:35], v[14:15], v[10:11]
	ds_read_b128 v[22:25], v42 offset:3168
	v_fma_f64 v[10:11], -v[36:37], v[16:17], v[10:11]
	v_fma_f64 v[10:11], -v[38:39], v[18:19], v[10:11]
	ds_read_b128 v[42:45], v42 offset:3184
	v_fma_f64 v[10:11], -v[40:41], v[20:21], v[10:11]
	v_fma_f64 v[0:1], -v[4:5], v[0:1], v[10:11]
	;; [unrolled: 1-line block ×3, first 2 shown]
	s_waitcnt lgkmcnt(0)
	v_fma_f64 v[0:1], -v[8:9], v[22:23], v[0:1]
	v_fma_f64 v[0:1], -v[52:53], v[24:25], v[0:1]
	;; [unrolled: 1-line block ×3, first 2 shown]
	v_mul_f64 v[0:1], v[44:45], v[0:1]
	flat_store_dwordx2 v[32:33], v[0:1] offset:152
.LBB88_10:
	s_cmp_lt_i32 s2, s22
	s_cbranch_scc0 .LBB88_24
; %bb.11:
	s_add_i32 s3, s2, 15
	s_cmp_ge_u32 s3, s22
	s_cbranch_scc1 .LBB88_19
; %bb.12:
	s_lshl_b32 s6, s2, 3
	s_mov_b32 s7, 0
	v_lshl_add_u64 v[34:35], v[32:33], 0, s[6:7]
	flat_load_dwordx4 v[0:3], v[34:35]
	flat_load_dwordx4 v[4:7], v[34:35] offset:16
	flat_load_dwordx4 v[8:11], v[34:35] offset:32
	;; [unrolled: 1-line block ×7, first 2 shown]
	s_andn2_b64 vcc, exec, s[0:1]
	s_cbranch_vccnz .LBB88_14
; %bb.13:
	s_mul_i32 s3, s2, 0xa0
	s_mov_b64 s[0:1], 0
	s_branch .LBB88_15
.LBB88_14:
	s_mov_b64 s[0:1], -1
                                        ; implicit-def: $sgpr3
.LBB88_15:
	s_waitcnt vmcnt(0) lgkmcnt(0)
	v_mul_f64 v[54:55], s[4:5], v[0:1]
	v_mul_f64 v[52:53], s[4:5], v[2:3]
	;; [unrolled: 1-line block ×15, first 2 shown]
	s_andn2_b64 vcc, exec, s[0:1]
	v_mul_f64 v[0:1], s[4:5], v[26:27]
	s_cbranch_vccnz .LBB88_18
; %bb.16:
	s_mul_i32 s3, s2, 0xa0
	s_mov_b32 s0, s2
	v_mov_b64_e32 v[12:13], v[32:33]
	s_mov_b32 s1, s3
.LBB88_17:                              ; =>This Inner Loop Header: Depth=1
	flat_load_dwordx4 v[14:17], v[12:13]
	v_mov_b32_e32 v30, s1
	ds_read_b128 v[18:21], v30
	ds_read_b128 v[22:25], v30 offset:160
	ds_read_b128 v[26:29], v30 offset:320
	s_add_i32 s1, s1, 16
	s_add_i32 s0, s0, -2
	v_lshl_add_u64 v[12:13], v[12:13], 0, 16
	s_cmp_lg_u32 s0, 0
	s_waitcnt vmcnt(0) lgkmcnt(0)
	v_fma_f64 v[18:19], -v[14:15], v[18:19], v[54:55]
	v_fma_f64 v[54:55], -v[16:17], v[20:21], v[18:19]
	ds_read_b128 v[18:21], v30 offset:480
	v_fma_f64 v[22:23], -v[14:15], v[22:23], v[52:53]
	v_fma_f64 v[52:53], -v[16:17], v[24:25], v[22:23]
	ds_read_b128 v[22:25], v30 offset:640
	v_fma_f64 v[26:27], -v[14:15], v[26:27], v[50:51]
	s_waitcnt lgkmcnt(1)
	v_fma_f64 v[18:19], -v[14:15], v[18:19], v[48:49]
	v_fma_f64 v[50:51], -v[16:17], v[28:29], v[26:27]
	ds_read_b128 v[26:29], v30 offset:800
	v_fma_f64 v[48:49], -v[16:17], v[20:21], v[18:19]
	ds_read_b128 v[18:21], v30 offset:960
	s_waitcnt lgkmcnt(2)
	v_fma_f64 v[22:23], -v[14:15], v[22:23], v[46:47]
	v_fma_f64 v[46:47], -v[16:17], v[24:25], v[22:23]
	ds_read_b128 v[22:25], v30 offset:1120
	s_waitcnt lgkmcnt(2)
	v_fma_f64 v[26:27], -v[14:15], v[26:27], v[44:45]
	s_waitcnt lgkmcnt(1)
	v_fma_f64 v[18:19], -v[14:15], v[18:19], v[42:43]
	v_fma_f64 v[44:45], -v[16:17], v[28:29], v[26:27]
	ds_read_b128 v[26:29], v30 offset:1280
	v_fma_f64 v[42:43], -v[16:17], v[20:21], v[18:19]
	ds_read_b128 v[18:21], v30 offset:1440
	s_waitcnt lgkmcnt(2)
	v_fma_f64 v[22:23], -v[14:15], v[22:23], v[40:41]
	v_fma_f64 v[40:41], -v[16:17], v[24:25], v[22:23]
	ds_read_b128 v[22:25], v30 offset:1600
	s_waitcnt lgkmcnt(2)
	v_fma_f64 v[26:27], -v[14:15], v[26:27], v[38:39]
	s_waitcnt lgkmcnt(1)
	v_fma_f64 v[18:19], -v[14:15], v[18:19], v[36:37]
	v_fma_f64 v[38:39], -v[16:17], v[28:29], v[26:27]
	ds_read_b128 v[26:29], v30 offset:1760
	v_fma_f64 v[36:37], -v[16:17], v[20:21], v[18:19]
	ds_read_b128 v[18:21], v30 offset:1920
	s_waitcnt lgkmcnt(2)
	v_fma_f64 v[10:11], -v[14:15], v[22:23], v[10:11]
	v_fma_f64 v[10:11], -v[16:17], v[24:25], v[10:11]
	s_waitcnt lgkmcnt(1)
	v_fma_f64 v[8:9], -v[14:15], v[26:27], v[8:9]
	ds_read_b128 v[22:25], v30 offset:2080
	s_waitcnt lgkmcnt(1)
	v_fma_f64 v[6:7], -v[14:15], v[18:19], v[6:7]
	v_fma_f64 v[8:9], -v[16:17], v[28:29], v[8:9]
	ds_read_b128 v[26:29], v30 offset:2240
	v_fma_f64 v[6:7], -v[16:17], v[20:21], v[6:7]
	ds_read_b128 v[18:21], v30 offset:2400
	s_waitcnt lgkmcnt(2)
	v_fma_f64 v[4:5], -v[14:15], v[22:23], v[4:5]
	v_fma_f64 v[4:5], -v[16:17], v[24:25], v[4:5]
	s_waitcnt lgkmcnt(1)
	v_fma_f64 v[2:3], -v[14:15], v[26:27], v[2:3]
	v_fma_f64 v[2:3], -v[16:17], v[28:29], v[2:3]
	;; [unrolled: 3-line block ×3, first 2 shown]
	s_cbranch_scc1 .LBB88_17
.LBB88_18:
	s_add_i32 s0, s6, s3
	v_mov_b32_e32 v57, s0
	ds_read_b64 v[12:13], v57
	s_or_b32 s0, s2, 1
	s_mulk_i32 s0, 0xa0
	s_add_i32 s0, s6, s0
	v_mov_b32_e32 v56, s0
	s_waitcnt lgkmcnt(0)
	v_mul_f64 v[12:13], v[12:13], v[54:55]
	flat_store_dwordx2 v[34:35], v[12:13]
	ds_read_b128 v[14:17], v56
	s_add_i32 s2, s2, 16
	s_waitcnt lgkmcnt(0)
	v_fma_f64 v[14:15], -v[12:13], v[14:15], v[52:53]
	v_mul_f64 v[14:15], v[16:17], v[14:15]
	flat_store_dwordx2 v[34:35], v[14:15] offset:8
	ds_read_b128 v[16:19], v56 offset:160
	ds_read_b64 v[20:21], v57 offset:336
	s_waitcnt lgkmcnt(0)
	v_fma_f64 v[16:17], -v[12:13], v[16:17], v[50:51]
	v_fma_f64 v[16:17], -v[14:15], v[18:19], v[16:17]
	v_mul_f64 v[16:17], v[20:21], v[16:17]
	flat_store_dwordx2 v[34:35], v[16:17] offset:16
	ds_read_b128 v[18:21], v56 offset:320
	ds_read_b128 v[22:25], v56 offset:336
	s_waitcnt lgkmcnt(0)
	v_fma_f64 v[18:19], -v[12:13], v[18:19], v[48:49]
	v_fma_f64 v[18:19], -v[14:15], v[20:21], v[18:19]
	;; [unrolled: 1-line block ×3, first 2 shown]
	v_mul_f64 v[18:19], v[24:25], v[18:19]
	flat_store_dwordx2 v[34:35], v[18:19] offset:24
	ds_read_b128 v[20:23], v56 offset:480
	ds_read_b128 v[24:27], v56 offset:496
	ds_read_b64 v[28:29], v57 offset:672
	s_waitcnt lgkmcnt(0)
	v_fma_f64 v[20:21], -v[12:13], v[20:21], v[46:47]
	v_fma_f64 v[20:21], -v[14:15], v[22:23], v[20:21]
	;; [unrolled: 1-line block ×4, first 2 shown]
	v_mul_f64 v[20:21], v[28:29], v[20:21]
	flat_store_dwordx2 v[34:35], v[20:21] offset:32
	ds_read_b128 v[22:25], v56 offset:640
	ds_read_b128 v[26:29], v56 offset:656
	ds_read_b128 v[46:49], v56 offset:672
	s_waitcnt lgkmcnt(0)
	v_fma_f64 v[22:23], -v[12:13], v[22:23], v[44:45]
	v_fma_f64 v[22:23], -v[14:15], v[24:25], v[22:23]
	;; [unrolled: 1-line block ×5, first 2 shown]
	v_mul_f64 v[22:23], v[48:49], v[22:23]
	flat_store_dwordx2 v[34:35], v[22:23] offset:40
	ds_read_b128 v[24:27], v56 offset:800
	ds_read_b128 v[28:31], v56 offset:816
	;; [unrolled: 1-line block ×3, first 2 shown]
	ds_read_b64 v[48:49], v57 offset:1008
	s_waitcnt lgkmcnt(0)
	v_fma_f64 v[24:25], -v[12:13], v[24:25], v[42:43]
	v_fma_f64 v[24:25], -v[14:15], v[26:27], v[24:25]
	;; [unrolled: 1-line block ×6, first 2 shown]
	v_mul_f64 v[24:25], v[48:49], v[24:25]
	flat_store_dwordx2 v[34:35], v[24:25] offset:48
	ds_read_b128 v[26:29], v56 offset:960
	ds_read_b128 v[42:45], v56 offset:976
	;; [unrolled: 1-line block ×4, first 2 shown]
	s_waitcnt lgkmcnt(0)
	v_fma_f64 v[26:27], -v[12:13], v[26:27], v[40:41]
	v_fma_f64 v[26:27], -v[14:15], v[28:29], v[26:27]
	;; [unrolled: 1-line block ×7, first 2 shown]
	v_mul_f64 v[26:27], v[52:53], v[26:27]
	flat_store_dwordx2 v[34:35], v[26:27] offset:56
	ds_read_b128 v[28:31], v56 offset:1120
	ds_read_b128 v[40:43], v56 offset:1136
	;; [unrolled: 1-line block ×4, first 2 shown]
	s_waitcnt lgkmcnt(0)
	v_fma_f64 v[28:29], -v[12:13], v[28:29], v[38:39]
	v_fma_f64 v[28:29], -v[14:15], v[30:31], v[28:29]
	;; [unrolled: 1-line block ×3, first 2 shown]
	ds_read_b64 v[30:31], v57 offset:1344
	v_fma_f64 v[28:29], -v[18:19], v[42:43], v[28:29]
	v_fma_f64 v[28:29], -v[20:21], v[44:45], v[28:29]
	;; [unrolled: 1-line block ×5, first 2 shown]
	s_waitcnt lgkmcnt(0)
	v_mul_f64 v[28:29], v[30:31], v[28:29]
	flat_store_dwordx2 v[34:35], v[28:29] offset:64
	ds_read_b128 v[38:41], v56 offset:1280
	ds_read_b128 v[42:45], v56 offset:1296
	;; [unrolled: 1-line block ×4, first 2 shown]
	s_waitcnt lgkmcnt(0)
	v_fma_f64 v[30:31], -v[12:13], v[38:39], v[36:37]
	v_fma_f64 v[30:31], -v[14:15], v[40:41], v[30:31]
	;; [unrolled: 1-line block ×3, first 2 shown]
	ds_read_b128 v[36:39], v56 offset:1344
	v_fma_f64 v[30:31], -v[18:19], v[44:45], v[30:31]
	v_fma_f64 v[30:31], -v[20:21], v[46:47], v[30:31]
	;; [unrolled: 1-line block ×5, first 2 shown]
	s_waitcnt lgkmcnt(0)
	v_fma_f64 v[30:31], -v[28:29], v[36:37], v[30:31]
	v_mul_f64 v[30:31], v[38:39], v[30:31]
	flat_store_dwordx2 v[34:35], v[30:31] offset:72
	ds_read_b128 v[36:39], v56 offset:1440
	ds_read_b128 v[40:43], v56 offset:1456
	;; [unrolled: 1-line block ×4, first 2 shown]
	s_waitcnt lgkmcnt(0)
	v_fma_f64 v[10:11], -v[12:13], v[36:37], v[10:11]
	v_fma_f64 v[10:11], -v[14:15], v[38:39], v[10:11]
	;; [unrolled: 1-line block ×3, first 2 shown]
	ds_read_b128 v[36:39], v56 offset:1504
	v_fma_f64 v[10:11], -v[18:19], v[42:43], v[10:11]
	v_fma_f64 v[10:11], -v[20:21], v[44:45], v[10:11]
	ds_read_b64 v[40:41], v57 offset:1680
	v_fma_f64 v[10:11], -v[22:23], v[46:47], v[10:11]
	v_fma_f64 v[10:11], -v[24:25], v[48:49], v[10:11]
	;; [unrolled: 1-line block ×3, first 2 shown]
	s_waitcnt lgkmcnt(0)
	v_fma_f64 v[10:11], -v[28:29], v[36:37], v[10:11]
	v_fma_f64 v[10:11], -v[30:31], v[38:39], v[10:11]
	v_mul_f64 v[10:11], v[40:41], v[10:11]
	flat_store_dwordx2 v[34:35], v[10:11] offset:80
	ds_read_b128 v[36:39], v56 offset:1600
	ds_read_b128 v[40:43], v56 offset:1616
	ds_read_b128 v[44:47], v56 offset:1632
	ds_read_b128 v[48:51], v56 offset:1648
	s_waitcnt lgkmcnt(0)
	v_fma_f64 v[8:9], -v[12:13], v[36:37], v[8:9]
	v_fma_f64 v[8:9], -v[14:15], v[38:39], v[8:9]
	;; [unrolled: 1-line block ×3, first 2 shown]
	ds_read_b128 v[36:39], v56 offset:1664
	v_fma_f64 v[8:9], -v[18:19], v[42:43], v[8:9]
	v_fma_f64 v[8:9], -v[20:21], v[44:45], v[8:9]
	ds_read_b128 v[40:43], v56 offset:1680
	v_fma_f64 v[8:9], -v[22:23], v[46:47], v[8:9]
	v_fma_f64 v[8:9], -v[24:25], v[48:49], v[8:9]
	;; [unrolled: 1-line block ×3, first 2 shown]
	s_waitcnt lgkmcnt(0)
	v_fma_f64 v[8:9], -v[28:29], v[36:37], v[8:9]
	v_fma_f64 v[8:9], -v[30:31], v[38:39], v[8:9]
	;; [unrolled: 1-line block ×3, first 2 shown]
	v_mul_f64 v[8:9], v[42:43], v[8:9]
	flat_store_dwordx2 v[34:35], v[8:9] offset:88
	ds_read_b128 v[36:39], v56 offset:1760
	ds_read_b128 v[40:43], v56 offset:1776
	;; [unrolled: 1-line block ×4, first 2 shown]
	s_waitcnt lgkmcnt(0)
	v_fma_f64 v[6:7], -v[12:13], v[36:37], v[6:7]
	v_fma_f64 v[6:7], -v[14:15], v[38:39], v[6:7]
	;; [unrolled: 1-line block ×3, first 2 shown]
	ds_read_b128 v[36:39], v56 offset:1824
	v_fma_f64 v[6:7], -v[18:19], v[42:43], v[6:7]
	v_fma_f64 v[6:7], -v[20:21], v[44:45], v[6:7]
	ds_read_b128 v[40:43], v56 offset:1840
	v_fma_f64 v[6:7], -v[22:23], v[46:47], v[6:7]
	v_fma_f64 v[6:7], -v[24:25], v[48:49], v[6:7]
	ds_read_b64 v[44:45], v57 offset:2016
	v_fma_f64 v[6:7], -v[26:27], v[50:51], v[6:7]
	s_waitcnt lgkmcnt(0)
	v_fma_f64 v[6:7], -v[28:29], v[36:37], v[6:7]
	v_fma_f64 v[6:7], -v[30:31], v[38:39], v[6:7]
	;; [unrolled: 1-line block ×4, first 2 shown]
	v_mul_f64 v[52:53], v[44:45], v[6:7]
	flat_store_dwordx2 v[34:35], v[52:53] offset:96
	ds_read_b128 v[36:39], v56 offset:1920
	ds_read_b128 v[40:43], v56 offset:1936
	;; [unrolled: 1-line block ×4, first 2 shown]
	s_waitcnt lgkmcnt(0)
	v_fma_f64 v[4:5], -v[12:13], v[36:37], v[4:5]
	v_fma_f64 v[36:37], -v[14:15], v[38:39], v[4:5]
	;; [unrolled: 1-line block ×3, first 2 shown]
	ds_read_b128 v[4:7], v56 offset:1984
	v_fma_f64 v[40:41], -v[18:19], v[42:43], v[36:37]
	v_fma_f64 v[40:41], -v[20:21], v[44:45], v[40:41]
	ds_read_b128 v[36:39], v56 offset:2000
	v_fma_f64 v[44:45], -v[22:23], v[46:47], v[40:41]
	v_fma_f64 v[44:45], -v[24:25], v[48:49], v[44:45]
	ds_read_b128 v[40:43], v56 offset:2016
	v_fma_f64 v[44:45], -v[26:27], v[50:51], v[44:45]
	s_waitcnt lgkmcnt(0)
	v_fma_f64 v[4:5], -v[28:29], v[4:5], v[44:45]
	v_fma_f64 v[4:5], -v[30:31], v[6:7], v[4:5]
	;; [unrolled: 1-line block ×5, first 2 shown]
	v_mul_f64 v[48:49], v[42:43], v[4:5]
	flat_store_dwordx2 v[34:35], v[48:49] offset:104
	ds_read_b128 v[4:7], v56 offset:2080
	ds_read_b128 v[36:39], v56 offset:2096
	;; [unrolled: 1-line block ×4, first 2 shown]
	s_waitcnt lgkmcnt(0)
	v_fma_f64 v[2:3], -v[12:13], v[4:5], v[2:3]
	v_fma_f64 v[6:7], -v[14:15], v[6:7], v[2:3]
	;; [unrolled: 1-line block ×3, first 2 shown]
	ds_read_b128 v[2:5], v56 offset:2144
	v_fma_f64 v[6:7], -v[18:19], v[38:39], v[6:7]
	v_fma_f64 v[6:7], -v[20:21], v[40:41], v[6:7]
	ds_read_b128 v[36:39], v56 offset:2160
	v_fma_f64 v[6:7], -v[22:23], v[42:43], v[6:7]
	v_fma_f64 v[6:7], -v[24:25], v[44:45], v[6:7]
	;; [unrolled: 1-line block ×3, first 2 shown]
	ds_read_b128 v[40:43], v56 offset:2176
	ds_read_b64 v[50:51], v57 offset:2352
	s_waitcnt lgkmcnt(0)
	v_fma_f64 v[2:3], -v[28:29], v[2:3], v[6:7]
	v_fma_f64 v[2:3], -v[30:31], v[4:5], v[2:3]
	;; [unrolled: 1-line block ×6, first 2 shown]
	v_mul_f64 v[50:51], v[50:51], v[2:3]
	flat_store_dwordx2 v[34:35], v[50:51] offset:112
	ds_read_b128 v[2:5], v56 offset:2240
	ds_read_b128 v[36:39], v56 offset:2256
	;; [unrolled: 1-line block ×4, first 2 shown]
	s_waitcnt lgkmcnt(0)
	v_fma_f64 v[6:7], -v[12:13], v[2:3], v[0:1]
	v_fma_f64 v[12:13], -v[14:15], v[4:5], v[6:7]
	;; [unrolled: 1-line block ×3, first 2 shown]
	ds_read_b128 v[0:3], v56 offset:2304
	ds_read_b128 v[4:7], v56 offset:2320
	v_fma_f64 v[36:37], -v[18:19], v[38:39], v[16:17]
	v_fma_f64 v[20:21], -v[20:21], v[40:41], v[36:37]
	;; [unrolled: 1-line block ×4, first 2 shown]
	ds_read_b128 v[12:15], v56 offset:2336
	ds_read_b128 v[16:19], v56 offset:2352
	v_fma_f64 v[20:21], -v[26:27], v[46:47], v[20:21]
	s_waitcnt lgkmcnt(0)
	v_fma_f64 v[0:1], -v[28:29], v[0:1], v[20:21]
	v_fma_f64 v[0:1], -v[30:31], v[2:3], v[0:1]
	;; [unrolled: 1-line block ×7, first 2 shown]
	v_mul_f64 v[0:1], v[18:19], v[0:1]
	flat_store_dwordx2 v[34:35], v[0:1] offset:120
.LBB88_19:
	s_cmp_ge_i32 s2, s22
	s_cbranch_scc1 .LBB88_24
; %bb.20:
	s_mul_i32 s0, s2, 0xa0
	s_mov_b32 s3, 0
	s_branch .LBB88_22
.LBB88_21:                              ;   in Loop: Header=BB88_22 Depth=1
	s_mul_i32 s1, s2, 0xa8
	v_mov_b32_e32 v4, s1
	ds_read_b64 v[4:5], v4
	s_add_i32 s2, s2, 1
	s_addk_i32 s0, 0xa0
	s_cmp_ge_i32 s2, s22
	s_waitcnt lgkmcnt(0)
	v_mul_f64 v[2:3], v[4:5], v[2:3]
	flat_store_dwordx2 v[0:1], v[2:3]
	s_cbranch_scc1 .LBB88_24
.LBB88_22:                              ; =>This Loop Header: Depth=1
                                        ;     Child Loop BB88_23 Depth 2
	v_lshl_add_u64 v[0:1], s[2:3], 3, v[32:33]
	flat_load_dwordx2 v[2:3], v[0:1]
	s_cmp_eq_u32 s2, 0
	v_mov_b64_e32 v[4:5], v[32:33]
	s_mov_b32 s1, s2
	s_mov_b32 s6, s0
	s_waitcnt vmcnt(0) lgkmcnt(0)
	v_mul_f64 v[2:3], s[4:5], v[2:3]
	s_cbranch_scc1 .LBB88_21
.LBB88_23:                              ;   Parent Loop BB88_22 Depth=1
                                        ; =>  This Inner Loop Header: Depth=2
	flat_load_dwordx2 v[6:7], v[4:5]
	v_mov_b32_e32 v8, s6
	ds_read_b64 v[8:9], v8
	s_add_i32 s6, s6, 8
	s_add_i32 s1, s1, -1
	v_lshl_add_u64 v[4:5], v[4:5], 0, 8
	s_cmp_lg_u32 s1, 0
	s_waitcnt vmcnt(0) lgkmcnt(0)
	v_fma_f64 v[2:3], -v[6:7], v[8:9], v[2:3]
	s_cbranch_scc1 .LBB88_23
	s_branch .LBB88_21
.LBB88_24:
	s_mov_b64 s[0:1], 0
.LBB88_25:
	s_and_b64 vcc, exec, s[0:1]
	s_cbranch_vccz .LBB88_51
; %bb.26:
	s_add_i32 s8, s22, -1
	s_cmp_gt_i32 s10, 19
	s_mov_b32 s0, s8
	s_cbranch_scc0 .LBB88_28
; %bb.27:
	flat_load_dwordx4 v[0:3], v[32:33] offset:144
	flat_load_dwordx4 v[18:21], v[32:33] offset:128
	;; [unrolled: 1-line block ×4, first 2 shown]
	v_mov_b32_e32 v38, 0
	ds_read_b64 v[4:5], v38 offset:3192
	s_mov_b32 s0, -1
	s_waitcnt vmcnt(0) lgkmcnt(0)
	v_mul_f64 v[2:3], s[4:5], v[2:3]
	v_mul_f64 v[12:13], v[4:5], v[2:3]
	flat_store_dwordx2 v[32:33], v[12:13] offset:152
	ds_read_b64 v[2:3], v38 offset:3184
	ds_read_b64 v[4:5], v38 offset:3024
	flat_load_dwordx4 v[34:37], v[32:33] offset:80
	flat_load_dwordx4 v[40:43], v[32:33] offset:64
	s_waitcnt lgkmcnt(0)
	v_mul_f64 v[2:3], v[12:13], v[2:3]
	v_fma_f64 v[0:1], s[4:5], v[0:1], -v[2:3]
	v_mul_f64 v[14:15], v[4:5], v[0:1]
	flat_store_dwordx2 v[32:33], v[14:15] offset:144
	ds_read_b64 v[0:1], v38 offset:3176
	ds_read_b64 v[2:3], v38 offset:3016
	;; [unrolled: 1-line block ×3, first 2 shown]
	flat_load_dwordx4 v[8:11], v[32:33] offset:48
	flat_load_dwordx4 v[4:7], v[32:33] offset:32
	s_waitcnt lgkmcnt(0)
	v_mul_f64 v[0:1], v[12:13], v[0:1]
	v_fma_f64 v[0:1], s[4:5], v[20:21], -v[0:1]
	v_fma_f64 v[0:1], -v[14:15], v[2:3], v[0:1]
	v_mul_f64 v[16:17], v[16:17], v[0:1]
	flat_store_dwordx2 v[32:33], v[16:17] offset:136
	ds_read_b64 v[20:21], v38 offset:3168
	flat_load_dwordx4 v[0:3], v[32:33] offset:16
	ds_read_b64 v[30:31], v38 offset:3008
	ds_read_b64 v[44:45], v38 offset:2848
	;; [unrolled: 1-line block ×3, first 2 shown]
	s_waitcnt lgkmcnt(0)
	v_mul_f64 v[20:21], v[12:13], v[20:21]
	v_fma_f64 v[18:19], s[4:5], v[18:19], -v[20:21]
	v_fma_f64 v[18:19], -v[14:15], v[30:31], v[18:19]
	v_fma_f64 v[18:19], -v[16:17], v[44:45], v[18:19]
	v_mul_f64 v[18:19], v[46:47], v[18:19]
	flat_store_dwordx2 v[32:33], v[18:19] offset:128
	ds_read_b64 v[20:21], v38 offset:3160
	ds_read_b64 v[30:31], v38 offset:3000
	;; [unrolled: 1-line block ×5, first 2 shown]
	s_waitcnt lgkmcnt(0)
	v_mul_f64 v[20:21], v[12:13], v[20:21]
	v_fma_f64 v[20:21], s[4:5], v[24:25], -v[20:21]
	v_fma_f64 v[20:21], -v[14:15], v[30:31], v[20:21]
	v_fma_f64 v[20:21], -v[16:17], v[44:45], v[20:21]
	;; [unrolled: 1-line block ×3, first 2 shown]
	v_mul_f64 v[20:21], v[48:49], v[20:21]
	flat_store_dwordx2 v[32:33], v[20:21] offset:120
	ds_read_b64 v[24:25], v38 offset:3152
	ds_read_b64 v[30:31], v38 offset:2992
	;; [unrolled: 1-line block ×6, first 2 shown]
	s_waitcnt lgkmcnt(0)
	v_mul_f64 v[24:25], v[12:13], v[24:25]
	v_fma_f64 v[22:23], s[4:5], v[22:23], -v[24:25]
	v_fma_f64 v[22:23], -v[14:15], v[30:31], v[22:23]
	v_fma_f64 v[22:23], -v[16:17], v[44:45], v[22:23]
	;; [unrolled: 1-line block ×4, first 2 shown]
	v_mul_f64 v[22:23], v[50:51], v[22:23]
	flat_store_dwordx2 v[32:33], v[22:23] offset:112
	ds_read_b64 v[24:25], v38 offset:3144
	ds_read_b64 v[30:31], v38 offset:2984
	;; [unrolled: 1-line block ×7, first 2 shown]
	s_waitcnt lgkmcnt(0)
	v_mul_f64 v[24:25], v[12:13], v[24:25]
	v_fma_f64 v[24:25], s[4:5], v[28:29], -v[24:25]
	v_fma_f64 v[24:25], -v[14:15], v[30:31], v[24:25]
	v_fma_f64 v[24:25], -v[16:17], v[44:45], v[24:25]
	;; [unrolled: 1-line block ×5, first 2 shown]
	v_mul_f64 v[24:25], v[52:53], v[24:25]
	flat_store_dwordx2 v[32:33], v[24:25] offset:104
	ds_read_b64 v[28:29], v38 offset:3136
	ds_read_b64 v[30:31], v38 offset:2976
	;; [unrolled: 1-line block ×8, first 2 shown]
	s_waitcnt lgkmcnt(0)
	v_mul_f64 v[28:29], v[12:13], v[28:29]
	v_fma_f64 v[26:27], s[4:5], v[26:27], -v[28:29]
	v_fma_f64 v[26:27], -v[14:15], v[30:31], v[26:27]
	v_fma_f64 v[26:27], -v[16:17], v[44:45], v[26:27]
	v_fma_f64 v[26:27], -v[18:19], v[46:47], v[26:27]
	v_fma_f64 v[26:27], -v[20:21], v[48:49], v[26:27]
	v_fma_f64 v[26:27], -v[22:23], v[50:51], v[26:27]
	v_fma_f64 v[26:27], -v[24:25], v[52:53], v[26:27]
	v_mul_f64 v[26:27], v[54:55], v[26:27]
	flat_store_dwordx2 v[32:33], v[26:27] offset:96
	ds_read_b64 v[28:29], v38 offset:3128
	ds_read_b64 v[30:31], v38 offset:2968
	;; [unrolled: 1-line block ×9, first 2 shown]
	s_waitcnt lgkmcnt(0)
	v_mul_f64 v[28:29], v[12:13], v[28:29]
	s_waitcnt vmcnt(0)
	v_fma_f64 v[28:29], s[4:5], v[36:37], -v[28:29]
	v_fma_f64 v[28:29], -v[14:15], v[30:31], v[28:29]
	v_fma_f64 v[28:29], -v[16:17], v[44:45], v[28:29]
	;; [unrolled: 1-line block ×7, first 2 shown]
	v_mul_f64 v[28:29], v[56:57], v[28:29]
	flat_store_dwordx2 v[32:33], v[28:29] offset:88
	ds_read_b64 v[30:31], v38 offset:3120
	ds_read_b64 v[36:37], v38 offset:2960
	;; [unrolled: 1-line block ×6, first 2 shown]
	s_waitcnt lgkmcnt(0)
	v_mul_f64 v[30:31], v[12:13], v[30:31]
	v_fma_f64 v[30:31], s[4:5], v[34:35], -v[30:31]
	v_fma_f64 v[30:31], -v[14:15], v[36:37], v[30:31]
	v_fma_f64 v[30:31], -v[16:17], v[44:45], v[30:31]
	;; [unrolled: 1-line block ×3, first 2 shown]
	ds_read_b64 v[34:35], v38 offset:2160
	ds_read_b64 v[52:53], v38 offset:2000
	;; [unrolled: 1-line block ×4, first 2 shown]
	v_fma_f64 v[30:31], -v[20:21], v[48:49], v[30:31]
	v_fma_f64 v[30:31], -v[22:23], v[50:51], v[30:31]
	s_waitcnt lgkmcnt(0)
	v_fma_f64 v[30:31], -v[24:25], v[34:35], v[30:31]
	v_fma_f64 v[30:31], -v[26:27], v[52:53], v[30:31]
	;; [unrolled: 1-line block ×3, first 2 shown]
	v_mul_f64 v[30:31], v[56:57], v[30:31]
	flat_store_dwordx2 v[32:33], v[30:31] offset:80
	ds_read_b64 v[34:35], v38 offset:3112
	ds_read_b64 v[36:37], v38 offset:2952
	;; [unrolled: 1-line block ×7, first 2 shown]
	s_waitcnt lgkmcnt(0)
	v_mul_f64 v[34:35], v[12:13], v[34:35]
	v_fma_f64 v[34:35], s[4:5], v[42:43], -v[34:35]
	v_fma_f64 v[34:35], -v[14:15], v[36:37], v[34:35]
	v_fma_f64 v[34:35], -v[16:17], v[44:45], v[34:35]
	;; [unrolled: 1-line block ×4, first 2 shown]
	ds_read_b64 v[36:37], v38 offset:1992
	ds_read_b64 v[42:43], v38 offset:1832
	;; [unrolled: 1-line block ×4, first 2 shown]
	v_fma_f64 v[34:35], -v[22:23], v[50:51], v[34:35]
	v_fma_f64 v[34:35], -v[24:25], v[52:53], v[34:35]
	s_waitcnt lgkmcnt(0)
	v_fma_f64 v[34:35], -v[26:27], v[36:37], v[34:35]
	v_fma_f64 v[34:35], -v[28:29], v[42:43], v[34:35]
	;; [unrolled: 1-line block ×3, first 2 shown]
	v_mul_f64 v[34:35], v[56:57], v[34:35]
	flat_store_dwordx2 v[32:33], v[34:35] offset:72
	ds_read_b64 v[36:37], v38 offset:3104
	ds_read_b64 v[42:43], v38 offset:2944
	;; [unrolled: 1-line block ×8, first 2 shown]
	s_waitcnt lgkmcnt(0)
	v_mul_f64 v[36:37], v[12:13], v[36:37]
	v_fma_f64 v[36:37], s[4:5], v[40:41], -v[36:37]
	v_fma_f64 v[36:37], -v[14:15], v[42:43], v[36:37]
	v_fma_f64 v[36:37], -v[16:17], v[44:45], v[36:37]
	;; [unrolled: 1-line block ×5, first 2 shown]
	ds_read_b64 v[40:41], v38 offset:1824
	ds_read_b64 v[42:43], v38 offset:1664
	;; [unrolled: 1-line block ×4, first 2 shown]
	v_fma_f64 v[36:37], -v[24:25], v[52:53], v[36:37]
	v_fma_f64 v[36:37], -v[26:27], v[54:55], v[36:37]
	s_waitcnt lgkmcnt(0)
	v_fma_f64 v[36:37], -v[28:29], v[40:41], v[36:37]
	v_fma_f64 v[36:37], -v[30:31], v[42:43], v[36:37]
	;; [unrolled: 1-line block ×3, first 2 shown]
	v_mul_f64 v[36:37], v[58:59], v[36:37]
	flat_store_dwordx2 v[32:33], v[36:37] offset:64
	ds_read_b64 v[40:41], v38 offset:3096
	ds_read_b64 v[42:43], v38 offset:2936
	;; [unrolled: 1-line block ×9, first 2 shown]
	s_waitcnt lgkmcnt(0)
	v_mul_f64 v[40:41], v[12:13], v[40:41]
	v_fma_f64 v[10:11], s[4:5], v[10:11], -v[40:41]
	v_fma_f64 v[10:11], -v[14:15], v[42:43], v[10:11]
	v_fma_f64 v[10:11], -v[16:17], v[44:45], v[10:11]
	;; [unrolled: 1-line block ×6, first 2 shown]
	ds_read_b64 v[40:41], v38 offset:1656
	ds_read_b64 v[42:43], v38 offset:1496
	;; [unrolled: 1-line block ×4, first 2 shown]
	v_fma_f64 v[10:11], -v[26:27], v[54:55], v[10:11]
	v_fma_f64 v[10:11], -v[28:29], v[56:57], v[10:11]
	s_waitcnt lgkmcnt(0)
	v_fma_f64 v[10:11], -v[30:31], v[40:41], v[10:11]
	v_fma_f64 v[10:11], -v[34:35], v[42:43], v[10:11]
	;; [unrolled: 1-line block ×3, first 2 shown]
	v_mul_f64 v[10:11], v[46:47], v[10:11]
	flat_store_dwordx2 v[32:33], v[10:11] offset:56
	ds_read_b64 v[40:41], v38 offset:3088
	ds_read_b64 v[42:43], v38 offset:2928
	;; [unrolled: 1-line block ×6, first 2 shown]
	s_waitcnt lgkmcnt(0)
	v_mul_f64 v[40:41], v[12:13], v[40:41]
	v_fma_f64 v[8:9], s[4:5], v[8:9], -v[40:41]
	v_fma_f64 v[8:9], -v[14:15], v[42:43], v[8:9]
	v_fma_f64 v[8:9], -v[16:17], v[44:45], v[8:9]
	;; [unrolled: 1-line block ×3, first 2 shown]
	ds_read_b64 v[40:41], v38 offset:2128
	ds_read_b64 v[52:53], v38 offset:1968
	;; [unrolled: 1-line block ×4, first 2 shown]
	v_fma_f64 v[8:9], -v[20:21], v[48:49], v[8:9]
	v_fma_f64 v[8:9], -v[22:23], v[50:51], v[8:9]
	s_waitcnt lgkmcnt(0)
	v_fma_f64 v[8:9], -v[24:25], v[40:41], v[8:9]
	v_fma_f64 v[8:9], -v[26:27], v[52:53], v[8:9]
	ds_read_b64 v[42:43], v38 offset:1488
	ds_read_b64 v[44:45], v38 offset:1328
	;; [unrolled: 1-line block ×4, first 2 shown]
	v_fma_f64 v[8:9], -v[28:29], v[54:55], v[8:9]
	v_fma_f64 v[8:9], -v[30:31], v[56:57], v[8:9]
	s_waitcnt lgkmcnt(0)
	v_fma_f64 v[8:9], -v[34:35], v[42:43], v[8:9]
	v_fma_f64 v[8:9], -v[36:37], v[44:45], v[8:9]
	;; [unrolled: 1-line block ×3, first 2 shown]
	v_mul_f64 v[8:9], v[58:59], v[8:9]
	flat_store_dwordx2 v[32:33], v[8:9] offset:48
	ds_read_b64 v[40:41], v38 offset:3080
	ds_read_b64 v[42:43], v38 offset:2920
	;; [unrolled: 1-line block ×7, first 2 shown]
	s_waitcnt lgkmcnt(0)
	v_mul_f64 v[40:41], v[12:13], v[40:41]
	v_fma_f64 v[6:7], s[4:5], v[6:7], -v[40:41]
	v_fma_f64 v[6:7], -v[14:15], v[42:43], v[6:7]
	v_fma_f64 v[6:7], -v[16:17], v[44:45], v[6:7]
	v_fma_f64 v[6:7], -v[18:19], v[46:47], v[6:7]
	v_fma_f64 v[6:7], -v[20:21], v[48:49], v[6:7]
	ds_read_b64 v[40:41], v38 offset:1960
	ds_read_b64 v[42:43], v38 offset:1800
	;; [unrolled: 1-line block ×4, first 2 shown]
	v_fma_f64 v[6:7], -v[22:23], v[50:51], v[6:7]
	v_fma_f64 v[6:7], -v[24:25], v[52:53], v[6:7]
	s_waitcnt lgkmcnt(0)
	v_fma_f64 v[6:7], -v[26:27], v[40:41], v[6:7]
	v_fma_f64 v[6:7], -v[28:29], v[42:43], v[6:7]
	ds_read_b64 v[44:45], v38 offset:1320
	ds_read_b64 v[46:47], v38 offset:1160
	;; [unrolled: 1-line block ×4, first 2 shown]
	v_fma_f64 v[6:7], -v[30:31], v[54:55], v[6:7]
	v_fma_f64 v[6:7], -v[34:35], v[56:57], v[6:7]
	s_waitcnt lgkmcnt(0)
	v_fma_f64 v[6:7], -v[36:37], v[44:45], v[6:7]
	flat_load_dwordx4 v[40:43], v[32:33]
	v_fma_f64 v[6:7], -v[10:11], v[46:47], v[6:7]
	v_fma_f64 v[6:7], -v[8:9], v[48:49], v[6:7]
	v_mul_f64 v[6:7], v[50:51], v[6:7]
	flat_store_dwordx2 v[32:33], v[6:7] offset:40
	ds_read_b64 v[44:45], v38 offset:3072
	ds_read_b64 v[46:47], v38 offset:2912
	;; [unrolled: 1-line block ×4, first 2 shown]
	s_waitcnt lgkmcnt(0)
	v_mul_f64 v[44:45], v[12:13], v[44:45]
	v_fma_f64 v[4:5], s[4:5], v[4:5], -v[44:45]
	v_fma_f64 v[4:5], -v[14:15], v[46:47], v[4:5]
	ds_read_b64 v[44:45], v38 offset:2432
	ds_read_b64 v[52:53], v38 offset:2272
	ds_read_b64 v[54:55], v38 offset:2112
	ds_read_b64 v[56:57], v38 offset:1952
	v_fma_f64 v[4:5], -v[16:17], v[48:49], v[4:5]
	v_fma_f64 v[4:5], -v[18:19], v[50:51], v[4:5]
	s_waitcnt lgkmcnt(0)
	v_fma_f64 v[4:5], -v[20:21], v[44:45], v[4:5]
	v_fma_f64 v[4:5], -v[22:23], v[52:53], v[4:5]
	ds_read_b64 v[46:47], v38 offset:1792
	ds_read_b64 v[48:49], v38 offset:1632
	ds_read_b64 v[50:51], v38 offset:1472
	ds_read_b64 v[58:59], v38 offset:1312
	v_fma_f64 v[4:5], -v[24:25], v[54:55], v[4:5]
	v_fma_f64 v[4:5], -v[26:27], v[56:57], v[4:5]
	s_waitcnt lgkmcnt(0)
	v_fma_f64 v[4:5], -v[28:29], v[46:47], v[4:5]
	;; [unrolled: 9-line block ×3, first 2 shown]
	v_fma_f64 v[4:5], -v[8:9], v[52:53], v[4:5]
	v_fma_f64 v[4:5], -v[6:7], v[54:55], v[4:5]
	v_mul_f64 v[4:5], v[56:57], v[4:5]
	flat_store_dwordx2 v[32:33], v[4:5] offset:32
	ds_read_b64 v[44:45], v38 offset:3064
	ds_read_b64 v[46:47], v38 offset:2904
	;; [unrolled: 1-line block ×5, first 2 shown]
	s_waitcnt lgkmcnt(0)
	v_mul_f64 v[44:45], v[12:13], v[44:45]
	v_fma_f64 v[2:3], s[4:5], v[2:3], -v[44:45]
	v_fma_f64 v[2:3], -v[14:15], v[46:47], v[2:3]
	v_fma_f64 v[2:3], -v[16:17], v[48:49], v[2:3]
	ds_read_b64 v[44:45], v38 offset:2264
	ds_read_b64 v[46:47], v38 offset:2104
	;; [unrolled: 1-line block ×4, first 2 shown]
	v_fma_f64 v[2:3], -v[18:19], v[50:51], v[2:3]
	v_fma_f64 v[2:3], -v[20:21], v[52:53], v[2:3]
	s_waitcnt lgkmcnt(0)
	v_fma_f64 v[2:3], -v[22:23], v[44:45], v[2:3]
	v_fma_f64 v[2:3], -v[24:25], v[46:47], v[2:3]
	ds_read_b64 v[44:45], v38 offset:1624
	ds_read_b64 v[48:49], v38 offset:1464
	;; [unrolled: 1-line block ×4, first 2 shown]
	v_fma_f64 v[2:3], -v[26:27], v[54:55], v[2:3]
	v_fma_f64 v[2:3], -v[28:29], v[56:57], v[2:3]
	s_waitcnt lgkmcnt(0)
	v_fma_f64 v[2:3], -v[30:31], v[44:45], v[2:3]
	v_fma_f64 v[2:3], -v[34:35], v[48:49], v[2:3]
	;; [unrolled: 1-line block ×3, first 2 shown]
	ds_read_b64 v[44:45], v38 offset:984
	ds_read_b64 v[46:47], v38 offset:824
	;; [unrolled: 1-line block ×4, first 2 shown]
	v_fma_f64 v[2:3], -v[10:11], v[52:53], v[2:3]
	s_waitcnt lgkmcnt(0)
	v_fma_f64 v[2:3], -v[8:9], v[44:45], v[2:3]
	v_fma_f64 v[2:3], -v[6:7], v[46:47], v[2:3]
	;; [unrolled: 1-line block ×3, first 2 shown]
	v_mul_f64 v[44:45], v[50:51], v[2:3]
	flat_store_dwordx2 v[32:33], v[44:45] offset:24
	ds_read_b64 v[2:3], v38 offset:3056
	ds_read_b64 v[46:47], v38 offset:2896
	;; [unrolled: 1-line block ×3, first 2 shown]
	s_waitcnt lgkmcnt(0)
	v_mul_f64 v[2:3], v[12:13], v[2:3]
	v_fma_f64 v[0:1], s[4:5], v[0:1], -v[2:3]
	ds_read_b64 v[2:3], v38 offset:2576
	v_fma_f64 v[0:1], -v[14:15], v[46:47], v[0:1]
	v_fma_f64 v[0:1], -v[16:17], v[48:49], v[0:1]
	ds_read_b64 v[46:47], v38 offset:2416
	ds_read_b64 v[48:49], v38 offset:2256
	;; [unrolled: 1-line block ×3, first 2 shown]
	s_waitcnt lgkmcnt(0)
	v_fma_f64 v[0:1], -v[18:19], v[2:3], v[0:1]
	ds_read_b64 v[2:3], v38 offset:1936
	v_fma_f64 v[0:1], -v[20:21], v[46:47], v[0:1]
	ds_read_b64 v[46:47], v38 offset:1776
	v_fma_f64 v[0:1], -v[22:23], v[48:49], v[0:1]
	v_fma_f64 v[0:1], -v[24:25], v[50:51], v[0:1]
	s_waitcnt lgkmcnt(0)
	v_fma_f64 v[0:1], -v[26:27], v[2:3], v[0:1]
	ds_read_b64 v[2:3], v38 offset:1616
	ds_read_b64 v[48:49], v38 offset:1456
	;; [unrolled: 1-line block ×3, first 2 shown]
	v_fma_f64 v[0:1], -v[28:29], v[46:47], v[0:1]
	ds_read_b64 v[46:47], v38 offset:1136
	s_waitcnt lgkmcnt(0)
	v_fma_f64 v[0:1], -v[30:31], v[2:3], v[0:1]
	ds_read_b64 v[2:3], v38 offset:976
	v_fma_f64 v[0:1], -v[34:35], v[48:49], v[0:1]
	v_fma_f64 v[0:1], -v[36:37], v[50:51], v[0:1]
	;; [unrolled: 1-line block ×3, first 2 shown]
	ds_read_b64 v[46:47], v38 offset:816
	ds_read_b64 v[48:49], v38 offset:656
	;; [unrolled: 1-line block ×4, first 2 shown]
	s_waitcnt lgkmcnt(0)
	v_fma_f64 v[0:1], -v[8:9], v[2:3], v[0:1]
	v_fma_f64 v[0:1], -v[6:7], v[46:47], v[0:1]
	;; [unrolled: 1-line block ×4, first 2 shown]
	v_mul_f64 v[46:47], v[52:53], v[0:1]
	flat_store_dwordx2 v[32:33], v[46:47] offset:16
	ds_read_b64 v[0:1], v38 offset:3048
	ds_read_b64 v[2:3], v38 offset:2888
	ds_read_b64 v[48:49], v38 offset:2728
	ds_read_b64 v[50:51], v38 offset:2568
	s_waitcnt lgkmcnt(0)
	v_mul_f64 v[0:1], v[12:13], v[0:1]
	s_waitcnt vmcnt(0)
	v_fma_f64 v[0:1], s[4:5], v[42:43], -v[0:1]
	v_fma_f64 v[0:1], -v[14:15], v[2:3], v[0:1]
	ds_read_b64 v[2:3], v38 offset:2408
	v_fma_f64 v[0:1], -v[16:17], v[48:49], v[0:1]
	v_fma_f64 v[0:1], -v[18:19], v[50:51], v[0:1]
	ds_read_b64 v[42:43], v38 offset:2248
	ds_read_b64 v[48:49], v38 offset:2088
	;; [unrolled: 1-line block ×3, first 2 shown]
	s_waitcnt lgkmcnt(3)
	v_fma_f64 v[0:1], -v[20:21], v[2:3], v[0:1]
	ds_read_b64 v[2:3], v38 offset:1768
	s_waitcnt lgkmcnt(3)
	v_fma_f64 v[0:1], -v[22:23], v[42:43], v[0:1]
	ds_read_b64 v[42:43], v38 offset:1608
	s_waitcnt lgkmcnt(3)
	v_fma_f64 v[0:1], -v[24:25], v[48:49], v[0:1]
	s_waitcnt lgkmcnt(2)
	v_fma_f64 v[0:1], -v[26:27], v[50:51], v[0:1]
	;; [unrolled: 2-line block ×3, first 2 shown]
	ds_read_b64 v[2:3], v38 offset:1448
	ds_read_b64 v[48:49], v38 offset:1288
	;; [unrolled: 1-line block ×3, first 2 shown]
	s_waitcnt lgkmcnt(3)
	v_fma_f64 v[0:1], -v[30:31], v[42:43], v[0:1]
	ds_read_b64 v[42:43], v38 offset:968
	s_waitcnt lgkmcnt(3)
	v_fma_f64 v[0:1], -v[34:35], v[2:3], v[0:1]
	ds_read_b64 v[2:3], v38 offset:808
	s_waitcnt lgkmcnt(3)
	v_fma_f64 v[0:1], -v[36:37], v[48:49], v[0:1]
	s_waitcnt lgkmcnt(2)
	v_fma_f64 v[0:1], -v[10:11], v[50:51], v[0:1]
	;; [unrolled: 2-line block ×3, first 2 shown]
	ds_read_b64 v[42:43], v38 offset:648
	ds_read_b64 v[48:49], v38 offset:488
	;; [unrolled: 1-line block ×4, first 2 shown]
	s_waitcnt lgkmcnt(4)
	v_fma_f64 v[0:1], -v[6:7], v[2:3], v[0:1]
	s_waitcnt lgkmcnt(3)
	v_fma_f64 v[0:1], -v[4:5], v[42:43], v[0:1]
	;; [unrolled: 2-line block ×4, first 2 shown]
	s_waitcnt lgkmcnt(0)
	v_mul_f64 v[42:43], v[52:53], v[0:1]
	flat_store_dwordx2 v[32:33], v[42:43] offset:8
	ds_read_b64 v[0:1], v38 offset:3040
	ds_read_b64 v[2:3], v38 offset:2880
	;; [unrolled: 1-line block ×3, first 2 shown]
	s_waitcnt lgkmcnt(0)
	v_mul_f64 v[0:1], v[12:13], v[0:1]
	ds_read_b64 v[12:13], v38 offset:2560
	v_fma_f64 v[0:1], s[4:5], v[40:41], -v[0:1]
	v_fma_f64 v[0:1], -v[14:15], v[2:3], v[0:1]
	ds_read_b64 v[2:3], v38 offset:2400
	v_fma_f64 v[0:1], -v[16:17], v[48:49], v[0:1]
	s_waitcnt lgkmcnt(0)
	v_fma_f64 v[0:1], -v[18:19], v[12:13], v[0:1]
	ds_read_b64 v[12:13], v38 offset:2240
	ds_read_b64 v[14:15], v38 offset:2080
	;; [unrolled: 1-line block ×3, first 2 shown]
	v_fma_f64 v[0:1], -v[20:21], v[2:3], v[0:1]
	ds_read_b64 v[2:3], v38 offset:1760
	s_waitcnt lgkmcnt(0)
	v_fma_f64 v[0:1], -v[22:23], v[12:13], v[0:1]
	ds_read_b64 v[12:13], v38 offset:1600
	v_fma_f64 v[0:1], -v[24:25], v[14:15], v[0:1]
	v_fma_f64 v[0:1], -v[26:27], v[16:17], v[0:1]
	;; [unrolled: 1-line block ×3, first 2 shown]
	ds_read_b64 v[2:3], v38 offset:1440
	ds_read_b64 v[14:15], v38 offset:1280
	ds_read_b64 v[16:17], v38 offset:1120
	ds_read_b64 v[18:19], v38 offset:960
	s_waitcnt lgkmcnt(0)
	v_fma_f64 v[0:1], -v[30:31], v[12:13], v[0:1]
	v_fma_f64 v[0:1], -v[34:35], v[2:3], v[0:1]
	;; [unrolled: 1-line block ×5, first 2 shown]
	ds_read_b64 v[10:11], v38 offset:800
	ds_read_b64 v[12:13], v38 offset:640
	ds_read_b64 v[14:15], v38 offset:480
	ds_read_b64 v[16:17], v38 offset:320
	ds_read2_b64 v[0:3], v38 offset1:20
	s_waitcnt lgkmcnt(0)
	v_fma_f64 v[6:7], -v[6:7], v[10:11], v[8:9]
	v_fma_f64 v[4:5], -v[4:5], v[12:13], v[6:7]
	v_fma_f64 v[4:5], -v[44:45], v[14:15], v[4:5]
	v_fma_f64 v[4:5], -v[46:47], v[16:17], v[4:5]
	v_fma_f64 v[2:3], -v[42:43], v[2:3], v[4:5]
	v_mul_f64 v[0:1], v[0:1], v[2:3]
	flat_store_dwordx2 v[32:33], v[0:1]
.LBB88_28:
	s_cmp_gt_i32 s0, -1
	s_cbranch_scc0 .LBB88_51
; %bb.29:
	s_cmp_lt_u32 s0, 15
	s_cbranch_scc1 .LBB88_34
; %bb.30:
	s_mov_b32 s3, 0
	s_mov_b32 s1, s3
	v_lshl_add_u64 v[8:9], s[0:1], 3, v[32:33]
	v_add_co_u32_e32 v4, vcc, -8, v8
	s_cmp_le_i32 s8, s0
	s_nop 0
	v_addc_co_u32_e32 v5, vcc, -1, v9, vcc
	v_add_co_u32_e32 v6, vcc, 0xffffffe8, v8
	s_nop 1
	v_addc_co_u32_e32 v7, vcc, -1, v9, vcc
	flat_load_dwordx4 v[0:3], v[4:5]
	flat_load_dwordx4 v[10:13], v[6:7]
	v_add_co_u32_e32 v4, vcc, 0xffffffd8, v8
	s_waitcnt vmcnt(0) lgkmcnt(0)
	v_mul_f64 v[34:35], s[4:5], v[0:1]
	v_addc_co_u32_e32 v5, vcc, -1, v9, vcc
	v_add_co_u32_e32 v6, vcc, 0xffffffc8, v8
	v_mul_f64 v[12:13], s[4:5], v[12:13]
	s_nop 0
	v_addc_co_u32_e32 v7, vcc, -1, v9, vcc
	flat_load_dwordx4 v[18:21], v[4:5]
	flat_load_dwordx4 v[24:27], v[6:7]
	v_add_co_u32_e32 v4, vcc, 0xffffffb8, v8
	v_mul_f64 v[14:15], s[4:5], v[10:11]
	s_nop 0
	v_addc_co_u32_e32 v5, vcc, -1, v9, vcc
	v_add_co_u32_e32 v6, vcc, 0xffffffa8, v8
	s_waitcnt vmcnt(0) lgkmcnt(0)
	v_mul_f64 v[16:17], s[4:5], v[20:21]
	v_addc_co_u32_e32 v7, vcc, -1, v9, vcc
	flat_load_dwordx4 v[28:31], v[4:5]
	flat_load_dwordx4 v[36:39], v[6:7]
	v_add_co_u32_e32 v4, vcc, 0xffffff98, v8
	v_mul_f64 v[6:7], s[4:5], v[2:3]
	s_nop 0
	v_addc_co_u32_e32 v5, vcc, -1, v9, vcc
	flat_load_dwordx4 v[40:43], v[4:5]
	v_add_co_u32_e32 v4, vcc, 0xffffff88, v8
	v_mul_f64 v[20:21], s[4:5], v[18:19]
	s_nop 0
	v_addc_co_u32_e32 v5, vcc, -1, v9, vcc
	flat_load_dwordx4 v[44:47], v[4:5]
	v_mul_f64 v[22:23], s[4:5], v[26:27]
	v_mul_f64 v[26:27], s[4:5], v[24:25]
	s_waitcnt vmcnt(0) lgkmcnt(0)
	v_mul_f64 v[30:31], s[4:5], v[30:31]
	v_mul_f64 v[28:29], s[4:5], v[28:29]
	;; [unrolled: 1-line block ×8, first 2 shown]
	s_cbranch_scc1 .LBB88_33
; %bb.31:
	s_mul_i32 s1, s22, 0xa0
	s_lshl_b32 s2, s0, 3
	s_add_i32 s1, s1, s2
	s_addk_i32 s1, 0xfee8
	s_mov_b32 s2, s8
.LBB88_32:                              ; =>This Inner Loop Header: Depth=1
	v_lshl_add_u64 v[36:37], s[2:3], 3, v[32:33]
	flat_load_dwordx2 v[60:61], v[36:37]
	v_mov_b32_e32 v56, s1
	ds_read2_b64 v[36:39], v56 offset0:14 offset1:15
	ds_read2_b64 v[40:43], v56 offset0:12 offset1:13
	;; [unrolled: 1-line block ×5, first 2 shown]
	s_add_i32 s2, s2, -1
	s_addk_i32 s1, 0xff60
	s_cmp_gt_i32 s2, s0
	s_waitcnt vmcnt(0) lgkmcnt(0)
	v_fma_f64 v[6:7], -v[60:61], v[38:39], v[6:7]
	v_fma_f64 v[34:35], -v[60:61], v[36:37], v[34:35]
	ds_read2_b64 v[36:39], v56 offset0:4 offset1:5
	v_fma_f64 v[12:13], -v[60:61], v[42:43], v[12:13]
	v_fma_f64 v[14:15], -v[60:61], v[40:41], v[14:15]
	ds_read2_b64 v[40:43], v56 offset0:2 offset1:3
	ds_read2_b64 v[56:59], v56 offset1:1
	v_fma_f64 v[16:17], -v[60:61], v[46:47], v[16:17]
	v_fma_f64 v[20:21], -v[60:61], v[44:45], v[20:21]
	;; [unrolled: 1-line block ×6, first 2 shown]
	s_waitcnt lgkmcnt(2)
	v_fma_f64 v[24:25], -v[60:61], v[38:39], v[24:25]
	v_fma_f64 v[18:19], -v[60:61], v[36:37], v[18:19]
	s_waitcnt lgkmcnt(1)
	v_fma_f64 v[10:11], -v[60:61], v[42:43], v[10:11]
	v_fma_f64 v[4:5], -v[60:61], v[40:41], v[4:5]
	;; [unrolled: 3-line block ×3, first 2 shown]
	s_cbranch_scc1 .LBB88_32
.LBB88_33:
	s_mul_i32 s1, s0, 0xa8
	v_mov_b32_e32 v36, s1
	ds_read_b64 v[36:37], v36
	s_add_i32 s2, s0, -1
	s_mul_i32 s6, s0, 0xa0
	s_lshl_b32 s3, s2, 3
	s_add_i32 s7, s3, s6
	s_waitcnt lgkmcnt(0)
	v_mul_f64 v[6:7], v[36:37], v[6:7]
	flat_store_dwordx2 v[8:9], v[6:7]
	v_mov_b32_e32 v8, s7
	s_add_i32 s7, s6, 0xffffff60
	s_add_i32 s3, s3, s7
	v_mov_b32_e32 v36, s3
	ds_read_b64 v[8:9], v8
	ds_read_b64 v[36:37], v36
	s_mov_b32 s3, 0
	s_waitcnt lgkmcnt(0)
	v_fma_f64 v[8:9], -v[6:7], v[8:9], v[34:35]
	v_lshl_add_u64 v[34:35], s[2:3], 3, v[32:33]
	s_add_i32 s2, s0, -2
	s_lshl_b32 s10, s2, 3
	v_mul_f64 v[8:9], v[36:37], v[8:9]
	s_add_i32 s9, s10, s6
	flat_store_dwordx2 v[34:35], v[8:9]
	v_mov_b32_e32 v34, s9
	s_add_i32 s9, s10, s7
	v_mov_b32_e32 v36, s9
	s_add_i32 s9, s6, 0xfffffec0
	s_add_i32 s10, s10, s9
	v_mov_b32_e32 v38, s10
	ds_read_b64 v[34:35], v34
	ds_read_b64 v[36:37], v36
	;; [unrolled: 1-line block ×3, first 2 shown]
	s_waitcnt lgkmcnt(0)
	v_fma_f64 v[12:13], -v[6:7], v[34:35], v[12:13]
	v_lshl_add_u64 v[34:35], s[2:3], 3, v[32:33]
	s_add_i32 s2, s0, -3
	v_fma_f64 v[12:13], -v[8:9], v[36:37], v[12:13]
	s_lshl_b32 s11, s2, 3
	v_mul_f64 v[12:13], v[38:39], v[12:13]
	s_add_i32 s10, s11, s6
	flat_store_dwordx2 v[34:35], v[12:13]
	v_mov_b32_e32 v34, s10
	s_add_i32 s10, s11, s7
	v_mov_b32_e32 v36, s10
	s_add_i32 s10, s11, s9
	;; [unrolled: 2-line block ×3, first 2 shown]
	s_add_i32 s11, s11, s10
	v_mov_b32_e32 v40, s11
	ds_read_b64 v[34:35], v34
	ds_read_b64 v[36:37], v36
	;; [unrolled: 1-line block ×4, first 2 shown]
	s_waitcnt lgkmcnt(0)
	v_fma_f64 v[14:15], -v[6:7], v[34:35], v[14:15]
	v_fma_f64 v[14:15], -v[8:9], v[36:37], v[14:15]
	v_lshl_add_u64 v[34:35], s[2:3], 3, v[32:33]
	s_add_i32 s2, s0, -4
	v_fma_f64 v[14:15], -v[12:13], v[38:39], v[14:15]
	s_lshl_b32 s12, s2, 3
	v_mul_f64 v[14:15], v[40:41], v[14:15]
	s_add_i32 s11, s12, s6
	flat_store_dwordx2 v[34:35], v[14:15]
	v_mov_b32_e32 v34, s11
	s_add_i32 s11, s12, s7
	v_mov_b32_e32 v36, s11
	s_add_i32 s11, s12, s9
	;; [unrolled: 2-line block ×4, first 2 shown]
	s_add_i32 s12, s12, s11
	ds_read_b64 v[34:35], v34
	ds_read_b64 v[36:37], v36
	;; [unrolled: 1-line block ×4, first 2 shown]
	v_mov_b32_e32 v42, s12
	ds_read_b64 v[42:43], v42
	s_waitcnt lgkmcnt(0)
	v_fma_f64 v[16:17], -v[6:7], v[34:35], v[16:17]
	v_fma_f64 v[16:17], -v[8:9], v[36:37], v[16:17]
	;; [unrolled: 1-line block ×3, first 2 shown]
	v_lshl_add_u64 v[34:35], s[2:3], 3, v[32:33]
	s_add_i32 s2, s0, -5
	v_fma_f64 v[16:17], -v[14:15], v[40:41], v[16:17]
	s_lshl_b32 s13, s2, 3
	v_mul_f64 v[16:17], v[42:43], v[16:17]
	s_add_i32 s12, s13, s6
	flat_store_dwordx2 v[34:35], v[16:17]
	v_mov_b32_e32 v34, s12
	ds_read_b64 v[34:35], v34
	s_add_i32 s12, s13, s7
	v_mov_b32_e32 v36, s12
	s_add_i32 s12, s13, s9
	v_mov_b32_e32 v38, s12
	;; [unrolled: 2-line block ×3, first 2 shown]
	s_add_i32 s12, s13, s11
	s_waitcnt lgkmcnt(0)
	v_fma_f64 v[20:21], -v[6:7], v[34:35], v[20:21]
	v_mov_b32_e32 v34, s12
	s_add_i32 s12, s6, 0xfffffce0
	ds_read_b64 v[36:37], v36
	ds_read_b64 v[38:39], v38
	;; [unrolled: 1-line block ×3, first 2 shown]
	s_add_i32 s13, s13, s12
	v_mov_b32_e32 v42, s13
	ds_read_b64 v[34:35], v34
	ds_read_b64 v[42:43], v42
	s_waitcnt lgkmcnt(0)
	v_fma_f64 v[20:21], -v[8:9], v[36:37], v[20:21]
	v_fma_f64 v[20:21], -v[12:13], v[38:39], v[20:21]
	;; [unrolled: 1-line block ×4, first 2 shown]
	v_lshl_add_u64 v[34:35], s[2:3], 3, v[32:33]
	s_add_i32 s2, s0, -6
	s_lshl_b32 s14, s2, 3
	v_mul_f64 v[20:21], v[42:43], v[20:21]
	s_add_i32 s13, s14, s6
	flat_store_dwordx2 v[34:35], v[20:21]
	v_mov_b32_e32 v34, s13
	s_add_i32 s13, s14, s7
	v_mov_b32_e32 v36, s13
	ds_read_b64 v[34:35], v34
	ds_read_b64 v[36:37], v36
	s_add_i32 s13, s14, s9
	v_mov_b32_e32 v38, s13
	s_add_i32 s13, s14, s10
	v_mov_b32_e32 v40, s13
	s_add_i32 s13, s14, s11
	s_waitcnt lgkmcnt(0)
	v_fma_f64 v[22:23], -v[6:7], v[34:35], v[22:23]
	v_mov_b32_e32 v34, s13
	s_add_i32 s13, s14, s12
	ds_read_b64 v[38:39], v38
	ds_read_b64 v[40:41], v40
	v_fma_f64 v[22:23], -v[8:9], v[36:37], v[22:23]
	v_mov_b32_e32 v36, s13
	s_add_i32 s13, s6, 0xfffffc40
	s_add_i32 s14, s14, s13
	v_mov_b32_e32 v42, s14
	ds_read_b64 v[34:35], v34
	ds_read_b64 v[36:37], v36
	;; [unrolled: 1-line block ×3, first 2 shown]
	s_waitcnt lgkmcnt(0)
	v_fma_f64 v[22:23], -v[12:13], v[38:39], v[22:23]
	v_fma_f64 v[22:23], -v[14:15], v[40:41], v[22:23]
	;; [unrolled: 1-line block ×3, first 2 shown]
	v_lshl_add_u64 v[34:35], s[2:3], 3, v[32:33]
	s_add_i32 s2, s0, -7
	v_fma_f64 v[22:23], -v[20:21], v[36:37], v[22:23]
	s_lshl_b32 s15, s2, 3
	v_mul_f64 v[22:23], v[42:43], v[22:23]
	s_add_i32 s14, s15, s6
	flat_store_dwordx2 v[34:35], v[22:23]
	v_mov_b32_e32 v34, s14
	s_add_i32 s14, s15, s7
	v_mov_b32_e32 v36, s14
	s_add_i32 s14, s15, s9
	v_mov_b32_e32 v38, s14
	ds_read_b64 v[34:35], v34
	ds_read_b64 v[36:37], v36
	;; [unrolled: 1-line block ×3, first 2 shown]
	s_add_i32 s14, s15, s10
	v_mov_b32_e32 v40, s14
	s_add_i32 s14, s15, s11
	s_waitcnt lgkmcnt(0)
	v_fma_f64 v[26:27], -v[6:7], v[34:35], v[26:27]
	v_mov_b32_e32 v34, s14
	s_add_i32 s14, s15, s12
	ds_read_b64 v[40:41], v40
	v_fma_f64 v[26:27], -v[8:9], v[36:37], v[26:27]
	v_mov_b32_e32 v36, s14
	s_add_i32 s14, s15, s13
	v_fma_f64 v[26:27], -v[12:13], v[38:39], v[26:27]
	v_mov_b32_e32 v38, s14
	s_add_i32 s14, s6, 0xfffffba0
	s_add_i32 s15, s15, s14
	v_mov_b32_e32 v42, s15
	ds_read_b64 v[34:35], v34
	ds_read_b64 v[36:37], v36
	;; [unrolled: 1-line block ×4, first 2 shown]
	s_waitcnt lgkmcnt(0)
	v_fma_f64 v[26:27], -v[14:15], v[40:41], v[26:27]
	v_fma_f64 v[26:27], -v[16:17], v[34:35], v[26:27]
	;; [unrolled: 1-line block ×3, first 2 shown]
	v_lshl_add_u64 v[34:35], s[2:3], 3, v[32:33]
	s_add_i32 s2, s0, -8
	v_fma_f64 v[26:27], -v[22:23], v[38:39], v[26:27]
	s_lshl_b32 s16, s2, 3
	v_mul_f64 v[26:27], v[42:43], v[26:27]
	s_add_i32 s15, s16, s6
	flat_store_dwordx2 v[34:35], v[26:27]
	v_mov_b32_e32 v34, s15
	s_add_i32 s15, s16, s7
	v_mov_b32_e32 v36, s15
	s_add_i32 s15, s16, s9
	;; [unrolled: 2-line block ×3, first 2 shown]
	v_mov_b32_e32 v40, s15
	ds_read_b64 v[34:35], v34
	ds_read_b64 v[36:37], v36
	;; [unrolled: 1-line block ×4, first 2 shown]
	s_add_i32 s15, s16, s11
	s_waitcnt lgkmcnt(0)
	v_fma_f64 v[30:31], -v[6:7], v[34:35], v[30:31]
	v_mov_b32_e32 v34, s15
	s_add_i32 s15, s16, s12
	v_fma_f64 v[30:31], -v[8:9], v[36:37], v[30:31]
	v_mov_b32_e32 v36, s15
	s_add_i32 s15, s16, s13
	;; [unrolled: 3-line block ×4, first 2 shown]
	s_add_i32 s16, s16, s15
	ds_read_b64 v[34:35], v34
	ds_read_b64 v[36:37], v36
	ds_read_b64 v[38:39], v38
	ds_read_b64 v[40:41], v40
	v_mov_b32_e32 v42, s16
	ds_read_b64 v[42:43], v42
	s_waitcnt lgkmcnt(0)
	v_fma_f64 v[30:31], -v[16:17], v[34:35], v[30:31]
	v_fma_f64 v[30:31], -v[20:21], v[36:37], v[30:31]
	;; [unrolled: 1-line block ×3, first 2 shown]
	v_lshl_add_u64 v[34:35], s[2:3], 3, v[32:33]
	s_add_i32 s2, s0, -9
	v_fma_f64 v[30:31], -v[26:27], v[40:41], v[30:31]
	s_lshl_b32 s17, s2, 3
	v_mul_f64 v[30:31], v[42:43], v[30:31]
	s_add_i32 s16, s17, s6
	flat_store_dwordx2 v[34:35], v[30:31]
	v_mov_b32_e32 v34, s16
	s_add_i32 s16, s17, s7
	v_mov_b32_e32 v36, s16
	s_add_i32 s16, s17, s9
	v_mov_b32_e32 v38, s16
	s_add_i32 s16, s17, s10
	v_mov_b32_e32 v40, s16
	ds_read_b64 v[34:35], v34
	ds_read_b64 v[36:37], v36
	;; [unrolled: 1-line block ×4, first 2 shown]
	s_add_i32 s16, s17, s11
	s_waitcnt lgkmcnt(0)
	v_fma_f64 v[28:29], -v[6:7], v[34:35], v[28:29]
	v_mov_b32_e32 v34, s16
	ds_read_b64 v[34:35], v34
	s_add_i32 s16, s17, s12
	v_fma_f64 v[28:29], -v[8:9], v[36:37], v[28:29]
	v_mov_b32_e32 v36, s16
	s_add_i32 s16, s17, s13
	v_fma_f64 v[28:29], -v[12:13], v[38:39], v[28:29]
	v_mov_b32_e32 v38, s16
	;; [unrolled: 3-line block ×3, first 2 shown]
	s_add_i32 s16, s17, s15
	s_waitcnt lgkmcnt(0)
	v_fma_f64 v[28:29], -v[16:17], v[34:35], v[28:29]
	v_mov_b32_e32 v34, s16
	s_add_i32 s16, s6, 0xfffffa60
	ds_read_b64 v[36:37], v36
	ds_read_b64 v[38:39], v38
	;; [unrolled: 1-line block ×3, first 2 shown]
	s_add_i32 s17, s17, s16
	v_mov_b32_e32 v42, s17
	ds_read_b64 v[34:35], v34
	ds_read_b64 v[42:43], v42
	s_waitcnt lgkmcnt(0)
	v_fma_f64 v[28:29], -v[20:21], v[36:37], v[28:29]
	v_fma_f64 v[28:29], -v[22:23], v[38:39], v[28:29]
	;; [unrolled: 1-line block ×4, first 2 shown]
	v_lshl_add_u64 v[34:35], s[2:3], 3, v[32:33]
	s_add_i32 s2, s0, -10
	s_lshl_b32 s18, s2, 3
	v_mul_f64 v[28:29], v[42:43], v[28:29]
	s_add_i32 s17, s18, s6
	flat_store_dwordx2 v[34:35], v[28:29]
	v_mov_b32_e32 v34, s17
	s_add_i32 s17, s18, s7
	v_mov_b32_e32 v36, s17
	s_add_i32 s17, s18, s9
	;; [unrolled: 2-line block ×3, first 2 shown]
	v_mov_b32_e32 v40, s17
	ds_read_b64 v[34:35], v34
	ds_read_b64 v[36:37], v36
	;; [unrolled: 1-line block ×4, first 2 shown]
	s_add_i32 s17, s18, s11
	s_waitcnt lgkmcnt(0)
	v_fma_f64 v[24:25], -v[6:7], v[34:35], v[24:25]
	v_mov_b32_e32 v34, s17
	s_add_i32 s17, s18, s12
	v_fma_f64 v[24:25], -v[8:9], v[36:37], v[24:25]
	v_mov_b32_e32 v36, s17
	ds_read_b64 v[34:35], v34
	ds_read_b64 v[36:37], v36
	s_add_i32 s17, s18, s13
	v_fma_f64 v[24:25], -v[12:13], v[38:39], v[24:25]
	v_mov_b32_e32 v38, s17
	s_add_i32 s17, s18, s14
	v_fma_f64 v[24:25], -v[14:15], v[40:41], v[24:25]
	v_mov_b32_e32 v40, s17
	s_add_i32 s17, s18, s15
	s_waitcnt lgkmcnt(0)
	v_fma_f64 v[24:25], -v[16:17], v[34:35], v[24:25]
	v_mov_b32_e32 v34, s17
	s_add_i32 s17, s18, s16
	ds_read_b64 v[38:39], v38
	ds_read_b64 v[40:41], v40
	v_fma_f64 v[24:25], -v[20:21], v[36:37], v[24:25]
	v_mov_b32_e32 v36, s17
	s_add_i32 s17, s6, 0xfffff9c0
	s_add_i32 s18, s18, s17
	v_mov_b32_e32 v42, s18
	ds_read_b64 v[34:35], v34
	ds_read_b64 v[36:37], v36
	;; [unrolled: 1-line block ×3, first 2 shown]
	s_waitcnt lgkmcnt(0)
	v_fma_f64 v[24:25], -v[22:23], v[38:39], v[24:25]
	v_fma_f64 v[24:25], -v[26:27], v[40:41], v[24:25]
	;; [unrolled: 1-line block ×3, first 2 shown]
	v_lshl_add_u64 v[34:35], s[2:3], 3, v[32:33]
	s_add_i32 s2, s0, -11
	v_fma_f64 v[24:25], -v[28:29], v[36:37], v[24:25]
	s_lshl_b32 s19, s2, 3
	v_mul_f64 v[24:25], v[42:43], v[24:25]
	s_add_i32 s18, s19, s6
	flat_store_dwordx2 v[34:35], v[24:25]
	v_mov_b32_e32 v34, s18
	s_add_i32 s18, s19, s7
	v_mov_b32_e32 v36, s18
	s_add_i32 s18, s19, s9
	;; [unrolled: 2-line block ×3, first 2 shown]
	v_mov_b32_e32 v40, s18
	ds_read_b64 v[34:35], v34
	ds_read_b64 v[36:37], v36
	;; [unrolled: 1-line block ×4, first 2 shown]
	s_add_i32 s18, s19, s11
	s_waitcnt lgkmcnt(0)
	v_fma_f64 v[18:19], -v[6:7], v[34:35], v[18:19]
	v_mov_b32_e32 v34, s18
	s_add_i32 s18, s19, s12
	v_fma_f64 v[18:19], -v[8:9], v[36:37], v[18:19]
	v_mov_b32_e32 v36, s18
	s_add_i32 s18, s19, s13
	v_fma_f64 v[18:19], -v[12:13], v[38:39], v[18:19]
	v_mov_b32_e32 v38, s18
	ds_read_b64 v[34:35], v34
	ds_read_b64 v[36:37], v36
	;; [unrolled: 1-line block ×3, first 2 shown]
	s_add_i32 s18, s19, s14
	v_fma_f64 v[18:19], -v[14:15], v[40:41], v[18:19]
	v_mov_b32_e32 v40, s18
	s_add_i32 s18, s19, s15
	s_waitcnt lgkmcnt(0)
	v_fma_f64 v[18:19], -v[16:17], v[34:35], v[18:19]
	v_mov_b32_e32 v34, s18
	s_add_i32 s18, s19, s16
	ds_read_b64 v[40:41], v40
	v_fma_f64 v[18:19], -v[20:21], v[36:37], v[18:19]
	v_mov_b32_e32 v36, s18
	s_add_i32 s18, s19, s17
	v_fma_f64 v[18:19], -v[22:23], v[38:39], v[18:19]
	v_mov_b32_e32 v38, s18
	s_add_i32 s18, s6, 0xfffff920
	s_add_i32 s19, s19, s18
	v_mov_b32_e32 v42, s19
	ds_read_b64 v[34:35], v34
	ds_read_b64 v[36:37], v36
	;; [unrolled: 1-line block ×4, first 2 shown]
	s_waitcnt lgkmcnt(0)
	v_fma_f64 v[18:19], -v[26:27], v[40:41], v[18:19]
	v_fma_f64 v[18:19], -v[30:31], v[34:35], v[18:19]
	;; [unrolled: 1-line block ×3, first 2 shown]
	v_lshl_add_u64 v[34:35], s[2:3], 3, v[32:33]
	s_add_i32 s2, s0, -12
	v_fma_f64 v[18:19], -v[24:25], v[38:39], v[18:19]
	s_lshl_b32 s19, s2, 3
	v_mul_f64 v[18:19], v[42:43], v[18:19]
	s_add_i32 s20, s19, s6
	flat_store_dwordx2 v[34:35], v[18:19]
	v_mov_b32_e32 v34, s20
	s_add_i32 s20, s19, s7
	v_mov_b32_e32 v36, s20
	s_add_i32 s20, s19, s9
	v_mov_b32_e32 v38, s20
	ds_read_b64 v[34:35], v34
	ds_read_b64 v[36:37], v36
	;; [unrolled: 1-line block ×3, first 2 shown]
	s_add_i32 s20, s19, s10
	v_mov_b32_e32 v40, s20
	s_add_i32 s20, s19, s11
	ds_read_b64 v[40:41], v40
	s_waitcnt lgkmcnt(0)
	v_fma_f64 v[10:11], -v[6:7], v[34:35], v[10:11]
	v_mov_b32_e32 v34, s20
	s_add_i32 s20, s19, s12
	v_fma_f64 v[10:11], -v[8:9], v[36:37], v[10:11]
	v_mov_b32_e32 v36, s20
	s_add_i32 s20, s19, s13
	;; [unrolled: 3-line block ×3, first 2 shown]
	v_mov_b32_e32 v42, s20
	ds_read_b64 v[34:35], v34
	ds_read_b64 v[36:37], v36
	;; [unrolled: 1-line block ×4, first 2 shown]
	v_fma_f64 v[10:11], -v[14:15], v[40:41], v[10:11]
	s_add_i32 s20, s19, s15
	s_waitcnt lgkmcnt(0)
	v_fma_f64 v[10:11], -v[16:17], v[34:35], v[10:11]
	v_mov_b32_e32 v34, s20
	s_add_i32 s20, s19, s16
	v_fma_f64 v[10:11], -v[20:21], v[36:37], v[10:11]
	v_mov_b32_e32 v36, s20
	s_add_i32 s20, s19, s17
	s_add_i32 s19, s19, s18
	v_fma_f64 v[10:11], -v[22:23], v[38:39], v[10:11]
	v_mov_b32_e32 v38, s20
	v_mov_b32_e32 v40, s19
	s_add_i32 s19, s1, 0xfffff820
	v_fma_f64 v[10:11], -v[26:27], v[42:43], v[10:11]
	ds_read_b64 v[34:35], v34
	ds_read_b64 v[36:37], v36
	;; [unrolled: 1-line block ×4, first 2 shown]
	v_mov_b32_e32 v42, s19
	ds_read_b64 v[42:43], v42
	s_waitcnt lgkmcnt(0)
	v_fma_f64 v[10:11], -v[30:31], v[34:35], v[10:11]
	v_fma_f64 v[10:11], -v[28:29], v[36:37], v[10:11]
	;; [unrolled: 1-line block ×3, first 2 shown]
	v_lshl_add_u64 v[34:35], s[2:3], 3, v[32:33]
	s_add_i32 s2, s0, -13
	v_fma_f64 v[10:11], -v[18:19], v[40:41], v[10:11]
	s_lshl_b32 s19, s2, 3
	v_mul_f64 v[10:11], v[42:43], v[10:11]
	s_add_i32 s20, s19, s6
	flat_store_dwordx2 v[34:35], v[10:11]
	v_mov_b32_e32 v34, s20
	s_add_i32 s20, s19, s7
	v_mov_b32_e32 v36, s20
	s_add_i32 s20, s19, s9
	v_mov_b32_e32 v38, s20
	ds_read_b64 v[34:35], v34
	ds_read_b64 v[36:37], v36
	;; [unrolled: 1-line block ×3, first 2 shown]
	s_add_i32 s20, s19, s10
	v_mov_b32_e32 v40, s20
	s_add_i32 s20, s19, s11
	ds_read_b64 v[40:41], v40
	s_waitcnt lgkmcnt(0)
	v_fma_f64 v[4:5], -v[6:7], v[34:35], v[4:5]
	v_mov_b32_e32 v34, s20
	s_add_i32 s20, s19, s12
	v_fma_f64 v[4:5], -v[8:9], v[36:37], v[4:5]
	v_mov_b32_e32 v36, s20
	s_add_i32 s20, s19, s13
	;; [unrolled: 3-line block ×3, first 2 shown]
	v_mov_b32_e32 v42, s20
	ds_read_b64 v[34:35], v34
	ds_read_b64 v[36:37], v36
	;; [unrolled: 1-line block ×4, first 2 shown]
	v_fma_f64 v[4:5], -v[14:15], v[40:41], v[4:5]
	s_add_i32 s20, s19, s15
	s_waitcnt lgkmcnt(0)
	v_fma_f64 v[4:5], -v[16:17], v[34:35], v[4:5]
	v_mov_b32_e32 v34, s20
	ds_read_b64 v[34:35], v34
	s_add_i32 s20, s19, s16
	v_fma_f64 v[4:5], -v[20:21], v[36:37], v[4:5]
	v_mov_b32_e32 v36, s20
	s_add_i32 s20, s19, s17
	v_fma_f64 v[4:5], -v[22:23], v[38:39], v[4:5]
	v_mov_b32_e32 v38, s20
	s_add_i32 s20, s19, s18
	v_mov_b32_e32 v40, s20
	s_add_i32 s20, s6, 0xfffff880
	v_fma_f64 v[4:5], -v[26:27], v[42:43], v[4:5]
	s_add_i32 s19, s19, s20
	ds_read_b64 v[36:37], v36
	ds_read_b64 v[38:39], v38
	;; [unrolled: 1-line block ×3, first 2 shown]
	s_waitcnt lgkmcnt(0)
	v_fma_f64 v[4:5], -v[30:31], v[34:35], v[4:5]
	v_mov_b32_e32 v34, s19
	s_add_i32 s19, s1, 0xfffff778
	v_mov_b32_e32 v42, s19
	ds_read_b64 v[34:35], v34
	ds_read_b64 v[42:43], v42
	v_fma_f64 v[4:5], -v[28:29], v[36:37], v[4:5]
	v_fma_f64 v[4:5], -v[24:25], v[38:39], v[4:5]
	;; [unrolled: 1-line block ×3, first 2 shown]
	s_waitcnt lgkmcnt(0)
	v_fma_f64 v[4:5], -v[10:11], v[34:35], v[4:5]
	v_lshl_add_u64 v[34:35], s[2:3], 3, v[32:33]
	s_add_i32 s2, s0, -14
	s_lshl_b32 s19, s2, 3
	v_mul_f64 v[4:5], v[42:43], v[4:5]
	s_add_i32 s21, s19, s6
	flat_store_dwordx2 v[34:35], v[4:5]
	v_mov_b32_e32 v34, s21
	s_add_i32 s21, s19, s7
	v_mov_b32_e32 v36, s21
	s_add_i32 s21, s19, s9
	v_mov_b32_e32 v38, s21
	ds_read_b64 v[34:35], v34
	ds_read_b64 v[36:37], v36
	;; [unrolled: 1-line block ×3, first 2 shown]
	s_add_i32 s21, s19, s10
	v_mov_b32_e32 v40, s21
	s_add_i32 s21, s19, s11
	ds_read_b64 v[40:41], v40
	s_waitcnt lgkmcnt(0)
	v_fma_f64 v[2:3], -v[6:7], v[34:35], v[2:3]
	v_mov_b32_e32 v34, s21
	s_add_i32 s21, s19, s12
	v_fma_f64 v[2:3], -v[8:9], v[36:37], v[2:3]
	v_mov_b32_e32 v36, s21
	s_add_i32 s21, s19, s13
	;; [unrolled: 3-line block ×3, first 2 shown]
	v_mov_b32_e32 v42, s21
	ds_read_b64 v[34:35], v34
	ds_read_b64 v[36:37], v36
	;; [unrolled: 1-line block ×4, first 2 shown]
	v_fma_f64 v[2:3], -v[14:15], v[40:41], v[2:3]
	s_add_i32 s21, s19, s15
	s_waitcnt lgkmcnt(0)
	v_fma_f64 v[2:3], -v[16:17], v[34:35], v[2:3]
	v_mov_b32_e32 v34, s21
	s_add_i32 s21, s19, s16
	v_fma_f64 v[2:3], -v[20:21], v[36:37], v[2:3]
	v_mov_b32_e32 v36, s21
	ds_read_b64 v[34:35], v34
	ds_read_b64 v[36:37], v36
	s_add_i32 s21, s19, s17
	v_fma_f64 v[2:3], -v[22:23], v[38:39], v[2:3]
	v_mov_b32_e32 v38, s21
	s_add_i32 s21, s19, s18
	v_fma_f64 v[2:3], -v[26:27], v[42:43], v[2:3]
	v_mov_b32_e32 v40, s21
	s_add_i32 s21, s19, s20
	s_waitcnt lgkmcnt(0)
	v_fma_f64 v[2:3], -v[30:31], v[34:35], v[2:3]
	v_mov_b32_e32 v34, s21
	s_add_i32 s21, s6, 0xfffff7e0
	ds_read_b64 v[38:39], v38
	ds_read_b64 v[40:41], v40
	s_add_i32 s19, s19, s21
	v_fma_f64 v[2:3], -v[28:29], v[36:37], v[2:3]
	v_mov_b32_e32 v36, s19
	s_add_i32 s19, s1, 0xfffff6d0
	v_mov_b32_e32 v42, s19
	ds_read_b64 v[34:35], v34
	ds_read_b64 v[36:37], v36
	;; [unrolled: 1-line block ×3, first 2 shown]
	s_waitcnt lgkmcnt(0)
	v_fma_f64 v[2:3], -v[24:25], v[38:39], v[2:3]
	v_fma_f64 v[2:3], -v[18:19], v[40:41], v[2:3]
	;; [unrolled: 1-line block ×3, first 2 shown]
	v_lshl_add_u64 v[34:35], s[2:3], 3, v[32:33]
	s_add_i32 s2, s0, -15
	v_fma_f64 v[2:3], -v[4:5], v[36:37], v[2:3]
	s_lshl_b32 s19, s2, 3
	v_mul_f64 v[2:3], v[42:43], v[2:3]
	s_add_i32 s6, s19, s6
	flat_store_dwordx2 v[34:35], v[2:3]
	v_mov_b32_e32 v34, s6
	s_add_i32 s6, s19, s7
	v_mov_b32_e32 v36, s6
	s_add_i32 s6, s19, s9
	v_mov_b32_e32 v38, s6
	ds_read_b64 v[34:35], v34
	ds_read_b64 v[36:37], v36
	;; [unrolled: 1-line block ×3, first 2 shown]
	s_add_i32 s6, s19, s10
	v_mov_b32_e32 v40, s6
	s_add_i32 s6, s19, s11
	ds_read_b64 v[40:41], v40
	s_waitcnt lgkmcnt(0)
	v_fma_f64 v[0:1], -v[6:7], v[34:35], v[0:1]
	v_mov_b32_e32 v6, s6
	s_add_i32 s6, s19, s12
	v_fma_f64 v[0:1], -v[8:9], v[36:37], v[0:1]
	v_mov_b32_e32 v8, s6
	s_add_i32 s6, s19, s13
	;; [unrolled: 3-line block ×3, first 2 shown]
	v_mov_b32_e32 v34, s6
	ds_read_b64 v[6:7], v6
	ds_read_b64 v[8:9], v8
	;; [unrolled: 1-line block ×4, first 2 shown]
	v_fma_f64 v[0:1], -v[14:15], v[40:41], v[0:1]
	s_add_i32 s6, s19, s15
	s_waitcnt lgkmcnt(0)
	v_fma_f64 v[0:1], -v[16:17], v[6:7], v[0:1]
	v_mov_b32_e32 v6, s6
	s_add_i32 s6, s19, s16
	v_fma_f64 v[0:1], -v[20:21], v[8:9], v[0:1]
	v_mov_b32_e32 v8, s6
	s_add_i32 s6, s19, s17
	v_fma_f64 v[0:1], -v[22:23], v[12:13], v[0:1]
	v_mov_b32_e32 v12, s6
	ds_read_b64 v[6:7], v6
	ds_read_b64 v[8:9], v8
	;; [unrolled: 1-line block ×3, first 2 shown]
	s_add_i32 s6, s19, s18
	v_mov_b32_e32 v14, s6
	v_fma_f64 v[0:1], -v[26:27], v[34:35], v[0:1]
	ds_read_b64 v[14:15], v14
	s_add_i32 s6, s19, s20
	s_waitcnt lgkmcnt(0)
	v_fma_f64 v[0:1], -v[30:31], v[6:7], v[0:1]
	v_mov_b32_e32 v6, s6
	s_add_i32 s6, s19, s21
	v_fma_f64 v[0:1], -v[28:29], v[8:9], v[0:1]
	v_mov_b32_e32 v8, s6
	s_addk_i32 s6, 0xff60
	s_addk_i32 s1, 0xf628
	v_fma_f64 v[0:1], -v[24:25], v[12:13], v[0:1]
	v_mov_b32_e32 v12, s6
	v_mov_b32_e32 v16, s1
	ds_read_b64 v[6:7], v6
	ds_read_b64 v[8:9], v8
	;; [unrolled: 1-line block ×4, first 2 shown]
	v_fma_f64 v[0:1], -v[18:19], v[14:15], v[0:1]
	s_waitcnt lgkmcnt(0)
	v_fma_f64 v[0:1], -v[10:11], v[6:7], v[0:1]
	v_fma_f64 v[0:1], -v[4:5], v[8:9], v[0:1]
	v_fma_f64 v[0:1], -v[2:3], v[12:13], v[0:1]
	v_mul_f64 v[0:1], v[16:17], v[0:1]
	v_lshl_add_u64 v[2:3], s[2:3], 3, v[32:33]
	s_add_i32 s0, s0, -16
	flat_store_dwordx2 v[2:3], v[0:1]
.LBB88_34:
	s_cmp_lt_i32 s0, 0
	s_cbranch_scc1 .LBB88_51
; %bb.35:
	s_and_b32 s1, s0, 3
	s_cmp_eq_u32 s1, 3
	s_mul_i32 s1, s22, 0xa0
	s_mov_b32 s2, s0
	s_cbranch_scc1 .LBB88_40
; %bb.36:
	s_add_i32 s2, s0, 1
	s_and_b32 s9, s2, 3
	s_lshl_b32 s2, s0, 3
	s_add_i32 s2, s1, s2
	s_add_i32 s10, s2, 0xffffff60
	s_mov_b32 s7, 0
	s_mov_b32 s2, s0
	;; [unrolled: 1-line block ×3, first 2 shown]
	s_branch .LBB88_38
.LBB88_37:                              ;   in Loop: Header=BB88_38 Depth=1
	s_mul_i32 s3, s2, 0xa8
	v_mov_b32_e32 v4, s3
	ds_read_b64 v[4:5], v4
	s_add_i32 s2, s2, -1
	s_add_i32 s11, s11, 1
	s_add_i32 s10, s10, -8
	s_cmp_lg_u32 s11, s9
	s_waitcnt lgkmcnt(0)
	v_mul_f64 v[2:3], v[4:5], v[2:3]
	flat_store_dwordx2 v[0:1], v[2:3]
	s_cbranch_scc0 .LBB88_40
.LBB88_38:                              ; =>This Loop Header: Depth=1
                                        ;     Child Loop BB88_39 Depth 2
	s_mov_b32 s3, s7
	v_lshl_add_u64 v[0:1], s[2:3], 3, v[32:33]
	flat_load_dwordx2 v[2:3], v[0:1]
	s_cmp_le_i32 s8, s2
	s_mov_b32 s3, s10
	s_mov_b32 s6, s8
	s_waitcnt vmcnt(0) lgkmcnt(0)
	v_mul_f64 v[2:3], s[4:5], v[2:3]
	s_cbranch_scc1 .LBB88_37
.LBB88_39:                              ;   Parent Loop BB88_38 Depth=1
                                        ; =>  This Inner Loop Header: Depth=2
	v_lshl_add_u64 v[4:5], s[6:7], 3, v[32:33]
	flat_load_dwordx2 v[4:5], v[4:5]
	v_mov_b32_e32 v6, s3
	ds_read_b64 v[6:7], v6
	s_add_i32 s6, s6, -1
	s_addk_i32 s3, 0xff60
	s_cmp_gt_i32 s6, s2
	s_waitcnt vmcnt(0) lgkmcnt(0)
	v_fma_f64 v[2:3], -v[4:5], v[6:7], v[2:3]
	s_cbranch_scc1 .LBB88_39
	s_branch .LBB88_37
.LBB88_40:
	s_cmp_lt_u32 s0, 3
	s_cbranch_scc1 .LBB88_51
; %bb.41:
	s_lshl_b32 s0, s2, 3
	s_add_i32 s0, s1, s0
	s_add_i32 s9, s0, 0xffffff60
	;; [unrolled: 1-line block ×5, first 2 shown]
	s_mov_b32 s1, 0
	s_branch .LBB88_43
.LBB88_42:                              ;   in Loop: Header=BB88_43 Depth=1
	s_add_i32 s0, s3, 0xffffff58
	v_mov_b32_e32 v4, s0
	ds_read_b64 v[4:5], v4
	s_add_i32 s0, s2, -4
	s_sub_i32 s9, s9, 32
	s_sub_i32 s10, s10, 32
	s_sub_i32 s11, s11, 32
	s_sub_i32 s12, s12, 32
	s_waitcnt lgkmcnt(0)
	v_mul_f64 v[2:3], v[4:5], v[2:3]
	s_cmp_lt_i32 s2, 4
	s_mov_b32 s2, s0
	flat_store_dwordx2 v[0:1], v[2:3]
	s_cbranch_scc1 .LBB88_51
.LBB88_43:                              ; =>This Loop Header: Depth=1
                                        ;     Child Loop BB88_44 Depth 2
                                        ;     Child Loop BB88_46 Depth 2
	;; [unrolled: 1-line block ×4, first 2 shown]
	s_mov_b32 s3, s1
	v_lshl_add_u64 v[2:3], s[2:3], 3, v[32:33]
	flat_load_dwordx2 v[0:1], v[2:3]
	s_cmp_le_i32 s8, s2
	s_mov_b32 s3, s9
	s_mov_b32 s0, s8
	s_waitcnt vmcnt(0) lgkmcnt(0)
	v_mul_f64 v[4:5], s[4:5], v[0:1]
	s_cbranch_scc1 .LBB88_45
.LBB88_44:                              ;   Parent Loop BB88_43 Depth=1
                                        ; =>  This Inner Loop Header: Depth=2
	v_lshl_add_u64 v[0:1], s[0:1], 3, v[32:33]
	flat_load_dwordx2 v[0:1], v[0:1]
	v_mov_b32_e32 v6, s3
	ds_read_b64 v[6:7], v6
	s_add_i32 s0, s0, -1
	s_addk_i32 s3, 0xff60
	s_cmp_gt_i32 s0, s2
	s_waitcnt vmcnt(0) lgkmcnt(0)
	v_fma_f64 v[4:5], -v[0:1], v[6:7], v[4:5]
	s_cbranch_scc1 .LBB88_44
.LBB88_45:                              ;   in Loop: Header=BB88_43 Depth=1
	s_add_i32 s0, s2, -1
	v_lshl_add_u64 v[0:1], s[0:1], 3, v[32:33]
	flat_load_dwordx2 v[6:7], v[0:1]
	s_mul_i32 s3, s2, 0xa8
	v_mov_b32_e32 v8, s3
	ds_read_b64 v[8:9], v8
	s_mov_b32 s6, s10
	s_cmp_le_i32 s22, s2
	s_mov_b32 s0, s22
	s_waitcnt lgkmcnt(0)
	v_mul_f64 v[4:5], v[8:9], v[4:5]
	flat_store_dwordx2 v[2:3], v[4:5]
	s_waitcnt vmcnt(0)
	v_mul_f64 v[4:5], s[4:5], v[6:7]
	s_cbranch_scc1 .LBB88_47
.LBB88_46:                              ;   Parent Loop BB88_43 Depth=1
                                        ; =>  This Inner Loop Header: Depth=2
	s_add_i32 s0, s0, -1
	v_lshl_add_u64 v[2:3], s[0:1], 3, v[32:33]
	flat_load_dwordx2 v[2:3], v[2:3]
	v_mov_b32_e32 v6, s6
	ds_read_b64 v[6:7], v6
	s_addk_i32 s6, 0xff60
	s_cmp_gt_i32 s0, s2
	s_waitcnt vmcnt(0) lgkmcnt(0)
	v_fma_f64 v[4:5], -v[2:3], v[6:7], v[4:5]
	s_cbranch_scc1 .LBB88_46
.LBB88_47:                              ;   in Loop: Header=BB88_43 Depth=1
	s_add_i32 s6, s2, -2
	s_mov_b32 s7, s1
	v_lshl_add_u64 v[2:3], s[6:7], 3, v[32:33]
	flat_load_dwordx2 v[6:7], v[2:3]
	s_addk_i32 s3, 0xff58
	v_mov_b32_e32 v8, s3
	ds_read_b64 v[8:9], v8
	s_mov_b32 s7, s11
	s_cmp_le_i32 s8, s6
	s_mov_b32 s0, s8
	s_waitcnt lgkmcnt(0)
	v_mul_f64 v[4:5], v[8:9], v[4:5]
	flat_store_dwordx2 v[0:1], v[4:5]
	s_waitcnt vmcnt(0)
	v_mul_f64 v[4:5], s[4:5], v[6:7]
	s_cbranch_scc1 .LBB88_49
.LBB88_48:                              ;   Parent Loop BB88_43 Depth=1
                                        ; =>  This Inner Loop Header: Depth=2
	v_lshl_add_u64 v[0:1], s[0:1], 3, v[32:33]
	flat_load_dwordx2 v[0:1], v[0:1]
	v_mov_b32_e32 v6, s7
	ds_read_b64 v[6:7], v6
	s_add_i32 s0, s0, -1
	s_addk_i32 s7, 0xff60
	s_cmp_gt_i32 s0, s6
	s_waitcnt vmcnt(0) lgkmcnt(0)
	v_fma_f64 v[4:5], -v[0:1], v[6:7], v[4:5]
	s_cbranch_scc1 .LBB88_48
.LBB88_49:                              ;   in Loop: Header=BB88_43 Depth=1
	s_add_i32 s6, s2, -3
	s_mov_b32 s7, s1
	v_lshl_add_u64 v[0:1], s[6:7], 3, v[32:33]
	flat_load_dwordx2 v[6:7], v[0:1]
	s_addk_i32 s3, 0xff58
	v_mov_b32_e32 v8, s3
	ds_read_b64 v[8:9], v8
	s_mov_b32 s7, s12
	s_cmp_le_i32 s8, s6
	s_mov_b32 s0, s8
	s_waitcnt lgkmcnt(0)
	v_mul_f64 v[4:5], v[8:9], v[4:5]
	flat_store_dwordx2 v[2:3], v[4:5]
	s_waitcnt vmcnt(0)
	v_mul_f64 v[2:3], s[4:5], v[6:7]
	s_cbranch_scc1 .LBB88_42
.LBB88_50:                              ;   Parent Loop BB88_43 Depth=1
                                        ; =>  This Inner Loop Header: Depth=2
	v_lshl_add_u64 v[4:5], s[0:1], 3, v[32:33]
	flat_load_dwordx2 v[4:5], v[4:5]
	v_mov_b32_e32 v6, s7
	ds_read_b64 v[6:7], v6
	s_add_i32 s0, s0, -1
	s_addk_i32 s7, 0xff60
	s_cmp_gt_i32 s0, s6
	s_waitcnt vmcnt(0) lgkmcnt(0)
	v_fma_f64 v[2:3], -v[4:5], v[6:7], v[2:3]
	s_cbranch_scc1 .LBB88_50
	s_branch .LBB88_42
.LBB88_51:
	s_endpgm
	.section	.rodata,"a",@progbits
	.p2align	6, 0x0
	.amdhsa_kernel _ZL30rocblas_trsm_small_left_deviceILi20ELi20ELb0EddPKPKdPKPdEv13rocblas_fill_18rocblas_operation_17rocblas_diagonal_iiT3_T4_lilT5_lili
		.amdhsa_group_segment_fixed_size 3200
		.amdhsa_private_segment_fixed_size 0
		.amdhsa_kernarg_size 360
		.amdhsa_user_sgpr_count 2
		.amdhsa_user_sgpr_dispatch_ptr 0
		.amdhsa_user_sgpr_queue_ptr 0
		.amdhsa_user_sgpr_kernarg_segment_ptr 1
		.amdhsa_user_sgpr_dispatch_id 0
		.amdhsa_user_sgpr_kernarg_preload_length 0
		.amdhsa_user_sgpr_kernarg_preload_offset 0
		.amdhsa_user_sgpr_private_segment_size 0
		.amdhsa_uses_dynamic_stack 0
		.amdhsa_enable_private_segment 0
		.amdhsa_system_sgpr_workgroup_id_x 1
		.amdhsa_system_sgpr_workgroup_id_y 0
		.amdhsa_system_sgpr_workgroup_id_z 1
		.amdhsa_system_sgpr_workgroup_info 0
		.amdhsa_system_vgpr_workitem_id 0
		.amdhsa_next_free_vgpr 62
		.amdhsa_next_free_sgpr 26
		.amdhsa_accum_offset 64
		.amdhsa_reserve_vcc 1
		.amdhsa_float_round_mode_32 0
		.amdhsa_float_round_mode_16_64 0
		.amdhsa_float_denorm_mode_32 3
		.amdhsa_float_denorm_mode_16_64 3
		.amdhsa_dx10_clamp 1
		.amdhsa_ieee_mode 1
		.amdhsa_fp16_overflow 0
		.amdhsa_tg_split 0
		.amdhsa_exception_fp_ieee_invalid_op 0
		.amdhsa_exception_fp_denorm_src 0
		.amdhsa_exception_fp_ieee_div_zero 0
		.amdhsa_exception_fp_ieee_overflow 0
		.amdhsa_exception_fp_ieee_underflow 0
		.amdhsa_exception_fp_ieee_inexact 0
		.amdhsa_exception_int_div_zero 0
	.end_amdhsa_kernel
	.section	.text._ZL30rocblas_trsm_small_left_deviceILi20ELi20ELb0EddPKPKdPKPdEv13rocblas_fill_18rocblas_operation_17rocblas_diagonal_iiT3_T4_lilT5_lili,"axG",@progbits,_ZL30rocblas_trsm_small_left_deviceILi20ELi20ELb0EddPKPKdPKPdEv13rocblas_fill_18rocblas_operation_17rocblas_diagonal_iiT3_T4_lilT5_lili,comdat
.Lfunc_end88:
	.size	_ZL30rocblas_trsm_small_left_deviceILi20ELi20ELb0EddPKPKdPKPdEv13rocblas_fill_18rocblas_operation_17rocblas_diagonal_iiT3_T4_lilT5_lili, .Lfunc_end88-_ZL30rocblas_trsm_small_left_deviceILi20ELi20ELb0EddPKPKdPKPdEv13rocblas_fill_18rocblas_operation_17rocblas_diagonal_iiT3_T4_lilT5_lili
                                        ; -- End function
	.set _ZL30rocblas_trsm_small_left_deviceILi20ELi20ELb0EddPKPKdPKPdEv13rocblas_fill_18rocblas_operation_17rocblas_diagonal_iiT3_T4_lilT5_lili.num_vgpr, 62
	.set _ZL30rocblas_trsm_small_left_deviceILi20ELi20ELb0EddPKPKdPKPdEv13rocblas_fill_18rocblas_operation_17rocblas_diagonal_iiT3_T4_lilT5_lili.num_agpr, 0
	.set _ZL30rocblas_trsm_small_left_deviceILi20ELi20ELb0EddPKPKdPKPdEv13rocblas_fill_18rocblas_operation_17rocblas_diagonal_iiT3_T4_lilT5_lili.numbered_sgpr, 26
	.set _ZL30rocblas_trsm_small_left_deviceILi20ELi20ELb0EddPKPKdPKPdEv13rocblas_fill_18rocblas_operation_17rocblas_diagonal_iiT3_T4_lilT5_lili.num_named_barrier, 0
	.set _ZL30rocblas_trsm_small_left_deviceILi20ELi20ELb0EddPKPKdPKPdEv13rocblas_fill_18rocblas_operation_17rocblas_diagonal_iiT3_T4_lilT5_lili.private_seg_size, 0
	.set _ZL30rocblas_trsm_small_left_deviceILi20ELi20ELb0EddPKPKdPKPdEv13rocblas_fill_18rocblas_operation_17rocblas_diagonal_iiT3_T4_lilT5_lili.uses_vcc, 1
	.set _ZL30rocblas_trsm_small_left_deviceILi20ELi20ELb0EddPKPKdPKPdEv13rocblas_fill_18rocblas_operation_17rocblas_diagonal_iiT3_T4_lilT5_lili.uses_flat_scratch, 0
	.set _ZL30rocblas_trsm_small_left_deviceILi20ELi20ELb0EddPKPKdPKPdEv13rocblas_fill_18rocblas_operation_17rocblas_diagonal_iiT3_T4_lilT5_lili.has_dyn_sized_stack, 0
	.set _ZL30rocblas_trsm_small_left_deviceILi20ELi20ELb0EddPKPKdPKPdEv13rocblas_fill_18rocblas_operation_17rocblas_diagonal_iiT3_T4_lilT5_lili.has_recursion, 0
	.set _ZL30rocblas_trsm_small_left_deviceILi20ELi20ELb0EddPKPKdPKPdEv13rocblas_fill_18rocblas_operation_17rocblas_diagonal_iiT3_T4_lilT5_lili.has_indirect_call, 0
	.section	.AMDGPU.csdata,"",@progbits
; Kernel info:
; codeLenInByte = 15988
; TotalNumSgprs: 32
; NumVgprs: 62
; NumAgprs: 0
; TotalNumVgprs: 62
; ScratchSize: 0
; MemoryBound: 1
; FloatMode: 240
; IeeeMode: 1
; LDSByteSize: 3200 bytes/workgroup (compile time only)
; SGPRBlocks: 3
; VGPRBlocks: 7
; NumSGPRsForWavesPerEU: 32
; NumVGPRsForWavesPerEU: 62
; AccumOffset: 64
; Occupancy: 8
; WaveLimiterHint : 1
; COMPUTE_PGM_RSRC2:SCRATCH_EN: 0
; COMPUTE_PGM_RSRC2:USER_SGPR: 2
; COMPUTE_PGM_RSRC2:TRAP_HANDLER: 0
; COMPUTE_PGM_RSRC2:TGID_X_EN: 1
; COMPUTE_PGM_RSRC2:TGID_Y_EN: 0
; COMPUTE_PGM_RSRC2:TGID_Z_EN: 1
; COMPUTE_PGM_RSRC2:TIDIG_COMP_CNT: 0
; COMPUTE_PGM_RSRC3_GFX90A:ACCUM_OFFSET: 15
; COMPUTE_PGM_RSRC3_GFX90A:TG_SPLIT: 0
	.section	.text._ZL38rocblas_trsm_small_left_device_sharedBILi20ELi20ELb1EddPKPKdPKPdEv13rocblas_fill_18rocblas_operation_17rocblas_diagonal_iiT3_T4_lilT5_lili,"axG",@progbits,_ZL38rocblas_trsm_small_left_device_sharedBILi20ELi20ELb1EddPKPKdPKPdEv13rocblas_fill_18rocblas_operation_17rocblas_diagonal_iiT3_T4_lilT5_lili,comdat
	.globl	_ZL38rocblas_trsm_small_left_device_sharedBILi20ELi20ELb1EddPKPKdPKPdEv13rocblas_fill_18rocblas_operation_17rocblas_diagonal_iiT3_T4_lilT5_lili ; -- Begin function _ZL38rocblas_trsm_small_left_device_sharedBILi20ELi20ELb1EddPKPKdPKPdEv13rocblas_fill_18rocblas_operation_17rocblas_diagonal_iiT3_T4_lilT5_lili
	.p2align	8
	.type	_ZL38rocblas_trsm_small_left_device_sharedBILi20ELi20ELb1EddPKPKdPKPdEv13rocblas_fill_18rocblas_operation_17rocblas_diagonal_iiT3_T4_lilT5_lili,@function
_ZL38rocblas_trsm_small_left_device_sharedBILi20ELi20ELb1EddPKPKdPKPdEv13rocblas_fill_18rocblas_operation_17rocblas_diagonal_iiT3_T4_lilT5_lili: ; @_ZL38rocblas_trsm_small_left_device_sharedBILi20ELi20ELb1EddPKPKdPKPdEv13rocblas_fill_18rocblas_operation_17rocblas_diagonal_iiT3_T4_lilT5_lili
; %bb.0:
	s_load_dwordx2 s[18:19], s[0:1], 0x28
	s_load_dwordx4 s[12:15], s[0:1], 0x40
	s_load_dwordx4 s[4:7], s[0:1], 0x4
	;; [unrolled: 1-line block ×3, first 2 shown]
	s_mov_b32 s16, s3
	s_mov_b32 s17, 0
	s_lshl_b64 s[20:21], s[16:17], 3
	s_waitcnt lgkmcnt(0)
	s_add_u32 s12, s12, s20
	s_addc_u32 s13, s13, s21
	s_load_dwordx2 s[12:13], s[12:13], 0x0
	s_min_i32 s22, s6, 20
	v_cmp_gt_i32_e32 vcc, s22, v0
	s_and_saveexec_b64 s[16:17], vcc
	s_cbranch_execz .LBB89_6
; %bb.1:
	s_load_dword s24, s[0:1], 0x30
	v_lshlrev_b32_e32 v2, 3, v0
	v_mov_b32_e32 v3, 0
	v_mov_b32_e32 v1, v2
	s_mov_b32 s3, s22
	s_waitcnt lgkmcnt(0)
	s_ashr_i32 s25, s24, 31
	s_add_u32 s10, s10, s20
	s_addc_u32 s11, s11, s21
	s_load_dwordx2 s[10:11], s[10:11], 0x0
	s_lshl_b64 s[18:19], s[18:19], 3
	s_waitcnt lgkmcnt(0)
	s_add_u32 s18, s10, s18
	s_addc_u32 s19, s11, s19
	s_lshl_b64 s[10:11], s[24:25], 3
	v_lshl_add_u64 v[4:5], s[18:19], 0, v[2:3]
.LBB89_2:                               ; =>This Inner Loop Header: Depth=1
	flat_load_dwordx2 v[6:7], v[4:5]
	s_add_i32 s3, s3, -1
	v_lshl_add_u64 v[4:5], v[4:5], 0, s[10:11]
	s_cmp_eq_u32 s3, 0
	s_waitcnt vmcnt(0) lgkmcnt(0)
	ds_write_b64 v1, v[6:7]
	v_add_u32_e32 v1, 0xa0, v1
	s_cbranch_scc0 .LBB89_2
; %bb.3:
	v_mul_u32_u24_e32 v1, 0xa0, v0
	s_cmpk_lg_i32 s5, 0x84
	v_mov_b64_e32 v[4:5], 1.0
	v_add_u32_e32 v1, v2, v1
	s_cbranch_scc0 .LBB89_5
; %bb.4:
	ds_read_b64 v[2:3], v1
	s_waitcnt lgkmcnt(0)
	v_div_scale_f64 v[4:5], s[10:11], v[2:3], v[2:3], 1.0
	v_rcp_f64_e32 v[6:7], v[4:5]
	v_div_scale_f64 v[8:9], vcc, 1.0, v[2:3], 1.0
	v_fma_f64 v[10:11], -v[4:5], v[6:7], 1.0
	v_fmac_f64_e32 v[6:7], v[6:7], v[10:11]
	v_fma_f64 v[10:11], -v[4:5], v[6:7], 1.0
	v_fmac_f64_e32 v[6:7], v[6:7], v[10:11]
	v_mul_f64 v[10:11], v[8:9], v[6:7]
	v_fma_f64 v[4:5], -v[4:5], v[10:11], v[8:9]
	v_div_fmas_f64 v[4:5], v[4:5], v[6:7], v[10:11]
	v_div_fixup_f64 v[4:5], v[4:5], v[2:3], 1.0
.LBB89_5:
	ds_write_b64 v1, v[4:5]
.LBB89_6:
	s_or_b64 exec, exec, s[16:17]
	s_load_dword s3, s[0:1], 0x68
	s_load_dword s16, s[0:1], 0x50
	s_lshl_b64 s[0:1], s[14:15], 3
	s_waitcnt lgkmcnt(0)
	s_add_u32 s5, s12, s0
	s_mul_i32 s0, s2, 0xffffffec
	s_addc_u32 s10, s13, s1
	s_add_i32 s3, s3, -1
	s_add_i32 s0, s7, s0
	s_cmp_ge_u32 s2, s3
	s_mul_i32 s2, s2, 20
	s_cselect_b32 s7, s0, 20
	s_mul_hi_i32 s1, s16, s2
	s_mul_i32 s0, s16, s2
	s_lshl_b64 s[0:1], s[0:1], 3
	s_add_u32 s2, s5, s0
	s_addc_u32 s3, s10, s1
	s_cmp_gt_i32 s6, 0
	v_cmp_gt_i32_e64 s[0:1], s7, v0
	s_cselect_b64 s[10:11], -1, 0
	s_and_b64 s[14:15], s[0:1], s[10:11]
	s_and_saveexec_b64 s[12:13], s[14:15]
	s_cbranch_execz .LBB89_9
; %bb.7:
	v_mad_i64_i32 v[2:3], s[14:15], s16, v0, 0
	v_mov_b32_e32 v1, 0xc80
	v_lshl_add_u64 v[2:3], v[2:3], 3, s[2:3]
	v_lshl_add_u32 v1, v0, 3, v1
	s_mov_b32 s5, s22
.LBB89_8:                               ; =>This Inner Loop Header: Depth=1
	flat_load_dwordx2 v[4:5], v[2:3]
	s_add_i32 s5, s5, -1
	v_lshl_add_u64 v[2:3], v[2:3], 0, 8
	s_cmp_lg_u32 s5, 0
	s_waitcnt vmcnt(0) lgkmcnt(0)
	v_mul_f64 v[4:5], s[8:9], v[4:5]
	ds_write_b64 v1, v[4:5]
	v_add_u32_e32 v1, 0xa0, v1
	s_cbranch_scc1 .LBB89_8
.LBB89_9:
	s_or_b64 exec, exec, s[12:13]
	v_mov_b32_e32 v1, 0xc80
	s_cmpk_eq_i32 s4, 0x6f
	v_lshl_add_u32 v1, v0, 3, v1
	s_mov_b64 s[4:5], -1
	s_waitcnt lgkmcnt(0)
	; wave barrier
	s_cbranch_scc1 .LBB89_32
; %bb.10:
	s_add_i32 s4, s22, -1
	s_cmp_gt_i32 s6, 19
	s_mov_b32 s5, s4
	s_cbranch_scc0 .LBB89_12
; %bb.11:
	s_movk_i32 s5, 0x800
	v_add_u32_e32 v40, 0x800, v1
	v_add_u32_e32 v43, 0x400, v1
	v_add_u32_e64 v41, s5, 0
	ds_read2_b64 v[24:27], v40 offset0:104 offset1:124
	ds_read2_b64 v[28:31], v40 offset0:64 offset1:84
	;; [unrolled: 1-line block ×9, first 2 shown]
	v_mov_b32_e32 v42, 0
	ds_read_b128 v[52:55], v42 offset:3024
	ds_read2_b64 v[6:9], v1 offset0:40 offset1:60
	ds_read2_b64 v[2:5], v1 offset1:20
	ds_read_b128 v[56:59], v42 offset:2704
	s_mov_b32 s5, -1
	s_waitcnt lgkmcnt(4)
	v_mul_f64 v[22:23], v[50:51], v[26:27]
	v_mov_b32_e32 v26, 0xb28
	ds_read2_b64 v[60:63], v26 offset1:1
	s_waitcnt lgkmcnt(4)
	v_fma_f64 v[24:25], -v[22:23], v[54:55], v[24:25]
	v_mul_f64 v[24:25], v[52:53], v[24:25]
	ds_read_b128 v[52:55], v42 offset:2688
	v_fma_f64 v[26:27], -v[22:23], v[48:49], v[30:31]
	s_waitcnt lgkmcnt(1)
	v_fma_f64 v[26:27], -v[24:25], v[62:63], v[26:27]
	v_mul_f64 v[26:27], v[60:61], v[26:27]
	v_fma_f64 v[28:29], -v[22:23], v[58:59], v[28:29]
	ds_read2_b64 v[58:61], v41 offset0:23 offset1:63
	v_mov_b32_e32 v30, 0x9e8
	ds_read2_b64 v[48:51], v30 offset1:1
	ds_read_b128 v[62:65], v42 offset:2384
	v_fma_f64 v[28:29], -v[24:25], v[56:57], v[28:29]
	s_waitcnt lgkmcnt(3)
	v_fma_f64 v[28:29], -v[26:27], v[54:55], v[28:29]
	s_waitcnt lgkmcnt(2)
	v_fma_f64 v[30:31], -v[22:23], v[60:61], v[34:35]
	v_mov_b32_e32 v34, 0x9d8
	v_mul_f64 v[28:29], v[52:53], v[28:29]
	ds_read2_b64 v[52:55], v34 offset1:1
	s_waitcnt lgkmcnt(2)
	v_fma_f64 v[30:31], -v[24:25], v[50:51], v[30:31]
	v_fma_f64 v[30:31], -v[26:27], v[48:49], v[30:31]
	v_mov_b32_e32 v34, 0x8a8
	ds_read2_b64 v[48:51], v34 offset1:1
	s_waitcnt lgkmcnt(1)
	v_fma_f64 v[30:31], -v[28:29], v[54:55], v[30:31]
	v_mul_f64 v[30:31], v[52:53], v[30:31]
	ds_read_b128 v[52:55], v42 offset:2352
	ds_read_b128 v[66:69], v42 offset:2368
	v_fma_f64 v[32:33], -v[22:23], v[64:65], v[32:33]
	v_fma_f64 v[32:33], -v[24:25], v[62:63], v[32:33]
	ds_write2_b64 v40, v[24:25], v[22:23] offset0:104 offset1:124
	ds_write2_b64 v40, v[28:29], v[26:27] offset0:64 offset1:84
	v_fma_f64 v[34:35], -v[22:23], v[58:59], v[38:39]
	s_waitcnt lgkmcnt(2)
	v_fma_f64 v[32:33], -v[26:27], v[68:69], v[32:33]
	v_fma_f64 v[32:33], -v[28:29], v[66:67], v[32:33]
	;; [unrolled: 1-line block ×3, first 2 shown]
	v_mul_f64 v[32:33], v[52:53], v[32:33]
	v_mov_b32_e32 v38, 0x898
	ds_write2_b64 v40, v[32:33], v[30:31] offset0:24 offset1:44
	ds_read2_b64 v[38:41], v38 offset1:1
	ds_read_b128 v[54:57], v42 offset:2064
	v_fma_f64 v[34:35], -v[24:25], v[50:51], v[34:35]
	v_mov_b32_e32 v50, 0x888
	ds_read2_b64 v[50:53], v50 offset1:1
	v_fma_f64 v[34:35], -v[26:27], v[48:49], v[34:35]
	s_waitcnt lgkmcnt(2)
	v_fma_f64 v[34:35], -v[28:29], v[40:41], v[34:35]
	v_fma_f64 v[34:35], -v[30:31], v[38:39], v[34:35]
	ds_read_b128 v[38:41], v42 offset:2048
	s_waitcnt lgkmcnt(1)
	v_fma_f64 v[34:35], -v[32:33], v[52:53], v[34:35]
	v_mul_f64 v[34:35], v[50:51], v[34:35]
	ds_read_b128 v[48:51], v42 offset:2032
	v_fma_f64 v[36:37], -v[22:23], v[56:57], v[36:37]
	v_fma_f64 v[36:37], -v[24:25], v[54:55], v[36:37]
	ds_read_b128 v[52:55], v42 offset:2016
	s_waitcnt lgkmcnt(2)
	v_fma_f64 v[36:37], -v[26:27], v[40:41], v[36:37]
	v_fma_f64 v[36:37], -v[28:29], v[38:39], v[36:37]
	s_waitcnt lgkmcnt(1)
	v_fma_f64 v[36:37], -v[30:31], v[50:51], v[36:37]
	v_fma_f64 v[36:37], -v[32:33], v[48:49], v[36:37]
	ds_read2_b64 v[48:51], v42 offset0:199 offset1:239
	ds_read2_b64 v[38:41], v42 offset0:237 offset1:238
	s_waitcnt lgkmcnt(2)
	v_fma_f64 v[36:37], -v[34:35], v[54:55], v[36:37]
	v_mul_f64 v[36:37], v[52:53], v[36:37]
	ds_read2_b64 v[52:55], v42 offset0:235 offset1:236
	s_waitcnt lgkmcnt(2)
	v_fma_f64 v[46:47], -v[22:23], v[50:51], v[46:47]
	s_waitcnt lgkmcnt(1)
	v_fma_f64 v[40:41], -v[24:25], v[40:41], v[46:47]
	ds_read2_b64 v[56:59], v42 offset0:233 offset1:234
	v_fma_f64 v[38:39], -v[26:27], v[38:39], v[40:41]
	s_waitcnt lgkmcnt(1)
	v_fma_f64 v[46:47], -v[28:29], v[54:55], v[38:39]
	ds_read2_b64 v[38:41], v42 offset0:231 offset1:232
	v_fma_f64 v[46:47], -v[30:31], v[52:53], v[46:47]
	ds_read_b128 v[50:53], v42 offset:1744
	s_waitcnt lgkmcnt(2)
	v_fma_f64 v[46:47], -v[32:33], v[58:59], v[46:47]
	v_fma_f64 v[46:47], -v[34:35], v[56:57], v[46:47]
	ds_read_b128 v[54:57], v42 offset:1728
	ds_write2_b64 v43, v[36:37], v[34:35] offset0:112 offset1:132
	s_waitcnt lgkmcnt(3)
	v_fma_f64 v[40:41], -v[36:37], v[40:41], v[46:47]
	v_mul_f64 v[38:39], v[38:39], v[40:41]
	s_waitcnt lgkmcnt(2)
	v_fma_f64 v[40:41], -v[22:23], v[52:53], v[44:45]
	ds_read_b128 v[44:47], v42 offset:1696
	ds_read_b128 v[58:61], v42 offset:1712
	v_fma_f64 v[40:41], -v[24:25], v[50:51], v[40:41]
	s_waitcnt lgkmcnt(3)
	v_fma_f64 v[40:41], -v[26:27], v[56:57], v[40:41]
	v_fma_f64 v[40:41], -v[28:29], v[54:55], v[40:41]
	ds_read_b128 v[50:53], v42 offset:1680
	s_waitcnt lgkmcnt(1)
	v_fma_f64 v[40:41], -v[30:31], v[60:61], v[40:41]
	v_fma_f64 v[40:41], -v[32:33], v[58:59], v[40:41]
	;; [unrolled: 1-line block ×4, first 2 shown]
	ds_read2_b64 v[44:47], v42 offset0:197 offset1:198
	s_waitcnt lgkmcnt(1)
	v_fma_f64 v[40:41], -v[38:39], v[52:53], v[40:41]
	v_mul_f64 v[40:41], v[50:51], v[40:41]
	ds_read2_b64 v[50:53], v42 offset0:195 offset1:196
	v_fma_f64 v[20:21], -v[22:23], v[48:49], v[20:21]
	s_waitcnt lgkmcnt(1)
	v_fma_f64 v[20:21], -v[24:25], v[46:47], v[20:21]
	ds_read2_b64 v[46:49], v42 offset0:193 offset1:194
	v_fma_f64 v[20:21], -v[26:27], v[44:45], v[20:21]
	s_waitcnt lgkmcnt(1)
	v_fma_f64 v[20:21], -v[28:29], v[52:53], v[20:21]
	;; [unrolled: 4-line block ×4, first 2 shown]
	ds_read_b128 v[44:47], v42 offset:1424
	v_fma_f64 v[20:21], -v[38:39], v[52:53], v[20:21]
	s_waitcnt lgkmcnt(1)
	v_fma_f64 v[20:21], -v[40:41], v[50:51], v[20:21]
	ds_read_b128 v[50:53], v42 offset:1408
	v_mul_f64 v[20:21], v[48:49], v[20:21]
	s_waitcnt lgkmcnt(1)
	v_fma_f64 v[18:19], -v[22:23], v[46:47], v[18:19]
	ds_read_b128 v[46:49], v42 offset:1392
	v_fma_f64 v[18:19], -v[24:25], v[44:45], v[18:19]
	s_waitcnt lgkmcnt(1)
	v_fma_f64 v[18:19], -v[26:27], v[52:53], v[18:19]
	v_fma_f64 v[18:19], -v[28:29], v[50:51], v[18:19]
	ds_read_b128 v[50:53], v42 offset:1376
	ds_read_b128 v[54:57], v42 offset:1360
	s_waitcnt lgkmcnt(2)
	v_fma_f64 v[18:19], -v[30:31], v[48:49], v[18:19]
	v_fma_f64 v[18:19], -v[32:33], v[46:47], v[18:19]
	ds_read_b128 v[44:47], v42 offset:1344
	s_waitcnt lgkmcnt(2)
	v_fma_f64 v[18:19], -v[34:35], v[52:53], v[18:19]
	v_fma_f64 v[18:19], -v[36:37], v[50:51], v[18:19]
	s_waitcnt lgkmcnt(1)
	v_fma_f64 v[18:19], -v[38:39], v[56:57], v[18:19]
	ds_write2_b64 v1, v[40:41], v[38:39] offset0:200 offset1:220
	v_fma_f64 v[18:19], -v[40:41], v[54:55], v[18:19]
	s_waitcnt lgkmcnt(1)
	v_fma_f64 v[18:19], -v[20:21], v[46:47], v[18:19]
	ds_read2_b64 v[46:49], v42 offset0:119 offset1:159
	ds_read2_b64 v[50:53], v42 offset0:157 offset1:158
	;; [unrolled: 1-line block ×4, first 2 shown]
	v_mul_f64 v[18:19], v[44:45], v[18:19]
	s_waitcnt lgkmcnt(3)
	v_fma_f64 v[16:17], -v[22:23], v[48:49], v[16:17]
	s_waitcnt lgkmcnt(2)
	v_fma_f64 v[16:17], -v[24:25], v[52:53], v[16:17]
	v_fma_f64 v[16:17], -v[26:27], v[50:51], v[16:17]
	ds_read2_b64 v[48:51], v42 offset0:151 offset1:152
	s_waitcnt lgkmcnt(2)
	v_fma_f64 v[16:17], -v[28:29], v[56:57], v[16:17]
	v_fma_f64 v[16:17], -v[30:31], v[54:55], v[16:17]
	ds_read2_b64 v[52:55], v42 offset0:149 offset1:150
	;; [unrolled: 4-line block ×3, first 2 shown]
	s_waitcnt lgkmcnt(2)
	v_fma_f64 v[16:17], -v[36:37], v[50:51], v[16:17]
	v_fma_f64 v[16:17], -v[38:39], v[48:49], v[16:17]
	ds_read_b128 v[48:51], v42 offset:1104
	s_waitcnt lgkmcnt(2)
	v_fma_f64 v[16:17], -v[40:41], v[54:55], v[16:17]
	v_fma_f64 v[16:17], -v[20:21], v[52:53], v[16:17]
	ds_read_b128 v[52:55], v42 offset:1088
	s_waitcnt lgkmcnt(2)
	v_fma_f64 v[16:17], -v[18:19], v[58:59], v[16:17]
	v_mul_f64 v[16:17], v[56:57], v[16:17]
	ds_read_b128 v[56:59], v42 offset:1072
	s_waitcnt lgkmcnt(2)
	v_fma_f64 v[14:15], -v[22:23], v[50:51], v[14:15]
	v_fma_f64 v[14:15], -v[24:25], v[48:49], v[14:15]
	s_waitcnt lgkmcnt(1)
	v_fma_f64 v[14:15], -v[26:27], v[54:55], v[14:15]
	ds_read_b128 v[48:51], v42 offset:1056
	ds_write2_b64 v1, v[18:19], v[20:21] offset0:160 offset1:180
	v_fma_f64 v[14:15], -v[28:29], v[52:53], v[14:15]
	s_waitcnt lgkmcnt(2)
	v_fma_f64 v[14:15], -v[30:31], v[58:59], v[14:15]
	ds_read_b128 v[52:55], v42 offset:1024
	ds_read_b128 v[58:61], v42 offset:1040
	v_fma_f64 v[14:15], -v[32:33], v[56:57], v[14:15]
	s_waitcnt lgkmcnt(3)
	v_fma_f64 v[14:15], -v[34:35], v[50:51], v[14:15]
	v_fma_f64 v[14:15], -v[36:37], v[48:49], v[14:15]
	ds_read_b128 v[62:65], v42 offset:1008
	ds_read2_b64 v[48:51], v42 offset0:117 offset1:118
	s_waitcnt lgkmcnt(2)
	v_fma_f64 v[14:15], -v[38:39], v[60:61], v[14:15]
	v_fma_f64 v[14:15], -v[40:41], v[58:59], v[14:15]
	;; [unrolled: 1-line block ×4, first 2 shown]
	ds_read2_b64 v[52:55], v42 offset0:115 offset1:116
	v_fma_f64 v[12:13], -v[22:23], v[46:47], v[12:13]
	ds_read2_b64 v[44:47], v42 offset0:113 offset1:114
	s_waitcnt lgkmcnt(2)
	v_fma_f64 v[12:13], -v[24:25], v[50:51], v[12:13]
	v_fma_f64 v[12:13], -v[26:27], v[48:49], v[12:13]
	ds_read2_b64 v[48:51], v42 offset0:111 offset1:112
	s_waitcnt lgkmcnt(2)
	v_fma_f64 v[12:13], -v[28:29], v[54:55], v[12:13]
	;; [unrolled: 4-line block ×5, first 2 shown]
	v_fma_f64 v[12:13], -v[20:21], v[52:53], v[12:13]
	ds_read_b128 v[52:55], v42 offset:784
	v_fma_f64 v[14:15], -v[16:17], v[64:65], v[14:15]
	s_waitcnt lgkmcnt(2)
	v_fma_f64 v[12:13], -v[18:19], v[46:47], v[12:13]
	v_mul_f64 v[14:15], v[62:63], v[14:15]
	v_fma_f64 v[12:13], -v[16:17], v[44:45], v[12:13]
	ds_read_b128 v[44:47], v42 offset:768
	s_waitcnt lgkmcnt(2)
	v_fma_f64 v[12:13], -v[14:15], v[50:51], v[12:13]
	v_mul_f64 v[12:13], v[48:49], v[12:13]
	ds_read_b128 v[48:51], v42 offset:752
	s_waitcnt lgkmcnt(2)
	v_fma_f64 v[10:11], -v[22:23], v[54:55], v[10:11]
	v_fma_f64 v[10:11], -v[24:25], v[52:53], v[10:11]
	s_waitcnt lgkmcnt(1)
	v_fma_f64 v[10:11], -v[26:27], v[46:47], v[10:11]
	v_fma_f64 v[10:11], -v[28:29], v[44:45], v[10:11]
	ds_read_b128 v[44:47], v42 offset:736
	ds_write2_b64 v1, v[14:15], v[16:17] offset0:120 offset1:140
	s_waitcnt lgkmcnt(2)
	v_fma_f64 v[10:11], -v[30:31], v[50:51], v[10:11]
	v_fma_f64 v[10:11], -v[32:33], v[48:49], v[10:11]
	ds_read_b128 v[48:51], v42 offset:704
	ds_read_b128 v[52:55], v42 offset:720
	s_waitcnt lgkmcnt(3)
	v_fma_f64 v[10:11], -v[34:35], v[46:47], v[10:11]
	v_fma_f64 v[10:11], -v[36:37], v[44:45], v[10:11]
	ds_read_b128 v[44:47], v42 offset:672
	ds_read_b128 v[56:59], v42 offset:688
	s_waitcnt lgkmcnt(2)
	v_fma_f64 v[10:11], -v[38:39], v[54:55], v[10:11]
	v_fma_f64 v[10:11], -v[40:41], v[52:53], v[10:11]
	;; [unrolled: 1-line block ×4, first 2 shown]
	s_waitcnt lgkmcnt(0)
	v_fma_f64 v[10:11], -v[16:17], v[58:59], v[10:11]
	v_fma_f64 v[10:11], -v[14:15], v[56:57], v[10:11]
	;; [unrolled: 1-line block ×3, first 2 shown]
	ds_read2_b64 v[46:49], v42 offset0:39 offset1:79
	ds_read2_b64 v[50:53], v42 offset0:77 offset1:78
	;; [unrolled: 1-line block ×4, first 2 shown]
	v_mul_f64 v[10:11], v[44:45], v[10:11]
	s_waitcnt lgkmcnt(3)
	v_fma_f64 v[8:9], -v[22:23], v[48:49], v[8:9]
	s_waitcnt lgkmcnt(2)
	v_fma_f64 v[8:9], -v[24:25], v[52:53], v[8:9]
	v_fma_f64 v[8:9], -v[26:27], v[50:51], v[8:9]
	ds_read2_b64 v[48:51], v42 offset0:71 offset1:72
	s_waitcnt lgkmcnt(2)
	v_fma_f64 v[8:9], -v[28:29], v[56:57], v[8:9]
	v_fma_f64 v[8:9], -v[30:31], v[54:55], v[8:9]
	ds_read2_b64 v[52:55], v42 offset0:69 offset1:70
	;; [unrolled: 4-line block ×4, first 2 shown]
	s_waitcnt lgkmcnt(2)
	v_fma_f64 v[8:9], -v[40:41], v[54:55], v[8:9]
	v_fma_f64 v[8:9], -v[20:21], v[52:53], v[8:9]
	s_waitcnt lgkmcnt(1)
	v_fma_f64 v[8:9], -v[18:19], v[58:59], v[8:9]
	ds_read2_b64 v[52:55], v42 offset0:63 offset1:64
	v_fma_f64 v[8:9], -v[16:17], v[56:57], v[8:9]
	ds_read_b128 v[56:59], v42 offset:464
	s_waitcnt lgkmcnt(2)
	v_fma_f64 v[8:9], -v[14:15], v[50:51], v[8:9]
	v_fma_f64 v[8:9], -v[12:13], v[48:49], v[8:9]
	ds_read_b128 v[48:51], v42 offset:448
	s_waitcnt lgkmcnt(2)
	v_fma_f64 v[8:9], -v[10:11], v[54:55], v[8:9]
	v_mul_f64 v[60:61], v[52:53], v[8:9]
	s_waitcnt lgkmcnt(1)
	v_fma_f64 v[44:45], -v[22:23], v[58:59], v[6:7]
	ds_read_b128 v[6:9], v42 offset:432
	v_fma_f64 v[44:45], -v[24:25], v[56:57], v[44:45]
	s_waitcnt lgkmcnt(1)
	v_fma_f64 v[44:45], -v[26:27], v[50:51], v[44:45]
	ds_read_b128 v[50:53], v42 offset:416
	v_fma_f64 v[44:45], -v[28:29], v[48:49], v[44:45]
	;; [unrolled: 4-line block ×3, first 2 shown]
	s_waitcnt lgkmcnt(1)
	v_fma_f64 v[6:7], -v[34:35], v[52:53], v[6:7]
	v_fma_f64 v[44:45], -v[36:37], v[50:51], v[6:7]
	ds_read_b128 v[6:9], v42 offset:384
	ds_write2_b64 v1, v[10:11], v[12:13] offset0:80 offset1:100
	s_waitcnt lgkmcnt(2)
	v_fma_f64 v[44:45], -v[38:39], v[56:57], v[44:45]
	ds_read_b128 v[48:51], v42 offset:352
	ds_read_b128 v[56:59], v42 offset:368
	v_fma_f64 v[44:45], -v[40:41], v[54:55], v[44:45]
	s_waitcnt lgkmcnt(3)
	v_fma_f64 v[8:9], -v[20:21], v[8:9], v[44:45]
	v_fma_f64 v[6:7], -v[18:19], v[6:7], v[8:9]
	ds_read_b128 v[52:55], v42 offset:336
	s_waitcnt lgkmcnt(1)
	v_fma_f64 v[6:7], -v[16:17], v[58:59], v[6:7]
	v_fma_f64 v[6:7], -v[14:15], v[56:57], v[6:7]
	;; [unrolled: 1-line block ×4, first 2 shown]
	ds_read2_b64 v[6:9], v42 offset0:37 offset1:38
	ds_read2_b64 v[48:51], v42 offset0:35 offset1:36
	s_waitcnt lgkmcnt(2)
	v_fma_f64 v[44:45], -v[60:61], v[54:55], v[44:45]
	v_mul_f64 v[52:53], v[52:53], v[44:45]
	v_fma_f64 v[4:5], -v[22:23], v[46:47], v[4:5]
	ds_read2_b64 v[44:47], v42 offset0:33 offset1:34
	s_waitcnt lgkmcnt(2)
	v_fma_f64 v[4:5], -v[24:25], v[8:9], v[4:5]
	v_fma_f64 v[4:5], -v[26:27], v[6:7], v[4:5]
	s_waitcnt lgkmcnt(1)
	v_fma_f64 v[8:9], -v[28:29], v[50:51], v[4:5]
	ds_read2_b64 v[4:7], v42 offset0:31 offset1:32
	v_fma_f64 v[8:9], -v[30:31], v[48:49], v[8:9]
	s_waitcnt lgkmcnt(1)
	v_fma_f64 v[8:9], -v[32:33], v[46:47], v[8:9]
	ds_read2_b64 v[46:49], v42 offset0:29 offset1:30
	;; [unrolled: 4-line block ×4, first 2 shown]
	v_fma_f64 v[4:5], -v[20:21], v[46:47], v[4:5]
	ds_read2_b64 v[44:47], v42 offset0:23 offset1:24
	s_waitcnt lgkmcnt(2)
	v_fma_f64 v[4:5], -v[18:19], v[8:9], v[4:5]
	v_fma_f64 v[4:5], -v[16:17], v[6:7], v[4:5]
	s_waitcnt lgkmcnt(1)
	v_fma_f64 v[8:9], -v[14:15], v[50:51], v[4:5]
	ds_read2_b64 v[4:7], v42 offset0:21 offset1:22
	v_fma_f64 v[8:9], -v[12:13], v[48:49], v[8:9]
	s_waitcnt lgkmcnt(1)
	v_fma_f64 v[8:9], -v[10:11], v[46:47], v[8:9]
	ds_read_b128 v[46:49], v42 offset:144
	v_fma_f64 v[8:9], -v[60:61], v[44:45], v[8:9]
	s_waitcnt lgkmcnt(1)
	v_fma_f64 v[44:45], -v[52:53], v[6:7], v[8:9]
	ds_read_b128 v[6:9], v42 offset:128
	v_mul_f64 v[44:45], v[4:5], v[44:45]
	s_waitcnt lgkmcnt(1)
	v_fma_f64 v[22:23], -v[22:23], v[48:49], v[2:3]
	ds_read_b128 v[2:5], v42 offset:112
	v_fma_f64 v[22:23], -v[24:25], v[46:47], v[22:23]
	s_waitcnt lgkmcnt(1)
	v_fma_f64 v[8:9], -v[26:27], v[8:9], v[22:23]
	ds_read_b128 v[22:25], v42 offset:96
	v_fma_f64 v[6:7], -v[28:29], v[6:7], v[8:9]
	s_waitcnt lgkmcnt(1)
	v_fma_f64 v[8:9], -v[30:31], v[4:5], v[6:7]
	ds_read_b128 v[4:7], v42 offset:80
	v_fma_f64 v[2:3], -v[32:33], v[2:3], v[8:9]
	s_waitcnt lgkmcnt(1)
	v_fma_f64 v[2:3], -v[34:35], v[24:25], v[2:3]
	v_fma_f64 v[2:3], -v[36:37], v[22:23], v[2:3]
	ds_read_b128 v[22:25], v42 offset:64
	ds_write2_b64 v1, v[52:53], v[60:61] offset0:40 offset1:60
	s_waitcnt lgkmcnt(2)
	v_fma_f64 v[2:3], -v[38:39], v[6:7], v[2:3]
	v_fma_f64 v[26:27], -v[40:41], v[4:5], v[2:3]
	ds_read_b128 v[2:5], v42 offset:32
	ds_read_b128 v[6:9], v42 offset:48
	s_waitcnt lgkmcnt(3)
	v_fma_f64 v[20:21], -v[20:21], v[24:25], v[26:27]
	v_fma_f64 v[26:27], -v[18:19], v[22:23], v[20:21]
	ds_read_b128 v[18:21], v42
	ds_read_b128 v[22:25], v42 offset:16
	s_waitcnt lgkmcnt(2)
	v_fma_f64 v[8:9], -v[16:17], v[8:9], v[26:27]
	v_fma_f64 v[6:7], -v[14:15], v[6:7], v[8:9]
	;; [unrolled: 1-line block ×4, first 2 shown]
	s_waitcnt lgkmcnt(0)
	v_fma_f64 v[2:3], -v[60:61], v[24:25], v[2:3]
	v_fma_f64 v[2:3], -v[52:53], v[22:23], v[2:3]
	;; [unrolled: 1-line block ×3, first 2 shown]
	v_mul_f64 v[2:3], v[18:19], v[2:3]
	ds_write2_b64 v1, v[2:3], v[44:45] offset1:20
.LBB89_12:
	s_cmp_gt_i32 s5, -1
	s_cbranch_scc0 .LBB89_31
; %bb.13:
	s_cmp_lt_u32 s5, 15
	s_cbranch_scc1 .LBB89_18
; %bb.14:
	s_mul_i32 s7, s5, 0xa0
	v_add_u32_e32 v34, s7, v1
	v_add_u32_e32 v2, 0xffffff60, v34
	v_add_u32_e32 v3, 0xfffffec0, v34
	v_add_u32_e32 v4, 0xfffffe20, v34
	ds_read_b64 v[8:9], v34
	ds_read_b64 v[12:13], v2
	ds_read_b64 v[10:11], v3
	ds_read_b64 v[16:17], v4
	v_add_u32_e32 v2, 0xfffffd80, v34
	v_add_u32_e32 v3, 0xfffffce0, v34
	v_add_u32_e32 v4, 0xfffffc40, v34
	v_add_u32_e32 v5, 0xfffffba0, v34
	ds_read_b64 v[18:19], v2
	ds_read_b64 v[22:23], v3
	ds_read_b64 v[24:25], v4
	ds_read_b64 v[28:29], v5
	;; [unrolled: 8-line block ×4, first 2 shown]
	s_cmp_le_i32 s4, s5
	s_cbranch_scc1 .LBB89_17
; %bb.15:
	s_mul_i32 s8, s22, 0xa0
	v_lshl_add_u32 v35, v0, 3, s8
	s_lshl_b32 s8, s22, 3
	s_add_i32 s8, s7, s8
	v_add_u32_e32 v35, 0xbe0, v35
	s_addk_i32 s8, 0xf698
	s_mov_b32 s9, s4
.LBB89_16:                              ; =>This Inner Loop Header: Depth=1
	v_mov_b32_e32 v56, s8
	v_add_u32_e32 v60, 0x800, v56
	v_add_u32_e32 v64, 0x400, v56
	ds_read_b64 v[68:69], v35
	ds_read2_b64 v[36:39], v56 offset0:200 offset1:220
	ds_read2_b64 v[40:43], v56 offset0:160 offset1:180
	;; [unrolled: 1-line block ×5, first 2 shown]
	ds_read2_b64 v[56:59], v56 offset1:20
	ds_read2_b64 v[60:63], v60 offset0:24 offset1:44
	ds_read2_b64 v[64:67], v64 offset0:112 offset1:132
	s_add_i32 s9, s9, -1
	s_add_i32 s8, s8, -8
	v_add_u32_e32 v35, 0xffffff60, v35
	s_cmp_gt_i32 s9, s5
	s_waitcnt lgkmcnt(7)
	v_fma_f64 v[18:19], -v[68:69], v[38:39], v[18:19]
	v_fma_f64 v[22:23], -v[68:69], v[36:37], v[22:23]
	s_waitcnt lgkmcnt(6)
	v_fma_f64 v[24:25], -v[68:69], v[42:43], v[24:25]
	v_fma_f64 v[28:29], -v[68:69], v[40:41], v[28:29]
	;; [unrolled: 3-line block ×8, first 2 shown]
	s_cbranch_scc1 .LBB89_16
.LBB89_17:
	s_mul_i32 s8, s5, 0xa8
	v_mov_b32_e32 v35, s8
	s_add_i32 s8, s7, 0xffffff60
	s_lshl_b32 s7, s5, 3
	s_add_i32 s7, s8, s7
	ds_read_b64 v[40:41], v35
	s_add_i32 s9, s7, -8
	v_mov_b32_e32 v35, s9
	ds_read2_b64 v[36:39], v35 offset1:1
	s_add_i32 s9, s7, 0xffffff60
	s_waitcnt lgkmcnt(1)
	v_mul_f64 v[8:9], v[40:41], v[8:9]
	ds_write_b64 v34, v[8:9]
	v_mov_b32_e32 v34, s9
	s_add_i32 s9, s7, 0xffffff50
	s_waitcnt lgkmcnt(1)
	v_fma_f64 v[12:13], -v[8:9], v[38:39], v[12:13]
	v_mov_b32_e32 v35, s9
	ds_read_b64 v[42:43], v34
	ds_read2_b64 v[38:41], v35 offset1:1
	v_mul_f64 v[12:13], v[36:37], v[12:13]
	v_add_u32_e32 v34, s8, v1
	s_add_i32 s8, s7, 0xfffffeb8
	s_waitcnt lgkmcnt(1)
	v_fma_f64 v[10:11], -v[8:9], v[42:43], v[10:11]
	s_waitcnt lgkmcnt(0)
	v_fma_f64 v[10:11], -v[12:13], v[40:41], v[10:11]
	v_mov_b32_e32 v35, s8
	v_mul_f64 v[10:11], v[38:39], v[10:11]
	ds_read2_b64 v[36:39], v35 offset1:1
	s_add_i32 s8, s7, 0xfffffea8
	v_mov_b32_e32 v35, s8
	ds_read2_b64 v[40:43], v35 offset1:1
	v_add_u32_e32 v35, 0xffffff60, v34
	s_add_i32 s8, s7, 0xfffffe20
	ds_write_b64 v35, v[10:11]
	s_waitcnt lgkmcnt(2)
	v_fma_f64 v[16:17], -v[8:9], v[38:39], v[16:17]
	v_mov_b32_e32 v35, s8
	s_add_i32 s8, s7, 0xfffffe10
	ds_write_b64 v34, v[12:13]
	v_fma_f64 v[16:17], -v[12:13], v[36:37], v[16:17]
	v_mov_b32_e32 v36, s8
	s_waitcnt lgkmcnt(2)
	v_fma_f64 v[16:17], -v[10:11], v[42:43], v[16:17]
	ds_read_b64 v[42:43], v35
	ds_read2_b64 v[36:39], v36 offset1:1
	v_mul_f64 v[16:17], v[40:41], v[16:17]
	v_add_u32_e32 v35, 0xfffffec0, v34
	s_add_i32 s8, s7, 0xfffffe00
	ds_write_b64 v35, v[16:17]
	s_waitcnt lgkmcnt(2)
	v_fma_f64 v[18:19], -v[8:9], v[42:43], v[18:19]
	v_mov_b32_e32 v35, s8
	s_waitcnt lgkmcnt(1)
	v_fma_f64 v[18:19], -v[12:13], v[38:39], v[18:19]
	ds_read2_b64 v[38:41], v35 offset1:1
	v_fma_f64 v[18:19], -v[10:11], v[36:37], v[18:19]
	s_add_i32 s8, s7, 0xfffffd78
	v_mov_b32_e32 v35, s8
	ds_read2_b64 v[42:45], v35 offset1:1
	s_waitcnt lgkmcnt(1)
	v_fma_f64 v[18:19], -v[16:17], v[40:41], v[18:19]
	v_mul_f64 v[18:19], v[38:39], v[18:19]
	v_add_u32_e32 v35, 0xfffffe20, v34
	s_add_i32 s8, s7, 0xfffffd68
	ds_write_b64 v35, v[18:19]
	v_mov_b32_e32 v35, s8
	ds_read2_b64 v[36:39], v35 offset1:1
	s_add_i32 s8, s7, 0xfffffd58
	v_mov_b32_e32 v35, s8
	ds_read2_b64 v[46:49], v35 offset1:1
	s_waitcnt lgkmcnt(3)
	v_fma_f64 v[22:23], -v[8:9], v[44:45], v[22:23]
	v_fma_f64 v[22:23], -v[12:13], v[42:43], v[22:23]
	s_waitcnt lgkmcnt(1)
	v_fma_f64 v[22:23], -v[10:11], v[38:39], v[22:23]
	s_add_i32 s8, s7, 0xfffffce0
	v_fma_f64 v[22:23], -v[16:17], v[36:37], v[22:23]
	v_mov_b32_e32 v36, s8
	ds_read_b64 v[40:41], v36
	s_waitcnt lgkmcnt(1)
	v_fma_f64 v[22:23], -v[18:19], v[48:49], v[22:23]
	v_mul_f64 v[22:23], v[46:47], v[22:23]
	v_add_u32_e32 v35, 0xfffffd80, v34
	s_add_i32 s8, s7, 0xfffffcd0
	ds_write_b64 v35, v[22:23]
	v_mov_b32_e32 v35, s8
	ds_read2_b64 v[36:39], v35 offset1:1
	s_add_i32 s8, s7, 0xfffffcc0
	v_mov_b32_e32 v35, s8
	s_waitcnt lgkmcnt(2)
	v_fma_f64 v[24:25], -v[8:9], v[40:41], v[24:25]
	ds_read2_b64 v[40:43], v35 offset1:1
	s_add_i32 s8, s7, 0xfffffcb0
	v_mov_b32_e32 v35, s8
	ds_read2_b64 v[44:47], v35 offset1:1
	s_waitcnt lgkmcnt(2)
	v_fma_f64 v[24:25], -v[12:13], v[38:39], v[24:25]
	v_fma_f64 v[24:25], -v[10:11], v[36:37], v[24:25]
	s_add_i32 s8, s7, 0xfffffc38
	s_waitcnt lgkmcnt(1)
	v_fma_f64 v[24:25], -v[16:17], v[42:43], v[24:25]
	v_mov_b32_e32 v36, s8
	v_fma_f64 v[24:25], -v[18:19], v[40:41], v[24:25]
	ds_read2_b64 v[36:39], v36 offset1:1
	s_waitcnt lgkmcnt(1)
	v_fma_f64 v[24:25], -v[22:23], v[46:47], v[24:25]
	v_mul_f64 v[24:25], v[44:45], v[24:25]
	v_add_u32_e32 v35, 0xfffffce0, v34
	s_add_i32 s8, s7, 0xfffffc28
	ds_write_b64 v35, v[24:25]
	v_mov_b32_e32 v35, s8
	ds_read2_b64 v[40:43], v35 offset1:1
	s_add_i32 s8, s7, 0xfffffc18
	s_waitcnt lgkmcnt(2)
	v_fma_f64 v[28:29], -v[8:9], v[38:39], v[28:29]
	v_mov_b32_e32 v35, s8
	v_fma_f64 v[28:29], -v[12:13], v[36:37], v[28:29]
	ds_read2_b64 v[36:39], v35 offset1:1
	s_add_i32 s8, s7, 0xfffffc08
	v_mov_b32_e32 v35, s8
	s_waitcnt lgkmcnt(1)
	v_fma_f64 v[28:29], -v[10:11], v[42:43], v[28:29]
	ds_read2_b64 v[44:47], v35 offset1:1
	v_fma_f64 v[28:29], -v[16:17], v[40:41], v[28:29]
	s_add_i32 s8, s7, 0xfffffba0
	s_waitcnt lgkmcnt(1)
	v_fma_f64 v[28:29], -v[18:19], v[38:39], v[28:29]
	v_mov_b32_e32 v35, s8
	s_add_i32 s8, s7, 0xfffffb90
	v_fma_f64 v[28:29], -v[22:23], v[36:37], v[28:29]
	v_mov_b32_e32 v36, s8
	ds_read_b64 v[40:41], v35
	ds_read2_b64 v[36:39], v36 offset1:1
	s_waitcnt lgkmcnt(2)
	v_fma_f64 v[28:29], -v[24:25], v[46:47], v[28:29]
	v_mul_f64 v[28:29], v[44:45], v[28:29]
	v_add_u32_e32 v35, 0xfffffc40, v34
	s_add_i32 s8, s7, 0xfffffb80
	ds_write_b64 v35, v[28:29]
	s_waitcnt lgkmcnt(2)
	v_fma_f64 v[32:33], -v[8:9], v[40:41], v[32:33]
	v_mov_b32_e32 v35, s8
	s_add_i32 s8, s7, 0xfffffb70
	s_waitcnt lgkmcnt(1)
	v_fma_f64 v[32:33], -v[12:13], v[38:39], v[32:33]
	v_mov_b32_e32 v40, s8
	v_fma_f64 v[32:33], -v[10:11], v[36:37], v[32:33]
	ds_read2_b64 v[36:39], v35 offset1:1
	ds_read2_b64 v[40:43], v40 offset1:1
	s_add_i32 s8, s7, 0xfffffb60
	v_mov_b32_e32 v35, s8
	s_add_i32 s8, s7, 0xfffffaf8
	ds_read2_b64 v[44:47], v35 offset1:1
	s_waitcnt lgkmcnt(2)
	v_fma_f64 v[32:33], -v[16:17], v[38:39], v[32:33]
	v_mov_b32_e32 v35, s8
	v_fma_f64 v[32:33], -v[18:19], v[36:37], v[32:33]
	ds_read2_b64 v[36:39], v35 offset1:1
	s_add_i32 s8, s7, 0xfffffae8
	s_waitcnt lgkmcnt(2)
	v_fma_f64 v[32:33], -v[22:23], v[42:43], v[32:33]
	v_mov_b32_e32 v35, s8
	v_fma_f64 v[32:33], -v[24:25], v[40:41], v[32:33]
	ds_read2_b64 v[40:43], v35 offset1:1
	s_waitcnt lgkmcnt(2)
	v_fma_f64 v[32:33], -v[28:29], v[46:47], v[32:33]
	s_waitcnt lgkmcnt(1)
	v_fma_f64 v[30:31], -v[8:9], v[38:39], v[30:31]
	v_mul_f64 v[32:33], v[44:45], v[32:33]
	v_add_u32_e32 v35, 0xfffffba0, v34
	v_fma_f64 v[30:31], -v[12:13], v[36:37], v[30:31]
	s_add_i32 s8, s7, 0xfffffad8
	ds_write_b64 v35, v[32:33]
	s_waitcnt lgkmcnt(1)
	v_fma_f64 v[30:31], -v[10:11], v[42:43], v[30:31]
	v_mov_b32_e32 v35, s8
	s_add_i32 s8, s7, 0xfffffac8
	v_fma_f64 v[30:31], -v[16:17], v[40:41], v[30:31]
	v_mov_b32_e32 v40, s8
	ds_read2_b64 v[36:39], v35 offset1:1
	ds_read2_b64 v[40:43], v40 offset1:1
	s_add_i32 s8, s7, 0xfffffab8
	v_mov_b32_e32 v35, s8
	ds_read2_b64 v[44:47], v35 offset1:1
	s_waitcnt lgkmcnt(2)
	v_fma_f64 v[30:31], -v[18:19], v[38:39], v[30:31]
	v_fma_f64 v[30:31], -v[22:23], v[36:37], v[30:31]
	s_waitcnt lgkmcnt(1)
	v_fma_f64 v[30:31], -v[24:25], v[42:43], v[30:31]
	v_fma_f64 v[30:31], -v[28:29], v[40:41], v[30:31]
	s_add_i32 s8, s7, 0xfffffa60
	s_waitcnt lgkmcnt(0)
	v_fma_f64 v[30:31], -v[32:33], v[46:47], v[30:31]
	v_mov_b32_e32 v36, s8
	s_add_i32 s8, s7, 0xfffffa50
	v_mul_f64 v[30:31], v[44:45], v[30:31]
	ds_read_b64 v[44:45], v36
	v_mov_b32_e32 v36, s8
	ds_read2_b64 v[36:39], v36 offset1:1
	s_add_i32 s8, s7, 0xfffffa40
	v_mov_b32_e32 v40, s8
	ds_read2_b64 v[40:43], v40 offset1:1
	s_waitcnt lgkmcnt(2)
	v_fma_f64 v[26:27], -v[8:9], v[44:45], v[26:27]
	s_waitcnt lgkmcnt(1)
	v_fma_f64 v[26:27], -v[12:13], v[38:39], v[26:27]
	v_add_u32_e32 v35, 0xfffffb00, v34
	v_fma_f64 v[26:27], -v[10:11], v[36:37], v[26:27]
	s_add_i32 s8, s7, 0xfffffa30
	ds_write_b64 v35, v[30:31]
	s_waitcnt lgkmcnt(1)
	v_fma_f64 v[26:27], -v[16:17], v[42:43], v[26:27]
	v_mov_b32_e32 v35, s8
	s_add_i32 s8, s7, 0xfffffa20
	v_fma_f64 v[26:27], -v[18:19], v[40:41], v[26:27]
	v_mov_b32_e32 v40, s8
	ds_read2_b64 v[36:39], v35 offset1:1
	ds_read2_b64 v[40:43], v40 offset1:1
	s_add_i32 s8, s7, 0xfffffa10
	v_mov_b32_e32 v35, s8
	ds_read2_b64 v[44:47], v35 offset1:1
	s_add_i32 s8, s7, 0xfffff9b8
	s_waitcnt lgkmcnt(2)
	v_fma_f64 v[26:27], -v[22:23], v[38:39], v[26:27]
	v_mov_b32_e32 v35, s8
	v_fma_f64 v[26:27], -v[24:25], v[36:37], v[26:27]
	ds_read2_b64 v[36:39], v35 offset1:1
	s_waitcnt lgkmcnt(2)
	v_fma_f64 v[26:27], -v[28:29], v[42:43], v[26:27]
	v_fma_f64 v[26:27], -v[32:33], v[40:41], v[26:27]
	s_add_i32 s8, s7, 0xfffff9a8
	s_waitcnt lgkmcnt(1)
	v_fma_f64 v[26:27], -v[30:31], v[46:47], v[26:27]
	v_mov_b32_e32 v35, s8
	v_mul_f64 v[26:27], v[44:45], v[26:27]
	ds_read2_b64 v[40:43], v35 offset1:1
	v_add_u32_e32 v35, 0xfffffa60, v34
	s_add_i32 s8, s7, 0xfffff998
	ds_write_b64 v35, v[26:27]
	s_waitcnt lgkmcnt(2)
	v_fma_f64 v[20:21], -v[8:9], v[38:39], v[20:21]
	v_mov_b32_e32 v35, s8
	v_fma_f64 v[20:21], -v[12:13], v[36:37], v[20:21]
	ds_read2_b64 v[36:39], v35 offset1:1
	s_add_i32 s8, s7, 0xfffff988
	s_waitcnt lgkmcnt(2)
	v_fma_f64 v[20:21], -v[10:11], v[42:43], v[20:21]
	v_mov_b32_e32 v35, s8
	v_fma_f64 v[20:21], -v[16:17], v[40:41], v[20:21]
	ds_read2_b64 v[40:43], v35 offset1:1
	s_add_i32 s8, s7, 0xfffff978
	;; [unrolled: 6-line block ×3, first 2 shown]
	v_mov_b32_e32 v35, s8
	ds_read2_b64 v[44:47], v35 offset1:1
	s_waitcnt lgkmcnt(2)
	v_fma_f64 v[20:21], -v[24:25], v[42:43], v[20:21]
	v_fma_f64 v[20:21], -v[28:29], v[40:41], v[20:21]
	s_waitcnt lgkmcnt(1)
	v_fma_f64 v[20:21], -v[32:33], v[38:39], v[20:21]
	v_fma_f64 v[20:21], -v[30:31], v[36:37], v[20:21]
	s_add_i32 s8, s7, 0xfffff920
	s_waitcnt lgkmcnt(0)
	v_fma_f64 v[20:21], -v[26:27], v[46:47], v[20:21]
	v_mov_b32_e32 v36, s8
	s_add_i32 s8, s7, 0xfffff910
	v_mul_f64 v[20:21], v[44:45], v[20:21]
	ds_read_b64 v[44:45], v36
	v_mov_b32_e32 v36, s8
	ds_read2_b64 v[36:39], v36 offset1:1
	s_add_i32 s8, s7, 0xfffff900
	v_mov_b32_e32 v40, s8
	v_add_u32_e32 v35, 0xfffff9c0, v34
	ds_read2_b64 v[40:43], v40 offset1:1
	s_waitcnt lgkmcnt(2)
	v_fma_f64 v[14:15], -v[8:9], v[44:45], v[14:15]
	s_add_i32 s8, s7, 0xfffff8f0
	ds_write_b64 v35, v[20:21]
	s_waitcnt lgkmcnt(2)
	v_fma_f64 v[14:15], -v[12:13], v[38:39], v[14:15]
	v_mov_b32_e32 v35, s8
	v_fma_f64 v[14:15], -v[10:11], v[36:37], v[14:15]
	ds_read2_b64 v[36:39], v35 offset1:1
	s_add_i32 s8, s7, 0xfffff8e0
	s_waitcnt lgkmcnt(2)
	v_fma_f64 v[14:15], -v[16:17], v[42:43], v[14:15]
	v_mov_b32_e32 v35, s8
	v_fma_f64 v[14:15], -v[18:19], v[40:41], v[14:15]
	ds_read2_b64 v[40:43], v35 offset1:1
	s_add_i32 s8, s7, 0xfffff8d0
	;; [unrolled: 6-line block ×3, first 2 shown]
	v_mov_b32_e32 v35, s8
	ds_read2_b64 v[44:47], v35 offset1:1
	s_waitcnt lgkmcnt(2)
	v_fma_f64 v[14:15], -v[28:29], v[42:43], v[14:15]
	v_fma_f64 v[14:15], -v[32:33], v[40:41], v[14:15]
	s_waitcnt lgkmcnt(1)
	v_fma_f64 v[14:15], -v[30:31], v[38:39], v[14:15]
	s_add_i32 s8, s7, 0xfffff878
	v_fma_f64 v[14:15], -v[26:27], v[36:37], v[14:15]
	v_mov_b32_e32 v36, s8
	ds_read2_b64 v[36:39], v36 offset1:1
	s_waitcnt lgkmcnt(1)
	v_fma_f64 v[14:15], -v[20:21], v[46:47], v[14:15]
	v_mul_f64 v[14:15], v[44:45], v[14:15]
	v_add_u32_e32 v35, 0xfffff920, v34
	s_add_i32 s8, s7, 0xfffff868
	ds_write_b64 v35, v[14:15]
	v_mov_b32_e32 v35, s8
	ds_read2_b64 v[40:43], v35 offset1:1
	s_add_i32 s8, s7, 0xfffff858
	s_waitcnt lgkmcnt(2)
	v_fma_f64 v[6:7], -v[8:9], v[38:39], v[6:7]
	v_mov_b32_e32 v35, s8
	v_fma_f64 v[6:7], -v[12:13], v[36:37], v[6:7]
	ds_read2_b64 v[36:39], v35 offset1:1
	s_add_i32 s8, s7, 0xfffff848
	v_mov_b32_e32 v35, s8
	ds_read2_b64 v[44:47], v35 offset1:1
	s_waitcnt lgkmcnt(2)
	v_fma_f64 v[6:7], -v[10:11], v[42:43], v[6:7]
	s_add_i32 s8, s7, 0xfffff838
	v_fma_f64 v[6:7], -v[16:17], v[40:41], v[6:7]
	v_mov_b32_e32 v35, s8
	s_add_i32 s8, s7, 0xfffff828
	s_waitcnt lgkmcnt(1)
	v_fma_f64 v[6:7], -v[18:19], v[38:39], v[6:7]
	v_mov_b32_e32 v40, s8
	v_fma_f64 v[6:7], -v[22:23], v[36:37], v[6:7]
	ds_read2_b64 v[36:39], v35 offset1:1
	ds_read2_b64 v[40:43], v40 offset1:1
	s_add_i32 s8, s7, 0xfffff818
	s_waitcnt lgkmcnt(2)
	v_fma_f64 v[6:7], -v[24:25], v[46:47], v[6:7]
	v_mov_b32_e32 v35, s8
	v_fma_f64 v[6:7], -v[28:29], v[44:45], v[6:7]
	ds_read2_b64 v[44:47], v35 offset1:1
	s_waitcnt lgkmcnt(2)
	v_fma_f64 v[6:7], -v[32:33], v[38:39], v[6:7]
	v_fma_f64 v[6:7], -v[30:31], v[36:37], v[6:7]
	s_waitcnt lgkmcnt(1)
	v_fma_f64 v[6:7], -v[26:27], v[42:43], v[6:7]
	v_fma_f64 v[6:7], -v[20:21], v[40:41], v[6:7]
	s_waitcnt lgkmcnt(0)
	v_fma_f64 v[6:7], -v[14:15], v[46:47], v[6:7]
	s_add_i32 s8, s7, 0xfffff7e0
	v_mul_f64 v[44:45], v[44:45], v[6:7]
	v_mov_b32_e32 v6, s8
	v_add_u32_e32 v35, 0xfffff880, v34
	ds_read_b64 v[6:7], v6
	s_add_i32 s8, s7, 0xfffff7d0
	ds_write_b64 v35, v[44:45]
	v_mov_b32_e32 v35, s8
	ds_read2_b64 v[36:39], v35 offset1:1
	s_add_i32 s8, s7, 0xfffff7c0
	s_waitcnt lgkmcnt(2)
	v_fma_f64 v[40:41], -v[8:9], v[6:7], v[4:5]
	v_mov_b32_e32 v4, s8
	ds_read2_b64 v[4:7], v4 offset1:1
	s_add_i32 s8, s7, 0xfffff7b0
	s_waitcnt lgkmcnt(1)
	v_fma_f64 v[38:39], -v[12:13], v[38:39], v[40:41]
	v_mov_b32_e32 v35, s8
	v_fma_f64 v[46:47], -v[10:11], v[36:37], v[38:39]
	ds_read2_b64 v[36:39], v35 offset1:1
	s_add_i32 s8, s7, 0xfffff7a0
	v_mov_b32_e32 v35, s8
	ds_read2_b64 v[40:43], v35 offset1:1
	s_waitcnt lgkmcnt(2)
	v_fma_f64 v[6:7], -v[16:17], v[6:7], v[46:47]
	v_fma_f64 v[4:5], -v[18:19], v[4:5], v[6:7]
	s_waitcnt lgkmcnt(1)
	v_fma_f64 v[4:5], -v[22:23], v[38:39], v[4:5]
	v_fma_f64 v[4:5], -v[24:25], v[36:37], v[4:5]
	s_waitcnt lgkmcnt(0)
	v_fma_f64 v[4:5], -v[28:29], v[42:43], v[4:5]
	s_add_i32 s8, s7, 0xfffff790
	v_fma_f64 v[46:47], -v[32:33], v[40:41], v[4:5]
	v_mov_b32_e32 v4, s8
	s_add_i32 s8, s7, 0xfffff780
	v_mov_b32_e32 v35, s8
	ds_read2_b64 v[4:7], v4 offset1:1
	ds_read2_b64 v[36:39], v35 offset1:1
	s_add_i32 s8, s7, 0xfffff770
	v_mov_b32_e32 v35, s8
	ds_read2_b64 v[40:43], v35 offset1:1
	s_waitcnt lgkmcnt(2)
	v_fma_f64 v[6:7], -v[30:31], v[6:7], v[46:47]
	v_fma_f64 v[4:5], -v[26:27], v[4:5], v[6:7]
	s_waitcnt lgkmcnt(1)
	v_fma_f64 v[4:5], -v[20:21], v[38:39], v[4:5]
	v_fma_f64 v[4:5], -v[14:15], v[36:37], v[4:5]
	s_waitcnt lgkmcnt(0)
	v_fma_f64 v[4:5], -v[44:45], v[42:43], v[4:5]
	s_add_i32 s8, s7, 0xfffff738
	v_mul_f64 v[40:41], v[40:41], v[4:5]
	v_mov_b32_e32 v4, s8
	ds_read2_b64 v[4:7], v4 offset1:1
	v_add_u32_e32 v35, 0xfffff7e0, v34
	s_add_i32 s8, s7, 0xfffff728
	ds_write_b64 v35, v[40:41]
	v_mov_b32_e32 v35, s8
	ds_read2_b64 v[36:39], v35 offset1:1
	s_waitcnt lgkmcnt(2)
	v_fma_f64 v[2:3], -v[8:9], v[6:7], v[2:3]
	s_add_i32 s8, s7, 0xfffff718
	v_fma_f64 v[12:13], -v[12:13], v[4:5], v[2:3]
	v_mov_b32_e32 v2, s8
	ds_read2_b64 v[2:5], v2 offset1:1
	s_add_i32 s8, s7, 0xfffff708
	v_mov_b32_e32 v6, s8
	ds_read2_b64 v[6:9], v6 offset1:1
	s_waitcnt lgkmcnt(2)
	v_fma_f64 v[10:11], -v[10:11], v[38:39], v[12:13]
	v_fma_f64 v[10:11], -v[16:17], v[36:37], v[10:11]
	s_waitcnt lgkmcnt(1)
	v_fma_f64 v[4:5], -v[18:19], v[4:5], v[10:11]
	v_fma_f64 v[2:3], -v[22:23], v[2:3], v[4:5]
	s_add_i32 s8, s7, 0xfffff6f8
	s_waitcnt lgkmcnt(0)
	v_fma_f64 v[8:9], -v[24:25], v[8:9], v[2:3]
	v_mov_b32_e32 v2, s8
	ds_read2_b64 v[2:5], v2 offset1:1
	s_add_i32 s8, s7, 0xfffff6e8
	v_fma_f64 v[10:11], -v[28:29], v[6:7], v[8:9]
	v_mov_b32_e32 v6, s8
	ds_read2_b64 v[6:9], v6 offset1:1
	s_waitcnt lgkmcnt(1)
	v_fma_f64 v[4:5], -v[32:33], v[4:5], v[10:11]
	s_add_i32 s8, s7, 0xfffff6d8
	v_fma_f64 v[16:17], -v[30:31], v[2:3], v[4:5]
	v_mov_b32_e32 v2, s8
	ds_read2_b64 v[2:5], v2 offset1:1
	s_addk_i32 s7, 0xf6c8
	v_mov_b32_e32 v10, s7
	ds_read2_b64 v[10:13], v10 offset1:1
	s_waitcnt lgkmcnt(2)
	v_fma_f64 v[8:9], -v[26:27], v[8:9], v[16:17]
	v_fma_f64 v[6:7], -v[20:21], v[6:7], v[8:9]
	s_waitcnt lgkmcnt(1)
	v_fma_f64 v[4:5], -v[14:15], v[4:5], v[6:7]
	v_fma_f64 v[2:3], -v[44:45], v[2:3], v[4:5]
	s_waitcnt lgkmcnt(0)
	v_fma_f64 v[2:3], -v[40:41], v[12:13], v[2:3]
	v_mul_f64 v[2:3], v[10:11], v[2:3]
	v_add_u32_e32 v4, 0xfffff740, v34
	s_add_i32 s5, s5, -16
	ds_write_b64 v4, v[2:3]
.LBB89_18:
	s_cmp_lt_i32 s5, 0
	s_cbranch_scc1 .LBB89_31
; %bb.19:
	s_bitcmp1_b32 s5, 0
	s_cselect_b64 s[8:9], -1, 0
	s_and_b64 vcc, exec, s[8:9]
	s_mov_b32 s7, s5
	s_cbranch_vccnz .LBB89_24
; %bb.20:
	s_mul_i32 s7, s5, 0xa0
	v_add_u32_e32 v4, s7, v1
	ds_read_b64 v[2:3], v4
	s_cmp_le_i32 s4, s5
	s_cbranch_scc1 .LBB89_23
; %bb.21:
	s_lshl_b32 s8, s22, 3
	s_add_i32 s7, s7, s8
	s_mul_i32 s8, s22, 0xa0
	v_lshl_add_u32 v5, v0, 3, s8
	s_add_i32 s7, s7, -8
	v_add_u32_e32 v5, 0xbe0, v5
	s_mov_b32 s8, s4
.LBB89_22:                              ; =>This Inner Loop Header: Depth=1
	v_mov_b32_e32 v8, s7
	ds_read_b64 v[6:7], v5
	ds_read_b64 v[8:9], v8
	s_add_i32 s8, s8, -1
	s_add_i32 s7, s7, -8
	v_add_u32_e32 v5, 0xffffff60, v5
	s_cmp_gt_i32 s8, s5
	s_waitcnt lgkmcnt(0)
	v_fma_f64 v[2:3], -v[6:7], v[8:9], v[2:3]
	s_cbranch_scc1 .LBB89_22
.LBB89_23:
	s_mul_i32 s7, s5, 0xa8
	v_mov_b32_e32 v5, s7
	ds_read_b64 v[6:7], v5
	s_add_i32 s7, s5, -1
	s_waitcnt lgkmcnt(0)
	v_mul_f64 v[2:3], v[6:7], v[2:3]
	ds_write_b64 v4, v[2:3]
.LBB89_24:
	s_cmp_eq_u32 s5, 0
	s_cbranch_scc1 .LBB89_31
; %bb.25:
	s_mul_i32 s5, s7, 0xa0
	s_lshl_b32 s8, s22, 3
	s_mul_i32 s9, s22, 0xa0
	s_add_i32 s8, s5, s8
	v_lshl_add_u32 v2, v0, 3, s9
	s_add_i32 s5, s8, -8
	v_add_u32_e32 v6, 0xbe0, v2
	s_addk_i32 s8, 0xff58
	s_branch .LBB89_27
.LBB89_26:                              ;   in Loop: Header=BB89_27 Depth=1
	s_addk_i32 s9, 0xff58
	v_mov_b32_e32 v2, s9
	ds_read_b64 v[2:3], v2
	s_add_i32 s9, s7, -2
	s_addk_i32 s5, 0xfec0
	s_addk_i32 s8, 0xfec0
	s_cmp_lt_i32 s7, 2
	s_waitcnt lgkmcnt(0)
	v_mul_f64 v[2:3], v[2:3], v[4:5]
	s_mov_b32 s7, s9
	ds_write_b64 v7, v[2:3]
	s_cbranch_scc1 .LBB89_31
.LBB89_27:                              ; =>This Loop Header: Depth=1
                                        ;     Child Loop BB89_28 Depth 2
                                        ;     Child Loop BB89_30 Depth 2
	s_mul_i32 s12, s7, 0xa0
	v_add_u32_e32 v8, s12, v1
	ds_read_b64 v[2:3], v8
	s_cmp_le_i32 s4, s7
	v_mov_b32_e32 v4, v6
	s_mov_b32 s9, s5
	s_mov_b32 s13, s4
	s_cbranch_scc1 .LBB89_29
.LBB89_28:                              ;   Parent Loop BB89_27 Depth=1
                                        ; =>  This Inner Loop Header: Depth=2
	v_mov_b32_e32 v5, s9
	ds_read_b64 v[10:11], v4
	ds_read_b64 v[12:13], v5
	s_add_i32 s13, s13, -1
	s_add_i32 s9, s9, -8
	v_add_u32_e32 v4, 0xffffff60, v4
	s_cmp_gt_i32 s13, s7
	s_waitcnt lgkmcnt(0)
	v_fma_f64 v[2:3], -v[10:11], v[12:13], v[2:3]
	s_cbranch_scc1 .LBB89_28
.LBB89_29:                              ;   in Loop: Header=BB89_27 Depth=1
	s_mul_i32 s9, s7, 0xa8
	v_mov_b32_e32 v4, s9
	ds_read_b64 v[10:11], v4
	s_addk_i32 s12, 0xff60
	v_add_u32_e32 v7, s12, v1
	ds_read_b64 v[4:5], v7
	s_cmp_le_i32 s22, s7
	s_waitcnt lgkmcnt(1)
	v_mul_f64 v[2:3], v[10:11], v[2:3]
	ds_write_b64 v8, v[2:3]
	v_mov_b32_e32 v2, v6
	s_mov_b32 s12, s8
	s_mov_b32 s13, s22
	s_cbranch_scc1 .LBB89_26
.LBB89_30:                              ;   Parent Loop BB89_27 Depth=1
                                        ; =>  This Inner Loop Header: Depth=2
	v_mov_b32_e32 v3, s12
	ds_read_b64 v[8:9], v2
	ds_read_b64 v[10:11], v3
	s_add_i32 s13, s13, -1
	s_add_i32 s12, s12, -8
	v_add_u32_e32 v2, 0xffffff60, v2
	s_cmp_gt_i32 s13, s7
	s_waitcnt lgkmcnt(0)
	v_fma_f64 v[4:5], -v[8:9], v[10:11], v[4:5]
	s_cbranch_scc1 .LBB89_30
	s_branch .LBB89_26
.LBB89_31:
	s_mov_b64 s[4:5], 0
.LBB89_32:
	s_and_b64 vcc, exec, s[4:5]
	s_cbranch_vccz .LBB89_46
; %bb.33:
	s_cmp_gt_i32 s6, 19
	s_cselect_b64 s[4:5], -1, 0
	s_mov_b32 s7, 0
	s_and_b64 vcc, exec, s[4:5]
	s_cbranch_vccz .LBB89_35
; %bb.34:
	v_add_u32_e32 v66, 0x400, v1
	v_add_u32_e32 v70, 0x800, v1
	v_mov_b32_e32 v71, 0
	ds_read2_b64 v[6:9], v1 offset1:20
	ds_read2_b64 v[10:13], v1 offset0:40 offset1:60
	ds_read2_b64 v[14:17], v1 offset0:80 offset1:100
	;; [unrolled: 1-line block ×9, first 2 shown]
	ds_read_b128 v[36:39], v71
	s_movk_i32 s6, 0x800
	s_mov_b32 s7, 20
	s_waitcnt lgkmcnt(0)
	v_mul_f64 v[68:69], v[36:37], v[6:7]
	v_fma_f64 v[30:31], -v[68:69], v[38:39], v[8:9]
	ds_read2_b64 v[6:9], v71 offset0:21 offset1:22
	s_waitcnt lgkmcnt(0)
	v_mul_f64 v[54:55], v[6:7], v[30:31]
	ds_write2_b64 v1, v[68:69], v[54:55] offset1:20
	ds_read_b128 v[36:39], v71 offset:16
	ds_read_b128 v[40:43], v71 offset:32
	s_waitcnt lgkmcnt(1)
	v_fma_f64 v[6:7], -v[68:69], v[36:37], v[10:11]
	v_fma_f64 v[10:11], -v[54:55], v[8:9], v[6:7]
	ds_read_b128 v[6:9], v71 offset:336
	s_waitcnt lgkmcnt(0)
	v_mul_f64 v[58:59], v[6:7], v[10:11]
	v_fma_f64 v[6:7], -v[68:69], v[38:39], v[12:13]
	ds_read2_b64 v[10:13], v71 offset0:23 offset1:24
	s_waitcnt lgkmcnt(0)
	v_fma_f64 v[6:7], -v[54:55], v[10:11], v[6:7]
	v_fma_f64 v[10:11], -v[58:59], v[8:9], v[6:7]
	ds_read2_b64 v[6:9], v71 offset0:63 offset1:64
	s_waitcnt lgkmcnt(0)
	v_mul_f64 v[60:61], v[6:7], v[10:11]
	v_fma_f64 v[6:7], -v[68:69], v[40:41], v[14:15]
	v_fma_f64 v[6:7], -v[54:55], v[12:13], v[6:7]
	ds_read_b128 v[10:13], v71 offset:352
	ds_write2_b64 v1, v[58:59], v[60:61] offset0:40 offset1:60
	s_waitcnt lgkmcnt(1)
	v_fma_f64 v[6:7], -v[58:59], v[10:11], v[6:7]
	v_fma_f64 v[10:11], -v[60:61], v[8:9], v[6:7]
	ds_read_b128 v[6:9], v71 offset:672
	s_waitcnt lgkmcnt(0)
	v_mul_f64 v[36:37], v[6:7], v[10:11]
	v_fma_f64 v[6:7], -v[68:69], v[42:43], v[16:17]
	ds_read2_b64 v[14:17], v71 offset0:25 offset1:26
	s_waitcnt lgkmcnt(0)
	v_fma_f64 v[6:7], -v[54:55], v[14:15], v[6:7]
	v_fma_f64 v[6:7], -v[58:59], v[12:13], v[6:7]
	ds_read2_b64 v[10:13], v71 offset0:65 offset1:66
	s_waitcnt lgkmcnt(0)
	v_fma_f64 v[6:7], -v[60:61], v[10:11], v[6:7]
	v_fma_f64 v[10:11], -v[36:37], v[8:9], v[6:7]
	ds_read2_b64 v[6:9], v71 offset0:105 offset1:106
	s_waitcnt lgkmcnt(0)
	v_mul_f64 v[38:39], v[6:7], v[10:11]
	ds_write2_b64 v1, v[36:37], v[38:39] offset0:80 offset1:100
	ds_read_b128 v[40:43], v71 offset:48
	ds_read_b128 v[44:47], v71 offset:64
	s_waitcnt lgkmcnt(1)
	v_fma_f64 v[6:7], -v[68:69], v[40:41], v[18:19]
	v_fma_f64 v[6:7], -v[54:55], v[16:17], v[6:7]
	ds_read_b128 v[14:17], v71 offset:368
	s_waitcnt lgkmcnt(0)
	v_fma_f64 v[6:7], -v[58:59], v[14:15], v[6:7]
	v_fma_f64 v[6:7], -v[60:61], v[12:13], v[6:7]
	;; [unrolled: 4-line block ×3, first 2 shown]
	ds_read_b128 v[6:9], v71 offset:1008
	s_waitcnt lgkmcnt(0)
	v_mul_f64 v[40:41], v[6:7], v[10:11]
	v_fma_f64 v[6:7], -v[68:69], v[42:43], v[20:21]
	ds_read2_b64 v[18:21], v71 offset0:27 offset1:28
	s_waitcnt lgkmcnt(0)
	v_fma_f64 v[6:7], -v[54:55], v[18:19], v[6:7]
	v_fma_f64 v[6:7], -v[58:59], v[16:17], v[6:7]
	ds_read2_b64 v[14:17], v71 offset0:67 offset1:68
	s_waitcnt lgkmcnt(0)
	v_fma_f64 v[6:7], -v[60:61], v[14:15], v[6:7]
	;; [unrolled: 4-line block ×3, first 2 shown]
	v_fma_f64 v[10:11], -v[40:41], v[8:9], v[6:7]
	ds_read2_b64 v[6:9], v71 offset0:147 offset1:148
	s_waitcnt lgkmcnt(0)
	v_mul_f64 v[42:43], v[6:7], v[10:11]
	v_fma_f64 v[6:7], -v[68:69], v[44:45], v[22:23]
	v_fma_f64 v[6:7], -v[54:55], v[20:21], v[6:7]
	ds_read_b128 v[18:21], v71 offset:384
	ds_write2_b64 v1, v[40:41], v[42:43] offset0:120 offset1:140
	s_waitcnt lgkmcnt(1)
	v_fma_f64 v[6:7], -v[58:59], v[18:19], v[6:7]
	v_fma_f64 v[6:7], -v[60:61], v[16:17], v[6:7]
	ds_read_b128 v[14:17], v71 offset:704
	s_waitcnt lgkmcnt(0)
	v_fma_f64 v[6:7], -v[36:37], v[14:15], v[6:7]
	v_fma_f64 v[6:7], -v[38:39], v[12:13], v[6:7]
	ds_read_b128 v[10:13], v71 offset:1024
	;; [unrolled: 4-line block ×3, first 2 shown]
	s_waitcnt lgkmcnt(0)
	v_mul_f64 v[44:45], v[6:7], v[10:11]
	v_fma_f64 v[6:7], -v[68:69], v[46:47], v[24:25]
	ds_read2_b64 v[22:25], v71 offset0:29 offset1:30
	s_waitcnt lgkmcnt(0)
	v_fma_f64 v[6:7], -v[54:55], v[22:23], v[6:7]
	v_fma_f64 v[6:7], -v[58:59], v[20:21], v[6:7]
	ds_read2_b64 v[18:21], v71 offset0:69 offset1:70
	s_waitcnt lgkmcnt(0)
	v_fma_f64 v[6:7], -v[60:61], v[18:19], v[6:7]
	;; [unrolled: 4-line block ×4, first 2 shown]
	v_fma_f64 v[10:11], -v[44:45], v[8:9], v[6:7]
	ds_read2_b64 v[6:9], v71 offset0:189 offset1:190
	s_waitcnt lgkmcnt(0)
	v_mul_f64 v[46:47], v[6:7], v[10:11]
	ds_write2_b64 v1, v[44:45], v[46:47] offset0:160 offset1:180
	ds_read_b128 v[48:51], v71 offset:80
	ds_read_b128 v[76:79], v71 offset:96
	ds_read2_b64 v[80:83], v71 offset0:235 offset1:236
	ds_read_b128 v[92:95], v71 offset:128
	s_waitcnt lgkmcnt(3)
	v_fma_f64 v[6:7], -v[68:69], v[48:49], v[26:27]
	v_fma_f64 v[6:7], -v[54:55], v[24:25], v[6:7]
	ds_read_b128 v[22:25], v71 offset:400
	s_waitcnt lgkmcnt(0)
	v_fma_f64 v[6:7], -v[58:59], v[22:23], v[6:7]
	v_fma_f64 v[6:7], -v[60:61], v[20:21], v[6:7]
	;; [unrolled: 4-line block ×5, first 2 shown]
	ds_read_b128 v[6:9], v71 offset:1680
	s_waitcnt lgkmcnt(0)
	v_mul_f64 v[48:49], v[6:7], v[10:11]
	v_fma_f64 v[6:7], -v[68:69], v[50:51], v[28:29]
	ds_read2_b64 v[26:29], v71 offset0:31 offset1:32
	s_waitcnt lgkmcnt(0)
	v_fma_f64 v[6:7], -v[54:55], v[26:27], v[6:7]
	v_fma_f64 v[6:7], -v[58:59], v[24:25], v[6:7]
	ds_read2_b64 v[22:25], v71 offset0:71 offset1:72
	s_waitcnt lgkmcnt(0)
	v_fma_f64 v[6:7], -v[60:61], v[22:23], v[6:7]
	;; [unrolled: 4-line block ×5, first 2 shown]
	v_fma_f64 v[10:11], -v[48:49], v[8:9], v[6:7]
	ds_read2_b64 v[6:9], v71 offset0:231 offset1:232
	s_waitcnt lgkmcnt(0)
	v_mul_f64 v[50:51], v[6:7], v[10:11]
	v_fma_f64 v[6:7], -v[68:69], v[76:77], v[62:63]
	v_fma_f64 v[6:7], -v[54:55], v[28:29], v[6:7]
	ds_read_b128 v[26:29], v71 offset:416
	ds_write2_b64 v1, v[48:49], v[50:51] offset0:200 offset1:220
	s_waitcnt lgkmcnt(1)
	v_fma_f64 v[6:7], -v[58:59], v[26:27], v[6:7]
	v_fma_f64 v[6:7], -v[60:61], v[24:25], v[6:7]
	ds_read_b128 v[22:25], v71 offset:736
	s_waitcnt lgkmcnt(0)
	v_fma_f64 v[6:7], -v[36:37], v[22:23], v[6:7]
	v_fma_f64 v[6:7], -v[38:39], v[20:21], v[6:7]
	ds_read_b128 v[18:21], v71 offset:1056
	;; [unrolled: 4-line block ×5, first 2 shown]
	s_waitcnt lgkmcnt(0)
	v_mul_f64 v[52:53], v[6:7], v[10:11]
	v_fma_f64 v[6:7], -v[68:69], v[78:79], v[64:65]
	ds_read2_b64 v[62:65], v71 offset0:33 offset1:34
	ds_read_b128 v[76:79], v71 offset:112
	s_waitcnt lgkmcnt(1)
	v_fma_f64 v[6:7], -v[54:55], v[62:63], v[6:7]
	v_fma_f64 v[6:7], -v[58:59], v[28:29], v[6:7]
	ds_read2_b64 v[26:29], v71 offset0:73 offset1:74
	s_waitcnt lgkmcnt(0)
	v_fma_f64 v[6:7], -v[60:61], v[26:27], v[6:7]
	v_fma_f64 v[6:7], -v[36:37], v[24:25], v[6:7]
	ds_read2_b64 v[22:25], v71 offset0:113 offset1:114
	;; [unrolled: 4-line block ×5, first 2 shown]
	s_waitcnt lgkmcnt(0)
	v_fma_f64 v[6:7], -v[50:51], v[10:11], v[6:7]
	v_fma_f64 v[10:11], -v[52:53], v[8:9], v[6:7]
	v_mov_b32_e32 v6, 0x888
	ds_read2_b64 v[6:9], v6 offset1:1
	s_waitcnt lgkmcnt(0)
	v_mul_f64 v[56:57], v[6:7], v[10:11]
	v_fma_f64 v[6:7], -v[68:69], v[76:77], v[72:73]
	v_fma_f64 v[6:7], -v[54:55], v[64:65], v[6:7]
	ds_read_b128 v[62:65], v71 offset:432
	ds_write2_b64 v66, v[52:53], v[56:57] offset0:112 offset1:132
	s_waitcnt lgkmcnt(1)
	v_fma_f64 v[6:7], -v[58:59], v[62:63], v[6:7]
	v_fma_f64 v[6:7], -v[60:61], v[28:29], v[6:7]
	ds_read_b128 v[26:29], v71 offset:752
	s_waitcnt lgkmcnt(0)
	v_fma_f64 v[6:7], -v[36:37], v[26:27], v[6:7]
	v_fma_f64 v[6:7], -v[38:39], v[24:25], v[6:7]
	ds_read_b128 v[22:25], v71 offset:1072
	;; [unrolled: 4-line block ×6, first 2 shown]
	s_waitcnt lgkmcnt(0)
	v_mul_f64 v[62:63], v[6:7], v[10:11]
	v_fma_f64 v[6:7], -v[68:69], v[78:79], v[74:75]
	ds_read2_b64 v[72:75], v71 offset0:35 offset1:36
	v_mov_b32_e32 v10, 0x898
	ds_read2_b64 v[84:87], v10 offset1:1
	ds_read2_b64 v[76:79], v71 offset0:195 offset1:196
	s_waitcnt lgkmcnt(2)
	v_fma_f64 v[6:7], -v[54:55], v[72:73], v[6:7]
	v_fma_f64 v[6:7], -v[58:59], v[64:65], v[6:7]
	ds_read2_b64 v[64:67], v71 offset0:75 offset1:76
	s_waitcnt lgkmcnt(0)
	v_fma_f64 v[6:7], -v[60:61], v[64:65], v[6:7]
	v_fma_f64 v[6:7], -v[36:37], v[28:29], v[6:7]
	;; [unrolled: 4-line block ×4, first 2 shown]
	v_fma_f64 v[6:7], -v[46:47], v[76:77], v[6:7]
	v_fma_f64 v[6:7], -v[48:49], v[16:17], v[6:7]
	;; [unrolled: 1-line block ×6, first 2 shown]
	v_mov_b32_e32 v8, 0x9d8
	ds_read2_b64 v[88:91], v8 offset1:1
	ds_read_b128 v[10:13], v71 offset:448
	ds_read_b128 v[14:17], v71 offset:768
	;; [unrolled: 1-line block ×3, first 2 shown]
	s_waitcnt lgkmcnt(3)
	v_mul_f64 v[64:65], v[88:89], v[6:7]
	v_fma_f64 v[6:7], -v[68:69], v[92:93], v[32:33]
	v_fma_f64 v[6:7], -v[54:55], v[74:75], v[6:7]
	ds_read2_b64 v[72:75], v71 offset0:37 offset1:38
	s_waitcnt lgkmcnt(3)
	v_fma_f64 v[6:7], -v[58:59], v[10:11], v[6:7]
	v_fma_f64 v[6:7], -v[60:61], v[66:67], v[6:7]
	s_waitcnt lgkmcnt(2)
	v_fma_f64 v[6:7], -v[36:37], v[14:15], v[6:7]
	v_fma_f64 v[6:7], -v[38:39], v[28:29], v[6:7]
	;; [unrolled: 3-line block ×3, first 2 shown]
	ds_read_b128 v[22:25], v71 offset:1408
	ds_read_b128 v[26:29], v71 offset:1728
	;; [unrolled: 1-line block ×4, first 2 shown]
	ds_write2_b64 v70, v[62:63], v[64:65] offset0:24 offset1:44
	s_waitcnt lgkmcnt(4)
	v_fma_f64 v[6:7], -v[44:45], v[22:23], v[6:7]
	v_fma_f64 v[6:7], -v[46:47], v[78:79], v[6:7]
	s_waitcnt lgkmcnt(3)
	v_fma_f64 v[6:7], -v[48:49], v[26:27], v[6:7]
	v_fma_f64 v[6:7], -v[50:51], v[82:83], v[6:7]
	;; [unrolled: 3-line block ×3, first 2 shown]
	ds_read2_b64 v[84:87], v71 offset0:237 offset1:238
	s_waitcnt lgkmcnt(2)
	v_fma_f64 v[6:7], -v[62:63], v[8:9], v[6:7]
	v_fma_f64 v[14:15], -v[64:65], v[90:91], v[6:7]
	ds_read_b128 v[6:9], v71 offset:2688
	ds_read2_b64 v[76:79], v71 offset0:157 offset1:158
	ds_read2_b64 v[80:83], v71 offset0:197 offset1:198
	s_waitcnt lgkmcnt(2)
	v_mul_f64 v[66:67], v[6:7], v[14:15]
	v_fma_f64 v[6:7], -v[68:69], v[94:95], v[34:35]
	v_fma_f64 v[6:7], -v[54:55], v[72:73], v[6:7]
	;; [unrolled: 1-line block ×3, first 2 shown]
	ds_read2_b64 v[12:15], v71 offset0:77 offset1:78
	ds_read_b128 v[92:95], v71 offset:144
	s_waitcnt lgkmcnt(1)
	v_fma_f64 v[6:7], -v[60:61], v[12:13], v[6:7]
	v_fma_f64 v[6:7], -v[36:37], v[16:17], v[6:7]
	ds_read2_b64 v[16:19], v71 offset0:117 offset1:118
	v_mov_b32_e32 v12, 0x8a8
	s_waitcnt lgkmcnt(1)
	v_fma_f64 v[2:3], -v[68:69], v[92:93], v[2:3]
	v_fma_f64 v[2:3], -v[54:55], v[74:75], v[2:3]
	ds_read_b128 v[72:75], v71 offset:464
	s_waitcnt lgkmcnt(1)
	v_fma_f64 v[6:7], -v[38:39], v[16:17], v[6:7]
	v_fma_f64 v[6:7], -v[40:41], v[20:21], v[6:7]
	;; [unrolled: 1-line block ×8, first 2 shown]
	ds_read2_b64 v[32:35], v12 offset1:1
	ds_read_b128 v[24:27], v71 offset:1104
	ds_read_b128 v[20:23], v71 offset:784
	;; [unrolled: 1-line block ×3, first 2 shown]
	s_waitcnt lgkmcnt(4)
	v_fma_f64 v[2:3], -v[58:59], v[72:73], v[2:3]
	s_waitcnt lgkmcnt(3)
	v_fma_f64 v[6:7], -v[56:57], v[32:33], v[6:7]
	v_fma_f64 v[6:7], -v[62:63], v[10:11], v[6:7]
	v_mov_b32_e32 v10, 0x9e8
	ds_read2_b64 v[10:13], v10 offset1:1
	v_fma_f64 v[2:3], -v[60:61], v[14:15], v[2:3]
	s_waitcnt lgkmcnt(2)
	v_fma_f64 v[2:3], -v[36:37], v[20:21], v[2:3]
	v_fma_f64 v[2:3], -v[38:39], v[18:19], v[2:3]
	ds_read_b128 v[14:17], v71 offset:1744
	ds_read_b128 v[18:21], v71 offset:2064
	s_waitcnt lgkmcnt(2)
	v_fma_f64 v[6:7], -v[64:65], v[10:11], v[6:7]
	v_fma_f64 v[6:7], -v[66:67], v[8:9], v[6:7]
	v_mov_b32_e32 v8, 0xb28
	ds_read2_b64 v[88:91], v8 offset1:1
	v_fma_f64 v[2:3], -v[40:41], v[24:25], v[2:3]
	v_fma_f64 v[2:3], -v[42:43], v[78:79], v[2:3]
	v_fma_f64 v[2:3], -v[44:45], v[28:29], v[2:3]
	v_fma_f64 v[2:3], -v[46:47], v[82:83], v[2:3]
	ds_read_b128 v[8:11], v71 offset:2384
	s_waitcnt lgkmcnt(3)
	v_fma_f64 v[2:3], -v[48:49], v[14:15], v[2:3]
	v_fma_f64 v[2:3], -v[50:51], v[86:87], v[2:3]
	s_waitcnt lgkmcnt(2)
	v_fma_f64 v[2:3], -v[52:53], v[18:19], v[2:3]
	v_fma_f64 v[2:3], -v[56:57], v[34:35], v[2:3]
	s_waitcnt lgkmcnt(0)
	v_fma_f64 v[2:3], -v[62:63], v[8:9], v[2:3]
	v_fma_f64 v[2:3], -v[64:65], v[12:13], v[2:3]
	ds_read_b128 v[12:15], v71 offset:2704
	v_mul_f64 v[32:33], v[88:89], v[6:7]
	ds_read_b128 v[6:9], v71 offset:3024
	ds_write2_b64 v70, v[66:67], v[32:33] offset0:64 offset1:84
	s_waitcnt lgkmcnt(2)
	v_fma_f64 v[2:3], -v[66:67], v[12:13], v[2:3]
	v_fma_f64 v[2:3], -v[32:33], v[90:91], v[2:3]
	s_waitcnt lgkmcnt(1)
	v_mul_f64 v[2:3], v[6:7], v[2:3]
	v_fma_f64 v[12:13], -v[68:69], v[94:95], v[4:5]
	ds_read2_b64 v[4:7], v71 offset0:39 offset1:79
	s_waitcnt lgkmcnt(0)
	v_fma_f64 v[4:5], -v[54:55], v[4:5], v[12:13]
	v_fma_f64 v[4:5], -v[58:59], v[74:75], v[4:5]
	v_fma_f64 v[4:5], -v[60:61], v[6:7], v[4:5]
	v_fma_f64 v[12:13], -v[36:37], v[22:23], v[4:5]
	ds_read2_b64 v[4:7], v71 offset0:119 offset1:159
	s_waitcnt lgkmcnt(0)
	v_fma_f64 v[4:5], -v[38:39], v[4:5], v[12:13]
	v_fma_f64 v[4:5], -v[40:41], v[26:27], v[4:5]
	v_fma_f64 v[4:5], -v[42:43], v[6:7], v[4:5]
	v_fma_f64 v[12:13], -v[44:45], v[30:31], v[4:5]
	ds_read2_b64 v[4:7], v71 offset0:199 offset1:239
	s_waitcnt lgkmcnt(0)
	v_fma_f64 v[4:5], -v[46:47], v[4:5], v[12:13]
	v_fma_f64 v[4:5], -v[48:49], v[16:17], v[4:5]
	v_fma_f64 v[4:5], -v[50:51], v[6:7], v[4:5]
	v_add_u32_e64 v16, s6, 0
	v_fma_f64 v[12:13], -v[52:53], v[20:21], v[4:5]
	ds_read2_b64 v[4:7], v16 offset0:23 offset1:63
	s_waitcnt lgkmcnt(0)
	v_fma_f64 v[4:5], -v[56:57], v[4:5], v[12:13]
	v_fma_f64 v[4:5], -v[62:63], v[10:11], v[4:5]
	;; [unrolled: 1-line block ×4, first 2 shown]
	ds_read2_b64 v[4:7], v16 offset0:103 offset1:143
	s_waitcnt lgkmcnt(0)
	v_fma_f64 v[4:5], -v[32:33], v[4:5], v[10:11]
	v_fma_f64 v[4:5], -v[2:3], v[8:9], v[4:5]
	v_mul_f64 v[4:5], v[6:7], v[4:5]
	ds_write2_b64 v70, v[2:3], v[4:5] offset0:104 offset1:124
.LBB89_35:
	s_cmp_lt_i32 s7, s22
	s_cbranch_scc0 .LBB89_46
; %bb.36:
	s_add_i32 s6, s7, 15
	s_cmp_ge_u32 s6, s22
	s_cbranch_scc1 .LBB89_41
; %bb.37:
	s_mul_i32 s8, s7, 0xa0
	v_add_u32_e32 v10, s8, v1
	ds_read2_b64 v[32:35], v10 offset1:20
	ds_read2_b64 v[28:31], v10 offset0:40 offset1:60
	ds_read2_b64 v[24:27], v10 offset0:80 offset1:100
	ds_read2_b64 v[20:23], v10 offset0:120 offset1:140
	ds_read2_b64 v[16:19], v10 offset0:160 offset1:180
	ds_read2_b64 v[6:9], v10 offset0:200 offset1:220
	v_add_u32_e32 v2, 0x400, v10
	v_add_u32_e32 v11, 0x800, v10
	ds_read2_b64 v[2:5], v2 offset0:112 offset1:132
	ds_read2_b64 v[12:15], v11 offset0:24 offset1:44
	s_andn2_b64 vcc, exec, s[4:5]
	s_lshl_b32 s5, s7, 3
	s_cbranch_vccnz .LBB89_40
; %bb.38:
	v_mov_b32_e32 v11, 0xc80
	v_lshl_add_u32 v11, v0, 3, v11
	s_mov_b32 s4, s5
	s_mov_b32 s9, s7
.LBB89_39:                              ; =>This Inner Loop Header: Depth=1
	v_mov_b32_e32 v64, s4
	ds_read_b64 v[68:69], v11
	ds_read_b128 v[36:39], v64
	ds_read_b128 v[40:43], v64 offset:16
	ds_read_b128 v[44:47], v64 offset:32
	;; [unrolled: 1-line block ×7, first 2 shown]
	s_add_i32 s9, s9, -1
	s_addk_i32 s4, 0xa0
	v_add_u32_e32 v11, 0xa0, v11
	s_cmp_lg_u32 s9, 0
	s_waitcnt lgkmcnt(7)
	v_fma_f64 v[32:33], -v[68:69], v[36:37], v[32:33]
	v_fma_f64 v[34:35], -v[68:69], v[38:39], v[34:35]
	s_waitcnt lgkmcnt(6)
	v_fma_f64 v[28:29], -v[68:69], v[40:41], v[28:29]
	v_fma_f64 v[30:31], -v[68:69], v[42:43], v[30:31]
	;; [unrolled: 3-line block ×8, first 2 shown]
	s_cbranch_scc1 .LBB89_39
.LBB89_40:
	s_add_i32 s9, s5, s8
	v_mov_b32_e32 v76, s9
	ds_read_b128 v[36:39], v76
	ds_read_b128 v[40:43], v76 offset:16
	ds_read_b128 v[44:47], v76 offset:32
	s_add_i32 s12, s8, 0xa0
	s_add_i32 s13, s8, 0x140
	s_waitcnt lgkmcnt(2)
	v_mul_f64 v[52:53], v[36:37], v[32:33]
	ds_write_b64 v10, v[52:53]
	v_fma_f64 v[10:11], -v[52:53], v[38:39], v[34:35]
	ds_read2_b64 v[32:35], v76 offset0:21 offset1:22
	s_addk_i32 s9, 0x888
	s_add_i32 s4, s7, 16
	s_add_i32 s7, s7, 14
	s_waitcnt lgkmcnt(0)
	v_mul_f64 v[32:33], v[32:33], v[10:11]
	v_add_u32_e32 v10, s12, v1
	ds_write_b64 v10, v[32:33]
	v_fma_f64 v[10:11], -v[52:53], v[40:41], v[28:29]
	v_fma_f64 v[10:11], -v[32:33], v[34:35], v[10:11]
	ds_read_b128 v[34:37], v76 offset:336
	s_add_i32 s12, s5, s12
	v_mov_b32_e32 v54, s12
	s_add_i32 s12, s5, s13
	v_mov_b32_e32 v80, s12
	s_waitcnt lgkmcnt(0)
	v_mul_f64 v[40:41], v[34:35], v[10:11]
	v_add_u32_e32 v10, s13, v1
	ds_write_b64 v10, v[40:41]
	v_fma_f64 v[10:11], -v[52:53], v[42:43], v[30:31]
	ds_read2_b64 v[28:31], v54 offset0:3 offset1:4
	s_add_i32 s13, s8, 0x1e0
	s_add_i32 s12, s5, s13
	v_mov_b32_e32 v56, s12
	s_waitcnt lgkmcnt(0)
	v_fma_f64 v[10:11], -v[32:33], v[28:29], v[10:11]
	v_fma_f64 v[10:11], -v[40:41], v[36:37], v[10:11]
	ds_read2_b64 v[34:37], v76 offset0:63 offset1:64
	s_waitcnt lgkmcnt(0)
	v_mul_f64 v[34:35], v[34:35], v[10:11]
	v_add_u32_e32 v10, s13, v1
	ds_write_b64 v10, v[34:35]
	v_fma_f64 v[10:11], -v[52:53], v[44:45], v[24:25]
	v_fma_f64 v[10:11], -v[32:33], v[30:31], v[10:11]
	ds_read_b128 v[28:31], v80 offset:32
	s_add_i32 s13, s8, 0x280
	ds_read2_b64 v[42:45], v76 offset0:105 offset1:106
	s_add_i32 s12, s5, s13
	v_mov_b32_e32 v81, s12
	s_waitcnt lgkmcnt(1)
	v_fma_f64 v[10:11], -v[40:41], v[28:29], v[10:11]
	v_fma_f64 v[10:11], -v[34:35], v[36:37], v[10:11]
	ds_read_b128 v[36:39], v76 offset:672
	s_waitcnt lgkmcnt(0)
	v_mul_f64 v[36:37], v[36:37], v[10:11]
	v_add_u32_e32 v10, s13, v1
	ds_write_b64 v10, v[36:37]
	v_fma_f64 v[10:11], -v[52:53], v[46:47], v[26:27]
	ds_read2_b64 v[24:27], v54 offset0:5 offset1:6
	s_add_i32 s13, s8, 0x320
	s_add_i32 s12, s5, s13
	v_mov_b32_e32 v59, s12
	s_waitcnt lgkmcnt(0)
	v_fma_f64 v[10:11], -v[32:33], v[24:25], v[10:11]
	v_fma_f64 v[10:11], -v[40:41], v[30:31], v[10:11]
	ds_read2_b64 v[28:31], v56 offset0:5 offset1:6
	s_waitcnt lgkmcnt(0)
	v_fma_f64 v[10:11], -v[34:35], v[28:29], v[10:11]
	v_fma_f64 v[10:11], -v[36:37], v[38:39], v[10:11]
	v_mul_f64 v[42:43], v[42:43], v[10:11]
	v_add_u32_e32 v10, s13, v1
	ds_write_b64 v10, v[42:43]
	ds_read_b128 v[46:49], v76 offset:48
	ds_read_b128 v[60:63], v76 offset:64
	s_add_i32 s13, s8, 0x3c0
	s_add_i32 s12, s5, s13
	v_mov_b32_e32 v82, s12
	s_waitcnt lgkmcnt(1)
	v_fma_f64 v[10:11], -v[52:53], v[46:47], v[20:21]
	v_fma_f64 v[10:11], -v[32:33], v[26:27], v[10:11]
	ds_read_b128 v[24:27], v80 offset:48
	ds_read_b128 v[64:67], v80 offset:64
	s_waitcnt lgkmcnt(1)
	v_fma_f64 v[10:11], -v[40:41], v[24:25], v[10:11]
	v_fma_f64 v[10:11], -v[34:35], v[30:31], v[10:11]
	ds_read_b128 v[28:31], v81 offset:48
	ds_read_b128 v[68:71], v81 offset:64
	;; [unrolled: 1-line block ×3, first 2 shown]
	s_waitcnt lgkmcnt(2)
	v_fma_f64 v[10:11], -v[36:37], v[28:29], v[10:11]
	v_fma_f64 v[10:11], -v[42:43], v[44:45], v[10:11]
	ds_read_b128 v[44:47], v76 offset:1008
	s_waitcnt lgkmcnt(1)
	v_fma_f64 v[2:3], -v[52:53], v[72:73], v[2:3]
	s_waitcnt lgkmcnt(0)
	v_mul_f64 v[50:51], v[44:45], v[10:11]
	v_add_u32_e32 v10, s13, v1
	ds_write_b64 v10, v[50:51]
	v_fma_f64 v[10:11], -v[52:53], v[48:49], v[22:23]
	ds_read2_b64 v[20:23], v54 offset0:7 offset1:8
	s_add_i32 s13, s8, 0x460
	s_add_i32 s12, s5, s13
	v_mov_b32_e32 v58, s12
	s_waitcnt lgkmcnt(0)
	v_fma_f64 v[10:11], -v[32:33], v[20:21], v[10:11]
	v_fma_f64 v[10:11], -v[40:41], v[26:27], v[10:11]
	ds_read2_b64 v[24:27], v56 offset0:7 offset1:8
	s_waitcnt lgkmcnt(0)
	v_fma_f64 v[10:11], -v[34:35], v[24:25], v[10:11]
	v_fma_f64 v[10:11], -v[36:37], v[30:31], v[10:11]
	ds_read2_b64 v[28:31], v59 offset0:7 offset1:8
	s_waitcnt lgkmcnt(0)
	v_fma_f64 v[10:11], -v[42:43], v[28:29], v[10:11]
	v_fma_f64 v[10:11], -v[50:51], v[46:47], v[10:11]
	ds_read2_b64 v[46:49], v76 offset0:147 offset1:148
	s_waitcnt lgkmcnt(0)
	v_mul_f64 v[46:47], v[46:47], v[10:11]
	v_add_u32_e32 v10, s13, v1
	ds_write_b64 v10, v[46:47]
	v_fma_f64 v[10:11], -v[52:53], v[60:61], v[16:17]
	v_fma_f64 v[10:11], -v[32:33], v[22:23], v[10:11]
	ds_read_b128 v[20:23], v82 offset:64
	v_fma_f64 v[10:11], -v[40:41], v[64:65], v[10:11]
	v_fma_f64 v[10:11], -v[34:35], v[26:27], v[10:11]
	ds_read_b128 v[24:27], v76 offset:1344
	v_fma_f64 v[10:11], -v[36:37], v[68:69], v[10:11]
	v_fma_f64 v[10:11], -v[42:43], v[30:31], v[10:11]
	s_waitcnt lgkmcnt(1)
	v_fma_f64 v[10:11], -v[50:51], v[20:21], v[10:11]
	v_fma_f64 v[10:11], -v[46:47], v[48:49], v[10:11]
	s_add_i32 s13, s8, 0x500
	s_waitcnt lgkmcnt(0)
	v_mul_f64 v[48:49], v[24:25], v[10:11]
	v_add_u32_e32 v10, s13, v1
	ds_write_b64 v10, v[48:49]
	v_fma_f64 v[10:11], -v[52:53], v[62:63], v[18:19]
	ds_read2_b64 v[16:19], v54 offset0:9 offset1:10
	ds_read2_b64 v[28:31], v56 offset0:9 offset1:10
	;; [unrolled: 1-line block ×3, first 2 shown]
	s_add_i32 s12, s5, s13
	v_mov_b32_e32 v83, s12
	s_waitcnt lgkmcnt(2)
	v_fma_f64 v[10:11], -v[32:33], v[16:17], v[10:11]
	v_fma_f64 v[10:11], -v[40:41], v[66:67], v[10:11]
	s_waitcnt lgkmcnt(1)
	v_fma_f64 v[10:11], -v[34:35], v[28:29], v[10:11]
	v_fma_f64 v[10:11], -v[36:37], v[70:71], v[10:11]
	ds_read_b128 v[68:71], v81 offset:80
	s_waitcnt lgkmcnt(1)
	v_fma_f64 v[10:11], -v[42:43], v[60:61], v[10:11]
	v_fma_f64 v[10:11], -v[50:51], v[22:23], v[10:11]
	ds_read2_b64 v[20:23], v58 offset0:9 offset1:10
	ds_read_b128 v[64:67], v76 offset:80
	s_add_i32 s13, s8, 0x5a0
	s_add_i32 s12, s5, s13
	v_mov_b32_e32 v57, s12
	s_waitcnt lgkmcnt(1)
	v_fma_f64 v[10:11], -v[46:47], v[20:21], v[10:11]
	s_waitcnt lgkmcnt(0)
	v_fma_f64 v[6:7], -v[52:53], v[64:65], v[6:7]
	v_fma_f64 v[6:7], -v[32:33], v[18:19], v[6:7]
	ds_read_b128 v[16:19], v80 offset:80
	v_fma_f64 v[10:11], -v[48:49], v[26:27], v[10:11]
	ds_read2_b64 v[26:29], v76 offset0:189 offset1:190
	s_waitcnt lgkmcnt(1)
	v_fma_f64 v[6:7], -v[40:41], v[16:17], v[6:7]
	v_fma_f64 v[6:7], -v[34:35], v[30:31], v[6:7]
	;; [unrolled: 1-line block ×4, first 2 shown]
	ds_read_b128 v[60:63], v82 offset:80
	s_waitcnt lgkmcnt(1)
	v_mul_f64 v[26:27], v[26:27], v[10:11]
	v_add_u32_e32 v10, s13, v1
	s_add_i32 s13, s8, 0x640
	ds_write_b64 v10, v[26:27]
	s_waitcnt lgkmcnt(1)
	v_fma_f64 v[6:7], -v[50:51], v[60:61], v[6:7]
	v_fma_f64 v[6:7], -v[46:47], v[22:23], v[6:7]
	ds_read_b128 v[20:23], v83 offset:80
	v_fma_f64 v[10:11], -v[52:53], v[66:67], v[8:9]
	ds_read2_b64 v[64:67], v59 offset0:11 offset1:12
	s_add_i32 s12, s5, s13
	s_waitcnt lgkmcnt(1)
	v_fma_f64 v[6:7], -v[48:49], v[20:21], v[6:7]
	v_fma_f64 v[6:7], -v[26:27], v[28:29], v[6:7]
	ds_read_b128 v[28:31], v76 offset:1680
	s_waitcnt lgkmcnt(0)
	v_mul_f64 v[28:29], v[28:29], v[6:7]
	v_add_u32_e32 v6, s13, v1
	ds_write_b64 v6, v[28:29]
	ds_read2_b64 v[6:9], v54 offset0:11 offset1:12
	s_add_i32 s13, s8, 0x6e0
	s_waitcnt lgkmcnt(0)
	v_fma_f64 v[6:7], -v[32:33], v[6:7], v[10:11]
	v_fma_f64 v[6:7], -v[40:41], v[18:19], v[6:7]
	ds_read2_b64 v[16:19], v56 offset0:11 offset1:12
	v_fma_f64 v[2:3], -v[32:33], v[8:9], v[2:3]
	v_mov_b32_e32 v10, s12
	s_add_i32 s12, s5, s13
	v_mov_b32_e32 v55, s12
	s_waitcnt lgkmcnt(0)
	v_fma_f64 v[6:7], -v[34:35], v[16:17], v[6:7]
	v_fma_f64 v[6:7], -v[36:37], v[70:71], v[6:7]
	;; [unrolled: 1-line block ×4, first 2 shown]
	ds_read2_b64 v[60:63], v58 offset0:11 offset1:12
	ds_read2_b64 v[68:71], v76 offset0:231 offset1:232
	s_waitcnt lgkmcnt(1)
	v_fma_f64 v[6:7], -v[46:47], v[60:61], v[6:7]
	v_fma_f64 v[6:7], -v[48:49], v[22:23], v[6:7]
	ds_read2_b64 v[20:23], v57 offset0:11 offset1:12
	s_waitcnt lgkmcnt(0)
	v_fma_f64 v[6:7], -v[26:27], v[20:21], v[6:7]
	v_fma_f64 v[6:7], -v[28:29], v[30:31], v[6:7]
	v_mul_f64 v[30:31], v[68:69], v[6:7]
	v_add_u32_e32 v6, s13, v1
	ds_write_b64 v6, v[30:31]
	ds_read_b128 v[6:9], v80 offset:96
	s_add_i32 s13, s8, 0x780
	s_addk_i32 s8, 0x820
	s_add_i32 s12, s5, s13
	s_add_i32 s5, s5, s8
	s_waitcnt lgkmcnt(0)
	v_fma_f64 v[2:3], -v[40:41], v[6:7], v[2:3]
	v_fma_f64 v[2:3], -v[34:35], v[18:19], v[2:3]
	ds_read_b128 v[16:19], v81 offset:96
	v_fma_f64 v[6:7], -v[52:53], v[74:75], v[4:5]
	ds_read2_b64 v[72:75], v55 offset0:13 offset1:14
	s_waitcnt lgkmcnt(1)
	v_fma_f64 v[2:3], -v[36:37], v[16:17], v[2:3]
	v_fma_f64 v[2:3], -v[42:43], v[66:67], v[2:3]
	ds_read_b128 v[64:67], v82 offset:96
	s_waitcnt lgkmcnt(0)
	v_fma_f64 v[2:3], -v[50:51], v[64:65], v[2:3]
	v_fma_f64 v[2:3], -v[46:47], v[62:63], v[2:3]
	ds_read_b128 v[60:63], v83 offset:96
	;; [unrolled: 4-line block ×4, first 2 shown]
	ds_read_b128 v[76:79], v76 offset:112
	s_waitcnt lgkmcnt(1)
	v_mul_f64 v[38:39], v[68:69], v[2:3]
	v_add_u32_e32 v2, s13, v1
	ds_write_b64 v2, v[38:39]
	ds_read2_b64 v[2:5], v54 offset0:13 offset1:14
	s_waitcnt lgkmcnt(0)
	v_fma_f64 v[2:3], -v[32:33], v[2:3], v[6:7]
	v_fma_f64 v[2:3], -v[40:41], v[8:9], v[2:3]
	ds_read2_b64 v[6:9], v56 offset0:13 offset1:14
	s_waitcnt lgkmcnt(0)
	v_fma_f64 v[2:3], -v[34:35], v[6:7], v[2:3]
	v_fma_f64 v[2:3], -v[36:37], v[18:19], v[2:3]
	ds_read2_b64 v[16:19], v59 offset0:13 offset1:14
	v_mov_b32_e32 v6, s9
	s_waitcnt lgkmcnt(0)
	v_fma_f64 v[2:3], -v[42:43], v[16:17], v[2:3]
	v_fma_f64 v[2:3], -v[50:51], v[66:67], v[2:3]
	ds_read2_b64 v[64:67], v58 offset0:13 offset1:14
	s_waitcnt lgkmcnt(0)
	v_fma_f64 v[2:3], -v[46:47], v[64:65], v[2:3]
	v_fma_f64 v[2:3], -v[48:49], v[62:63], v[2:3]
	ds_read2_b64 v[60:63], v57 offset0:13 offset1:14
	s_waitcnt lgkmcnt(0)
	v_fma_f64 v[2:3], -v[26:27], v[60:61], v[2:3]
	v_fma_f64 v[2:3], -v[28:29], v[22:23], v[2:3]
	;; [unrolled: 1-line block ×4, first 2 shown]
	ds_read2_b64 v[68:71], v6 offset1:1
	ds_read_b128 v[22:25], v80 offset:112
	s_waitcnt lgkmcnt(1)
	v_mul_f64 v[44:45], v[68:69], v[2:3]
	v_add_u32_e32 v2, s8, v1
	ds_write_b64 v2, v[44:45]
	v_fma_f64 v[2:3], -v[52:53], v[76:77], v[12:13]
	v_fma_f64 v[2:3], -v[32:33], v[4:5], v[2:3]
	s_waitcnt lgkmcnt(1)
	v_fma_f64 v[2:3], -v[40:41], v[22:23], v[2:3]
	ds_read_b128 v[20:23], v81 offset:112
	v_fma_f64 v[2:3], -v[34:35], v[8:9], v[2:3]
	s_mul_i32 s8, s7, 0xa8
	s_mulk_i32 s7, 0xa0
	s_waitcnt lgkmcnt(0)
	v_fma_f64 v[2:3], -v[36:37], v[20:21], v[2:3]
	v_fma_f64 v[2:3], -v[42:43], v[18:19], v[2:3]
	ds_read_b128 v[18:21], v82 offset:112
	s_waitcnt lgkmcnt(0)
	v_fma_f64 v[2:3], -v[50:51], v[18:19], v[2:3]
	ds_read_b128 v[16:19], v83 offset:112
	v_fma_f64 v[2:3], -v[46:47], v[66:67], v[2:3]
	s_waitcnt lgkmcnt(0)
	v_fma_f64 v[2:3], -v[48:49], v[16:17], v[2:3]
	v_fma_f64 v[6:7], -v[26:27], v[62:63], v[2:3]
	ds_read_b128 v[2:5], v10 offset:112
	s_waitcnt lgkmcnt(0)
	v_fma_f64 v[2:3], -v[28:29], v[2:3], v[6:7]
	v_mov_b32_e32 v6, s12
	ds_read_b128 v[6:9], v6 offset:112
	v_fma_f64 v[2:3], -v[30:31], v[74:75], v[2:3]
	s_waitcnt lgkmcnt(0)
	v_fma_f64 v[2:3], -v[38:39], v[6:7], v[2:3]
	v_mov_b32_e32 v6, s8
	ds_read_b128 v[10:13], v6
	v_fma_f64 v[2:3], -v[44:45], v[70:71], v[2:3]
	v_add_u32_e32 v6, s7, v1
	s_mov_b32 s7, s4
	s_waitcnt lgkmcnt(0)
	v_mul_f64 v[2:3], v[10:11], v[2:3]
	ds_read_b64 v[10:11], v54 offset:120
	ds_write_b64 v6, v[2:3]
	v_fma_f64 v[6:7], -v[52:53], v[78:79], v[14:15]
	s_waitcnt lgkmcnt(1)
	v_fma_f64 v[6:7], -v[32:33], v[10:11], v[6:7]
	ds_read_b64 v[10:11], v56 offset:120
	v_fma_f64 v[6:7], -v[40:41], v[24:25], v[6:7]
	s_waitcnt lgkmcnt(0)
	v_fma_f64 v[6:7], -v[34:35], v[10:11], v[6:7]
	ds_read_b64 v[10:11], v59 offset:120
	v_fma_f64 v[6:7], -v[36:37], v[22:23], v[6:7]
	s_waitcnt lgkmcnt(0)
	v_fma_f64 v[6:7], -v[42:43], v[10:11], v[6:7]
	ds_read_b64 v[10:11], v58 offset:120
	v_fma_f64 v[6:7], -v[50:51], v[20:21], v[6:7]
	s_waitcnt lgkmcnt(0)
	v_fma_f64 v[6:7], -v[46:47], v[10:11], v[6:7]
	ds_read_b64 v[10:11], v57 offset:120
	v_fma_f64 v[6:7], -v[48:49], v[18:19], v[6:7]
	s_waitcnt lgkmcnt(0)
	v_fma_f64 v[6:7], -v[26:27], v[10:11], v[6:7]
	v_fma_f64 v[4:5], -v[28:29], v[4:5], v[6:7]
	ds_read_b64 v[6:7], v55 offset:120
	s_waitcnt lgkmcnt(0)
	v_fma_f64 v[4:5], -v[30:31], v[6:7], v[4:5]
	v_mov_b32_e32 v6, s5
	ds_read_b64 v[6:7], v6 offset:120
	v_fma_f64 v[4:5], -v[38:39], v[8:9], v[4:5]
	s_mul_i32 s5, s6, 0xa8
	s_mulk_i32 s6, 0xa0
	s_waitcnt lgkmcnt(0)
	v_fma_f64 v[4:5], -v[44:45], v[6:7], v[4:5]
	v_fma_f64 v[2:3], -v[2:3], v[12:13], v[4:5]
	v_mov_b32_e32 v4, s5
	ds_read_b64 v[4:5], v4
	s_waitcnt lgkmcnt(0)
	v_mul_f64 v[2:3], v[4:5], v[2:3]
	v_add_u32_e32 v4, s6, v1
	ds_write_b64 v4, v[2:3]
.LBB89_41:
	s_cmp_ge_i32 s7, s22
	s_cbranch_scc1 .LBB89_46
; %bb.42:
	v_mov_b32_e32 v2, 0xc80
	s_lshl_b32 s4, s7, 3
	v_lshl_add_u32 v4, v0, 3, v2
	s_branch .LBB89_44
.LBB89_43:                              ;   in Loop: Header=BB89_44 Depth=1
	s_lshl_b32 s6, s7, 3
	s_add_i32 s5, s6, s5
	v_mov_b32_e32 v6, s5
	ds_read_b64 v[6:7], v6
	s_add_i32 s7, s7, 1
	s_add_i32 s4, s4, 8
	s_cmp_ge_i32 s7, s22
	s_waitcnt lgkmcnt(0)
	v_mul_f64 v[2:3], v[6:7], v[2:3]
	ds_write_b64 v5, v[2:3]
	s_cbranch_scc1 .LBB89_46
.LBB89_44:                              ; =>This Loop Header: Depth=1
                                        ;     Child Loop BB89_45 Depth 2
	s_mul_i32 s5, s7, 0xa0
	v_add_u32_e32 v5, s5, v1
	ds_read_b64 v[2:3], v5
	s_cmp_eq_u32 s7, 0
	v_mov_b32_e32 v6, v4
	s_mov_b32 s6, s4
	s_mov_b32 s8, s7
	s_cbranch_scc1 .LBB89_43
.LBB89_45:                              ;   Parent Loop BB89_44 Depth=1
                                        ; =>  This Inner Loop Header: Depth=2
	v_mov_b32_e32 v7, s6
	ds_read_b64 v[8:9], v6
	ds_read_b64 v[10:11], v7
	s_add_i32 s8, s8, -1
	s_addk_i32 s6, 0xa0
	v_add_u32_e32 v6, 0xa0, v6
	s_cmp_lg_u32 s8, 0
	s_waitcnt lgkmcnt(0)
	v_fma_f64 v[2:3], -v[8:9], v[10:11], v[2:3]
	s_cbranch_scc1 .LBB89_45
	s_branch .LBB89_43
.LBB89_46:
	s_waitcnt lgkmcnt(0)
	; wave barrier
	s_and_saveexec_b64 s[4:5], s[0:1]
	s_cbranch_execz .LBB89_50
; %bb.47:
	s_andn2_b64 vcc, exec, s[10:11]
	s_cbranch_vccnz .LBB89_50
; %bb.48:
	v_mad_i64_i32 v[2:3], s[0:1], s16, v0, 0
	v_mov_b32_e32 v1, 0xc80
	v_lshl_add_u64 v[2:3], v[2:3], 3, s[2:3]
	v_lshl_add_u32 v0, v0, 3, v1
.LBB89_49:                              ; =>This Inner Loop Header: Depth=1
	ds_read_b64 v[4:5], v0
	s_add_i32 s22, s22, -1
	v_add_u32_e32 v0, 0xa0, v0
	s_cmp_lg_u32 s22, 0
	s_waitcnt lgkmcnt(0)
	flat_store_dwordx2 v[2:3], v[4:5]
	v_lshl_add_u64 v[2:3], v[2:3], 0, 8
	s_cbranch_scc1 .LBB89_49
.LBB89_50:
	s_endpgm
	.section	.rodata,"a",@progbits
	.p2align	6, 0x0
	.amdhsa_kernel _ZL38rocblas_trsm_small_left_device_sharedBILi20ELi20ELb1EddPKPKdPKPdEv13rocblas_fill_18rocblas_operation_17rocblas_diagonal_iiT3_T4_lilT5_lili
		.amdhsa_group_segment_fixed_size 6400
		.amdhsa_private_segment_fixed_size 0
		.amdhsa_kernarg_size 360
		.amdhsa_user_sgpr_count 2
		.amdhsa_user_sgpr_dispatch_ptr 0
		.amdhsa_user_sgpr_queue_ptr 0
		.amdhsa_user_sgpr_kernarg_segment_ptr 1
		.amdhsa_user_sgpr_dispatch_id 0
		.amdhsa_user_sgpr_kernarg_preload_length 0
		.amdhsa_user_sgpr_kernarg_preload_offset 0
		.amdhsa_user_sgpr_private_segment_size 0
		.amdhsa_uses_dynamic_stack 0
		.amdhsa_enable_private_segment 0
		.amdhsa_system_sgpr_workgroup_id_x 1
		.amdhsa_system_sgpr_workgroup_id_y 0
		.amdhsa_system_sgpr_workgroup_id_z 1
		.amdhsa_system_sgpr_workgroup_info 0
		.amdhsa_system_vgpr_workitem_id 0
		.amdhsa_next_free_vgpr 96
		.amdhsa_next_free_sgpr 75
		.amdhsa_accum_offset 96
		.amdhsa_reserve_vcc 1
		.amdhsa_float_round_mode_32 0
		.amdhsa_float_round_mode_16_64 0
		.amdhsa_float_denorm_mode_32 3
		.amdhsa_float_denorm_mode_16_64 3
		.amdhsa_dx10_clamp 1
		.amdhsa_ieee_mode 1
		.amdhsa_fp16_overflow 0
		.amdhsa_tg_split 0
		.amdhsa_exception_fp_ieee_invalid_op 0
		.amdhsa_exception_fp_denorm_src 0
		.amdhsa_exception_fp_ieee_div_zero 0
		.amdhsa_exception_fp_ieee_overflow 0
		.amdhsa_exception_fp_ieee_underflow 0
		.amdhsa_exception_fp_ieee_inexact 0
		.amdhsa_exception_int_div_zero 0
	.end_amdhsa_kernel
	.section	.text._ZL38rocblas_trsm_small_left_device_sharedBILi20ELi20ELb1EddPKPKdPKPdEv13rocblas_fill_18rocblas_operation_17rocblas_diagonal_iiT3_T4_lilT5_lili,"axG",@progbits,_ZL38rocblas_trsm_small_left_device_sharedBILi20ELi20ELb1EddPKPKdPKPdEv13rocblas_fill_18rocblas_operation_17rocblas_diagonal_iiT3_T4_lilT5_lili,comdat
.Lfunc_end89:
	.size	_ZL38rocblas_trsm_small_left_device_sharedBILi20ELi20ELb1EddPKPKdPKPdEv13rocblas_fill_18rocblas_operation_17rocblas_diagonal_iiT3_T4_lilT5_lili, .Lfunc_end89-_ZL38rocblas_trsm_small_left_device_sharedBILi20ELi20ELb1EddPKPKdPKPdEv13rocblas_fill_18rocblas_operation_17rocblas_diagonal_iiT3_T4_lilT5_lili
                                        ; -- End function
	.set _ZL38rocblas_trsm_small_left_device_sharedBILi20ELi20ELb1EddPKPKdPKPdEv13rocblas_fill_18rocblas_operation_17rocblas_diagonal_iiT3_T4_lilT5_lili.num_vgpr, 96
	.set _ZL38rocblas_trsm_small_left_device_sharedBILi20ELi20ELb1EddPKPKdPKPdEv13rocblas_fill_18rocblas_operation_17rocblas_diagonal_iiT3_T4_lilT5_lili.num_agpr, 0
	.set _ZL38rocblas_trsm_small_left_device_sharedBILi20ELi20ELb1EddPKPKdPKPdEv13rocblas_fill_18rocblas_operation_17rocblas_diagonal_iiT3_T4_lilT5_lili.numbered_sgpr, 26
	.set _ZL38rocblas_trsm_small_left_device_sharedBILi20ELi20ELb1EddPKPKdPKPdEv13rocblas_fill_18rocblas_operation_17rocblas_diagonal_iiT3_T4_lilT5_lili.num_named_barrier, 0
	.set _ZL38rocblas_trsm_small_left_device_sharedBILi20ELi20ELb1EddPKPKdPKPdEv13rocblas_fill_18rocblas_operation_17rocblas_diagonal_iiT3_T4_lilT5_lili.private_seg_size, 0
	.set _ZL38rocblas_trsm_small_left_device_sharedBILi20ELi20ELb1EddPKPKdPKPdEv13rocblas_fill_18rocblas_operation_17rocblas_diagonal_iiT3_T4_lilT5_lili.uses_vcc, 1
	.set _ZL38rocblas_trsm_small_left_device_sharedBILi20ELi20ELb1EddPKPKdPKPdEv13rocblas_fill_18rocblas_operation_17rocblas_diagonal_iiT3_T4_lilT5_lili.uses_flat_scratch, 0
	.set _ZL38rocblas_trsm_small_left_device_sharedBILi20ELi20ELb1EddPKPKdPKPdEv13rocblas_fill_18rocblas_operation_17rocblas_diagonal_iiT3_T4_lilT5_lili.has_dyn_sized_stack, 0
	.set _ZL38rocblas_trsm_small_left_device_sharedBILi20ELi20ELb1EddPKPKdPKPdEv13rocblas_fill_18rocblas_operation_17rocblas_diagonal_iiT3_T4_lilT5_lili.has_recursion, 0
	.set _ZL38rocblas_trsm_small_left_device_sharedBILi20ELi20ELb1EddPKPKdPKPdEv13rocblas_fill_18rocblas_operation_17rocblas_diagonal_iiT3_T4_lilT5_lili.has_indirect_call, 0
	.section	.AMDGPU.csdata,"",@progbits
; Kernel info:
; codeLenInByte = 14148
; TotalNumSgprs: 32
; NumVgprs: 96
; NumAgprs: 0
; TotalNumVgprs: 96
; ScratchSize: 0
; MemoryBound: 0
; FloatMode: 240
; IeeeMode: 1
; LDSByteSize: 6400 bytes/workgroup (compile time only)
; SGPRBlocks: 10
; VGPRBlocks: 11
; NumSGPRsForWavesPerEU: 81
; NumVGPRsForWavesPerEU: 96
; AccumOffset: 96
; Occupancy: 5
; WaveLimiterHint : 0
; COMPUTE_PGM_RSRC2:SCRATCH_EN: 0
; COMPUTE_PGM_RSRC2:USER_SGPR: 2
; COMPUTE_PGM_RSRC2:TRAP_HANDLER: 0
; COMPUTE_PGM_RSRC2:TGID_X_EN: 1
; COMPUTE_PGM_RSRC2:TGID_Y_EN: 0
; COMPUTE_PGM_RSRC2:TGID_Z_EN: 1
; COMPUTE_PGM_RSRC2:TIDIG_COMP_CNT: 0
; COMPUTE_PGM_RSRC3_GFX90A:ACCUM_OFFSET: 23
; COMPUTE_PGM_RSRC3_GFX90A:TG_SPLIT: 0
	.section	.text._ZL30rocblas_trsm_small_left_deviceILi20ELi20ELb1EddPKPKdPKPdEv13rocblas_fill_18rocblas_operation_17rocblas_diagonal_iiT3_T4_lilT5_lili,"axG",@progbits,_ZL30rocblas_trsm_small_left_deviceILi20ELi20ELb1EddPKPKdPKPdEv13rocblas_fill_18rocblas_operation_17rocblas_diagonal_iiT3_T4_lilT5_lili,comdat
	.globl	_ZL30rocblas_trsm_small_left_deviceILi20ELi20ELb1EddPKPKdPKPdEv13rocblas_fill_18rocblas_operation_17rocblas_diagonal_iiT3_T4_lilT5_lili ; -- Begin function _ZL30rocblas_trsm_small_left_deviceILi20ELi20ELb1EddPKPKdPKPdEv13rocblas_fill_18rocblas_operation_17rocblas_diagonal_iiT3_T4_lilT5_lili
	.p2align	8
	.type	_ZL30rocblas_trsm_small_left_deviceILi20ELi20ELb1EddPKPKdPKPdEv13rocblas_fill_18rocblas_operation_17rocblas_diagonal_iiT3_T4_lilT5_lili,@function
_ZL30rocblas_trsm_small_left_deviceILi20ELi20ELb1EddPKPKdPKPdEv13rocblas_fill_18rocblas_operation_17rocblas_diagonal_iiT3_T4_lilT5_lili: ; @_ZL30rocblas_trsm_small_left_deviceILi20ELi20ELb1EddPKPKdPKPdEv13rocblas_fill_18rocblas_operation_17rocblas_diagonal_iiT3_T4_lilT5_lili
; %bb.0:
	s_load_dwordx2 s[18:19], s[0:1], 0x28
	s_load_dwordx4 s[12:15], s[0:1], 0x40
	s_load_dwordx4 s[8:11], s[0:1], 0x4
	;; [unrolled: 1-line block ×3, first 2 shown]
	s_mov_b32 s16, s3
	s_mov_b32 s17, 0
	s_lshl_b64 s[20:21], s[16:17], 3
	s_waitcnt lgkmcnt(0)
	s_add_u32 s12, s12, s20
	s_addc_u32 s13, s13, s21
	s_load_dwordx2 s[12:13], s[12:13], 0x0
	s_min_i32 s22, s10, 20
	v_cmp_gt_i32_e32 vcc, s22, v0
	s_and_saveexec_b64 s[16:17], vcc
	s_cbranch_execz .LBB90_6
; %bb.1:
	s_load_dword s24, s[0:1], 0x30
	v_lshlrev_b32_e32 v2, 3, v0
	v_mov_b32_e32 v3, 0
	v_mov_b32_e32 v1, v2
	s_mov_b32 s3, s22
	s_waitcnt lgkmcnt(0)
	s_ashr_i32 s25, s24, 31
	s_add_u32 s6, s6, s20
	s_addc_u32 s7, s7, s21
	s_load_dwordx2 s[6:7], s[6:7], 0x0
	s_lshl_b64 s[18:19], s[18:19], 3
	s_waitcnt lgkmcnt(0)
	s_add_u32 s18, s6, s18
	s_addc_u32 s19, s7, s19
	s_lshl_b64 s[6:7], s[24:25], 3
	v_lshl_add_u64 v[4:5], s[18:19], 0, v[2:3]
.LBB90_2:                               ; =>This Inner Loop Header: Depth=1
	flat_load_dwordx2 v[6:7], v[4:5]
	s_add_i32 s3, s3, -1
	v_lshl_add_u64 v[4:5], v[4:5], 0, s[6:7]
	s_cmp_eq_u32 s3, 0
	s_waitcnt vmcnt(0) lgkmcnt(0)
	ds_write_b64 v1, v[6:7]
	v_add_u32_e32 v1, 0xa0, v1
	s_cbranch_scc0 .LBB90_2
; %bb.3:
	v_mul_u32_u24_e32 v1, 0xa0, v0
	s_cmpk_lg_i32 s9, 0x84
	v_mov_b64_e32 v[4:5], 1.0
	v_add_u32_e32 v1, v2, v1
	s_cbranch_scc0 .LBB90_5
; %bb.4:
	ds_read_b64 v[2:3], v1
	s_waitcnt lgkmcnt(0)
	v_div_scale_f64 v[4:5], s[6:7], v[2:3], v[2:3], 1.0
	v_rcp_f64_e32 v[6:7], v[4:5]
	v_div_scale_f64 v[8:9], vcc, 1.0, v[2:3], 1.0
	v_fma_f64 v[10:11], -v[4:5], v[6:7], 1.0
	v_fmac_f64_e32 v[6:7], v[6:7], v[10:11]
	v_fma_f64 v[10:11], -v[4:5], v[6:7], 1.0
	v_fmac_f64_e32 v[6:7], v[6:7], v[10:11]
	v_mul_f64 v[10:11], v[8:9], v[6:7]
	v_fma_f64 v[4:5], -v[4:5], v[10:11], v[8:9]
	v_div_fmas_f64 v[4:5], v[4:5], v[6:7], v[10:11]
	v_div_fixup_f64 v[4:5], v[4:5], v[2:3], 1.0
.LBB90_5:
	ds_write_b64 v1, v[4:5]
.LBB90_6:
	s_or_b64 exec, exec, s[16:17]
	s_load_dword s3, s[0:1], 0x68
	s_mul_i32 s6, s2, 0xffffffec
	s_add_i32 s6, s11, s6
	s_waitcnt lgkmcnt(0)
	; wave barrier
	s_add_i32 s3, s3, -1
	s_cmp_ge_u32 s2, s3
	s_cselect_b32 s3, s6, 20
	v_cmp_gt_i32_e32 vcc, s3, v0
	s_and_saveexec_b64 s[6:7], vcc
	s_cbranch_execz .LBB90_48
; %bb.7:
	s_load_dword s6, s[0:1], 0x50
	s_lshl_b64 s[0:1], s[14:15], 3
	s_add_u32 s0, s12, s0
	v_mad_u64_u32 v[0:1], s[2:3], s2, 20, v[0:1]
	s_addc_u32 s1, s13, s1
	s_waitcnt lgkmcnt(0)
	v_mad_i64_i32 v[0:1], s[2:3], s6, v0, 0
	v_lshl_add_u64 v[12:13], v[0:1], 3, s[0:1]
	s_cmpk_eq_i32 s8, 0x6f
	s_mov_b64 s[0:1], -1
	s_cbranch_scc1 .LBB90_34
; %bb.8:
	s_add_i32 s8, s22, -1
	s_cmp_gt_i32 s10, 19
	s_mov_b32 s0, s8
	s_cbranch_scc0 .LBB90_10
; %bb.9:
	flat_load_dwordx4 v[0:3], v[12:13] offset:144
	flat_load_dwordx4 v[8:11], v[12:13] offset:128
	;; [unrolled: 1-line block ×4, first 2 shown]
	v_mov_b32_e32 v42, 0
	ds_read_b64 v[4:5], v42 offset:3192
	flat_load_dwordx4 v[32:35], v[12:13] offset:80
	v_mov_b32_e32 v6, 0xb28
	v_mov_b32_e32 v40, 0x8a8
	;; [unrolled: 1-line block ×3, first 2 shown]
	s_mov_b32 s0, -1
	s_waitcnt vmcnt(0) lgkmcnt(0)
	v_mul_f64 v[2:3], s[4:5], v[2:3]
	v_mul_f64 v[14:15], v[4:5], v[2:3]
	flat_store_dwordx2 v[12:13], v[14:15] offset:152
	ds_read_b128 v[2:5], v42 offset:3024
	s_waitcnt lgkmcnt(0)
	v_mul_f64 v[4:5], v[14:15], v[4:5]
	v_fma_f64 v[0:1], s[4:5], v[0:1], -v[4:5]
	v_mul_f64 v[16:17], v[2:3], v[0:1]
	flat_store_dwordx2 v[12:13], v[16:17] offset:144
	ds_read_b64 v[4:5], v42 offset:2872
	ds_read2_b64 v[0:3], v6 offset1:1
	s_waitcnt lgkmcnt(0)
	v_mul_f64 v[4:5], v[14:15], v[4:5]
	v_fma_f64 v[4:5], s[4:5], v[10:11], -v[4:5]
	v_fma_f64 v[2:3], -v[16:17], v[2:3], v[4:5]
	v_mul_f64 v[18:19], v[0:1], v[2:3]
	flat_store_dwordx2 v[12:13], v[18:19] offset:136
	ds_read_b128 v[0:3], v42 offset:2704
	ds_read_b128 v[20:23], v42 offset:2688
	flat_load_dwordx4 v[4:7], v[12:13] offset:64
	s_waitcnt lgkmcnt(0)
	v_mul_f64 v[2:3], v[14:15], v[2:3]
	v_fma_f64 v[2:3], s[4:5], v[8:9], -v[2:3]
	v_fma_f64 v[0:1], -v[16:17], v[0:1], v[2:3]
	v_fma_f64 v[0:1], -v[18:19], v[22:23], v[0:1]
	v_mul_f64 v[20:21], v[20:21], v[0:1]
	flat_store_dwordx2 v[12:13], v[20:21] offset:128
	ds_read_b64 v[22:23], v42 offset:2552
	v_mov_b32_e32 v0, 0x9e8
	ds_read2_b64 v[0:3], v0 offset1:1
	v_mov_b32_e32 v8, 0x9d8
	ds_read2_b64 v[8:11], v8 offset1:1
	s_waitcnt lgkmcnt(0)
	v_mul_f64 v[22:23], v[14:15], v[22:23]
	v_fma_f64 v[22:23], s[4:5], v[26:27], -v[22:23]
	v_fma_f64 v[2:3], -v[16:17], v[2:3], v[22:23]
	v_fma_f64 v[0:1], -v[18:19], v[0:1], v[2:3]
	;; [unrolled: 1-line block ×3, first 2 shown]
	v_mul_f64 v[22:23], v[8:9], v[0:1]
	flat_store_dwordx2 v[12:13], v[22:23] offset:120
	ds_read_b128 v[0:3], v42 offset:2384
	ds_read_b128 v[8:11], v42 offset:2368
	;; [unrolled: 1-line block ×3, first 2 shown]
	s_waitcnt lgkmcnt(0)
	v_mul_f64 v[2:3], v[14:15], v[2:3]
	v_fma_f64 v[2:3], s[4:5], v[24:25], -v[2:3]
	v_fma_f64 v[0:1], -v[16:17], v[0:1], v[2:3]
	v_fma_f64 v[0:1], -v[18:19], v[10:11], v[0:1]
	;; [unrolled: 1-line block ×4, first 2 shown]
	v_mul_f64 v[24:25], v[36:37], v[0:1]
	flat_store_dwordx2 v[12:13], v[24:25] offset:112
	ds_read_b64 v[26:27], v42 offset:2232
	v_mov_b32_e32 v36, 0x888
	ds_read2_b64 v[0:3], v40 offset1:1
	ds_read2_b64 v[8:11], v41 offset1:1
	ds_read2_b64 v[36:39], v36 offset1:1
	s_waitcnt lgkmcnt(0)
	v_mul_f64 v[26:27], v[14:15], v[26:27]
	v_fma_f64 v[26:27], s[4:5], v[30:31], -v[26:27]
	v_fma_f64 v[2:3], -v[16:17], v[2:3], v[26:27]
	v_fma_f64 v[0:1], -v[18:19], v[0:1], v[2:3]
	;; [unrolled: 1-line block ×5, first 2 shown]
	v_mul_f64 v[26:27], v[36:37], v[0:1]
	flat_load_dwordx4 v[8:11], v[12:13] offset:48
	s_nop 0
	flat_store_dwordx2 v[12:13], v[26:27] offset:104
	ds_read_b128 v[0:3], v42 offset:2064
	ds_read_b128 v[36:39], v42 offset:2048
	;; [unrolled: 1-line block ×4, first 2 shown]
	s_waitcnt lgkmcnt(0)
	v_mul_f64 v[2:3], v[14:15], v[2:3]
	v_fma_f64 v[2:3], s[4:5], v[28:29], -v[2:3]
	v_fma_f64 v[0:1], -v[16:17], v[0:1], v[2:3]
	v_fma_f64 v[0:1], -v[18:19], v[38:39], v[0:1]
	;; [unrolled: 1-line block ×6, first 2 shown]
	v_mul_f64 v[28:29], v[44:45], v[0:1]
	flat_store_dwordx2 v[12:13], v[28:29] offset:96
	ds_read_b64 v[30:31], v42 offset:1912
	ds_read2_b64 v[0:3], v42 offset0:237 offset1:238
	ds_read2_b64 v[36:39], v42 offset0:235 offset1:236
	;; [unrolled: 1-line block ×4, first 2 shown]
	s_waitcnt lgkmcnt(0)
	v_mul_f64 v[30:31], v[14:15], v[30:31]
	v_fma_f64 v[30:31], s[4:5], v[34:35], -v[30:31]
	v_fma_f64 v[2:3], -v[16:17], v[2:3], v[30:31]
	v_fma_f64 v[0:1], -v[18:19], v[0:1], v[2:3]
	;; [unrolled: 1-line block ×7, first 2 shown]
	v_mul_f64 v[30:31], v[48:49], v[0:1]
	flat_store_dwordx2 v[12:13], v[30:31] offset:88
	ds_read_b128 v[34:37], v42 offset:1744
	flat_load_dwordx4 v[0:3], v[12:13] offset:32
	ds_read_b128 v[38:41], v42 offset:1712
	ds_read_b128 v[44:47], v42 offset:1728
	;; [unrolled: 1-line block ×3, first 2 shown]
	s_waitcnt lgkmcnt(0)
	v_mul_f64 v[36:37], v[14:15], v[36:37]
	v_fma_f64 v[32:33], s[4:5], v[32:33], -v[36:37]
	v_fma_f64 v[36:37], -v[16:17], v[34:35], v[32:33]
	ds_read_b128 v[32:35], v42 offset:1696
	v_fma_f64 v[36:37], -v[18:19], v[46:47], v[36:37]
	v_fma_f64 v[36:37], -v[20:21], v[44:45], v[36:37]
	;; [unrolled: 1-line block ×4, first 2 shown]
	s_waitcnt lgkmcnt(0)
	v_fma_f64 v[34:35], -v[26:27], v[34:35], v[36:37]
	v_fma_f64 v[32:33], -v[28:29], v[32:33], v[34:35]
	;; [unrolled: 1-line block ×3, first 2 shown]
	v_mul_f64 v[32:33], v[48:49], v[32:33]
	flat_store_dwordx2 v[12:13], v[32:33] offset:80
	ds_read_b64 v[52:53], v42 offset:1592
	ds_read2_b64 v[34:37], v42 offset0:197 offset1:198
	ds_read2_b64 v[38:41], v42 offset0:195 offset1:196
	;; [unrolled: 1-line block ×4, first 2 shown]
	s_waitcnt lgkmcnt(0)
	v_mul_f64 v[52:53], v[14:15], v[52:53]
	s_waitcnt vmcnt(0)
	v_fma_f64 v[6:7], s[4:5], v[6:7], -v[52:53]
	v_fma_f64 v[6:7], -v[16:17], v[36:37], v[6:7]
	v_fma_f64 v[6:7], -v[18:19], v[34:35], v[6:7]
	;; [unrolled: 1-line block ×3, first 2 shown]
	ds_read2_b64 v[34:37], v42 offset0:189 offset1:190
	v_fma_f64 v[6:7], -v[22:23], v[38:39], v[6:7]
	v_fma_f64 v[6:7], -v[24:25], v[46:47], v[6:7]
	;; [unrolled: 1-line block ×5, first 2 shown]
	s_waitcnt lgkmcnt(0)
	v_fma_f64 v[6:7], -v[32:33], v[36:37], v[6:7]
	v_mul_f64 v[34:35], v[34:35], v[6:7]
	flat_store_dwordx2 v[12:13], v[34:35] offset:72
	ds_read_b128 v[36:39], v42 offset:1424
	ds_read_b128 v[44:47], v42 offset:1408
	;; [unrolled: 1-line block ×3, first 2 shown]
	s_waitcnt lgkmcnt(0)
	v_mul_f64 v[6:7], v[14:15], v[38:39]
	v_fma_f64 v[38:39], s[4:5], v[4:5], -v[6:7]
	ds_read_b128 v[4:7], v42 offset:1392
	v_fma_f64 v[40:41], -v[16:17], v[36:37], v[38:39]
	ds_read_b128 v[36:39], v42 offset:1376
	v_fma_f64 v[40:41], -v[18:19], v[46:47], v[40:41]
	v_fma_f64 v[40:41], -v[20:21], v[44:45], v[40:41]
	ds_read_b128 v[44:47], v42 offset:1360
	s_waitcnt lgkmcnt(0)
	v_fma_f64 v[6:7], -v[22:23], v[6:7], v[40:41]
	v_fma_f64 v[4:5], -v[24:25], v[4:5], v[6:7]
	;; [unrolled: 1-line block ×7, first 2 shown]
	v_mul_f64 v[36:37], v[48:49], v[4:5]
	flat_store_dwordx2 v[12:13], v[36:37] offset:64
	ds_read_b64 v[52:53], v42 offset:1272
	ds_read2_b64 v[4:7], v42 offset0:157 offset1:158
	ds_read2_b64 v[38:41], v42 offset0:155 offset1:156
	;; [unrolled: 1-line block ×4, first 2 shown]
	s_waitcnt lgkmcnt(0)
	v_mul_f64 v[52:53], v[14:15], v[52:53]
	v_fma_f64 v[10:11], s[4:5], v[10:11], -v[52:53]
	v_fma_f64 v[6:7], -v[16:17], v[6:7], v[10:11]
	v_fma_f64 v[10:11], -v[18:19], v[4:5], v[6:7]
	;; [unrolled: 1-line block ×3, first 2 shown]
	ds_read2_b64 v[4:7], v42 offset0:149 offset1:150
	v_fma_f64 v[10:11], -v[22:23], v[38:39], v[10:11]
	v_fma_f64 v[10:11], -v[24:25], v[46:47], v[10:11]
	ds_read2_b64 v[38:41], v42 offset0:147 offset1:148
	v_fma_f64 v[10:11], -v[26:27], v[44:45], v[10:11]
	v_fma_f64 v[10:11], -v[28:29], v[50:51], v[10:11]
	;; [unrolled: 1-line block ×3, first 2 shown]
	s_waitcnt lgkmcnt(0)
	v_fma_f64 v[6:7], -v[32:33], v[6:7], v[10:11]
	v_fma_f64 v[4:5], -v[34:35], v[4:5], v[6:7]
	;; [unrolled: 1-line block ×3, first 2 shown]
	v_mul_f64 v[10:11], v[38:39], v[4:5]
	flat_load_dwordx4 v[4:7], v[12:13] offset:16
	s_nop 0
	flat_store_dwordx2 v[12:13], v[10:11] offset:56
	ds_read_b128 v[38:41], v42 offset:1104
	ds_read_b128 v[44:47], v42 offset:1088
	;; [unrolled: 1-line block ×3, first 2 shown]
	s_waitcnt lgkmcnt(0)
	v_mul_f64 v[40:41], v[14:15], v[40:41]
	v_fma_f64 v[8:9], s[4:5], v[8:9], -v[40:41]
	v_fma_f64 v[8:9], -v[16:17], v[38:39], v[8:9]
	ds_read_b128 v[38:41], v42 offset:1056
	v_fma_f64 v[8:9], -v[18:19], v[46:47], v[8:9]
	v_fma_f64 v[8:9], -v[20:21], v[44:45], v[8:9]
	ds_read_b128 v[44:47], v42 offset:1040
	v_fma_f64 v[8:9], -v[22:23], v[50:51], v[8:9]
	v_fma_f64 v[8:9], -v[24:25], v[48:49], v[8:9]
	ds_read_b128 v[48:51], v42 offset:1024
	s_waitcnt lgkmcnt(0)
	v_fma_f64 v[8:9], -v[26:27], v[40:41], v[8:9]
	v_fma_f64 v[8:9], -v[28:29], v[38:39], v[8:9]
	ds_read_b128 v[38:41], v42 offset:1008
	v_fma_f64 v[8:9], -v[30:31], v[46:47], v[8:9]
	v_fma_f64 v[8:9], -v[32:33], v[44:45], v[8:9]
	;; [unrolled: 1-line block ×4, first 2 shown]
	s_waitcnt lgkmcnt(0)
	v_fma_f64 v[8:9], -v[10:11], v[40:41], v[8:9]
	v_mul_f64 v[8:9], v[38:39], v[8:9]
	flat_store_dwordx2 v[12:13], v[8:9] offset:48
	ds_read_b64 v[52:53], v42 offset:952
	ds_read2_b64 v[38:41], v42 offset0:117 offset1:118
	ds_read2_b64 v[44:47], v42 offset0:115 offset1:116
	;; [unrolled: 1-line block ×3, first 2 shown]
	s_waitcnt lgkmcnt(0)
	v_mul_f64 v[52:53], v[14:15], v[52:53]
	v_fma_f64 v[2:3], s[4:5], v[2:3], -v[52:53]
	v_fma_f64 v[2:3], -v[16:17], v[40:41], v[2:3]
	v_fma_f64 v[2:3], -v[18:19], v[38:39], v[2:3]
	ds_read2_b64 v[38:41], v42 offset0:111 offset1:112
	v_fma_f64 v[2:3], -v[20:21], v[46:47], v[2:3]
	v_fma_f64 v[2:3], -v[22:23], v[44:45], v[2:3]
	ds_read2_b64 v[44:47], v42 offset0:109 offset1:110
	;; [unrolled: 3-line block ×3, first 2 shown]
	s_waitcnt lgkmcnt(0)
	v_fma_f64 v[2:3], -v[28:29], v[40:41], v[2:3]
	v_fma_f64 v[2:3], -v[30:31], v[38:39], v[2:3]
	ds_read2_b64 v[38:41], v42 offset0:105 offset1:106
	v_fma_f64 v[2:3], -v[32:33], v[46:47], v[2:3]
	v_fma_f64 v[2:3], -v[34:35], v[44:45], v[2:3]
	;; [unrolled: 1-line block ×4, first 2 shown]
	s_waitcnt lgkmcnt(0)
	v_fma_f64 v[2:3], -v[8:9], v[40:41], v[2:3]
	v_mul_f64 v[38:39], v[38:39], v[2:3]
	flat_store_dwordx2 v[12:13], v[38:39] offset:40
	ds_read_b128 v[44:47], v42 offset:784
	ds_read_b128 v[48:51], v42 offset:768
	s_waitcnt lgkmcnt(0)
	v_mul_f64 v[2:3], v[14:15], v[46:47]
	v_fma_f64 v[40:41], s[4:5], v[0:1], -v[2:3]
	ds_read_b128 v[0:3], v42 offset:752
	v_fma_f64 v[40:41], -v[16:17], v[44:45], v[40:41]
	ds_read_b128 v[44:47], v42 offset:736
	v_fma_f64 v[40:41], -v[18:19], v[50:51], v[40:41]
	v_fma_f64 v[40:41], -v[20:21], v[48:49], v[40:41]
	ds_read_b128 v[48:51], v42 offset:720
	s_waitcnt lgkmcnt(0)
	v_fma_f64 v[2:3], -v[22:23], v[2:3], v[40:41]
	v_fma_f64 v[40:41], -v[24:25], v[0:1], v[2:3]
	ds_read_b128 v[0:3], v42 offset:704
	v_fma_f64 v[40:41], -v[26:27], v[46:47], v[40:41]
	v_fma_f64 v[40:41], -v[28:29], v[44:45], v[40:41]
	;; [unrolled: 1-line block ×4, first 2 shown]
	s_waitcnt lgkmcnt(0)
	v_fma_f64 v[2:3], -v[34:35], v[2:3], v[40:41]
	v_fma_f64 v[40:41], -v[36:37], v[0:1], v[2:3]
	flat_load_dwordx4 v[0:3], v[12:13]
	ds_read_b128 v[44:47], v42 offset:688
	ds_read_b128 v[48:51], v42 offset:672
	s_waitcnt lgkmcnt(0)
	v_fma_f64 v[40:41], -v[10:11], v[46:47], v[40:41]
	v_fma_f64 v[40:41], -v[8:9], v[44:45], v[40:41]
	;; [unrolled: 1-line block ×3, first 2 shown]
	v_mul_f64 v[40:41], v[48:49], v[40:41]
	flat_store_dwordx2 v[12:13], v[40:41] offset:32
	ds_read_b64 v[52:53], v42 offset:632
	ds_read2_b64 v[44:47], v42 offset0:77 offset1:78
	ds_read2_b64 v[48:51], v42 offset0:75 offset1:76
	s_waitcnt lgkmcnt(0)
	v_mul_f64 v[52:53], v[14:15], v[52:53]
	s_waitcnt vmcnt(0)
	v_fma_f64 v[6:7], s[4:5], v[6:7], -v[52:53]
	v_fma_f64 v[6:7], -v[16:17], v[46:47], v[6:7]
	v_fma_f64 v[6:7], -v[18:19], v[44:45], v[6:7]
	ds_read2_b64 v[44:47], v42 offset0:73 offset1:74
	v_fma_f64 v[6:7], -v[20:21], v[50:51], v[6:7]
	v_fma_f64 v[6:7], -v[22:23], v[48:49], v[6:7]
	ds_read2_b64 v[48:51], v42 offset0:71 offset1:72
	s_waitcnt lgkmcnt(1)
	v_fma_f64 v[6:7], -v[24:25], v[46:47], v[6:7]
	v_fma_f64 v[6:7], -v[26:27], v[44:45], v[6:7]
	ds_read2_b64 v[44:47], v42 offset0:69 offset1:70
	s_waitcnt lgkmcnt(1)
	;; [unrolled: 4-line block ×5, first 2 shown]
	v_fma_f64 v[6:7], -v[8:9], v[46:47], v[6:7]
	v_fma_f64 v[6:7], -v[38:39], v[44:45], v[6:7]
	s_waitcnt lgkmcnt(0)
	v_fma_f64 v[6:7], -v[40:41], v[50:51], v[6:7]
	v_mul_f64 v[6:7], v[48:49], v[6:7]
	flat_store_dwordx2 v[12:13], v[6:7] offset:24
	ds_read_b128 v[44:47], v42 offset:464
	ds_read_b128 v[50:53], v42 offset:432
	s_waitcnt lgkmcnt(0)
	v_mul_f64 v[46:47], v[14:15], v[46:47]
	v_fma_f64 v[4:5], s[4:5], v[4:5], -v[46:47]
	ds_read_b128 v[46:49], v42 offset:448
	v_fma_f64 v[4:5], -v[16:17], v[44:45], v[4:5]
	s_waitcnt lgkmcnt(0)
	v_fma_f64 v[4:5], -v[18:19], v[48:49], v[4:5]
	v_fma_f64 v[4:5], -v[20:21], v[46:47], v[4:5]
	ds_read_b128 v[44:47], v42 offset:416
	v_fma_f64 v[4:5], -v[22:23], v[52:53], v[4:5]
	v_fma_f64 v[4:5], -v[24:25], v[50:51], v[4:5]
	ds_read_b128 v[48:51], v42 offset:400
	s_waitcnt lgkmcnt(0)
	v_fma_f64 v[4:5], -v[26:27], v[46:47], v[4:5]
	v_fma_f64 v[4:5], -v[28:29], v[44:45], v[4:5]
	ds_read_b128 v[44:47], v42 offset:384
	v_fma_f64 v[4:5], -v[30:31], v[50:51], v[4:5]
	v_fma_f64 v[4:5], -v[32:33], v[48:49], v[4:5]
	ds_read_b128 v[48:51], v42 offset:368
	;; [unrolled: 7-line block ×3, first 2 shown]
	s_waitcnt lgkmcnt(0)
	v_fma_f64 v[4:5], -v[38:39], v[46:47], v[4:5]
	v_fma_f64 v[4:5], -v[40:41], v[44:45], v[4:5]
	;; [unrolled: 1-line block ×3, first 2 shown]
	v_mul_f64 v[52:53], v[48:49], v[4:5]
	flat_store_dwordx2 v[12:13], v[52:53] offset:16
	ds_read_b64 v[4:5], v42 offset:312
	ds_read2_b64 v[44:47], v42 offset0:37 offset1:38
	ds_read2_b64 v[48:51], v42 offset0:35 offset1:36
	s_waitcnt lgkmcnt(0)
	v_mul_f64 v[4:5], v[14:15], v[4:5]
	v_fma_f64 v[2:3], s[4:5], v[2:3], -v[4:5]
	v_fma_f64 v[2:3], -v[16:17], v[46:47], v[2:3]
	v_fma_f64 v[44:45], -v[18:19], v[44:45], v[2:3]
	ds_read2_b64 v[2:5], v42 offset0:33 offset1:34
	v_fma_f64 v[44:45], -v[20:21], v[50:51], v[44:45]
	v_fma_f64 v[48:49], -v[22:23], v[48:49], v[44:45]
	ds_read2_b64 v[44:47], v42 offset0:31 offset1:32
	s_waitcnt lgkmcnt(0)
	v_fma_f64 v[4:5], -v[24:25], v[4:5], v[48:49]
	v_fma_f64 v[48:49], -v[26:27], v[2:3], v[4:5]
	ds_read2_b64 v[2:5], v42 offset0:29 offset1:30
	v_fma_f64 v[46:47], -v[28:29], v[46:47], v[48:49]
	v_fma_f64 v[48:49], -v[30:31], v[44:45], v[46:47]
	ds_read2_b64 v[44:47], v42 offset0:27 offset1:28
	s_waitcnt lgkmcnt(0)
	;; [unrolled: 7-line block ×3, first 2 shown]
	v_fma_f64 v[4:5], -v[8:9], v[4:5], v[48:49]
	v_fma_f64 v[48:49], -v[38:39], v[2:3], v[4:5]
	ds_read2_b64 v[2:5], v42 offset0:21 offset1:22
	v_fma_f64 v[46:47], -v[40:41], v[46:47], v[48:49]
	v_fma_f64 v[44:45], -v[6:7], v[44:45], v[46:47]
	s_waitcnt lgkmcnt(0)
	v_fma_f64 v[4:5], -v[52:53], v[4:5], v[44:45]
	v_mul_f64 v[54:55], v[2:3], v[4:5]
	flat_store_dwordx2 v[12:13], v[54:55] offset:8
	ds_read_b128 v[2:5], v42 offset:144
	ds_read_b128 v[44:47], v42 offset:128
	ds_read_b128 v[48:51], v42 offset:112
	s_waitcnt lgkmcnt(0)
	v_mul_f64 v[4:5], v[14:15], v[4:5]
	v_fma_f64 v[0:1], s[4:5], v[0:1], -v[4:5]
	v_fma_f64 v[4:5], -v[16:17], v[2:3], v[0:1]
	ds_read_b128 v[0:3], v42 offset:96
	v_fma_f64 v[4:5], -v[18:19], v[46:47], v[4:5]
	ds_read_b128 v[14:17], v42 offset:80
	v_fma_f64 v[4:5], -v[20:21], v[44:45], v[4:5]
	v_fma_f64 v[4:5], -v[22:23], v[50:51], v[4:5]
	ds_read_b128 v[18:21], v42 offset:64
	v_fma_f64 v[4:5], -v[24:25], v[48:49], v[4:5]
	s_waitcnt lgkmcnt(0)
	v_fma_f64 v[26:27], -v[26:27], v[2:3], v[4:5]
	ds_read_b128 v[2:5], v42 offset:32
	v_fma_f64 v[0:1], -v[28:29], v[0:1], v[26:27]
	ds_read_b128 v[26:29], v42 offset:48
	v_fma_f64 v[0:1], -v[30:31], v[16:17], v[0:1]
	v_fma_f64 v[0:1], -v[32:33], v[14:15], v[0:1]
	;; [unrolled: 1-line block ×3, first 2 shown]
	ds_read_b128 v[44:47], v42
	ds_read_b128 v[22:25], v42 offset:16
	v_fma_f64 v[0:1], -v[36:37], v[18:19], v[0:1]
	s_waitcnt lgkmcnt(0)
	v_fma_f64 v[0:1], -v[10:11], v[28:29], v[0:1]
	v_fma_f64 v[0:1], -v[8:9], v[26:27], v[0:1]
	;; [unrolled: 1-line block ×7, first 2 shown]
	v_mul_f64 v[0:1], v[44:45], v[0:1]
	flat_store_dwordx2 v[12:13], v[0:1]
.LBB90_10:
	s_cmp_gt_i32 s0, -1
	s_cbranch_scc0 .LBB90_33
; %bb.11:
	s_cmp_lt_u32 s0, 15
	s_cbranch_scc1 .LBB90_16
; %bb.12:
	s_mov_b32 s3, 0
	s_mov_b32 s1, s3
	v_lshl_add_u64 v[8:9], s[0:1], 3, v[12:13]
	v_add_co_u32_e32 v4, vcc, -8, v8
	s_cmp_le_i32 s8, s0
	s_nop 0
	v_addc_co_u32_e32 v5, vcc, -1, v9, vcc
	v_add_co_u32_e32 v6, vcc, 0xffffffe8, v8
	s_nop 1
	v_addc_co_u32_e32 v7, vcc, -1, v9, vcc
	flat_load_dwordx4 v[0:3], v[4:5]
	flat_load_dwordx4 v[14:17], v[6:7]
	v_add_co_u32_e32 v4, vcc, 0xffffffd8, v8
	s_waitcnt vmcnt(0) lgkmcnt(0)
	v_mul_f64 v[34:35], s[4:5], v[0:1]
	v_addc_co_u32_e32 v5, vcc, -1, v9, vcc
	v_add_co_u32_e32 v6, vcc, 0xffffffc8, v8
	v_mul_f64 v[10:11], s[4:5], v[16:17]
	s_nop 0
	v_addc_co_u32_e32 v7, vcc, -1, v9, vcc
	flat_load_dwordx4 v[20:23], v[4:5]
	flat_load_dwordx4 v[26:29], v[6:7]
	v_add_co_u32_e32 v4, vcc, 0xffffffb8, v8
	v_mul_f64 v[14:15], s[4:5], v[14:15]
	s_nop 0
	v_addc_co_u32_e32 v5, vcc, -1, v9, vcc
	v_add_co_u32_e32 v6, vcc, 0xffffffa8, v8
	s_waitcnt vmcnt(0) lgkmcnt(0)
	v_mul_f64 v[18:19], s[4:5], v[22:23]
	v_addc_co_u32_e32 v7, vcc, -1, v9, vcc
	flat_load_dwordx4 v[30:33], v[4:5]
	flat_load_dwordx4 v[36:39], v[6:7]
	v_add_co_u32_e32 v4, vcc, 0xffffff98, v8
	v_mul_f64 v[6:7], s[4:5], v[2:3]
	s_nop 0
	v_addc_co_u32_e32 v5, vcc, -1, v9, vcc
	flat_load_dwordx4 v[40:43], v[4:5]
	v_add_co_u32_e32 v4, vcc, 0xffffff88, v8
	v_mul_f64 v[20:21], s[4:5], v[20:21]
	s_nop 0
	v_addc_co_u32_e32 v5, vcc, -1, v9, vcc
	flat_load_dwordx4 v[44:47], v[4:5]
	v_mul_f64 v[24:25], s[4:5], v[28:29]
	v_mul_f64 v[28:29], s[4:5], v[26:27]
	s_waitcnt vmcnt(0) lgkmcnt(0)
	v_mul_f64 v[32:33], s[4:5], v[32:33]
	v_mul_f64 v[30:31], s[4:5], v[30:31]
	;; [unrolled: 1-line block ×8, first 2 shown]
	s_cbranch_scc1 .LBB90_15
; %bb.13:
	s_mul_i32 s1, s0, 0xa0
	s_lshl_b32 s2, s22, 3
	s_add_i32 s1, s1, s2
	s_addk_i32 s1, 0xf698
	s_mov_b32 s2, s8
.LBB90_14:                              ; =>This Inner Loop Header: Depth=1
	v_lshl_add_u64 v[36:37], s[2:3], 3, v[12:13]
	flat_load_dwordx2 v[52:53], v[36:37]
	v_mov_b32_e32 v54, s1
	v_add_u32_e32 v44, 0x800, v54
	ds_read2_b64 v[36:39], v54 offset0:200 offset1:220
	ds_read2_b64 v[40:43], v54 offset0:160 offset1:180
	;; [unrolled: 1-line block ×3, first 2 shown]
	v_add_u32_e32 v48, 0x400, v54
	s_add_i32 s2, s2, -1
	s_add_i32 s1, s1, -8
	s_cmp_gt_i32 s2, s0
	s_waitcnt vmcnt(0) lgkmcnt(0)
	v_fma_f64 v[6:7], -v[52:53], v[46:47], v[6:7]
	v_fma_f64 v[34:35], -v[52:53], v[44:45], v[34:35]
	ds_read2_b64 v[44:47], v54 offset0:120 offset1:140
	ds_read2_b64 v[48:51], v48 offset0:112 offset1:132
	v_fma_f64 v[18:19], -v[52:53], v[38:39], v[18:19]
	v_fma_f64 v[20:21], -v[52:53], v[36:37], v[20:21]
	ds_read2_b64 v[36:39], v54 offset0:40 offset1:60
	v_fma_f64 v[24:25], -v[52:53], v[42:43], v[24:25]
	s_waitcnt lgkmcnt(1)
	v_fma_f64 v[10:11], -v[52:53], v[50:51], v[10:11]
	v_fma_f64 v[14:15], -v[52:53], v[48:49], v[14:15]
	ds_read2_b64 v[48:51], v54 offset0:80 offset1:100
	v_fma_f64 v[28:29], -v[52:53], v[40:41], v[28:29]
	ds_read2_b64 v[40:43], v54 offset1:20
	v_fma_f64 v[32:33], -v[52:53], v[46:47], v[32:33]
	v_fma_f64 v[30:31], -v[52:53], v[44:45], v[30:31]
	s_waitcnt lgkmcnt(1)
	v_fma_f64 v[26:27], -v[52:53], v[50:51], v[26:27]
	v_fma_f64 v[22:23], -v[52:53], v[48:49], v[22:23]
	;; [unrolled: 1-line block ×4, first 2 shown]
	s_waitcnt lgkmcnt(0)
	v_fma_f64 v[2:3], -v[52:53], v[42:43], v[2:3]
	v_fma_f64 v[0:1], -v[52:53], v[40:41], v[0:1]
	s_cbranch_scc1 .LBB90_14
.LBB90_15:
	s_mul_i32 s1, s0, 0xa8
	v_mov_b32_e32 v36, s1
	ds_read_b64 v[36:37], v36
	s_add_i32 s2, s0, -1
	s_mul_i32 s1, s2, 0xa0
	s_lshl_b32 s3, s2, 3
	s_add_i32 s3, s1, s3
	s_waitcnt lgkmcnt(0)
	v_mul_f64 v[6:7], v[36:37], v[6:7]
	flat_store_dwordx2 v[8:9], v[6:7]
	v_mov_b32_e32 v8, s3
	ds_read2_b64 v[36:39], v8 offset1:1
	s_mov_b32 s3, 0
	s_add_i32 s7, s1, 0xffffff60
	s_lshl_b32 s6, s0, 3
	v_lshl_add_u64 v[40:41], s[2:3], 3, v[12:13]
	s_add_i32 s2, s0, -2
	s_add_i32 s9, s7, s6
	s_waitcnt lgkmcnt(0)
	v_fma_f64 v[8:9], -v[6:7], v[38:39], v[34:35]
	v_mov_b32_e32 v34, s9
	s_lshl_b32 s9, s2, 3
	v_mul_f64 v[8:9], v[36:37], v[8:9]
	s_add_i32 s7, s7, s9
	flat_store_dwordx2 v[40:41], v[8:9]
	v_mov_b32_e32 v35, s7
	ds_read_b64 v[38:39], v34
	ds_read2_b64 v[34:37], v35 offset1:1
	s_add_i32 s7, s1, 0xfffffec0
	s_add_i32 s9, s7, s6
	s_add_i32 s9, s9, -8
	s_waitcnt lgkmcnt(0)
	v_fma_f64 v[10:11], -v[6:7], v[38:39], v[10:11]
	v_fma_f64 v[10:11], -v[8:9], v[36:37], v[10:11]
	v_mul_f64 v[10:11], v[34:35], v[10:11]
	v_lshl_add_u64 v[34:35], s[2:3], 3, v[12:13]
	s_add_i32 s2, s0, -3
	flat_store_dwordx2 v[34:35], v[10:11]
	v_mov_b32_e32 v34, s9
	s_lshl_b32 s9, s2, 3
	ds_read2_b64 v[34:37], v34 offset1:1
	s_add_i32 s7, s7, s9
	v_mov_b32_e32 v38, s7
	ds_read2_b64 v[38:41], v38 offset1:1
	s_add_i32 s7, s1, 0xfffffe20
	s_waitcnt lgkmcnt(0)
	v_fma_f64 v[14:15], -v[6:7], v[36:37], v[14:15]
	v_fma_f64 v[14:15], -v[8:9], v[34:35], v[14:15]
	v_lshl_add_u64 v[34:35], s[2:3], 3, v[12:13]
	v_fma_f64 v[14:15], -v[10:11], v[40:41], v[14:15]
	v_mul_f64 v[14:15], v[38:39], v[14:15]
	s_add_i32 s9, s7, s6
	flat_store_dwordx2 v[34:35], v[14:15]
	s_add_i32 s2, s0, -4
	v_mov_b32_e32 v34, s9
	s_add_i32 s9, s9, -16
	v_mov_b32_e32 v35, s9
	s_lshl_b32 s9, s2, 3
	ds_read_b64 v[42:43], v34
	ds_read2_b64 v[34:37], v35 offset1:1
	s_add_i32 s7, s7, s9
	v_mov_b32_e32 v38, s7
	ds_read2_b64 v[38:41], v38 offset1:1
	s_waitcnt lgkmcnt(0)
	v_fma_f64 v[18:19], -v[6:7], v[42:43], v[18:19]
	v_fma_f64 v[18:19], -v[8:9], v[36:37], v[18:19]
	v_fma_f64 v[18:19], -v[10:11], v[34:35], v[18:19]
	s_add_i32 s7, s1, 0xfffffd80
	v_fma_f64 v[18:19], -v[14:15], v[40:41], v[18:19]
	s_add_i32 s9, s7, s6
	v_mul_f64 v[18:19], v[38:39], v[18:19]
	v_lshl_add_u64 v[34:35], s[2:3], 3, v[12:13]
	s_add_i32 s11, s9, -8
	s_sub_i32 s9, s9, 24
	flat_store_dwordx2 v[34:35], v[18:19]
	s_add_i32 s2, s0, -5
	v_mov_b32_e32 v34, s11
	v_mov_b32_e32 v38, s9
	ds_read2_b64 v[34:37], v34 offset1:1
	ds_read2_b64 v[38:41], v38 offset1:1
	s_lshl_b32 s9, s2, 3
	s_add_i32 s7, s7, s9
	v_mov_b32_e32 v42, s7
	ds_read2_b64 v[42:45], v42 offset1:1
	s_waitcnt lgkmcnt(0)
	v_fma_f64 v[20:21], -v[6:7], v[36:37], v[20:21]
	v_fma_f64 v[20:21], -v[8:9], v[34:35], v[20:21]
	;; [unrolled: 1-line block ×5, first 2 shown]
	s_add_i32 s7, s1, 0xfffffce0
	v_mul_f64 v[20:21], v[42:43], v[20:21]
	v_lshl_add_u64 v[34:35], s[2:3], 3, v[12:13]
	s_add_i32 s9, s7, s6
	flat_store_dwordx2 v[34:35], v[20:21]
	v_mov_b32_e32 v34, s9
	ds_read_b64 v[38:39], v34
	s_add_i32 s11, s9, -16
	v_mov_b32_e32 v34, s11
	s_add_i32 s2, s0, -6
	ds_read2_b64 v[34:37], v34 offset1:1
	s_sub_i32 s9, s9, 32
	s_waitcnt lgkmcnt(0)
	v_fma_f64 v[24:25], -v[6:7], v[38:39], v[24:25]
	v_mov_b32_e32 v38, s9
	s_lshl_b32 s9, s2, 3
	ds_read2_b64 v[38:41], v38 offset1:1
	s_add_i32 s7, s7, s9
	v_mov_b32_e32 v42, s7
	ds_read2_b64 v[42:45], v42 offset1:1
	v_fma_f64 v[24:25], -v[8:9], v[36:37], v[24:25]
	v_fma_f64 v[24:25], -v[10:11], v[34:35], v[24:25]
	s_waitcnt lgkmcnt(0)
	v_fma_f64 v[24:25], -v[14:15], v[40:41], v[24:25]
	v_fma_f64 v[24:25], -v[18:19], v[38:39], v[24:25]
	s_add_i32 s7, s1, 0xfffffc40
	v_fma_f64 v[24:25], -v[20:21], v[44:45], v[24:25]
	s_add_i32 s9, s7, s6
	v_mul_f64 v[24:25], v[42:43], v[24:25]
	v_lshl_add_u64 v[34:35], s[2:3], 3, v[12:13]
	s_add_i32 s2, s9, -8
	flat_store_dwordx2 v[34:35], v[24:25]
	v_mov_b32_e32 v34, s2
	ds_read2_b64 v[34:37], v34 offset1:1
	s_sub_i32 s11, s9, 24
	v_mov_b32_e32 v38, s11
	s_add_i32 s2, s0, -7
	ds_read2_b64 v[38:41], v38 offset1:1
	s_waitcnt lgkmcnt(0)
	v_fma_f64 v[28:29], -v[6:7], v[36:37], v[28:29]
	s_sub_i32 s9, s9, 40
	v_fma_f64 v[28:29], -v[8:9], v[34:35], v[28:29]
	v_mov_b32_e32 v34, s9
	s_lshl_b32 s9, s2, 3
	ds_read2_b64 v[34:37], v34 offset1:1
	s_add_i32 s7, s7, s9
	v_mov_b32_e32 v42, s7
	ds_read2_b64 v[42:45], v42 offset1:1
	v_fma_f64 v[28:29], -v[10:11], v[40:41], v[28:29]
	v_fma_f64 v[28:29], -v[14:15], v[38:39], v[28:29]
	s_waitcnt lgkmcnt(0)
	v_fma_f64 v[28:29], -v[18:19], v[36:37], v[28:29]
	v_fma_f64 v[28:29], -v[20:21], v[34:35], v[28:29]
	s_add_i32 s7, s1, 0xfffffba0
	v_fma_f64 v[28:29], -v[24:25], v[44:45], v[28:29]
	s_add_i32 s9, s7, s6
	v_mul_f64 v[28:29], v[42:43], v[28:29]
	v_lshl_add_u64 v[34:35], s[2:3], 3, v[12:13]
	s_add_i32 s2, s9, -16
	flat_store_dwordx2 v[34:35], v[28:29]
	v_mov_b32_e32 v34, s9
	v_mov_b32_e32 v35, s2
	ds_read_b64 v[38:39], v34
	ds_read2_b64 v[34:37], v35 offset1:1
	s_sub_i32 s11, s9, 32
	s_sub_i32 s9, s9, 48
	s_add_i32 s2, s0, -8
	s_waitcnt lgkmcnt(0)
	v_fma_f64 v[32:33], -v[6:7], v[38:39], v[32:33]
	v_fma_f64 v[32:33], -v[8:9], v[36:37], v[32:33]
	;; [unrolled: 1-line block ×3, first 2 shown]
	v_mov_b32_e32 v32, s11
	v_mov_b32_e32 v36, s9
	ds_read2_b64 v[32:35], v32 offset1:1
	ds_read2_b64 v[36:39], v36 offset1:1
	s_lshl_b32 s9, s2, 3
	s_add_i32 s7, s7, s9
	v_mov_b32_e32 v40, s7
	ds_read2_b64 v[40:43], v40 offset1:1
	s_waitcnt lgkmcnt(0)
	v_fma_f64 v[34:35], -v[14:15], v[34:35], v[44:45]
	v_fma_f64 v[32:33], -v[18:19], v[32:33], v[34:35]
	;; [unrolled: 1-line block ×4, first 2 shown]
	s_add_i32 s7, s1, 0xfffffb00
	v_fma_f64 v[32:33], -v[28:29], v[42:43], v[32:33]
	s_add_i32 s9, s7, s6
	v_mul_f64 v[32:33], v[40:41], v[32:33]
	v_lshl_add_u64 v[34:35], s[2:3], 3, v[12:13]
	s_add_i32 s2, s9, -8
	flat_store_dwordx2 v[34:35], v[32:33]
	v_mov_b32_e32 v34, s2
	ds_read2_b64 v[34:37], v34 offset1:1
	s_sub_i32 s2, s9, 24
	v_mov_b32_e32 v38, s2
	ds_read2_b64 v[38:41], v38 offset1:1
	s_sub_i32 s11, s9, 40
	s_waitcnt lgkmcnt(0)
	v_fma_f64 v[30:31], -v[6:7], v[36:37], v[30:31]
	v_fma_f64 v[30:31], -v[8:9], v[34:35], v[30:31]
	s_sub_i32 s9, s9, 56
	v_fma_f64 v[30:31], -v[10:11], v[40:41], v[30:31]
	s_add_i32 s2, s0, -9
	v_fma_f64 v[30:31], -v[14:15], v[38:39], v[30:31]
	v_mov_b32_e32 v34, s11
	v_mov_b32_e32 v38, s9
	ds_read2_b64 v[34:37], v34 offset1:1
	ds_read2_b64 v[38:41], v38 offset1:1
	s_lshl_b32 s9, s2, 3
	s_add_i32 s7, s7, s9
	v_mov_b32_e32 v42, s7
	ds_read2_b64 v[42:45], v42 offset1:1
	s_waitcnt lgkmcnt(0)
	v_fma_f64 v[30:31], -v[18:19], v[36:37], v[30:31]
	v_fma_f64 v[30:31], -v[20:21], v[34:35], v[30:31]
	;; [unrolled: 1-line block ×5, first 2 shown]
	s_add_i32 s7, s1, 0xfffffa60
	v_mul_f64 v[30:31], v[42:43], v[30:31]
	v_lshl_add_u64 v[34:35], s[2:3], 3, v[12:13]
	s_add_i32 s9, s7, s6
	flat_store_dwordx2 v[34:35], v[30:31]
	v_mov_b32_e32 v34, s9
	s_add_i32 s2, s9, -16
	ds_read_b64 v[42:43], v34
	v_mov_b32_e32 v34, s2
	ds_read2_b64 v[34:37], v34 offset1:1
	s_sub_i32 s2, s9, 32
	v_mov_b32_e32 v38, s2
	ds_read2_b64 v[38:41], v38 offset1:1
	s_waitcnt lgkmcnt(0)
	v_fma_f64 v[26:27], -v[6:7], v[42:43], v[26:27]
	v_fma_f64 v[26:27], -v[8:9], v[36:37], v[26:27]
	;; [unrolled: 1-line block ×3, first 2 shown]
	s_sub_i32 s11, s9, 48
	v_fma_f64 v[26:27], -v[14:15], v[40:41], v[26:27]
	s_sub_i32 s9, s9, 64
	s_add_i32 s2, s0, -10
	v_fma_f64 v[26:27], -v[18:19], v[38:39], v[26:27]
	v_mov_b32_e32 v34, s11
	v_mov_b32_e32 v38, s9
	ds_read2_b64 v[34:37], v34 offset1:1
	ds_read2_b64 v[38:41], v38 offset1:1
	s_lshl_b32 s9, s2, 3
	s_add_i32 s7, s7, s9
	v_mov_b32_e32 v42, s7
	ds_read2_b64 v[42:45], v42 offset1:1
	s_waitcnt lgkmcnt(0)
	v_fma_f64 v[26:27], -v[20:21], v[36:37], v[26:27]
	v_fma_f64 v[26:27], -v[24:25], v[34:35], v[26:27]
	;; [unrolled: 1-line block ×4, first 2 shown]
	s_add_i32 s7, s1, 0xfffff9c0
	v_fma_f64 v[26:27], -v[30:31], v[44:45], v[26:27]
	s_add_i32 s9, s7, s6
	v_mul_f64 v[26:27], v[42:43], v[26:27]
	v_lshl_add_u64 v[34:35], s[2:3], 3, v[12:13]
	s_add_i32 s2, s9, -8
	flat_store_dwordx2 v[34:35], v[26:27]
	v_mov_b32_e32 v34, s2
	ds_read2_b64 v[34:37], v34 offset1:1
	s_sub_i32 s2, s9, 24
	v_mov_b32_e32 v38, s2
	ds_read2_b64 v[38:41], v38 offset1:1
	s_sub_i32 s11, s9, 40
	s_waitcnt lgkmcnt(0)
	v_fma_f64 v[22:23], -v[6:7], v[36:37], v[22:23]
	v_fma_f64 v[22:23], -v[8:9], v[34:35], v[22:23]
	v_mov_b32_e32 v34, s11
	ds_read2_b64 v[34:37], v34 offset1:1
	v_fma_f64 v[22:23], -v[10:11], v[40:41], v[22:23]
	s_sub_i32 s11, s9, 56
	v_fma_f64 v[22:23], -v[14:15], v[38:39], v[22:23]
	v_mov_b32_e32 v38, s11
	s_add_i32 s2, s0, -11
	ds_read2_b64 v[38:41], v38 offset1:1
	s_waitcnt lgkmcnt(0)
	v_fma_f64 v[22:23], -v[18:19], v[36:37], v[22:23]
	s_addk_i32 s9, 0xffb8
	v_fma_f64 v[22:23], -v[20:21], v[34:35], v[22:23]
	v_mov_b32_e32 v34, s9
	s_lshl_b32 s9, s2, 3
	ds_read2_b64 v[34:37], v34 offset1:1
	s_add_i32 s7, s7, s9
	v_mov_b32_e32 v42, s7
	ds_read2_b64 v[42:45], v42 offset1:1
	v_fma_f64 v[22:23], -v[24:25], v[40:41], v[22:23]
	v_fma_f64 v[22:23], -v[28:29], v[38:39], v[22:23]
	s_waitcnt lgkmcnt(0)
	v_fma_f64 v[22:23], -v[32:33], v[36:37], v[22:23]
	v_fma_f64 v[22:23], -v[30:31], v[34:35], v[22:23]
	;; [unrolled: 1-line block ×3, first 2 shown]
	s_add_i32 s7, s1, 0xfffff920
	v_mul_f64 v[22:23], v[42:43], v[22:23]
	v_lshl_add_u64 v[34:35], s[2:3], 3, v[12:13]
	s_add_i32 s9, s7, s6
	flat_store_dwordx2 v[34:35], v[22:23]
	v_mov_b32_e32 v34, s9
	s_add_i32 s2, s9, -16
	ds_read_b64 v[42:43], v34
	v_mov_b32_e32 v34, s2
	ds_read2_b64 v[34:37], v34 offset1:1
	s_sub_i32 s2, s9, 32
	v_mov_b32_e32 v38, s2
	s_waitcnt lgkmcnt(0)
	v_fma_f64 v[16:17], -v[6:7], v[42:43], v[16:17]
	ds_read2_b64 v[38:41], v38 offset1:1
	v_fma_f64 v[16:17], -v[8:9], v[36:37], v[16:17]
	s_sub_i32 s11, s9, 48
	v_fma_f64 v[16:17], -v[10:11], v[34:35], v[16:17]
	v_mov_b32_e32 v34, s11
	ds_read2_b64 v[34:37], v34 offset1:1
	s_waitcnt lgkmcnt(0)
	v_fma_f64 v[16:17], -v[14:15], v[40:41], v[16:17]
	s_sub_i32 s11, s9, 64
	v_fma_f64 v[16:17], -v[18:19], v[38:39], v[16:17]
	v_mov_b32_e32 v38, s11
	s_add_i32 s2, s0, -12
	ds_read2_b64 v[38:41], v38 offset1:1
	v_fma_f64 v[16:17], -v[20:21], v[36:37], v[16:17]
	s_addk_i32 s9, 0xffb0
	v_fma_f64 v[16:17], -v[24:25], v[34:35], v[16:17]
	v_mov_b32_e32 v34, s9
	s_lshl_b32 s9, s2, 3
	ds_read2_b64 v[34:37], v34 offset1:1
	s_add_i32 s7, s7, s9
	v_mov_b32_e32 v42, s7
	ds_read2_b64 v[42:45], v42 offset1:1
	s_waitcnt lgkmcnt(0)
	v_fma_f64 v[16:17], -v[28:29], v[40:41], v[16:17]
	v_fma_f64 v[16:17], -v[32:33], v[38:39], v[16:17]
	;; [unrolled: 1-line block ×4, first 2 shown]
	s_add_i32 s7, s1, 0xfffff880
	v_fma_f64 v[16:17], -v[22:23], v[44:45], v[16:17]
	s_add_i32 s9, s7, s6
	v_mul_f64 v[16:17], v[42:43], v[16:17]
	v_lshl_add_u64 v[34:35], s[2:3], 3, v[12:13]
	s_add_i32 s2, s9, -8
	flat_store_dwordx2 v[34:35], v[16:17]
	v_mov_b32_e32 v34, s2
	ds_read2_b64 v[34:37], v34 offset1:1
	s_sub_i32 s11, s9, 24
	v_mov_b32_e32 v38, s11
	ds_read2_b64 v[38:41], v38 offset1:1
	s_sub_i32 s11, s9, 40
	s_waitcnt lgkmcnt(0)
	v_fma_f64 v[4:5], -v[6:7], v[36:37], v[4:5]
	v_fma_f64 v[4:5], -v[8:9], v[34:35], v[4:5]
	v_mov_b32_e32 v34, s11
	ds_read2_b64 v[34:37], v34 offset1:1
	s_sub_i32 s11, s9, 56
	v_mov_b32_e32 v42, s11
	ds_read2_b64 v[42:45], v42 offset1:1
	v_fma_f64 v[4:5], -v[10:11], v[40:41], v[4:5]
	v_fma_f64 v[4:5], -v[14:15], v[38:39], v[4:5]
	s_waitcnt lgkmcnt(0)
	v_fma_f64 v[4:5], -v[18:19], v[36:37], v[4:5]
	s_add_i32 s11, s9, 0xffffffb8
	s_addk_i32 s9, 0xffa8
	s_add_i32 s2, s0, -13
	v_fma_f64 v[4:5], -v[20:21], v[34:35], v[4:5]
	v_mov_b32_e32 v34, s11
	v_mov_b32_e32 v38, s9
	ds_read2_b64 v[34:37], v34 offset1:1
	ds_read2_b64 v[38:41], v38 offset1:1
	s_lshl_b32 s9, s2, 3
	v_fma_f64 v[4:5], -v[24:25], v[44:45], v[4:5]
	s_add_i32 s7, s7, s9
	v_fma_f64 v[4:5], -v[28:29], v[42:43], v[4:5]
	v_mov_b32_e32 v42, s7
	ds_read2_b64 v[42:45], v42 offset1:1
	s_waitcnt lgkmcnt(0)
	v_fma_f64 v[4:5], -v[32:33], v[36:37], v[4:5]
	v_fma_f64 v[4:5], -v[30:31], v[34:35], v[4:5]
	;; [unrolled: 1-line block ×5, first 2 shown]
	s_add_i32 s7, s1, 0xfffff7e0
	v_mul_f64 v[42:43], v[42:43], v[4:5]
	v_lshl_add_u64 v[4:5], s[2:3], 3, v[12:13]
	s_add_i32 s9, s7, s6
	flat_store_dwordx2 v[4:5], v[42:43]
	v_mov_b32_e32 v4, s9
	s_add_i32 s11, s9, -16
	ds_read_b64 v[4:5], v4
	v_mov_b32_e32 v34, s11
	ds_read2_b64 v[34:37], v34 offset1:1
	s_sub_i32 s11, s9, 32
	s_add_i32 s2, s0, -14
	s_waitcnt lgkmcnt(0)
	v_fma_f64 v[38:39], -v[6:7], v[4:5], v[2:3]
	v_mov_b32_e32 v2, s11
	ds_read2_b64 v[2:5], v2 offset1:1
	v_fma_f64 v[36:37], -v[8:9], v[36:37], v[38:39]
	s_sub_i32 s11, s9, 48
	v_fma_f64 v[44:45], -v[10:11], v[34:35], v[36:37]
	v_mov_b32_e32 v34, s11
	ds_read2_b64 v[34:37], v34 offset1:1
	s_sub_i32 s11, s9, 64
	v_mov_b32_e32 v38, s11
	ds_read2_b64 v[38:41], v38 offset1:1
	s_waitcnt lgkmcnt(0)
	v_fma_f64 v[4:5], -v[14:15], v[4:5], v[44:45]
	v_fma_f64 v[2:3], -v[18:19], v[2:3], v[4:5]
	;; [unrolled: 1-line block ×5, first 2 shown]
	s_add_i32 s11, s9, 0xffffffb0
	s_addk_i32 s9, 0xffa0
	v_fma_f64 v[44:45], -v[32:33], v[38:39], v[2:3]
	v_mov_b32_e32 v2, s11
	v_mov_b32_e32 v34, s9
	ds_read2_b64 v[2:5], v2 offset1:1
	ds_read2_b64 v[34:37], v34 offset1:1
	s_lshl_b32 s9, s2, 3
	s_add_i32 s7, s7, s9
	v_mov_b32_e32 v38, s7
	ds_read2_b64 v[38:41], v38 offset1:1
	s_waitcnt lgkmcnt(0)
	v_fma_f64 v[4:5], -v[30:31], v[4:5], v[44:45]
	v_fma_f64 v[2:3], -v[26:27], v[2:3], v[4:5]
	v_fma_f64 v[2:3], -v[22:23], v[36:37], v[2:3]
	v_fma_f64 v[2:3], -v[16:17], v[34:35], v[2:3]
	s_addk_i32 s1, 0xf740
	v_fma_f64 v[2:3], -v[42:43], v[40:41], v[2:3]
	s_add_i32 s6, s1, s6
	v_mul_f64 v[38:39], v[38:39], v[2:3]
	v_lshl_add_u64 v[2:3], s[2:3], 3, v[12:13]
	s_add_i32 s2, s6, -8
	flat_store_dwordx2 v[2:3], v[38:39]
	v_mov_b32_e32 v2, s2
	ds_read2_b64 v[2:5], v2 offset1:1
	s_sub_i32 s7, s6, 24
	v_mov_b32_e32 v34, s7
	ds_read2_b64 v[34:37], v34 offset1:1
	s_sub_i32 s7, s6, 40
	s_waitcnt lgkmcnt(0)
	v_fma_f64 v[0:1], -v[6:7], v[4:5], v[0:1]
	v_fma_f64 v[8:9], -v[8:9], v[2:3], v[0:1]
	v_mov_b32_e32 v0, s7
	ds_read2_b64 v[0:3], v0 offset1:1
	s_sub_i32 s7, s6, 56
	v_mov_b32_e32 v4, s7
	ds_read2_b64 v[4:7], v4 offset1:1
	v_fma_f64 v[8:9], -v[10:11], v[36:37], v[8:9]
	v_fma_f64 v[8:9], -v[14:15], v[34:35], v[8:9]
	s_waitcnt lgkmcnt(0)
	v_fma_f64 v[2:3], -v[18:19], v[2:3], v[8:9]
	v_fma_f64 v[0:1], -v[20:21], v[0:1], v[2:3]
	s_add_i32 s7, s6, 0xffffffb8
	v_fma_f64 v[6:7], -v[24:25], v[6:7], v[0:1]
	v_mov_b32_e32 v0, s7
	ds_read2_b64 v[0:3], v0 offset1:1
	s_add_i32 s7, s6, 0xffffffa8
	v_fma_f64 v[8:9], -v[28:29], v[4:5], v[6:7]
	v_mov_b32_e32 v4, s7
	s_add_i32 s2, s0, -15
	ds_read2_b64 v[4:7], v4 offset1:1
	s_waitcnt lgkmcnt(0)
	v_fma_f64 v[2:3], -v[32:33], v[2:3], v[8:9]
	s_addk_i32 s6, 0xff98
	v_fma_f64 v[14:15], -v[30:31], v[0:1], v[2:3]
	v_mov_b32_e32 v0, s6
	s_lshl_b32 s6, s2, 3
	ds_read2_b64 v[0:3], v0 offset1:1
	s_add_i32 s1, s1, s6
	v_mov_b32_e32 v8, s1
	ds_read2_b64 v[8:11], v8 offset1:1
	v_fma_f64 v[6:7], -v[26:27], v[6:7], v[14:15]
	v_fma_f64 v[4:5], -v[22:23], v[4:5], v[6:7]
	s_waitcnt lgkmcnt(0)
	v_fma_f64 v[2:3], -v[16:17], v[2:3], v[4:5]
	v_fma_f64 v[0:1], -v[42:43], v[0:1], v[2:3]
	;; [unrolled: 1-line block ×3, first 2 shown]
	v_mul_f64 v[0:1], v[8:9], v[0:1]
	v_lshl_add_u64 v[2:3], s[2:3], 3, v[12:13]
	s_add_i32 s0, s0, -16
	flat_store_dwordx2 v[2:3], v[0:1]
.LBB90_16:
	s_cmp_lt_i32 s0, 0
	s_cbranch_scc1 .LBB90_33
; %bb.17:
	s_and_b32 s1, s0, 3
	s_cmp_eq_u32 s1, 3
	s_mov_b32 s2, s0
	s_cbranch_scc1 .LBB90_22
; %bb.18:
	s_mul_i32 s2, s0, 0xa0
	s_lshl_b32 s3, s22, 3
	s_add_i32 s1, s0, 1
	s_add_i32 s2, s2, s3
	s_and_b32 s1, s1, 3
	s_add_i32 s9, s2, -8
	s_mov_b32 s7, 0
	s_mov_b32 s2, s0
	;; [unrolled: 1-line block ×3, first 2 shown]
	s_branch .LBB90_20
.LBB90_19:                              ;   in Loop: Header=BB90_20 Depth=1
	s_mul_i32 s3, s2, 0xa8
	v_mov_b32_e32 v4, s3
	ds_read_b64 v[4:5], v4
	s_add_i32 s2, s2, -1
	s_add_i32 s11, s11, 1
	s_addk_i32 s9, 0xff60
	s_cmp_lg_u32 s11, s1
	s_waitcnt lgkmcnt(0)
	v_mul_f64 v[2:3], v[4:5], v[2:3]
	flat_store_dwordx2 v[0:1], v[2:3]
	s_cbranch_scc0 .LBB90_22
.LBB90_20:                              ; =>This Loop Header: Depth=1
                                        ;     Child Loop BB90_21 Depth 2
	s_mov_b32 s3, s7
	v_lshl_add_u64 v[0:1], s[2:3], 3, v[12:13]
	flat_load_dwordx2 v[2:3], v[0:1]
	s_cmp_le_i32 s8, s2
	s_mov_b32 s3, s9
	s_mov_b32 s6, s8
	s_waitcnt vmcnt(0) lgkmcnt(0)
	v_mul_f64 v[2:3], s[4:5], v[2:3]
	s_cbranch_scc1 .LBB90_19
.LBB90_21:                              ;   Parent Loop BB90_20 Depth=1
                                        ; =>  This Inner Loop Header: Depth=2
	v_lshl_add_u64 v[4:5], s[6:7], 3, v[12:13]
	flat_load_dwordx2 v[4:5], v[4:5]
	v_mov_b32_e32 v6, s3
	ds_read_b64 v[6:7], v6
	s_add_i32 s6, s6, -1
	s_add_i32 s3, s3, -8
	s_cmp_gt_i32 s6, s2
	s_waitcnt vmcnt(0) lgkmcnt(0)
	v_fma_f64 v[2:3], -v[4:5], v[6:7], v[2:3]
	s_cbranch_scc1 .LBB90_21
	s_branch .LBB90_19
.LBB90_22:
	s_cmp_lt_u32 s0, 3
	s_cbranch_scc1 .LBB90_33
; %bb.23:
	s_mul_i32 s0, s2, 0xa0
	s_lshl_b32 s1, s22, 3
	s_add_i32 s0, s0, s1
	s_add_i32 s9, s0, -8
	s_add_i32 s11, s0, 0xffffff58
	s_add_i32 s12, s0, 0xfffffeb8
	;; [unrolled: 1-line block ×3, first 2 shown]
	s_mov_b32 s1, 0
	s_branch .LBB90_25
.LBB90_24:                              ;   in Loop: Header=BB90_25 Depth=1
	s_add_i32 s0, s3, 0xffffff58
	v_mov_b32_e32 v4, s0
	ds_read_b64 v[4:5], v4
	s_add_i32 s0, s2, -4
	s_addk_i32 s9, 0xfd80
	s_addk_i32 s11, 0xfd80
	;; [unrolled: 1-line block ×4, first 2 shown]
	s_waitcnt lgkmcnt(0)
	v_mul_f64 v[2:3], v[4:5], v[2:3]
	s_cmp_lt_i32 s2, 4
	s_mov_b32 s2, s0
	flat_store_dwordx2 v[0:1], v[2:3]
	s_cbranch_scc1 .LBB90_33
.LBB90_25:                              ; =>This Loop Header: Depth=1
                                        ;     Child Loop BB90_26 Depth 2
                                        ;     Child Loop BB90_28 Depth 2
                                        ;     Child Loop BB90_30 Depth 2
                                        ;     Child Loop BB90_32 Depth 2
	s_mov_b32 s3, s1
	v_lshl_add_u64 v[2:3], s[2:3], 3, v[12:13]
	flat_load_dwordx2 v[0:1], v[2:3]
	s_cmp_le_i32 s8, s2
	s_mov_b32 s3, s9
	s_mov_b32 s0, s8
	s_waitcnt vmcnt(0) lgkmcnt(0)
	v_mul_f64 v[4:5], s[4:5], v[0:1]
	s_cbranch_scc1 .LBB90_27
.LBB90_26:                              ;   Parent Loop BB90_25 Depth=1
                                        ; =>  This Inner Loop Header: Depth=2
	v_lshl_add_u64 v[0:1], s[0:1], 3, v[12:13]
	flat_load_dwordx2 v[0:1], v[0:1]
	v_mov_b32_e32 v6, s3
	ds_read_b64 v[6:7], v6
	s_add_i32 s0, s0, -1
	s_add_i32 s3, s3, -8
	s_cmp_gt_i32 s0, s2
	s_waitcnt vmcnt(0) lgkmcnt(0)
	v_fma_f64 v[4:5], -v[0:1], v[6:7], v[4:5]
	s_cbranch_scc1 .LBB90_26
.LBB90_27:                              ;   in Loop: Header=BB90_25 Depth=1
	s_add_i32 s0, s2, -1
	v_lshl_add_u64 v[0:1], s[0:1], 3, v[12:13]
	flat_load_dwordx2 v[6:7], v[0:1]
	s_mul_i32 s3, s2, 0xa8
	v_mov_b32_e32 v8, s3
	ds_read_b64 v[8:9], v8
	s_mov_b32 s6, s11
	s_cmp_le_i32 s22, s2
	s_mov_b32 s0, s22
	s_waitcnt lgkmcnt(0)
	v_mul_f64 v[4:5], v[8:9], v[4:5]
	flat_store_dwordx2 v[2:3], v[4:5]
	s_waitcnt vmcnt(0)
	v_mul_f64 v[4:5], s[4:5], v[6:7]
	s_cbranch_scc1 .LBB90_29
.LBB90_28:                              ;   Parent Loop BB90_25 Depth=1
                                        ; =>  This Inner Loop Header: Depth=2
	s_add_i32 s0, s0, -1
	v_lshl_add_u64 v[2:3], s[0:1], 3, v[12:13]
	flat_load_dwordx2 v[2:3], v[2:3]
	v_mov_b32_e32 v6, s6
	ds_read_b64 v[6:7], v6
	s_add_i32 s6, s6, -8
	s_cmp_gt_i32 s0, s2
	s_waitcnt vmcnt(0) lgkmcnt(0)
	v_fma_f64 v[4:5], -v[2:3], v[6:7], v[4:5]
	s_cbranch_scc1 .LBB90_28
.LBB90_29:                              ;   in Loop: Header=BB90_25 Depth=1
	s_add_i32 s6, s2, -2
	s_mov_b32 s7, s1
	v_lshl_add_u64 v[2:3], s[6:7], 3, v[12:13]
	flat_load_dwordx2 v[6:7], v[2:3]
	s_addk_i32 s3, 0xff58
	v_mov_b32_e32 v8, s3
	ds_read_b64 v[8:9], v8
	s_mov_b32 s7, s12
	s_cmp_le_i32 s8, s6
	s_mov_b32 s0, s8
	s_waitcnt lgkmcnt(0)
	v_mul_f64 v[4:5], v[8:9], v[4:5]
	flat_store_dwordx2 v[0:1], v[4:5]
	s_waitcnt vmcnt(0)
	v_mul_f64 v[4:5], s[4:5], v[6:7]
	s_cbranch_scc1 .LBB90_31
.LBB90_30:                              ;   Parent Loop BB90_25 Depth=1
                                        ; =>  This Inner Loop Header: Depth=2
	v_lshl_add_u64 v[0:1], s[0:1], 3, v[12:13]
	flat_load_dwordx2 v[0:1], v[0:1]
	v_mov_b32_e32 v6, s7
	ds_read_b64 v[6:7], v6
	s_add_i32 s0, s0, -1
	s_add_i32 s7, s7, -8
	s_cmp_gt_i32 s0, s6
	s_waitcnt vmcnt(0) lgkmcnt(0)
	v_fma_f64 v[4:5], -v[0:1], v[6:7], v[4:5]
	s_cbranch_scc1 .LBB90_30
.LBB90_31:                              ;   in Loop: Header=BB90_25 Depth=1
	s_add_i32 s6, s2, -3
	s_mov_b32 s7, s1
	v_lshl_add_u64 v[0:1], s[6:7], 3, v[12:13]
	flat_load_dwordx2 v[6:7], v[0:1]
	s_addk_i32 s3, 0xff58
	v_mov_b32_e32 v8, s3
	ds_read_b64 v[8:9], v8
	s_mov_b32 s7, s13
	s_cmp_le_i32 s8, s6
	s_mov_b32 s0, s8
	s_waitcnt lgkmcnt(0)
	v_mul_f64 v[4:5], v[8:9], v[4:5]
	flat_store_dwordx2 v[2:3], v[4:5]
	s_waitcnt vmcnt(0)
	v_mul_f64 v[2:3], s[4:5], v[6:7]
	s_cbranch_scc1 .LBB90_24
.LBB90_32:                              ;   Parent Loop BB90_25 Depth=1
                                        ; =>  This Inner Loop Header: Depth=2
	v_lshl_add_u64 v[4:5], s[0:1], 3, v[12:13]
	flat_load_dwordx2 v[4:5], v[4:5]
	v_mov_b32_e32 v6, s7
	ds_read_b64 v[6:7], v6
	s_add_i32 s0, s0, -1
	s_add_i32 s7, s7, -8
	s_cmp_gt_i32 s0, s6
	s_waitcnt vmcnt(0) lgkmcnt(0)
	v_fma_f64 v[2:3], -v[4:5], v[6:7], v[2:3]
	s_cbranch_scc1 .LBB90_32
	s_branch .LBB90_24
.LBB90_33:
	s_mov_b64 s[0:1], 0
.LBB90_34:
	s_and_b64 vcc, exec, s[0:1]
	s_cbranch_vccz .LBB90_48
; %bb.35:
	s_cmp_gt_i32 s10, 19
	s_cselect_b64 s[0:1], -1, 0
	s_mov_b32 s2, 0
	s_and_b64 vcc, exec, s[0:1]
	s_cbranch_vccz .LBB90_37
; %bb.36:
	flat_load_dwordx4 v[0:3], v[12:13]
	flat_load_dwordx4 v[18:21], v[12:13] offset:16
	flat_load_dwordx4 v[22:25], v[12:13] offset:32
	;; [unrolled: 1-line block ×3, first 2 shown]
	v_mov_b32_e32 v38, 0
	ds_read_b64 v[4:5], v38
	s_movk_i32 s2, 0x800
	s_waitcnt vmcnt(0) lgkmcnt(0)
	v_mul_f64 v[0:1], s[4:5], v[0:1]
	v_mul_f64 v[14:15], v[4:5], v[0:1]
	flat_store_dwordx2 v[12:13], v[14:15]
	ds_read_b64 v[0:1], v38 offset:8
	ds_read_b64 v[4:5], v38 offset:168
	flat_load_dwordx4 v[30:33], v[12:13] offset:64
	flat_load_dwordx4 v[34:37], v[12:13] offset:80
	;; [unrolled: 1-line block ×3, first 2 shown]
	s_waitcnt lgkmcnt(0)
	v_mul_f64 v[0:1], v[14:15], v[0:1]
	v_fma_f64 v[0:1], s[4:5], v[2:3], -v[0:1]
	v_mul_f64 v[16:17], v[4:5], v[0:1]
	flat_store_dwordx2 v[12:13], v[16:17] offset:8
	ds_read_b64 v[0:1], v38 offset:16
	ds_read_b64 v[2:3], v38 offset:176
	;; [unrolled: 1-line block ×3, first 2 shown]
	flat_load_dwordx4 v[4:7], v[12:13] offset:112
	s_waitcnt lgkmcnt(0)
	v_mul_f64 v[0:1], v[14:15], v[0:1]
	v_fma_f64 v[0:1], s[4:5], v[18:19], -v[0:1]
	v_fma_f64 v[0:1], -v[16:17], v[2:3], v[0:1]
	v_mul_f64 v[18:19], v[40:41], v[0:1]
	flat_store_dwordx2 v[12:13], v[18:19] offset:16
	ds_read_b64 v[40:41], v38 offset:24
	flat_load_dwordx4 v[0:3], v[12:13] offset:128
	ds_read_b64 v[42:43], v38 offset:184
	ds_read_b64 v[44:45], v38 offset:344
	ds_read_b64 v[46:47], v38 offset:504
	s_waitcnt lgkmcnt(0)
	v_mul_f64 v[40:41], v[14:15], v[40:41]
	v_fma_f64 v[20:21], s[4:5], v[20:21], -v[40:41]
	v_fma_f64 v[20:21], -v[16:17], v[42:43], v[20:21]
	v_fma_f64 v[20:21], -v[18:19], v[44:45], v[20:21]
	v_mul_f64 v[20:21], v[46:47], v[20:21]
	flat_store_dwordx2 v[12:13], v[20:21] offset:24
	ds_read_b64 v[40:41], v38 offset:32
	ds_read_b64 v[42:43], v38 offset:192
	;; [unrolled: 1-line block ×5, first 2 shown]
	s_waitcnt lgkmcnt(0)
	v_mul_f64 v[40:41], v[14:15], v[40:41]
	v_fma_f64 v[22:23], s[4:5], v[22:23], -v[40:41]
	v_fma_f64 v[22:23], -v[16:17], v[42:43], v[22:23]
	v_fma_f64 v[22:23], -v[18:19], v[44:45], v[22:23]
	;; [unrolled: 1-line block ×3, first 2 shown]
	v_mul_f64 v[22:23], v[48:49], v[22:23]
	flat_store_dwordx2 v[12:13], v[22:23] offset:32
	ds_read_b64 v[40:41], v38 offset:40
	ds_read_b64 v[42:43], v38 offset:200
	;; [unrolled: 1-line block ×6, first 2 shown]
	s_waitcnt lgkmcnt(0)
	v_mul_f64 v[40:41], v[14:15], v[40:41]
	v_fma_f64 v[24:25], s[4:5], v[24:25], -v[40:41]
	v_fma_f64 v[24:25], -v[16:17], v[42:43], v[24:25]
	v_fma_f64 v[24:25], -v[18:19], v[44:45], v[24:25]
	;; [unrolled: 1-line block ×4, first 2 shown]
	v_mul_f64 v[24:25], v[50:51], v[24:25]
	flat_store_dwordx2 v[12:13], v[24:25] offset:40
	ds_read_b64 v[40:41], v38 offset:48
	ds_read_b64 v[42:43], v38 offset:208
	;; [unrolled: 1-line block ×7, first 2 shown]
	s_waitcnt lgkmcnt(0)
	v_mul_f64 v[40:41], v[14:15], v[40:41]
	v_fma_f64 v[26:27], s[4:5], v[26:27], -v[40:41]
	v_fma_f64 v[26:27], -v[16:17], v[42:43], v[26:27]
	v_fma_f64 v[26:27], -v[18:19], v[44:45], v[26:27]
	;; [unrolled: 1-line block ×5, first 2 shown]
	v_mul_f64 v[26:27], v[52:53], v[26:27]
	flat_store_dwordx2 v[12:13], v[26:27] offset:48
	ds_read_b64 v[40:41], v38 offset:56
	ds_read_b64 v[42:43], v38 offset:216
	ds_read_b64 v[44:45], v38 offset:376
	ds_read_b64 v[46:47], v38 offset:536
	ds_read_b64 v[48:49], v38 offset:696
	ds_read_b64 v[50:51], v38 offset:856
	s_waitcnt lgkmcnt(0)
	v_mul_f64 v[40:41], v[14:15], v[40:41]
	v_fma_f64 v[28:29], s[4:5], v[28:29], -v[40:41]
	v_fma_f64 v[28:29], -v[16:17], v[42:43], v[28:29]
	ds_read_b64 v[40:41], v38 offset:1016
	ds_read_b64 v[52:53], v38 offset:1176
	v_fma_f64 v[28:29], -v[18:19], v[44:45], v[28:29]
	v_fma_f64 v[28:29], -v[20:21], v[46:47], v[28:29]
	;; [unrolled: 1-line block ×4, first 2 shown]
	s_waitcnt lgkmcnt(0)
	v_fma_f64 v[28:29], -v[26:27], v[40:41], v[28:29]
	v_mul_f64 v[28:29], v[52:53], v[28:29]
	flat_store_dwordx2 v[12:13], v[28:29] offset:56
	ds_read_b64 v[40:41], v38 offset:64
	ds_read_b64 v[42:43], v38 offset:224
	;; [unrolled: 1-line block ×7, first 2 shown]
	s_waitcnt lgkmcnt(0)
	v_mul_f64 v[40:41], v[14:15], v[40:41]
	s_waitcnt vmcnt(0)
	v_fma_f64 v[30:31], s[4:5], v[30:31], -v[40:41]
	v_fma_f64 v[30:31], -v[16:17], v[42:43], v[30:31]
	ds_read_b64 v[40:41], v38 offset:1184
	ds_read_b64 v[42:43], v38 offset:1344
	v_fma_f64 v[30:31], -v[18:19], v[44:45], v[30:31]
	v_fma_f64 v[30:31], -v[20:21], v[46:47], v[30:31]
	v_fma_f64 v[30:31], -v[22:23], v[48:49], v[30:31]
	v_fma_f64 v[30:31], -v[24:25], v[50:51], v[30:31]
	v_fma_f64 v[30:31], -v[26:27], v[52:53], v[30:31]
	s_waitcnt lgkmcnt(1)
	v_fma_f64 v[30:31], -v[28:29], v[40:41], v[30:31]
	s_waitcnt lgkmcnt(0)
	v_mul_f64 v[30:31], v[42:43], v[30:31]
	flat_store_dwordx2 v[12:13], v[30:31] offset:64
	ds_read_b64 v[40:41], v38 offset:72
	ds_read_b64 v[42:43], v38 offset:232
	;; [unrolled: 1-line block ×6, first 2 shown]
	s_waitcnt lgkmcnt(0)
	v_mul_f64 v[40:41], v[14:15], v[40:41]
	v_fma_f64 v[32:33], s[4:5], v[32:33], -v[40:41]
	v_fma_f64 v[32:33], -v[16:17], v[42:43], v[32:33]
	ds_read_b64 v[40:41], v38 offset:1032
	ds_read_b64 v[52:53], v38 offset:1192
	v_fma_f64 v[32:33], -v[18:19], v[44:45], v[32:33]
	ds_read_b64 v[42:43], v38 offset:1352
	ds_read_b64 v[44:45], v38 offset:1512
	v_fma_f64 v[32:33], -v[20:21], v[46:47], v[32:33]
	v_fma_f64 v[32:33], -v[22:23], v[48:49], v[32:33]
	;; [unrolled: 1-line block ×3, first 2 shown]
	s_waitcnt lgkmcnt(0)
	v_fma_f64 v[32:33], -v[26:27], v[40:41], v[32:33]
	v_fma_f64 v[32:33], -v[28:29], v[52:53], v[32:33]
	;; [unrolled: 1-line block ×3, first 2 shown]
	v_mul_f64 v[32:33], v[44:45], v[32:33]
	flat_store_dwordx2 v[12:13], v[32:33] offset:72
	ds_read_b64 v[40:41], v38 offset:80
	ds_read_b64 v[42:43], v38 offset:240
	;; [unrolled: 1-line block ×7, first 2 shown]
	s_waitcnt lgkmcnt(0)
	v_mul_f64 v[40:41], v[14:15], v[40:41]
	v_fma_f64 v[34:35], s[4:5], v[34:35], -v[40:41]
	v_fma_f64 v[34:35], -v[16:17], v[42:43], v[34:35]
	ds_read_b64 v[40:41], v38 offset:1200
	ds_read_b64 v[42:43], v38 offset:1360
	v_fma_f64 v[34:35], -v[18:19], v[44:45], v[34:35]
	v_fma_f64 v[34:35], -v[20:21], v[46:47], v[34:35]
	ds_read_b64 v[44:45], v38 offset:1520
	ds_read_b64 v[46:47], v38 offset:1680
	v_fma_f64 v[34:35], -v[22:23], v[48:49], v[34:35]
	v_fma_f64 v[34:35], -v[24:25], v[50:51], v[34:35]
	;; [unrolled: 1-line block ×3, first 2 shown]
	s_waitcnt lgkmcnt(0)
	v_fma_f64 v[34:35], -v[28:29], v[40:41], v[34:35]
	v_fma_f64 v[34:35], -v[30:31], v[42:43], v[34:35]
	v_fma_f64 v[34:35], -v[32:33], v[44:45], v[34:35]
	v_mul_f64 v[34:35], v[46:47], v[34:35]
	flat_store_dwordx2 v[12:13], v[34:35] offset:80
	ds_read_b64 v[40:41], v38 offset:88
	ds_read_b64 v[42:43], v38 offset:248
	;; [unrolled: 1-line block ×6, first 2 shown]
	s_waitcnt lgkmcnt(0)
	v_mul_f64 v[40:41], v[14:15], v[40:41]
	v_fma_f64 v[36:37], s[4:5], v[36:37], -v[40:41]
	v_fma_f64 v[36:37], -v[16:17], v[42:43], v[36:37]
	ds_read_b64 v[40:41], v38 offset:1048
	ds_read_b64 v[52:53], v38 offset:1208
	v_fma_f64 v[36:37], -v[18:19], v[44:45], v[36:37]
	ds_read_b64 v[42:43], v38 offset:1368
	ds_read_b64 v[44:45], v38 offset:1528
	v_fma_f64 v[36:37], -v[20:21], v[46:47], v[36:37]
	v_fma_f64 v[36:37], -v[22:23], v[48:49], v[36:37]
	ds_read_b64 v[46:47], v38 offset:1688
	ds_read_b64 v[48:49], v38 offset:1848
	v_fma_f64 v[36:37], -v[24:25], v[50:51], v[36:37]
	s_waitcnt lgkmcnt(0)
	v_fma_f64 v[36:37], -v[26:27], v[40:41], v[36:37]
	v_fma_f64 v[36:37], -v[28:29], v[52:53], v[36:37]
	;; [unrolled: 1-line block ×5, first 2 shown]
	v_mul_f64 v[36:37], v[48:49], v[36:37]
	flat_store_dwordx2 v[12:13], v[36:37] offset:88
	ds_read_b64 v[40:41], v38 offset:96
	ds_read_b64 v[42:43], v38 offset:256
	;; [unrolled: 1-line block ×7, first 2 shown]
	s_waitcnt lgkmcnt(0)
	v_mul_f64 v[40:41], v[14:15], v[40:41]
	v_fma_f64 v[8:9], s[4:5], v[8:9], -v[40:41]
	v_fma_f64 v[8:9], -v[16:17], v[42:43], v[8:9]
	ds_read_b64 v[40:41], v38 offset:1216
	ds_read_b64 v[42:43], v38 offset:1376
	v_fma_f64 v[8:9], -v[18:19], v[44:45], v[8:9]
	v_fma_f64 v[8:9], -v[20:21], v[46:47], v[8:9]
	ds_read_b64 v[44:45], v38 offset:1536
	ds_read_b64 v[46:47], v38 offset:1696
	v_fma_f64 v[8:9], -v[22:23], v[48:49], v[8:9]
	;; [unrolled: 4-line block ×3, first 2 shown]
	s_waitcnt lgkmcnt(0)
	v_fma_f64 v[8:9], -v[28:29], v[40:41], v[8:9]
	v_fma_f64 v[8:9], -v[30:31], v[42:43], v[8:9]
	;; [unrolled: 1-line block ×5, first 2 shown]
	v_mul_f64 v[8:9], v[50:51], v[8:9]
	flat_store_dwordx2 v[12:13], v[8:9] offset:96
	ds_read_b64 v[40:41], v38 offset:104
	ds_read_b64 v[42:43], v38 offset:264
	;; [unrolled: 1-line block ×6, first 2 shown]
	s_waitcnt lgkmcnt(0)
	v_mul_f64 v[40:41], v[14:15], v[40:41]
	v_fma_f64 v[10:11], s[4:5], v[10:11], -v[40:41]
	v_fma_f64 v[10:11], -v[16:17], v[42:43], v[10:11]
	ds_read_b64 v[40:41], v38 offset:1064
	ds_read_b64 v[52:53], v38 offset:1224
	v_fma_f64 v[10:11], -v[18:19], v[44:45], v[10:11]
	ds_read_b64 v[42:43], v38 offset:1384
	ds_read_b64 v[44:45], v38 offset:1544
	v_fma_f64 v[10:11], -v[20:21], v[46:47], v[10:11]
	v_fma_f64 v[10:11], -v[22:23], v[48:49], v[10:11]
	ds_read_b64 v[46:47], v38 offset:1704
	ds_read_b64 v[48:49], v38 offset:1864
	v_fma_f64 v[10:11], -v[24:25], v[50:51], v[10:11]
	s_waitcnt lgkmcnt(0)
	v_fma_f64 v[10:11], -v[26:27], v[40:41], v[10:11]
	ds_read_b64 v[50:51], v38 offset:2024
	ds_read_b64 v[40:41], v38 offset:2184
	v_fma_f64 v[10:11], -v[28:29], v[52:53], v[10:11]
	v_fma_f64 v[10:11], -v[30:31], v[42:43], v[10:11]
	;; [unrolled: 1-line block ×5, first 2 shown]
	s_waitcnt lgkmcnt(0)
	v_fma_f64 v[10:11], -v[8:9], v[50:51], v[10:11]
	v_mul_f64 v[10:11], v[40:41], v[10:11]
	flat_store_dwordx2 v[12:13], v[10:11] offset:104
	ds_read_b64 v[40:41], v38 offset:112
	ds_read_b64 v[42:43], v38 offset:272
	;; [unrolled: 1-line block ×7, first 2 shown]
	s_waitcnt lgkmcnt(0)
	v_mul_f64 v[40:41], v[14:15], v[40:41]
	v_fma_f64 v[4:5], s[4:5], v[4:5], -v[40:41]
	v_fma_f64 v[4:5], -v[16:17], v[42:43], v[4:5]
	ds_read_b64 v[40:41], v38 offset:1232
	ds_read_b64 v[42:43], v38 offset:1392
	v_fma_f64 v[4:5], -v[18:19], v[44:45], v[4:5]
	v_fma_f64 v[4:5], -v[20:21], v[46:47], v[4:5]
	ds_read_b64 v[44:45], v38 offset:1552
	ds_read_b64 v[46:47], v38 offset:1712
	v_fma_f64 v[4:5], -v[22:23], v[48:49], v[4:5]
	;; [unrolled: 4-line block ×3, first 2 shown]
	s_waitcnt lgkmcnt(0)
	v_fma_f64 v[4:5], -v[28:29], v[40:41], v[4:5]
	ds_read_b64 v[40:41], v38 offset:2192
	v_fma_f64 v[4:5], -v[30:31], v[42:43], v[4:5]
	ds_read_b64 v[42:43], v38 offset:2352
	v_fma_f64 v[4:5], -v[32:33], v[44:45], v[4:5]
	v_fma_f64 v[4:5], -v[34:35], v[46:47], v[4:5]
	;; [unrolled: 1-line block ×4, first 2 shown]
	s_waitcnt lgkmcnt(0)
	v_fma_f64 v[4:5], -v[10:11], v[40:41], v[4:5]
	v_mul_f64 v[4:5], v[42:43], v[4:5]
	flat_load_dwordx4 v[40:43], v[12:13] offset:144
	s_nop 0
	flat_store_dwordx2 v[12:13], v[4:5] offset:112
	ds_read_b64 v[44:45], v38 offset:120
	ds_read_b64 v[46:47], v38 offset:280
	;; [unrolled: 1-line block ×4, first 2 shown]
	s_waitcnt lgkmcnt(0)
	v_mul_f64 v[44:45], v[14:15], v[44:45]
	v_fma_f64 v[6:7], s[4:5], v[6:7], -v[44:45]
	ds_read_b64 v[44:45], v38 offset:760
	ds_read_b64 v[52:53], v38 offset:920
	v_fma_f64 v[6:7], -v[16:17], v[46:47], v[6:7]
	ds_read_b64 v[46:47], v38 offset:1080
	v_fma_f64 v[6:7], -v[18:19], v[48:49], v[6:7]
	;; [unrolled: 2-line block ×3, first 2 shown]
	ds_read_b64 v[50:51], v38 offset:1400
	s_waitcnt lgkmcnt(0)
	v_fma_f64 v[6:7], -v[22:23], v[44:45], v[6:7]
	ds_read_b64 v[44:45], v38 offset:1560
	v_fma_f64 v[6:7], -v[24:25], v[52:53], v[6:7]
	ds_read_b64 v[52:53], v38 offset:1720
	;; [unrolled: 2-line block ×5, first 2 shown]
	s_waitcnt lgkmcnt(0)
	v_fma_f64 v[6:7], -v[32:33], v[44:45], v[6:7]
	ds_read_b64 v[44:45], v38 offset:2360
	v_fma_f64 v[6:7], -v[34:35], v[52:53], v[6:7]
	ds_read_b64 v[52:53], v38 offset:2520
	v_fma_f64 v[6:7], -v[36:37], v[46:47], v[6:7]
	v_fma_f64 v[6:7], -v[8:9], v[48:49], v[6:7]
	;; [unrolled: 1-line block ×3, first 2 shown]
	s_waitcnt lgkmcnt(0)
	v_fma_f64 v[6:7], -v[4:5], v[44:45], v[6:7]
	v_mul_f64 v[6:7], v[52:53], v[6:7]
	flat_store_dwordx2 v[12:13], v[6:7] offset:120
	ds_read_b64 v[44:45], v38 offset:128
	ds_read_b64 v[46:47], v38 offset:288
	;; [unrolled: 1-line block ×5, first 2 shown]
	s_waitcnt lgkmcnt(0)
	v_mul_f64 v[44:45], v[14:15], v[44:45]
	v_fma_f64 v[0:1], s[4:5], v[0:1], -v[44:45]
	ds_read_b64 v[44:45], v38 offset:928
	v_fma_f64 v[0:1], -v[16:17], v[46:47], v[0:1]
	ds_read_b64 v[46:47], v38 offset:1088
	v_fma_f64 v[0:1], -v[18:19], v[48:49], v[0:1]
	;; [unrolled: 2-line block ×4, first 2 shown]
	s_waitcnt lgkmcnt(0)
	v_fma_f64 v[0:1], -v[24:25], v[44:45], v[0:1]
	ds_read_b64 v[44:45], v38 offset:1568
	v_fma_f64 v[0:1], -v[26:27], v[46:47], v[0:1]
	ds_read_b64 v[46:47], v38 offset:1728
	;; [unrolled: 2-line block ×4, first 2 shown]
	s_waitcnt lgkmcnt(0)
	v_fma_f64 v[0:1], -v[32:33], v[44:45], v[0:1]
	v_fma_f64 v[0:1], -v[34:35], v[46:47], v[0:1]
	;; [unrolled: 1-line block ×3, first 2 shown]
	ds_read_b64 v[44:45], v38 offset:2208
	ds_read_b64 v[46:47], v38 offset:2368
	;; [unrolled: 1-line block ×3, first 2 shown]
	v_fma_f64 v[0:1], -v[8:9], v[50:51], v[0:1]
	ds_read_b64 v[50:51], v38 offset:2688
	s_waitcnt lgkmcnt(0)
	v_fma_f64 v[0:1], -v[10:11], v[44:45], v[0:1]
	v_fma_f64 v[0:1], -v[4:5], v[46:47], v[0:1]
	;; [unrolled: 1-line block ×3, first 2 shown]
	v_mul_f64 v[44:45], v[50:51], v[0:1]
	flat_store_dwordx2 v[12:13], v[44:45] offset:128
	ds_read_b64 v[0:1], v38 offset:136
	ds_read_b64 v[46:47], v38 offset:296
	;; [unrolled: 1-line block ×4, first 2 shown]
	s_waitcnt lgkmcnt(0)
	v_mul_f64 v[0:1], v[14:15], v[0:1]
	v_fma_f64 v[0:1], s[4:5], v[2:3], -v[0:1]
	v_fma_f64 v[0:1], -v[16:17], v[46:47], v[0:1]
	v_fma_f64 v[0:1], -v[18:19], v[48:49], v[0:1]
	ds_read_b64 v[2:3], v38 offset:776
	ds_read_b64 v[46:47], v38 offset:936
	;; [unrolled: 1-line block ×3, first 2 shown]
	v_fma_f64 v[0:1], -v[20:21], v[50:51], v[0:1]
	ds_read_b64 v[50:51], v38 offset:1256
	s_waitcnt lgkmcnt(0)
	v_fma_f64 v[0:1], -v[22:23], v[2:3], v[0:1]
	v_fma_f64 v[0:1], -v[24:25], v[46:47], v[0:1]
	;; [unrolled: 1-line block ×3, first 2 shown]
	ds_read_b64 v[2:3], v38 offset:1416
	ds_read_b64 v[46:47], v38 offset:1576
	;; [unrolled: 1-line block ×3, first 2 shown]
	v_fma_f64 v[0:1], -v[28:29], v[50:51], v[0:1]
	ds_read_b64 v[50:51], v38 offset:1896
	s_waitcnt lgkmcnt(0)
	v_fma_f64 v[0:1], -v[30:31], v[2:3], v[0:1]
	ds_read_b64 v[2:3], v38 offset:2056
	v_fma_f64 v[0:1], -v[32:33], v[46:47], v[0:1]
	v_fma_f64 v[0:1], -v[34:35], v[48:49], v[0:1]
	;; [unrolled: 1-line block ×3, first 2 shown]
	ds_read_b64 v[46:47], v38 offset:2216
	ds_read_b64 v[48:49], v38 offset:2376
	;; [unrolled: 1-line block ×3, first 2 shown]
	s_waitcnt lgkmcnt(0)
	v_fma_f64 v[0:1], -v[8:9], v[2:3], v[0:1]
	ds_read_b64 v[2:3], v38 offset:2696
	ds_read_b64 v[52:53], v38 offset:2856
	v_fma_f64 v[0:1], -v[10:11], v[46:47], v[0:1]
	v_fma_f64 v[0:1], -v[4:5], v[48:49], v[0:1]
	;; [unrolled: 1-line block ×3, first 2 shown]
	s_waitcnt lgkmcnt(0)
	v_fma_f64 v[0:1], -v[44:45], v[2:3], v[0:1]
	v_mul_f64 v[46:47], v[52:53], v[0:1]
	flat_store_dwordx2 v[12:13], v[46:47] offset:136
	ds_read_b64 v[0:1], v38 offset:144
	ds_read_b64 v[2:3], v38 offset:304
	;; [unrolled: 1-line block ×4, first 2 shown]
	s_waitcnt lgkmcnt(0)
	v_mul_f64 v[0:1], v[14:15], v[0:1]
	s_waitcnt vmcnt(0)
	v_fma_f64 v[0:1], s[4:5], v[40:41], -v[0:1]
	v_fma_f64 v[0:1], -v[16:17], v[2:3], v[0:1]
	v_fma_f64 v[0:1], -v[18:19], v[48:49], v[0:1]
	ds_read_b64 v[2:3], v38 offset:784
	ds_read_b64 v[40:41], v38 offset:944
	;; [unrolled: 1-line block ×3, first 2 shown]
	v_fma_f64 v[0:1], -v[20:21], v[50:51], v[0:1]
	ds_read_b64 v[50:51], v38 offset:1264
	s_waitcnt lgkmcnt(3)
	v_fma_f64 v[0:1], -v[22:23], v[2:3], v[0:1]
	s_waitcnt lgkmcnt(2)
	v_fma_f64 v[0:1], -v[24:25], v[40:41], v[0:1]
	s_waitcnt lgkmcnt(1)
	v_fma_f64 v[0:1], -v[26:27], v[48:49], v[0:1]
	ds_read_b64 v[2:3], v38 offset:1424
	ds_read_b64 v[40:41], v38 offset:1584
	;; [unrolled: 1-line block ×3, first 2 shown]
	s_waitcnt lgkmcnt(3)
	v_fma_f64 v[0:1], -v[28:29], v[50:51], v[0:1]
	ds_read_b64 v[50:51], v38 offset:1904
	s_waitcnt lgkmcnt(3)
	v_fma_f64 v[0:1], -v[30:31], v[2:3], v[0:1]
	s_waitcnt lgkmcnt(2)
	v_fma_f64 v[0:1], -v[32:33], v[40:41], v[0:1]
	ds_read_b64 v[2:3], v38 offset:2064
	ds_read_b64 v[40:41], v38 offset:2224
	s_waitcnt lgkmcnt(3)
	v_fma_f64 v[0:1], -v[34:35], v[48:49], v[0:1]
	s_waitcnt lgkmcnt(2)
	v_fma_f64 v[0:1], -v[36:37], v[50:51], v[0:1]
	ds_read_b64 v[48:49], v38 offset:2384
	;; [unrolled: 6-line block ×3, first 2 shown]
	ds_read_b64 v[40:41], v38 offset:2864
	s_waitcnt lgkmcnt(3)
	v_fma_f64 v[0:1], -v[4:5], v[48:49], v[0:1]
	ds_read_b64 v[48:49], v38 offset:3024
	s_waitcnt lgkmcnt(3)
	v_fma_f64 v[0:1], -v[6:7], v[50:51], v[0:1]
	s_waitcnt lgkmcnt(2)
	v_fma_f64 v[0:1], -v[44:45], v[2:3], v[0:1]
	;; [unrolled: 2-line block ×3, first 2 shown]
	s_waitcnt lgkmcnt(0)
	v_mul_f64 v[40:41], v[48:49], v[0:1]
	flat_store_dwordx2 v[12:13], v[40:41] offset:144
	ds_read_b64 v[0:1], v38 offset:152
	ds_read_b64 v[2:3], v38 offset:312
	;; [unrolled: 1-line block ×4, first 2 shown]
	s_waitcnt lgkmcnt(0)
	v_mul_f64 v[0:1], v[14:15], v[0:1]
	v_fma_f64 v[0:1], s[4:5], v[42:43], -v[0:1]
	v_fma_f64 v[0:1], -v[16:17], v[2:3], v[0:1]
	ds_read_b64 v[2:3], v38 offset:792
	ds_read_b64 v[14:15], v38 offset:952
	;; [unrolled: 1-line block ×3, first 2 shown]
	v_fma_f64 v[0:1], -v[18:19], v[48:49], v[0:1]
	v_fma_f64 v[0:1], -v[20:21], v[50:51], v[0:1]
	ds_read_b64 v[18:19], v38 offset:1272
	s_waitcnt lgkmcnt(0)
	v_fma_f64 v[0:1], -v[22:23], v[2:3], v[0:1]
	v_fma_f64 v[0:1], -v[24:25], v[14:15], v[0:1]
	;; [unrolled: 1-line block ×3, first 2 shown]
	ds_read_b64 v[2:3], v38 offset:1432
	ds_read_b64 v[14:15], v38 offset:1592
	;; [unrolled: 1-line block ×3, first 2 shown]
	v_fma_f64 v[0:1], -v[28:29], v[18:19], v[0:1]
	ds_read_b64 v[18:19], v38 offset:1912
	s_waitcnt lgkmcnt(0)
	v_fma_f64 v[0:1], -v[30:31], v[2:3], v[0:1]
	v_fma_f64 v[0:1], -v[32:33], v[14:15], v[0:1]
	ds_read_b64 v[2:3], v38 offset:2072
	ds_read_b64 v[14:15], v38 offset:2232
	v_fma_f64 v[0:1], -v[34:35], v[16:17], v[0:1]
	v_fma_f64 v[0:1], -v[36:37], v[18:19], v[0:1]
	ds_read_b64 v[16:17], v38 offset:2392
	ds_read_b64 v[18:19], v38 offset:2552
	s_waitcnt lgkmcnt(0)
	v_fma_f64 v[0:1], -v[8:9], v[2:3], v[0:1]
	v_fma_f64 v[8:9], -v[10:11], v[14:15], v[0:1]
	ds_read_b64 v[10:11], v38 offset:2712
	ds_read_b64 v[14:15], v38 offset:2872
	v_add_u32_e64 v0, s2, 0
	ds_read2_b64 v[0:3], v0 offset0:123 offset1:143
	v_fma_f64 v[4:5], -v[4:5], v[16:17], v[8:9]
	v_fma_f64 v[4:5], -v[6:7], v[18:19], v[4:5]
	s_waitcnt lgkmcnt(0)
	v_fma_f64 v[4:5], -v[44:45], v[10:11], v[4:5]
	v_fma_f64 v[4:5], -v[46:47], v[14:15], v[4:5]
	;; [unrolled: 1-line block ×3, first 2 shown]
	v_mul_f64 v[0:1], v[2:3], v[0:1]
	s_mov_b32 s2, 20
	flat_store_dwordx2 v[12:13], v[0:1] offset:152
.LBB90_37:
	s_cmp_lt_i32 s2, s22
	s_cbranch_scc0 .LBB90_48
; %bb.38:
	s_add_i32 s3, s2, 15
	s_cmp_ge_u32 s3, s22
	s_cbranch_scc1 .LBB90_43
; %bb.39:
	s_lshl_b32 s6, s2, 3
	s_mov_b32 s7, 0
	v_lshl_add_u64 v[0:1], v[12:13], 0, s[6:7]
	flat_load_dwordx4 v[2:5], v[0:1]
	flat_load_dwordx4 v[6:9], v[0:1] offset:16
	flat_load_dwordx4 v[26:29], v[0:1] offset:32
	;; [unrolled: 1-line block ×7, first 2 shown]
	s_andn2_b64 vcc, exec, s[0:1]
	s_waitcnt vmcnt(0) lgkmcnt(0)
	v_mul_f64 v[16:17], s[4:5], v[2:3]
	v_mul_f64 v[18:19], s[4:5], v[4:5]
	;; [unrolled: 1-line block ×16, first 2 shown]
	s_cbranch_vccnz .LBB90_42
; %bb.40:
	v_mov_b64_e32 v[36:37], v[12:13]
	s_mov_b32 s0, s2
.LBB90_41:                              ; =>This Inner Loop Header: Depth=1
	flat_load_dwordx2 v[54:55], v[36:37]
	v_mov_b32_e32 v56, s6
	ds_read_b128 v[38:41], v56
	ds_read_b128 v[42:45], v56 offset:16
	ds_read_b128 v[46:49], v56 offset:32
	;; [unrolled: 1-line block ×3, first 2 shown]
	s_add_i32 s0, s0, -1
	s_addk_i32 s6, 0xa0
	v_lshl_add_u64 v[36:37], v[36:37], 0, 8
	s_cmp_lg_u32 s0, 0
	s_waitcnt vmcnt(0) lgkmcnt(0)
	v_fma_f64 v[16:17], -v[54:55], v[38:39], v[16:17]
	v_fma_f64 v[18:19], -v[54:55], v[40:41], v[18:19]
	ds_read_b128 v[38:41], v56 offset:64
	v_fma_f64 v[20:21], -v[54:55], v[42:43], v[20:21]
	v_fma_f64 v[22:23], -v[54:55], v[44:45], v[22:23]
	ds_read_b128 v[42:45], v56 offset:80
	;; [unrolled: 3-line block ×4, first 2 shown]
	s_waitcnt lgkmcnt(3)
	v_fma_f64 v[28:29], -v[54:55], v[38:39], v[28:29]
	v_fma_f64 v[24:25], -v[54:55], v[40:41], v[24:25]
	s_waitcnt lgkmcnt(2)
	v_fma_f64 v[14:15], -v[54:55], v[42:43], v[14:15]
	v_fma_f64 v[10:11], -v[54:55], v[44:45], v[10:11]
	;; [unrolled: 3-line block ×4, first 2 shown]
	s_cbranch_scc1 .LBB90_41
.LBB90_42:
	s_lshl_b32 s0, s2, 3
	s_mul_i32 s1, s2, 0xa0
	s_add_i32 s0, s0, s1
	v_mov_b32_e32 v52, s0
	ds_read_b64 v[36:37], v52
	s_or_b32 s0, s2, 9
	s_mulk_i32 s0, 0xa8
	s_mul_i32 s1, s3, 0xa8
	s_waitcnt lgkmcnt(0)
	v_mul_f64 v[16:17], v[36:37], v[16:17]
	flat_store_dwordx2 v[0:1], v[16:17]
	ds_read_b64 v[36:37], v52 offset:8
	ds_read_b64 v[38:39], v52 offset:168
	s_waitcnt lgkmcnt(0)
	v_fma_f64 v[18:19], -v[16:17], v[36:37], v[18:19]
	v_mul_f64 v[18:19], v[38:39], v[18:19]
	flat_store_dwordx2 v[0:1], v[18:19] offset:8
	ds_read_b64 v[36:37], v52 offset:16
	ds_read_b64 v[38:39], v52 offset:176
	;; [unrolled: 1-line block ×3, first 2 shown]
	s_waitcnt lgkmcnt(0)
	v_fma_f64 v[20:21], -v[16:17], v[36:37], v[20:21]
	v_fma_f64 v[20:21], -v[18:19], v[38:39], v[20:21]
	v_mul_f64 v[20:21], v[40:41], v[20:21]
	flat_store_dwordx2 v[0:1], v[20:21] offset:16
	ds_read_b64 v[36:37], v52 offset:24
	ds_read_b64 v[38:39], v52 offset:184
	;; [unrolled: 1-line block ×4, first 2 shown]
	s_waitcnt lgkmcnt(0)
	v_fma_f64 v[22:23], -v[16:17], v[36:37], v[22:23]
	v_fma_f64 v[22:23], -v[18:19], v[38:39], v[22:23]
	;; [unrolled: 1-line block ×3, first 2 shown]
	v_mul_f64 v[22:23], v[42:43], v[22:23]
	flat_store_dwordx2 v[0:1], v[22:23] offset:24
	ds_read_b64 v[36:37], v52 offset:32
	ds_read_b64 v[38:39], v52 offset:192
	;; [unrolled: 1-line block ×5, first 2 shown]
	s_waitcnt lgkmcnt(0)
	v_fma_f64 v[26:27], -v[16:17], v[36:37], v[26:27]
	v_fma_f64 v[26:27], -v[18:19], v[38:39], v[26:27]
	;; [unrolled: 1-line block ×4, first 2 shown]
	v_mul_f64 v[26:27], v[44:45], v[26:27]
	flat_store_dwordx2 v[0:1], v[26:27] offset:32
	ds_read_b64 v[36:37], v52 offset:40
	ds_read_b64 v[38:39], v52 offset:200
	;; [unrolled: 1-line block ×6, first 2 shown]
	s_waitcnt lgkmcnt(0)
	v_fma_f64 v[30:31], -v[16:17], v[36:37], v[30:31]
	v_fma_f64 v[30:31], -v[18:19], v[38:39], v[30:31]
	;; [unrolled: 1-line block ×5, first 2 shown]
	v_mul_f64 v[30:31], v[46:47], v[30:31]
	flat_store_dwordx2 v[0:1], v[30:31] offset:40
	ds_read_b64 v[36:37], v52 offset:48
	ds_read_b64 v[38:39], v52 offset:208
	;; [unrolled: 1-line block ×7, first 2 shown]
	s_waitcnt lgkmcnt(0)
	v_fma_f64 v[34:35], -v[16:17], v[36:37], v[34:35]
	v_fma_f64 v[34:35], -v[18:19], v[38:39], v[34:35]
	;; [unrolled: 1-line block ×6, first 2 shown]
	v_mul_f64 v[34:35], v[48:49], v[34:35]
	flat_store_dwordx2 v[0:1], v[34:35] offset:48
	ds_read_b64 v[36:37], v52 offset:56
	ds_read_b64 v[38:39], v52 offset:216
	;; [unrolled: 1-line block ×8, first 2 shown]
	s_waitcnt lgkmcnt(0)
	v_fma_f64 v[32:33], -v[16:17], v[36:37], v[32:33]
	v_fma_f64 v[32:33], -v[18:19], v[38:39], v[32:33]
	;; [unrolled: 1-line block ×7, first 2 shown]
	v_mul_f64 v[32:33], v[50:51], v[32:33]
	flat_store_dwordx2 v[0:1], v[32:33] offset:56
	ds_read_b64 v[36:37], v52 offset:64
	ds_read_b64 v[38:39], v52 offset:224
	;; [unrolled: 1-line block ×8, first 2 shown]
	s_waitcnt lgkmcnt(0)
	v_fma_f64 v[28:29], -v[16:17], v[36:37], v[28:29]
	v_fma_f64 v[28:29], -v[18:19], v[38:39], v[28:29]
	v_fma_f64 v[28:29], -v[20:21], v[40:41], v[28:29]
	v_fma_f64 v[28:29], -v[22:23], v[42:43], v[28:29]
	ds_read_b64 v[36:37], v52 offset:1344
	v_fma_f64 v[28:29], -v[26:27], v[44:45], v[28:29]
	v_fma_f64 v[28:29], -v[30:31], v[46:47], v[28:29]
	;; [unrolled: 1-line block ×4, first 2 shown]
	s_waitcnt lgkmcnt(0)
	v_mul_f64 v[28:29], v[36:37], v[28:29]
	flat_store_dwordx2 v[0:1], v[28:29] offset:64
	ds_read_b64 v[36:37], v52 offset:72
	ds_read_b64 v[38:39], v52 offset:232
	ds_read_b64 v[40:41], v52 offset:392
	ds_read_b64 v[42:43], v52 offset:552
	v_mov_b32_e32 v44, s0
	s_waitcnt lgkmcnt(0)
	v_fma_f64 v[24:25], -v[16:17], v[36:37], v[24:25]
	ds_read_b64 v[36:37], v52 offset:712
	v_fma_f64 v[24:25], -v[18:19], v[38:39], v[24:25]
	v_fma_f64 v[24:25], -v[20:21], v[40:41], v[24:25]
	;; [unrolled: 1-line block ×3, first 2 shown]
	ds_read_b64 v[38:39], v52 offset:872
	ds_read_b64 v[40:41], v52 offset:1032
	;; [unrolled: 1-line block ×3, first 2 shown]
	s_waitcnt lgkmcnt(0)
	v_fma_f64 v[24:25], -v[26:27], v[36:37], v[24:25]
	ds_read_b64 v[36:37], v52 offset:1352
	ds_read_b64 v[44:45], v44
	v_fma_f64 v[24:25], -v[30:31], v[38:39], v[24:25]
	v_fma_f64 v[24:25], -v[34:35], v[40:41], v[24:25]
	;; [unrolled: 1-line block ×3, first 2 shown]
	s_waitcnt lgkmcnt(0)
	v_fma_f64 v[24:25], -v[28:29], v[36:37], v[24:25]
	v_mul_f64 v[24:25], v[44:45], v[24:25]
	flat_store_dwordx2 v[0:1], v[24:25] offset:72
	ds_read_b64 v[36:37], v52 offset:80
	ds_read_b64 v[38:39], v52 offset:240
	ds_read_b64 v[40:41], v52 offset:400
	ds_read_b64 v[42:43], v52 offset:560
	s_or_b32 s0, s2, 10
	s_waitcnt lgkmcnt(0)
	v_fma_f64 v[14:15], -v[16:17], v[36:37], v[14:15]
	v_fma_f64 v[14:15], -v[18:19], v[38:39], v[14:15]
	ds_read_b64 v[36:37], v52 offset:720
	ds_read_b64 v[38:39], v52 offset:880
	v_fma_f64 v[14:15], -v[20:21], v[40:41], v[14:15]
	v_fma_f64 v[14:15], -v[22:23], v[42:43], v[14:15]
	ds_read_b64 v[40:41], v52 offset:1040
	ds_read_b64 v[42:43], v52 offset:1200
	s_mulk_i32 s0, 0xa8
	s_waitcnt lgkmcnt(0)
	v_fma_f64 v[14:15], -v[26:27], v[36:37], v[14:15]
	v_mov_b32_e32 v44, s0
	v_fma_f64 v[14:15], -v[30:31], v[38:39], v[14:15]
	ds_read_b64 v[36:37], v52 offset:1360
	ds_read_b64 v[38:39], v52 offset:1520
	ds_read_b64 v[44:45], v44
	v_fma_f64 v[14:15], -v[34:35], v[40:41], v[14:15]
	v_fma_f64 v[14:15], -v[32:33], v[42:43], v[14:15]
	s_waitcnt lgkmcnt(0)
	v_fma_f64 v[14:15], -v[28:29], v[36:37], v[14:15]
	v_fma_f64 v[14:15], -v[24:25], v[38:39], v[14:15]
	v_mul_f64 v[14:15], v[44:45], v[14:15]
	flat_store_dwordx2 v[0:1], v[14:15] offset:80
	ds_read_b64 v[36:37], v52 offset:88
	ds_read_b64 v[38:39], v52 offset:248
	;; [unrolled: 1-line block ×4, first 2 shown]
	s_or_b32 s0, s2, 11
	s_waitcnt lgkmcnt(0)
	v_fma_f64 v[10:11], -v[16:17], v[36:37], v[10:11]
	v_fma_f64 v[10:11], -v[18:19], v[38:39], v[10:11]
	;; [unrolled: 1-line block ×3, first 2 shown]
	ds_read_b64 v[36:37], v52 offset:728
	ds_read_b64 v[38:39], v52 offset:888
	;; [unrolled: 1-line block ×3, first 2 shown]
	v_fma_f64 v[10:11], -v[22:23], v[42:43], v[10:11]
	ds_read_b64 v[42:43], v52 offset:1208
	s_waitcnt lgkmcnt(0)
	v_fma_f64 v[10:11], -v[26:27], v[36:37], v[10:11]
	s_mulk_i32 s0, 0xa8
	v_fma_f64 v[10:11], -v[30:31], v[38:39], v[10:11]
	v_mov_b32_e32 v44, s0
	v_fma_f64 v[10:11], -v[34:35], v[40:41], v[10:11]
	ds_read_b64 v[36:37], v52 offset:1368
	ds_read_b64 v[38:39], v52 offset:1528
	;; [unrolled: 1-line block ×3, first 2 shown]
	ds_read_b64 v[44:45], v44
	v_fma_f64 v[10:11], -v[32:33], v[42:43], v[10:11]
	s_waitcnt lgkmcnt(0)
	v_fma_f64 v[10:11], -v[28:29], v[36:37], v[10:11]
	v_fma_f64 v[10:11], -v[24:25], v[38:39], v[10:11]
	;; [unrolled: 1-line block ×3, first 2 shown]
	v_mul_f64 v[10:11], v[44:45], v[10:11]
	flat_store_dwordx2 v[0:1], v[10:11] offset:88
	ds_read_b64 v[36:37], v52 offset:96
	ds_read_b64 v[38:39], v52 offset:256
	;; [unrolled: 1-line block ×4, first 2 shown]
	s_mul_i32 s0, s2, 0xa8
	s_waitcnt lgkmcnt(0)
	v_fma_f64 v[8:9], -v[16:17], v[36:37], v[8:9]
	v_fma_f64 v[8:9], -v[18:19], v[38:39], v[8:9]
	v_fma_f64 v[8:9], -v[20:21], v[40:41], v[8:9]
	ds_read_b64 v[36:37], v52 offset:736
	ds_read_b64 v[38:39], v52 offset:896
	ds_read_b64 v[40:41], v52 offset:1056
	ds_read_b64 v[44:45], v52 offset:1216
	v_fma_f64 v[8:9], -v[22:23], v[42:43], v[8:9]
	s_waitcnt lgkmcnt(0)
	v_fma_f64 v[8:9], -v[26:27], v[36:37], v[8:9]
	v_fma_f64 v[8:9], -v[30:31], v[38:39], v[8:9]
	v_fma_f64 v[8:9], -v[34:35], v[40:41], v[8:9]
	ds_read_b64 v[36:37], v52 offset:1376
	ds_read_b64 v[38:39], v52 offset:1536
	;; [unrolled: 1-line block ×4, first 2 shown]
	v_mov_b32_e32 v46, s0
	v_fma_f64 v[8:9], -v[32:33], v[44:45], v[8:9]
	ds_read_b64 v[44:45], v46 offset:2016
	s_waitcnt lgkmcnt(0)
	v_fma_f64 v[8:9], -v[28:29], v[36:37], v[8:9]
	v_fma_f64 v[8:9], -v[24:25], v[38:39], v[8:9]
	;; [unrolled: 1-line block ×4, first 2 shown]
	v_mul_f64 v[8:9], v[44:45], v[8:9]
	flat_store_dwordx2 v[0:1], v[8:9] offset:96
	ds_read_b64 v[36:37], v52 offset:104
	ds_read_b64 v[38:39], v52 offset:264
	;; [unrolled: 1-line block ×4, first 2 shown]
	s_add_i32 s2, s2, 16
	s_waitcnt lgkmcnt(0)
	v_fma_f64 v[6:7], -v[16:17], v[36:37], v[6:7]
	v_fma_f64 v[6:7], -v[18:19], v[38:39], v[6:7]
	;; [unrolled: 1-line block ×3, first 2 shown]
	ds_read_b64 v[36:37], v52 offset:744
	ds_read_b64 v[38:39], v52 offset:904
	;; [unrolled: 1-line block ×3, first 2 shown]
	v_fma_f64 v[6:7], -v[22:23], v[42:43], v[6:7]
	ds_read_b64 v[42:43], v52 offset:1224
	s_waitcnt lgkmcnt(0)
	v_fma_f64 v[6:7], -v[26:27], v[36:37], v[6:7]
	ds_read_b64 v[36:37], v52 offset:1384
	v_fma_f64 v[6:7], -v[30:31], v[38:39], v[6:7]
	v_fma_f64 v[6:7], -v[34:35], v[40:41], v[6:7]
	;; [unrolled: 1-line block ×3, first 2 shown]
	ds_read_b64 v[38:39], v52 offset:1544
	ds_read_b64 v[40:41], v52 offset:1704
	;; [unrolled: 1-line block ×3, first 2 shown]
	s_waitcnt lgkmcnt(0)
	v_fma_f64 v[6:7], -v[28:29], v[36:37], v[6:7]
	ds_read_b64 v[36:37], v52 offset:2024
	ds_read_b64 v[44:45], v46 offset:2184
	v_fma_f64 v[6:7], -v[24:25], v[38:39], v[6:7]
	v_fma_f64 v[6:7], -v[14:15], v[40:41], v[6:7]
	;; [unrolled: 1-line block ×3, first 2 shown]
	s_waitcnt lgkmcnt(0)
	v_fma_f64 v[6:7], -v[8:9], v[36:37], v[6:7]
	v_mul_f64 v[6:7], v[44:45], v[6:7]
	flat_store_dwordx2 v[0:1], v[6:7] offset:104
	ds_read_b64 v[36:37], v52 offset:112
	ds_read_b64 v[38:39], v52 offset:272
	;; [unrolled: 1-line block ×4, first 2 shown]
	s_waitcnt lgkmcnt(0)
	v_fma_f64 v[4:5], -v[16:17], v[36:37], v[4:5]
	v_fma_f64 v[4:5], -v[18:19], v[38:39], v[4:5]
	;; [unrolled: 1-line block ×3, first 2 shown]
	ds_read_b64 v[36:37], v52 offset:752
	ds_read_b64 v[38:39], v52 offset:912
	;; [unrolled: 1-line block ×3, first 2 shown]
	v_fma_f64 v[4:5], -v[22:23], v[42:43], v[4:5]
	ds_read_b64 v[42:43], v52 offset:1232
	s_waitcnt lgkmcnt(0)
	v_fma_f64 v[4:5], -v[26:27], v[36:37], v[4:5]
	v_fma_f64 v[4:5], -v[30:31], v[38:39], v[4:5]
	ds_read_b64 v[36:37], v52 offset:1392
	ds_read_b64 v[38:39], v52 offset:1552
	v_fma_f64 v[4:5], -v[34:35], v[40:41], v[4:5]
	v_fma_f64 v[4:5], -v[32:33], v[42:43], v[4:5]
	ds_read_b64 v[40:41], v52 offset:1712
	ds_read_b64 v[42:43], v52 offset:1872
	s_waitcnt lgkmcnt(0)
	v_fma_f64 v[4:5], -v[28:29], v[36:37], v[4:5]
	v_fma_f64 v[4:5], -v[24:25], v[38:39], v[4:5]
	ds_read_b64 v[36:37], v52 offset:2032
	ds_read_b64 v[38:39], v52 offset:2192
	;; [unrolled: 1-line block ×3, first 2 shown]
	v_fma_f64 v[4:5], -v[14:15], v[40:41], v[4:5]
	v_fma_f64 v[4:5], -v[10:11], v[42:43], v[4:5]
	s_waitcnt lgkmcnt(0)
	v_fma_f64 v[4:5], -v[8:9], v[36:37], v[4:5]
	v_fma_f64 v[4:5], -v[6:7], v[38:39], v[4:5]
	v_mul_f64 v[36:37], v[44:45], v[4:5]
	flat_store_dwordx2 v[0:1], v[36:37] offset:112
	ds_read_b64 v[4:5], v52 offset:120
	ds_read_b64 v[38:39], v52 offset:280
	;; [unrolled: 1-line block ×4, first 2 shown]
	s_waitcnt lgkmcnt(0)
	v_fma_f64 v[2:3], -v[16:17], v[4:5], v[2:3]
	v_fma_f64 v[2:3], -v[18:19], v[38:39], v[2:3]
	ds_read_b64 v[4:5], v52 offset:760
	ds_read_b64 v[16:17], v52 offset:920
	;; [unrolled: 1-line block ×3, first 2 shown]
	v_fma_f64 v[2:3], -v[20:21], v[40:41], v[2:3]
	v_fma_f64 v[2:3], -v[22:23], v[42:43], v[2:3]
	ds_read_b64 v[20:21], v52 offset:1240
	s_waitcnt lgkmcnt(0)
	v_fma_f64 v[2:3], -v[26:27], v[4:5], v[2:3]
	v_fma_f64 v[2:3], -v[30:31], v[16:17], v[2:3]
	;; [unrolled: 1-line block ×3, first 2 shown]
	ds_read_b64 v[4:5], v52 offset:1400
	ds_read_b64 v[16:17], v52 offset:1560
	ds_read_b64 v[18:19], v52 offset:1720
	v_fma_f64 v[2:3], -v[32:33], v[20:21], v[2:3]
	ds_read_b64 v[20:21], v52 offset:1880
	s_waitcnt lgkmcnt(0)
	v_fma_f64 v[2:3], -v[28:29], v[4:5], v[2:3]
	v_fma_f64 v[2:3], -v[24:25], v[16:17], v[2:3]
	;; [unrolled: 1-line block ×3, first 2 shown]
	ds_read_b64 v[16:17], v52 offset:2040
	v_add_u32_e32 v2, 0x800, v52
	ds_read2_b64 v[2:5], v2 offset0:19 offset1:39
	v_mov_b32_e32 v18, s1
	ds_read_b64 v[18:19], v18
	v_fma_f64 v[10:11], -v[10:11], v[20:21], v[14:15]
	s_waitcnt lgkmcnt(0)
	v_fma_f64 v[8:9], -v[8:9], v[16:17], v[10:11]
	v_fma_f64 v[2:3], -v[6:7], v[2:3], v[8:9]
	;; [unrolled: 1-line block ×3, first 2 shown]
	v_mul_f64 v[2:3], v[18:19], v[2:3]
	flat_store_dwordx2 v[0:1], v[2:3] offset:120
.LBB90_43:
	s_cmp_ge_i32 s2, s22
	s_cbranch_scc1 .LBB90_48
; %bb.44:
	s_lshl_b32 s0, s2, 3
	s_mov_b32 s3, 0
	s_branch .LBB90_46
.LBB90_45:                              ;   in Loop: Header=BB90_46 Depth=1
	s_mul_i32 s1, s2, 0xa8
	v_mov_b32_e32 v4, s1
	ds_read_b64 v[4:5], v4
	s_add_i32 s2, s2, 1
	s_add_i32 s0, s0, 8
	s_cmp_ge_i32 s2, s22
	s_waitcnt lgkmcnt(0)
	v_mul_f64 v[2:3], v[4:5], v[2:3]
	flat_store_dwordx2 v[0:1], v[2:3]
	s_cbranch_scc1 .LBB90_48
.LBB90_46:                              ; =>This Loop Header: Depth=1
                                        ;     Child Loop BB90_47 Depth 2
	v_lshl_add_u64 v[0:1], s[2:3], 3, v[12:13]
	flat_load_dwordx2 v[2:3], v[0:1]
	s_cmp_eq_u32 s2, 0
	v_mov_b64_e32 v[4:5], v[12:13]
	s_mov_b32 s1, s0
	s_mov_b32 s6, s2
	s_waitcnt vmcnt(0) lgkmcnt(0)
	v_mul_f64 v[2:3], s[4:5], v[2:3]
	s_cbranch_scc1 .LBB90_45
.LBB90_47:                              ;   Parent Loop BB90_46 Depth=1
                                        ; =>  This Inner Loop Header: Depth=2
	flat_load_dwordx2 v[6:7], v[4:5]
	v_mov_b32_e32 v8, s1
	ds_read_b64 v[8:9], v8
	s_add_i32 s6, s6, -1
	s_addk_i32 s1, 0xa0
	v_lshl_add_u64 v[4:5], v[4:5], 0, 8
	s_cmp_lg_u32 s6, 0
	s_waitcnt vmcnt(0) lgkmcnt(0)
	v_fma_f64 v[2:3], -v[6:7], v[8:9], v[2:3]
	s_cbranch_scc1 .LBB90_47
	s_branch .LBB90_45
.LBB90_48:
	s_endpgm
	.section	.rodata,"a",@progbits
	.p2align	6, 0x0
	.amdhsa_kernel _ZL30rocblas_trsm_small_left_deviceILi20ELi20ELb1EddPKPKdPKPdEv13rocblas_fill_18rocblas_operation_17rocblas_diagonal_iiT3_T4_lilT5_lili
		.amdhsa_group_segment_fixed_size 3200
		.amdhsa_private_segment_fixed_size 0
		.amdhsa_kernarg_size 360
		.amdhsa_user_sgpr_count 2
		.amdhsa_user_sgpr_dispatch_ptr 0
		.amdhsa_user_sgpr_queue_ptr 0
		.amdhsa_user_sgpr_kernarg_segment_ptr 1
		.amdhsa_user_sgpr_dispatch_id 0
		.amdhsa_user_sgpr_kernarg_preload_length 0
		.amdhsa_user_sgpr_kernarg_preload_offset 0
		.amdhsa_user_sgpr_private_segment_size 0
		.amdhsa_uses_dynamic_stack 0
		.amdhsa_enable_private_segment 0
		.amdhsa_system_sgpr_workgroup_id_x 1
		.amdhsa_system_sgpr_workgroup_id_y 0
		.amdhsa_system_sgpr_workgroup_id_z 1
		.amdhsa_system_sgpr_workgroup_info 0
		.amdhsa_system_vgpr_workitem_id 0
		.amdhsa_next_free_vgpr 57
		.amdhsa_next_free_sgpr 26
		.amdhsa_accum_offset 60
		.amdhsa_reserve_vcc 1
		.amdhsa_float_round_mode_32 0
		.amdhsa_float_round_mode_16_64 0
		.amdhsa_float_denorm_mode_32 3
		.amdhsa_float_denorm_mode_16_64 3
		.amdhsa_dx10_clamp 1
		.amdhsa_ieee_mode 1
		.amdhsa_fp16_overflow 0
		.amdhsa_tg_split 0
		.amdhsa_exception_fp_ieee_invalid_op 0
		.amdhsa_exception_fp_denorm_src 0
		.amdhsa_exception_fp_ieee_div_zero 0
		.amdhsa_exception_fp_ieee_overflow 0
		.amdhsa_exception_fp_ieee_underflow 0
		.amdhsa_exception_fp_ieee_inexact 0
		.amdhsa_exception_int_div_zero 0
	.end_amdhsa_kernel
	.section	.text._ZL30rocblas_trsm_small_left_deviceILi20ELi20ELb1EddPKPKdPKPdEv13rocblas_fill_18rocblas_operation_17rocblas_diagonal_iiT3_T4_lilT5_lili,"axG",@progbits,_ZL30rocblas_trsm_small_left_deviceILi20ELi20ELb1EddPKPKdPKPdEv13rocblas_fill_18rocblas_operation_17rocblas_diagonal_iiT3_T4_lilT5_lili,comdat
.Lfunc_end90:
	.size	_ZL30rocblas_trsm_small_left_deviceILi20ELi20ELb1EddPKPKdPKPdEv13rocblas_fill_18rocblas_operation_17rocblas_diagonal_iiT3_T4_lilT5_lili, .Lfunc_end90-_ZL30rocblas_trsm_small_left_deviceILi20ELi20ELb1EddPKPKdPKPdEv13rocblas_fill_18rocblas_operation_17rocblas_diagonal_iiT3_T4_lilT5_lili
                                        ; -- End function
	.set _ZL30rocblas_trsm_small_left_deviceILi20ELi20ELb1EddPKPKdPKPdEv13rocblas_fill_18rocblas_operation_17rocblas_diagonal_iiT3_T4_lilT5_lili.num_vgpr, 57
	.set _ZL30rocblas_trsm_small_left_deviceILi20ELi20ELb1EddPKPKdPKPdEv13rocblas_fill_18rocblas_operation_17rocblas_diagonal_iiT3_T4_lilT5_lili.num_agpr, 0
	.set _ZL30rocblas_trsm_small_left_deviceILi20ELi20ELb1EddPKPKdPKPdEv13rocblas_fill_18rocblas_operation_17rocblas_diagonal_iiT3_T4_lilT5_lili.numbered_sgpr, 26
	.set _ZL30rocblas_trsm_small_left_deviceILi20ELi20ELb1EddPKPKdPKPdEv13rocblas_fill_18rocblas_operation_17rocblas_diagonal_iiT3_T4_lilT5_lili.num_named_barrier, 0
	.set _ZL30rocblas_trsm_small_left_deviceILi20ELi20ELb1EddPKPKdPKPdEv13rocblas_fill_18rocblas_operation_17rocblas_diagonal_iiT3_T4_lilT5_lili.private_seg_size, 0
	.set _ZL30rocblas_trsm_small_left_deviceILi20ELi20ELb1EddPKPKdPKPdEv13rocblas_fill_18rocblas_operation_17rocblas_diagonal_iiT3_T4_lilT5_lili.uses_vcc, 1
	.set _ZL30rocblas_trsm_small_left_deviceILi20ELi20ELb1EddPKPKdPKPdEv13rocblas_fill_18rocblas_operation_17rocblas_diagonal_iiT3_T4_lilT5_lili.uses_flat_scratch, 0
	.set _ZL30rocblas_trsm_small_left_deviceILi20ELi20ELb1EddPKPKdPKPdEv13rocblas_fill_18rocblas_operation_17rocblas_diagonal_iiT3_T4_lilT5_lili.has_dyn_sized_stack, 0
	.set _ZL30rocblas_trsm_small_left_deviceILi20ELi20ELb1EddPKPKdPKPdEv13rocblas_fill_18rocblas_operation_17rocblas_diagonal_iiT3_T4_lilT5_lili.has_recursion, 0
	.set _ZL30rocblas_trsm_small_left_deviceILi20ELi20ELb1EddPKPKdPKPdEv13rocblas_fill_18rocblas_operation_17rocblas_diagonal_iiT3_T4_lilT5_lili.has_indirect_call, 0
	.section	.AMDGPU.csdata,"",@progbits
; Kernel info:
; codeLenInByte = 15400
; TotalNumSgprs: 32
; NumVgprs: 57
; NumAgprs: 0
; TotalNumVgprs: 57
; ScratchSize: 0
; MemoryBound: 1
; FloatMode: 240
; IeeeMode: 1
; LDSByteSize: 3200 bytes/workgroup (compile time only)
; SGPRBlocks: 3
; VGPRBlocks: 7
; NumSGPRsForWavesPerEU: 32
; NumVGPRsForWavesPerEU: 57
; AccumOffset: 60
; Occupancy: 8
; WaveLimiterHint : 1
; COMPUTE_PGM_RSRC2:SCRATCH_EN: 0
; COMPUTE_PGM_RSRC2:USER_SGPR: 2
; COMPUTE_PGM_RSRC2:TRAP_HANDLER: 0
; COMPUTE_PGM_RSRC2:TGID_X_EN: 1
; COMPUTE_PGM_RSRC2:TGID_Y_EN: 0
; COMPUTE_PGM_RSRC2:TGID_Z_EN: 1
; COMPUTE_PGM_RSRC2:TIDIG_COMP_CNT: 0
; COMPUTE_PGM_RSRC3_GFX90A:ACCUM_OFFSET: 14
; COMPUTE_PGM_RSRC3_GFX90A:TG_SPLIT: 0
	.section	.text._ZL31rocblas_trsm_small_right_deviceIddPKPKdPKPdLi20EEv13rocblas_fill_18rocblas_operation_17rocblas_diagonal_iiT0_T1_lilT2_lili,"axG",@progbits,_ZL31rocblas_trsm_small_right_deviceIddPKPKdPKPdLi20EEv13rocblas_fill_18rocblas_operation_17rocblas_diagonal_iiT0_T1_lilT2_lili,comdat
	.globl	_ZL31rocblas_trsm_small_right_deviceIddPKPKdPKPdLi20EEv13rocblas_fill_18rocblas_operation_17rocblas_diagonal_iiT0_T1_lilT2_lili ; -- Begin function _ZL31rocblas_trsm_small_right_deviceIddPKPKdPKPdLi20EEv13rocblas_fill_18rocblas_operation_17rocblas_diagonal_iiT0_T1_lilT2_lili
	.p2align	8
	.type	_ZL31rocblas_trsm_small_right_deviceIddPKPKdPKPdLi20EEv13rocblas_fill_18rocblas_operation_17rocblas_diagonal_iiT0_T1_lilT2_lili,@function
_ZL31rocblas_trsm_small_right_deviceIddPKPKdPKPdLi20EEv13rocblas_fill_18rocblas_operation_17rocblas_diagonal_iiT0_T1_lilT2_lili: ; @_ZL31rocblas_trsm_small_right_deviceIddPKPKdPKPdLi20EEv13rocblas_fill_18rocblas_operation_17rocblas_diagonal_iiT0_T1_lilT2_lili
; %bb.0:
	s_load_dwordx4 s[4:7], s[0:1], 0x0
	s_load_dword s22, s[0:1], 0x10
	s_load_dwordx4 s[12:15], s[0:1], 0x40
	s_load_dwordx4 s[8:11], s[0:1], 0x18
	s_load_dwordx2 s[18:19], s[0:1], 0x28
	s_mov_b32 s16, s3
	s_mov_b32 s17, 0
	s_lshl_b64 s[20:21], s[16:17], 3
	s_waitcnt lgkmcnt(0)
	s_add_u32 s12, s12, s20
	s_addc_u32 s13, s13, s21
	s_load_dwordx2 s[12:13], s[12:13], 0x0
	s_min_i32 s23, s22, 20
	v_cmp_gt_i32_e32 vcc, s23, v0
	s_and_saveexec_b64 s[16:17], vcc
	s_cbranch_execz .LBB91_5
; %bb.1:
	s_load_dword s24, s[0:1], 0x30
	v_lshlrev_b32_e32 v2, 3, v0
	v_mov_b32_e32 v3, 0
	v_mov_b32_e32 v1, v2
	s_mov_b32 s3, s23
	s_waitcnt lgkmcnt(0)
	s_ashr_i32 s25, s24, 31
	s_add_u32 s10, s10, s20
	s_addc_u32 s11, s11, s21
	s_load_dwordx2 s[10:11], s[10:11], 0x0
	s_lshl_b64 s[18:19], s[18:19], 3
	s_waitcnt lgkmcnt(0)
	s_add_u32 s18, s10, s18
	s_addc_u32 s19, s11, s19
	s_lshl_b64 s[10:11], s[24:25], 3
	v_lshl_add_u64 v[4:5], s[18:19], 0, v[2:3]
.LBB91_2:                               ; =>This Inner Loop Header: Depth=1
	flat_load_dwordx2 v[6:7], v[4:5]
	s_add_i32 s3, s3, -1
	v_lshl_add_u64 v[4:5], v[4:5], 0, s[10:11]
	s_cmp_eq_u32 s3, 0
	s_waitcnt vmcnt(0) lgkmcnt(0)
	ds_write_b64 v1, v[6:7]
	v_add_u32_e32 v1, 0xa0, v1
	s_cbranch_scc0 .LBB91_2
; %bb.3:
	s_cmpk_eq_i32 s6, 0x84
	s_cbranch_scc0 .LBB91_5
; %bb.4:
	s_movk_i32 s3, 0xa0
	v_mad_u32_u24 v1, v0, s3, v2
	v_mov_b32_e32 v2, 0
	v_mov_b32_e32 v3, 0x3ff00000
	ds_write_b64 v1, v[2:3]
.LBB91_5:
	s_or_b64 exec, exec, s[16:17]
	s_load_dword s3, s[0:1], 0x68
	s_load_dword s6, s[0:1], 0x50
	s_lshl_b64 s[0:1], s[14:15], 3
	s_waitcnt lgkmcnt(0)
	s_add_u32 s0, s12, s0
	s_mul_i32 s10, s2, 0xffffffec
	s_addc_u32 s1, s13, s1
	s_add_i32 s3, s3, -1
	s_add_i32 s7, s7, s10
	s_cmp_ge_u32 s2, s3
	s_mul_hi_i32 s3, s2, 0xa0
	s_mulk_i32 s2, 0xa0
	s_cselect_b32 s7, s7, 20
	s_add_u32 s2, s0, s2
	s_addc_u32 s3, s1, s3
	v_cmp_gt_i32_e64 s[0:1], s7, v0
	s_and_saveexec_b64 s[10:11], s[0:1]
	s_cbranch_execz .LBB91_9
; %bb.6:
	s_cmp_lt_i32 s22, 1
	s_cbranch_scc1 .LBB91_9
; %bb.7:
	s_ashr_i32 s7, s6, 31
	v_lshlrev_b32_e32 v4, 3, v0
	v_mov_b32_e32 v5, 0
	v_lshl_add_u64 v[2:3], s[2:3], 0, v[4:5]
	s_lshl_b64 s[12:13], s[6:7], 3
	v_add_u32_e32 v1, 0xc80, v4
	s_mov_b32 s7, s22
.LBB91_8:                               ; =>This Inner Loop Header: Depth=1
	flat_load_dwordx2 v[4:5], v[2:3]
	s_add_i32 s7, s7, -1
	v_lshl_add_u64 v[2:3], v[2:3], 0, s[12:13]
	s_cmp_lg_u32 s7, 0
	s_waitcnt vmcnt(0) lgkmcnt(0)
	v_mul_f64 v[4:5], s[8:9], v[4:5]
	ds_write_b64 v1, v[4:5]
	v_add_u32_e32 v1, 0xa0, v1
	s_cbranch_scc1 .LBB91_8
.LBB91_9:
	s_or_b64 exec, exec, s[10:11]
	s_cmpk_eq_i32 s5, 0x6f
	s_cselect_b64 s[10:11], -1, 0
	s_cmpk_lg_i32 s4, 0x79
	s_cselect_b64 s[8:9], -1, 0
	s_cmpk_eq_i32 s4, 0x79
	s_cselect_b64 s[12:13], -1, 0
	s_and_b64 s[12:13], s[12:13], s[10:11]
	s_andn2_b64 vcc, exec, s[12:13]
	s_mov_b64 s[12:13], -1
	s_waitcnt lgkmcnt(0)
	; wave barrier
	s_cbranch_vccz .LBB91_66
; %bb.10:
	s_cmpk_lg_i32 s4, 0x7a
	s_cselect_b64 s[4:5], -1, 0
	s_xor_b64 s[10:11], s[10:11], -1
	s_add_i32 s7, s23, -1
	s_or_b64 s[10:11], s[4:5], s[10:11]
	v_mov_b32_e32 v1, 0xc80
	s_cmp_gt_i32 s22, 3
	v_lshl_add_u32 v1, v0, 3, v1
	s_cselect_b64 s[4:5], -1, 0
	s_and_b64 vcc, exec, s[10:11]
	s_cbranch_vccz .LBB91_45
; %bb.11:
	s_andn2_b64 vcc, exec, s[8:9]
	s_mov_b64 s[8:9], -1
	s_cbranch_vccnz .LBB91_24
; %bb.12:
	s_andn2_b64 vcc, exec, s[4:5]
	s_mov_b32 s10, 0
	s_cbranch_vccnz .LBB91_18
; %bb.13:
	v_mov_b32_e32 v2, 0xc80
	v_lshl_add_u32 v10, v0, 3, v2
	s_mov_b32 s8, 0
	s_mov_b32 s9, 0
.LBB91_14:                              ; =>This Loop Header: Depth=1
                                        ;     Child Loop BB91_15 Depth 2
	s_or_b32 s11, s9, 3
	s_mul_i32 s10, s9, 0xa0
	v_add_u32_e32 v12, s10, v1
	s_mulk_i32 s11, 0xa0
	ds_read2_b64 v[2:5], v12 offset1:20
	v_add_u32_e32 v11, s11, v1
	ds_read_b64 v[8:9], v12 offset:320
	ds_read_b64 v[6:7], v11
	s_cmp_eq_u32 s9, 0
	v_mov_b32_e32 v13, v10
	s_mov_b32 s11, s8
	s_mov_b32 s12, s9
	s_cbranch_scc1 .LBB91_16
.LBB91_15:                              ;   Parent Loop BB91_14 Depth=1
                                        ; =>  This Inner Loop Header: Depth=2
	v_mov_b32_e32 v18, s11
	ds_read_b64 v[22:23], v13
	ds_read_b128 v[14:17], v18
	ds_read_b128 v[18:21], v18 offset:16
	s_add_i32 s12, s12, -1
	s_addk_i32 s11, 0xa0
	v_add_u32_e32 v13, 0xa0, v13
	s_cmp_eq_u32 s12, 0
	s_waitcnt lgkmcnt(1)
	v_fma_f64 v[2:3], -v[22:23], v[14:15], v[2:3]
	v_fma_f64 v[4:5], -v[22:23], v[16:17], v[4:5]
	s_waitcnt lgkmcnt(0)
	v_fma_f64 v[8:9], -v[22:23], v[18:19], v[8:9]
	v_fma_f64 v[6:7], -v[22:23], v[20:21], v[6:7]
	s_cbranch_scc0 .LBB91_15
.LBB91_16:                              ;   in Loop: Header=BB91_14 Depth=1
	s_lshl_b32 s12, s9, 3
	s_add_i32 s13, s12, s10
	v_mov_b32_e32 v13, s13
	ds_read_b128 v[14:17], v13
	ds_read_b128 v[18:21], v13 offset:16
	ds_read2_b64 v[22:25], v13 offset0:21 offset1:22
	ds_read_b128 v[26:29], v13 offset:336
	s_addk_i32 s13, 0xa8
	s_add_i32 s8, s8, 32
	s_waitcnt lgkmcnt(3)
	v_div_scale_f64 v[30:31], s[10:11], v[14:15], v[14:15], v[2:3]
	v_rcp_f64_e32 v[32:33], v[30:31]
	v_div_scale_f64 v[34:35], vcc, v[2:3], v[14:15], v[2:3]
	v_fma_f64 v[36:37], -v[30:31], v[32:33], 1.0
	v_fmac_f64_e32 v[32:33], v[32:33], v[36:37]
	v_fma_f64 v[36:37], -v[30:31], v[32:33], 1.0
	v_fmac_f64_e32 v[32:33], v[32:33], v[36:37]
	v_mul_f64 v[36:37], v[34:35], v[32:33]
	v_fma_f64 v[30:31], -v[30:31], v[36:37], v[34:35]
	v_div_fmas_f64 v[30:31], v[30:31], v[32:33], v[36:37]
	v_div_fixup_f64 v[2:3], v[30:31], v[14:15], v[2:3]
	v_fma_f64 v[4:5], -v[2:3], v[16:17], v[4:5]
	s_waitcnt lgkmcnt(1)
	v_div_scale_f64 v[14:15], s[10:11], v[22:23], v[22:23], v[4:5]
	v_rcp_f64_e32 v[16:17], v[14:15]
	v_fma_f64 v[8:9], -v[2:3], v[18:19], v[8:9]
	v_fma_f64 v[6:7], -v[2:3], v[20:21], v[6:7]
	v_fma_f64 v[30:31], -v[14:15], v[16:17], 1.0
	v_fmac_f64_e32 v[16:17], v[16:17], v[30:31]
	v_fma_f64 v[30:31], -v[14:15], v[16:17], 1.0
	v_fmac_f64_e32 v[16:17], v[16:17], v[30:31]
	v_div_scale_f64 v[30:31], vcc, v[4:5], v[22:23], v[4:5]
	v_mul_f64 v[32:33], v[30:31], v[16:17]
	v_fma_f64 v[14:15], -v[14:15], v[32:33], v[30:31]
	s_nop 1
	v_div_fmas_f64 v[14:15], v[14:15], v[16:17], v[32:33]
	v_div_fixup_f64 v[4:5], v[14:15], v[22:23], v[4:5]
	v_fma_f64 v[8:9], -v[4:5], v[24:25], v[8:9]
	s_waitcnt lgkmcnt(0)
	v_div_scale_f64 v[14:15], s[10:11], v[26:27], v[26:27], v[8:9]
	v_rcp_f64_e32 v[16:17], v[14:15]
	s_or_b32 s10, s12, 8
	s_sub_i32 s10, s13, s10
	s_add_i32 s10, s10, s12
	v_fma_f64 v[18:19], -v[14:15], v[16:17], 1.0
	v_fmac_f64_e32 v[16:17], v[16:17], v[18:19]
	v_fma_f64 v[18:19], -v[14:15], v[16:17], 1.0
	v_fmac_f64_e32 v[16:17], v[16:17], v[18:19]
	v_div_scale_f64 v[18:19], vcc, v[8:9], v[26:27], v[8:9]
	v_mul_f64 v[22:23], v[18:19], v[16:17]
	v_fma_f64 v[14:15], -v[14:15], v[22:23], v[18:19]
	v_mov_b32_e32 v18, s10
	ds_read_b64 v[18:19], v18 offset:24
	v_div_fmas_f64 v[14:15], v[14:15], v[16:17], v[22:23]
	v_div_fixup_f64 v[8:9], v[14:15], v[26:27], v[8:9]
	ds_read_b64 v[14:15], v13 offset:504
	ds_write2_b64 v12, v[2:3], v[4:5] offset1:20
	ds_write_b64 v12, v[8:9] offset:320
	s_waitcnt lgkmcnt(3)
	v_fma_f64 v[6:7], -v[4:5], v[18:19], v[6:7]
	v_fma_f64 v[6:7], -v[8:9], v[28:29], v[6:7]
	s_waitcnt lgkmcnt(2)
	v_div_scale_f64 v[16:17], s[10:11], v[14:15], v[14:15], v[6:7]
	v_rcp_f64_e32 v[18:19], v[16:17]
	s_add_i32 s10, s9, 4
	s_add_i32 s9, s9, 7
	s_cmp_ge_i32 s9, s23
	v_fma_f64 v[2:3], -v[16:17], v[18:19], 1.0
	v_fmac_f64_e32 v[18:19], v[18:19], v[2:3]
	v_fma_f64 v[2:3], -v[16:17], v[18:19], 1.0
	v_fmac_f64_e32 v[18:19], v[18:19], v[2:3]
	v_div_scale_f64 v[2:3], vcc, v[6:7], v[14:15], v[6:7]
	v_mul_f64 v[4:5], v[2:3], v[18:19]
	v_fma_f64 v[2:3], -v[16:17], v[4:5], v[2:3]
	s_nop 1
	v_div_fmas_f64 v[2:3], v[2:3], v[18:19], v[4:5]
	v_div_fixup_f64 v[2:3], v[2:3], v[14:15], v[6:7]
	ds_write_b64 v11, v[2:3]
	s_cbranch_scc1 .LBB91_18
; %bb.17:                               ;   in Loop: Header=BB91_14 Depth=1
	s_mov_b32 s9, s10
	s_branch .LBB91_14
.LBB91_18:
	s_cmp_ge_i32 s10, s23
	s_cbranch_scc1 .LBB91_23
; %bb.19:
	v_mov_b32_e32 v2, 0xc80
	s_lshl_b32 s8, s10, 3
	v_lshl_add_u32 v4, v0, 3, v2
	s_branch .LBB91_21
.LBB91_20:                              ;   in Loop: Header=BB91_21 Depth=1
	s_lshl_b32 s11, s10, 3
	s_add_i32 s9, s11, s9
	v_mov_b32_e32 v6, s9
	ds_read_b64 v[6:7], v6
	s_add_i32 s10, s10, 1
	s_add_i32 s8, s8, 8
	s_cmp_ge_i32 s10, s23
	s_waitcnt lgkmcnt(0)
	v_div_scale_f64 v[8:9], s[12:13], v[6:7], v[6:7], v[2:3]
	v_rcp_f64_e32 v[10:11], v[8:9]
	v_div_scale_f64 v[12:13], vcc, v[2:3], v[6:7], v[2:3]
	v_fma_f64 v[14:15], -v[8:9], v[10:11], 1.0
	v_fmac_f64_e32 v[10:11], v[10:11], v[14:15]
	v_fma_f64 v[14:15], -v[8:9], v[10:11], 1.0
	v_fmac_f64_e32 v[10:11], v[10:11], v[14:15]
	v_mul_f64 v[14:15], v[12:13], v[10:11]
	v_fma_f64 v[8:9], -v[8:9], v[14:15], v[12:13]
	v_div_fmas_f64 v[8:9], v[8:9], v[10:11], v[14:15]
	v_div_fixup_f64 v[2:3], v[8:9], v[6:7], v[2:3]
	ds_write_b64 v5, v[2:3]
	s_cbranch_scc1 .LBB91_23
.LBB91_21:                              ; =>This Loop Header: Depth=1
                                        ;     Child Loop BB91_22 Depth 2
	s_mul_i32 s9, s10, 0xa0
	v_add_u32_e32 v5, s9, v1
	ds_read_b64 v[2:3], v5
	s_cmp_eq_u32 s10, 0
	v_mov_b32_e32 v6, v4
	s_mov_b32 s11, s8
	s_mov_b32 s12, s10
	s_cbranch_scc1 .LBB91_20
.LBB91_22:                              ;   Parent Loop BB91_21 Depth=1
                                        ; =>  This Inner Loop Header: Depth=2
	v_mov_b32_e32 v7, s11
	ds_read_b64 v[8:9], v6
	ds_read_b64 v[10:11], v7
	s_add_i32 s12, s12, -1
	s_addk_i32 s11, 0xa0
	v_add_u32_e32 v6, 0xa0, v6
	s_cmp_eq_u32 s12, 0
	s_waitcnt lgkmcnt(0)
	v_fma_f64 v[2:3], -v[8:9], v[10:11], v[2:3]
	s_cbranch_scc0 .LBB91_22
	s_branch .LBB91_20
.LBB91_23:
	s_mov_b64 s[8:9], 0
.LBB91_24:
	s_and_b64 vcc, exec, s[8:9]
	s_cbranch_vccz .LBB91_44
; %bb.25:
	s_andn2_b64 vcc, exec, s[4:5]
	s_mov_b32 s10, s7
	s_cbranch_vccnz .LBB91_31
; %bb.26:
	s_mul_i32 s9, s23, 0xa0
	s_mul_i32 s8, s23, 0xa8
	v_lshl_add_u32 v2, v0, 3, s9
	s_addk_i32 s8, 0xff40
	v_add_u32_e32 v10, 0xbe0, v2
	s_mov_b32 s9, s7
.LBB91_27:                              ; =>This Loop Header: Depth=1
                                        ;     Child Loop BB91_28 Depth 2
	s_mul_i32 s10, s9, 0xa0
	v_add_u32_e32 v12, s10, v1
	s_add_i32 s11, s10, 0xfffffe20
	v_add_u32_e32 v13, 0xffffff60, v12
	v_add_u32_e32 v14, 0xfffffec0, v12
	;; [unrolled: 1-line block ×3, first 2 shown]
	ds_read_b64 v[8:9], v12
	ds_read_b64 v[6:7], v13
	ds_read_b64 v[4:5], v14
	ds_read_b64 v[2:3], v11
	s_cmp_le_i32 s7, s9
	v_mov_b32_e32 v15, v10
	s_mov_b32 s12, s8
	s_mov_b32 s13, s7
	s_cbranch_scc1 .LBB91_29
.LBB91_28:                              ;   Parent Loop BB91_27 Depth=1
                                        ; =>  This Inner Loop Header: Depth=2
	v_mov_b32_e32 v20, s12
	ds_read_b64 v[24:25], v15
	ds_read2_b64 v[16:19], v20 offset0:2 offset1:3
	ds_read2_b64 v[20:23], v20 offset1:1
	s_add_i32 s13, s13, -1
	s_addk_i32 s12, 0xff60
	v_add_u32_e32 v15, 0xffffff60, v15
	s_cmp_le_i32 s13, s9
	s_waitcnt lgkmcnt(1)
	v_fma_f64 v[8:9], -v[24:25], v[18:19], v[8:9]
	v_fma_f64 v[6:7], -v[24:25], v[16:17], v[6:7]
	s_waitcnt lgkmcnt(0)
	v_fma_f64 v[4:5], -v[24:25], v[22:23], v[4:5]
	v_fma_f64 v[2:3], -v[24:25], v[20:21], v[2:3]
	s_cbranch_scc0 .LBB91_28
.LBB91_29:                              ;   in Loop: Header=BB91_27 Depth=1
	s_lshl_b32 s13, s9, 3
	s_add_i32 s16, s13, s10
	s_add_i32 s14, s16, -8
	v_mov_b32_e32 v15, s14
	ds_read2_b64 v[16:19], v15 offset1:1
	s_add_i32 s14, s16, 0xffffff58
	v_mov_b32_e32 v15, s14
	ds_read_b64 v[20:21], v15
	s_add_i32 s12, s9, -3
	s_waitcnt lgkmcnt(1)
	v_div_scale_f64 v[22:23], s[14:15], v[18:19], v[18:19], v[8:9]
	v_rcp_f64_e32 v[24:25], v[22:23]
	v_div_scale_f64 v[26:27], vcc, v[8:9], v[18:19], v[8:9]
	s_add_i32 s13, s13, s11
	v_fma_f64 v[28:29], -v[22:23], v[24:25], 1.0
	v_fmac_f64_e32 v[24:25], v[24:25], v[28:29]
	v_fma_f64 v[28:29], -v[22:23], v[24:25], 1.0
	v_fmac_f64_e32 v[24:25], v[24:25], v[28:29]
	v_mul_f64 v[28:29], v[26:27], v[24:25]
	v_fma_f64 v[22:23], -v[22:23], v[28:29], v[26:27]
	v_div_fmas_f64 v[22:23], v[22:23], v[24:25], v[28:29]
	v_div_fixup_f64 v[22:23], v[22:23], v[18:19], v[8:9]
	v_fma_f64 v[24:25], -v[22:23], v[16:17], v[6:7]
	s_waitcnt lgkmcnt(0)
	v_div_scale_f64 v[6:7], s[14:15], v[20:21], v[20:21], v[24:25]
	v_rcp_f64_e32 v[26:27], v[6:7]
	s_sub_i32 s11, s16, 24
	s_sub_i32 s8, s8, 32
	v_fma_f64 v[8:9], -v[6:7], v[26:27], 1.0
	v_fmac_f64_e32 v[26:27], v[26:27], v[8:9]
	v_fma_f64 v[8:9], -v[6:7], v[26:27], 1.0
	v_fmac_f64_e32 v[26:27], v[26:27], v[8:9]
	v_div_scale_f64 v[8:9], vcc, v[24:25], v[20:21], v[24:25]
	v_mul_f64 v[28:29], v[8:9], v[26:27]
	v_fma_f64 v[30:31], -v[6:7], v[28:29], v[8:9]
	v_mov_b32_e32 v6, s11
	s_lshl_b32 s11, s12, 3
	s_add_i32 s10, s10, s11
	s_add_i32 s11, s10, 0xffffff60
	v_mov_b32_e32 v15, s11
	ds_read2_b64 v[6:9], v6 offset1:1
	ds_read2_b64 v[16:19], v15 offset1:1
	v_div_fmas_f64 v[26:27], v[30:31], v[26:27], v[28:29]
	s_addk_i32 s10, 0xfec0
	v_div_fixup_f64 v[24:25], v[26:27], v[20:21], v[24:25]
	s_waitcnt lgkmcnt(1)
	v_fma_f64 v[4:5], -v[22:23], v[8:9], v[4:5]
	v_mov_b32_e32 v8, s10
	s_waitcnt lgkmcnt(0)
	v_fma_f64 v[4:5], -v[24:25], v[18:19], v[4:5]
	ds_read2_b64 v[18:21], v8 offset1:1
	s_sub_i32 s10, s13, 24
	v_mov_b32_e32 v8, s10
	ds_read_b64 v[8:9], v8
	v_fma_f64 v[2:3], -v[22:23], v[6:7], v[2:3]
	s_waitcnt lgkmcnt(1)
	v_div_scale_f64 v[26:27], s[10:11], v[20:21], v[20:21], v[4:5]
	v_rcp_f64_e32 v[28:29], v[26:27]
	v_fma_f64 v[2:3], -v[24:25], v[16:17], v[2:3]
	v_fma_f64 v[30:31], -v[26:27], v[28:29], 1.0
	v_fmac_f64_e32 v[28:29], v[28:29], v[30:31]
	v_fma_f64 v[30:31], -v[26:27], v[28:29], 1.0
	v_fmac_f64_e32 v[28:29], v[28:29], v[30:31]
	v_div_scale_f64 v[30:31], vcc, v[4:5], v[20:21], v[4:5]
	v_mul_f64 v[32:33], v[30:31], v[28:29]
	v_fma_f64 v[26:27], -v[26:27], v[32:33], v[30:31]
	s_nop 1
	v_div_fmas_f64 v[26:27], v[26:27], v[28:29], v[32:33]
	v_div_fixup_f64 v[4:5], v[26:27], v[20:21], v[4:5]
	v_fma_f64 v[2:3], -v[4:5], v[18:19], v[2:3]
	s_waitcnt lgkmcnt(0)
	v_div_scale_f64 v[6:7], s[10:11], v[8:9], v[8:9], v[2:3]
	v_rcp_f64_e32 v[16:17], v[6:7]
	ds_write_b64 v12, v[22:23]
	ds_write_b64 v13, v[24:25]
	;; [unrolled: 1-line block ×3, first 2 shown]
	s_add_i32 s10, s9, -4
	s_cmp_lt_i32 s9, 7
	v_fma_f64 v[4:5], -v[6:7], v[16:17], 1.0
	v_fmac_f64_e32 v[16:17], v[16:17], v[4:5]
	v_fma_f64 v[4:5], -v[6:7], v[16:17], 1.0
	v_fmac_f64_e32 v[16:17], v[16:17], v[4:5]
	v_div_scale_f64 v[4:5], vcc, v[2:3], v[8:9], v[2:3]
	v_mul_f64 v[12:13], v[4:5], v[16:17]
	v_fma_f64 v[4:5], -v[6:7], v[12:13], v[4:5]
	s_nop 1
	v_div_fmas_f64 v[4:5], v[4:5], v[16:17], v[12:13]
	v_div_fixup_f64 v[2:3], v[4:5], v[8:9], v[2:3]
	ds_write_b64 v11, v[2:3]
	s_cbranch_scc1 .LBB91_31
; %bb.30:                               ;   in Loop: Header=BB91_27 Depth=1
	s_mov_b32 s9, s10
	s_branch .LBB91_27
.LBB91_31:
	s_cmp_lt_i32 s10, 0
	s_cbranch_scc1 .LBB91_44
; %bb.32:
	s_bitcmp1_b32 s10, 0
	s_cselect_b64 s[8:9], -1, 0
	s_and_b64 vcc, exec, s[8:9]
	s_mov_b32 s8, s10
	s_cbranch_vccnz .LBB91_37
; %bb.33:
	s_mul_i32 s8, s10, 0xa0
	v_add_u32_e32 v4, s8, v1
	ds_read_b64 v[2:3], v4
	s_cmp_le_i32 s7, s10
	s_cbranch_scc1 .LBB91_36
; %bb.34:
	s_mul_i32 s11, s23, 0xa0
	s_lshl_b32 s9, s10, 3
	s_add_i32 s9, s11, s9
	v_lshl_add_u32 v5, v0, 3, s11
	s_addk_i32 s9, 0xff60
	v_add_u32_e32 v5, 0xbe0, v5
	s_mov_b32 s11, s7
.LBB91_35:                              ; =>This Inner Loop Header: Depth=1
	v_mov_b32_e32 v8, s9
	ds_read_b64 v[6:7], v5
	ds_read_b64 v[8:9], v8
	s_add_i32 s11, s11, -1
	s_addk_i32 s9, 0xff60
	v_add_u32_e32 v5, 0xffffff60, v5
	s_cmp_gt_u32 s11, s10
	s_waitcnt lgkmcnt(0)
	v_fma_f64 v[2:3], -v[6:7], v[8:9], v[2:3]
	s_cbranch_scc1 .LBB91_35
.LBB91_36:
	s_lshl_b32 s9, s10, 3
	s_add_i32 s8, s9, s8
	v_mov_b32_e32 v5, s8
	ds_read_b64 v[6:7], v5
	s_waitcnt lgkmcnt(0)
	v_div_scale_f64 v[8:9], s[8:9], v[6:7], v[6:7], v[2:3]
	v_rcp_f64_e32 v[10:11], v[8:9]
	v_div_scale_f64 v[12:13], vcc, v[2:3], v[6:7], v[2:3]
	s_add_i32 s8, s10, -1
	v_fma_f64 v[14:15], -v[8:9], v[10:11], 1.0
	v_fmac_f64_e32 v[10:11], v[10:11], v[14:15]
	v_fma_f64 v[14:15], -v[8:9], v[10:11], 1.0
	v_fmac_f64_e32 v[10:11], v[10:11], v[14:15]
	v_mul_f64 v[14:15], v[12:13], v[10:11]
	v_fma_f64 v[8:9], -v[8:9], v[14:15], v[12:13]
	v_div_fmas_f64 v[8:9], v[8:9], v[10:11], v[14:15]
	v_div_fixup_f64 v[2:3], v[8:9], v[6:7], v[2:3]
	ds_write_b64 v4, v[2:3]
.LBB91_37:
	s_cmp_eq_u32 s10, 0
	s_cbranch_scc1 .LBB91_44
; %bb.38:
	s_mul_i32 s10, s23, 0xa0
	s_lshl_b32 s9, s8, 3
	s_add_i32 s11, s10, s9
	v_lshl_add_u32 v2, v0, 3, s10
	s_add_i32 s9, s11, 0xffffff60
	v_add_u32_e32 v6, 0xbe0, v2
	s_add_i32 s10, s11, 0xffffff58
	s_branch .LBB91_40
.LBB91_39:                              ;   in Loop: Header=BB91_40 Depth=1
	s_mul_i32 s13, s12, 0xa0
	s_add_i32 s11, s11, s13
	s_add_i32 s11, s11, -8
	v_mov_b32_e32 v4, s11
	ds_read_b64 v[4:5], v4
	s_add_i32 s8, s8, -2
	s_add_i32 s9, s9, -16
	;; [unrolled: 1-line block ×3, first 2 shown]
	s_cmp_eq_u32 s12, 0
	s_waitcnt lgkmcnt(0)
	v_div_scale_f64 v[8:9], s[14:15], v[4:5], v[4:5], v[2:3]
	v_rcp_f64_e32 v[10:11], v[8:9]
	v_div_scale_f64 v[12:13], vcc, v[2:3], v[4:5], v[2:3]
	v_fma_f64 v[14:15], -v[8:9], v[10:11], 1.0
	v_fmac_f64_e32 v[10:11], v[10:11], v[14:15]
	v_fma_f64 v[14:15], -v[8:9], v[10:11], 1.0
	v_fmac_f64_e32 v[10:11], v[10:11], v[14:15]
	v_mul_f64 v[14:15], v[12:13], v[10:11]
	v_fma_f64 v[8:9], -v[8:9], v[14:15], v[12:13]
	v_div_fmas_f64 v[8:9], v[8:9], v[10:11], v[14:15]
	v_div_fixup_f64 v[2:3], v[8:9], v[4:5], v[2:3]
	ds_write_b64 v7, v[2:3]
	s_cbranch_scc1 .LBB91_44
.LBB91_40:                              ; =>This Loop Header: Depth=1
                                        ;     Child Loop BB91_41 Depth 2
                                        ;     Child Loop BB91_43 Depth 2
	s_mul_i32 s12, s8, 0xa0
	v_add_u32_e32 v8, s12, v1
	ds_read_b64 v[4:5], v8
	s_cmp_le_i32 s7, s8
	v_mov_b32_e32 v2, v6
	s_mov_b32 s11, s9
	s_mov_b32 s13, s7
	s_cbranch_scc1 .LBB91_42
.LBB91_41:                              ;   Parent Loop BB91_40 Depth=1
                                        ; =>  This Inner Loop Header: Depth=2
	v_mov_b32_e32 v3, s11
	ds_read_b64 v[10:11], v2
	ds_read_b64 v[12:13], v3
	s_add_i32 s13, s13, -1
	s_addk_i32 s11, 0xff60
	v_add_u32_e32 v2, 0xffffff60, v2
	s_cmp_le_u32 s13, s8
	s_waitcnt lgkmcnt(0)
	v_fma_f64 v[4:5], -v[10:11], v[12:13], v[4:5]
	s_cbranch_scc0 .LBB91_41
.LBB91_42:                              ;   in Loop: Header=BB91_40 Depth=1
	s_lshl_b32 s11, s8, 3
	s_add_i32 s13, s11, s12
	v_mov_b32_e32 v2, s13
	ds_read_b64 v[10:11], v2
	s_addk_i32 s12, 0xff60
	v_add_u32_e32 v7, s12, v1
	ds_read_b64 v[2:3], v7
	s_mov_b32 s14, s7
	s_waitcnt lgkmcnt(1)
	v_div_scale_f64 v[12:13], s[12:13], v[10:11], v[10:11], v[4:5]
	v_rcp_f64_e32 v[14:15], v[12:13]
	v_div_scale_f64 v[16:17], vcc, v[4:5], v[10:11], v[4:5]
	s_add_i32 s12, s8, -1
	v_fma_f64 v[18:19], -v[12:13], v[14:15], 1.0
	v_fmac_f64_e32 v[14:15], v[14:15], v[18:19]
	v_fma_f64 v[18:19], -v[12:13], v[14:15], 1.0
	v_fmac_f64_e32 v[14:15], v[14:15], v[18:19]
	v_mul_f64 v[18:19], v[16:17], v[14:15]
	v_fma_f64 v[12:13], -v[12:13], v[18:19], v[16:17]
	v_div_fmas_f64 v[12:13], v[12:13], v[14:15], v[18:19]
	v_div_fixup_f64 v[4:5], v[12:13], v[10:11], v[4:5]
	ds_write_b64 v8, v[4:5]
	s_cmp_le_i32 s23, s8
	v_mov_b32_e32 v4, v6
	s_mov_b32 s13, s10
	s_cbranch_scc1 .LBB91_39
.LBB91_43:                              ;   Parent Loop BB91_40 Depth=1
                                        ; =>  This Inner Loop Header: Depth=2
	v_mov_b32_e32 v5, s13
	ds_read_b64 v[8:9], v4
	ds_read_b64 v[10:11], v5
	s_add_i32 s14, s14, -1
	s_addk_i32 s13, 0xff60
	v_add_u32_e32 v4, 0xffffff60, v4
	s_cmp_gt_u32 s14, s12
	s_waitcnt lgkmcnt(0)
	v_fma_f64 v[2:3], -v[8:9], v[10:11], v[2:3]
	s_cbranch_scc1 .LBB91_43
	s_branch .LBB91_39
.LBB91_44:
	s_mov_b64 s[12:13], 0
.LBB91_45:
	s_andn2_b64 vcc, exec, s[12:13]
	s_cbranch_vccnz .LBB91_65
; %bb.46:
	s_andn2_b64 vcc, exec, s[4:5]
	s_mov_b32 s8, s7
	s_cbranch_vccnz .LBB91_52
; %bb.47:
	s_mul_i32 s4, s23, 0xa0
	v_lshl_add_u32 v2, v0, 3, s4
	s_mul_i32 s4, s23, 0xa8
	v_add_u32_e32 v10, 0xbe0, v2
	s_addk_i32 s4, 0xfd78
	s_mov_b32 s5, s7
.LBB91_48:                              ; =>This Loop Header: Depth=1
                                        ;     Child Loop BB91_49 Depth 2
	s_mul_i32 s8, s5, 20
	v_lshl_add_u32 v12, s8, 3, v1
	v_add_u32_e32 v13, 0xffffff60, v12
	v_add_u32_e32 v14, 0xfffffec0, v12
	v_add_u32_e32 v11, 0xfffffe20, v12
	ds_read_b64 v[8:9], v12
	ds_read_b64 v[6:7], v13
	;; [unrolled: 1-line block ×4, first 2 shown]
	s_cmp_le_i32 s7, s5
	s_mov_b32 s9, s4
	v_mov_b32_e32 v15, v10
	s_mov_b32 s10, s7
	s_cbranch_scc1 .LBB91_50
.LBB91_49:                              ;   Parent Loop BB91_48 Depth=1
                                        ; =>  This Inner Loop Header: Depth=2
	v_mov_b32_e32 v20, s9
	ds_read_b64 v[24:25], v15
	ds_read2_b64 v[16:19], v20 offset0:40 offset1:60
	ds_read2_b64 v[20:23], v20 offset1:20
	s_add_i32 s10, s10, -1
	s_add_i32 s9, s9, -8
	v_add_u32_e32 v15, 0xffffff60, v15
	s_cmp_le_i32 s10, s5
	s_waitcnt lgkmcnt(1)
	v_fma_f64 v[8:9], -v[24:25], v[18:19], v[8:9]
	v_fma_f64 v[6:7], -v[24:25], v[16:17], v[6:7]
	s_waitcnt lgkmcnt(0)
	v_fma_f64 v[4:5], -v[24:25], v[22:23], v[4:5]
	v_fma_f64 v[2:3], -v[24:25], v[20:21], v[2:3]
	s_cbranch_scc0 .LBB91_49
.LBB91_50:                              ;   in Loop: Header=BB91_48 Depth=1
	s_mul_i32 s9, s5, 0xa8
	v_mov_b32_e32 v15, s9
	ds_read_b64 v[20:21], v15
	s_lshl_b32 s8, s8, 3
	s_lshl_b32 s9, s5, 3
	s_add_i32 s10, s8, s9
	s_add_i32 s8, s10, 0xffffff58
	v_mov_b32_e32 v15, s8
	s_waitcnt lgkmcnt(0)
	v_div_scale_f64 v[22:23], s[8:9], v[20:21], v[20:21], v[8:9]
	v_rcp_f64_e32 v[24:25], v[22:23]
	ds_read2_b64 v[16:19], v15 offset1:1
	s_addk_i32 s4, 0xfd80
	v_fma_f64 v[26:27], -v[22:23], v[24:25], 1.0
	v_fmac_f64_e32 v[24:25], v[24:25], v[26:27]
	v_fma_f64 v[26:27], -v[22:23], v[24:25], 1.0
	v_fmac_f64_e32 v[24:25], v[24:25], v[26:27]
	v_div_scale_f64 v[26:27], vcc, v[8:9], v[20:21], v[8:9]
	v_mul_f64 v[28:29], v[26:27], v[24:25]
	v_fma_f64 v[22:23], -v[22:23], v[28:29], v[26:27]
	s_nop 1
	v_div_fmas_f64 v[22:23], v[22:23], v[24:25], v[28:29]
	v_div_fixup_f64 v[24:25], v[22:23], v[20:21], v[8:9]
	s_waitcnt lgkmcnt(0)
	v_fma_f64 v[18:19], -v[24:25], v[18:19], v[6:7]
	v_div_scale_f64 v[6:7], s[8:9], v[16:17], v[16:17], v[18:19]
	v_rcp_f64_e32 v[20:21], v[6:7]
	s_add_i32 s8, s10, 0xfffffec0
	v_fma_f64 v[8:9], -v[6:7], v[20:21], 1.0
	v_fmac_f64_e32 v[20:21], v[20:21], v[8:9]
	v_fma_f64 v[8:9], -v[6:7], v[20:21], 1.0
	v_fmac_f64_e32 v[20:21], v[20:21], v[8:9]
	v_div_scale_f64 v[8:9], vcc, v[18:19], v[16:17], v[18:19]
	v_mul_f64 v[22:23], v[8:9], v[20:21]
	v_fma_f64 v[26:27], -v[6:7], v[22:23], v[8:9]
	v_mov_b32_e32 v6, s8
	s_add_i32 s8, s10, 0xfffffeb0
	v_mov_b32_e32 v7, s8
	ds_read_b64 v[28:29], v6
	ds_read2_b64 v[6:9], v7 offset1:1
	v_div_fmas_f64 v[20:21], v[26:27], v[20:21], v[22:23]
	v_div_fixup_f64 v[26:27], v[20:21], v[16:17], v[18:19]
	s_waitcnt lgkmcnt(1)
	v_fma_f64 v[4:5], -v[24:25], v[28:29], v[4:5]
	s_waitcnt lgkmcnt(0)
	v_fma_f64 v[4:5], -v[26:27], v[8:9], v[4:5]
	v_div_scale_f64 v[8:9], s[8:9], v[6:7], v[6:7], v[4:5]
	v_rcp_f64_e32 v[28:29], v[8:9]
	s_add_i32 s8, s10, 0xfffffe18
	v_mov_b32_e32 v15, s8
	s_add_i32 s8, s10, 0xfffffe08
	v_fma_f64 v[16:17], -v[8:9], v[28:29], 1.0
	v_fmac_f64_e32 v[28:29], v[28:29], v[16:17]
	v_fma_f64 v[16:17], -v[8:9], v[28:29], 1.0
	v_fmac_f64_e32 v[28:29], v[28:29], v[16:17]
	v_div_scale_f64 v[16:17], vcc, v[4:5], v[6:7], v[4:5]
	v_mul_f64 v[30:31], v[16:17], v[28:29]
	v_mov_b32_e32 v20, s8
	v_fma_f64 v[8:9], -v[8:9], v[30:31], v[16:17]
	ds_read2_b64 v[16:19], v15 offset1:1
	ds_read2_b64 v[20:23], v20 offset1:1
	v_div_fmas_f64 v[8:9], v[8:9], v[28:29], v[30:31]
	v_div_fixup_f64 v[4:5], v[8:9], v[6:7], v[4:5]
	ds_write_b64 v12, v[24:25]
	ds_write_b64 v13, v[26:27]
	;; [unrolled: 1-line block ×3, first 2 shown]
	s_waitcnt lgkmcnt(4)
	v_fma_f64 v[2:3], -v[24:25], v[18:19], v[2:3]
	v_fma_f64 v[2:3], -v[26:27], v[16:17], v[2:3]
	s_waitcnt lgkmcnt(3)
	v_fma_f64 v[2:3], -v[4:5], v[22:23], v[2:3]
	v_div_scale_f64 v[6:7], s[8:9], v[20:21], v[20:21], v[2:3]
	v_rcp_f64_e32 v[8:9], v[6:7]
	s_add_i32 s8, s5, -4
	s_cmp_lt_i32 s5, 7
	v_fma_f64 v[4:5], -v[6:7], v[8:9], 1.0
	v_fmac_f64_e32 v[8:9], v[8:9], v[4:5]
	v_fma_f64 v[4:5], -v[6:7], v[8:9], 1.0
	v_fmac_f64_e32 v[8:9], v[8:9], v[4:5]
	v_div_scale_f64 v[4:5], vcc, v[2:3], v[20:21], v[2:3]
	v_mul_f64 v[12:13], v[4:5], v[8:9]
	v_fma_f64 v[4:5], -v[6:7], v[12:13], v[4:5]
	s_nop 1
	v_div_fmas_f64 v[4:5], v[4:5], v[8:9], v[12:13]
	v_div_fixup_f64 v[2:3], v[4:5], v[20:21], v[2:3]
	ds_write_b64 v11, v[2:3]
	s_cbranch_scc1 .LBB91_52
; %bb.51:                               ;   in Loop: Header=BB91_48 Depth=1
	s_mov_b32 s5, s8
	s_branch .LBB91_48
.LBB91_52:
	s_cmp_lt_i32 s8, 0
	s_cbranch_scc1 .LBB91_65
; %bb.53:
	s_bitcmp1_b32 s8, 0
	s_cselect_b64 s[4:5], -1, 0
	s_and_b64 vcc, exec, s[4:5]
	s_mov_b32 s4, s8
	s_cbranch_vccnz .LBB91_58
; %bb.54:
	s_mul_i32 s4, s8, 0xa0
	v_add_u32_e32 v4, s4, v1
	ds_read_b64 v[2:3], v4
	s_cmp_le_i32 s7, s8
	s_cbranch_scc1 .LBB91_57
; %bb.55:
	s_lshl_b32 s5, s23, 3
	s_add_i32 s4, s4, s5
	s_mul_i32 s5, s23, 0xa0
	v_lshl_add_u32 v5, v0, 3, s5
	s_add_i32 s4, s4, -8
	v_add_u32_e32 v5, 0xbe0, v5
	s_mov_b32 s5, s7
.LBB91_56:                              ; =>This Inner Loop Header: Depth=1
	v_mov_b32_e32 v8, s4
	ds_read_b64 v[6:7], v5
	ds_read_b64 v[8:9], v8
	s_add_i32 s5, s5, -1
	s_add_i32 s4, s4, -8
	v_add_u32_e32 v5, 0xffffff60, v5
	s_cmp_gt_u32 s5, s8
	s_waitcnt lgkmcnt(0)
	v_fma_f64 v[2:3], -v[6:7], v[8:9], v[2:3]
	s_cbranch_scc1 .LBB91_56
.LBB91_57:
	s_mul_i32 s4, s8, 0xa8
	v_mov_b32_e32 v5, s4
	ds_read_b64 v[6:7], v5
	s_waitcnt lgkmcnt(0)
	v_div_scale_f64 v[8:9], s[4:5], v[6:7], v[6:7], v[2:3]
	v_rcp_f64_e32 v[10:11], v[8:9]
	v_div_scale_f64 v[12:13], vcc, v[2:3], v[6:7], v[2:3]
	s_add_i32 s4, s8, -1
	v_fma_f64 v[14:15], -v[8:9], v[10:11], 1.0
	v_fmac_f64_e32 v[10:11], v[10:11], v[14:15]
	v_fma_f64 v[14:15], -v[8:9], v[10:11], 1.0
	v_fmac_f64_e32 v[10:11], v[10:11], v[14:15]
	v_mul_f64 v[14:15], v[12:13], v[10:11]
	v_fma_f64 v[8:9], -v[8:9], v[14:15], v[12:13]
	v_div_fmas_f64 v[8:9], v[8:9], v[10:11], v[14:15]
	v_div_fixup_f64 v[2:3], v[8:9], v[6:7], v[2:3]
	ds_write_b64 v4, v[2:3]
.LBB91_58:
	s_cmp_eq_u32 s8, 0
	s_cbranch_scc1 .LBB91_65
; %bb.59:
	s_mul_i32 s5, s23, 0xa0
	v_lshl_add_u32 v2, v0, 3, s5
	s_mul_i32 s5, s4, 0xa0
	s_lshl_b32 s8, s23, 3
	s_add_i32 s8, s5, s8
	v_add_u32_e32 v6, 0xbe0, v2
	s_add_i32 s5, s8, -8
	s_addk_i32 s8, 0xff58
	s_branch .LBB91_61
.LBB91_60:                              ;   in Loop: Header=BB91_61 Depth=1
	s_addk_i32 s10, 0xff58
	v_mov_b32_e32 v4, s10
	ds_read_b64 v[4:5], v4
	s_add_i32 s4, s4, -2
	s_addk_i32 s5, 0xfec0
	s_addk_i32 s8, 0xfec0
	s_cmp_eq_u32 s9, 0
	s_waitcnt lgkmcnt(0)
	v_div_scale_f64 v[8:9], s[10:11], v[4:5], v[4:5], v[2:3]
	v_rcp_f64_e32 v[10:11], v[8:9]
	v_div_scale_f64 v[12:13], vcc, v[2:3], v[4:5], v[2:3]
	v_fma_f64 v[14:15], -v[8:9], v[10:11], 1.0
	v_fmac_f64_e32 v[10:11], v[10:11], v[14:15]
	v_fma_f64 v[14:15], -v[8:9], v[10:11], 1.0
	v_fmac_f64_e32 v[10:11], v[10:11], v[14:15]
	v_mul_f64 v[14:15], v[12:13], v[10:11]
	v_fma_f64 v[8:9], -v[8:9], v[14:15], v[12:13]
	v_div_fmas_f64 v[8:9], v[8:9], v[10:11], v[14:15]
	v_div_fixup_f64 v[2:3], v[8:9], v[4:5], v[2:3]
	ds_write_b64 v7, v[2:3]
	s_cbranch_scc1 .LBB91_65
.LBB91_61:                              ; =>This Loop Header: Depth=1
                                        ;     Child Loop BB91_62 Depth 2
                                        ;     Child Loop BB91_64 Depth 2
	s_mul_i32 s9, s4, 0xa0
	v_add_u32_e32 v8, s9, v1
	ds_read_b64 v[4:5], v8
	s_cmp_le_i32 s7, s4
	s_mov_b32 s9, s5
	v_mov_b32_e32 v2, v6
	s_mov_b32 s10, s7
	s_cbranch_scc1 .LBB91_63
.LBB91_62:                              ;   Parent Loop BB91_61 Depth=1
                                        ; =>  This Inner Loop Header: Depth=2
	v_mov_b32_e32 v3, s9
	ds_read_b64 v[10:11], v2
	ds_read_b64 v[12:13], v3
	s_add_i32 s10, s10, -1
	s_add_i32 s9, s9, -8
	v_add_u32_e32 v2, 0xffffff60, v2
	s_cmp_le_u32 s10, s4
	s_waitcnt lgkmcnt(0)
	v_fma_f64 v[4:5], -v[10:11], v[12:13], v[4:5]
	s_cbranch_scc0 .LBB91_62
.LBB91_63:                              ;   in Loop: Header=BB91_61 Depth=1
	s_mul_i32 s10, s4, 0xa8
	v_mov_b32_e32 v2, s10
	ds_read_b64 v[10:11], v2
	v_add_u32_e32 v7, 0xffffff60, v8
	ds_read_b64 v[2:3], v7
	s_add_i32 s9, s4, -1
	s_cmp_le_i32 s23, s4
	s_waitcnt lgkmcnt(1)
	v_div_scale_f64 v[12:13], s[12:13], v[10:11], v[10:11], v[4:5]
	v_rcp_f64_e32 v[14:15], v[12:13]
	v_div_scale_f64 v[16:17], vcc, v[4:5], v[10:11], v[4:5]
	s_mov_b32 s11, s8
	v_fma_f64 v[18:19], -v[12:13], v[14:15], 1.0
	v_fmac_f64_e32 v[14:15], v[14:15], v[18:19]
	v_fma_f64 v[18:19], -v[12:13], v[14:15], 1.0
	v_fmac_f64_e32 v[14:15], v[14:15], v[18:19]
	v_mul_f64 v[18:19], v[16:17], v[14:15]
	v_fma_f64 v[12:13], -v[12:13], v[18:19], v[16:17]
	v_div_fmas_f64 v[12:13], v[12:13], v[14:15], v[18:19]
	v_div_fixup_f64 v[4:5], v[12:13], v[10:11], v[4:5]
	ds_write_b64 v8, v[4:5]
	v_mov_b32_e32 v4, v6
	s_mov_b32 s12, s7
	s_cbranch_scc1 .LBB91_60
.LBB91_64:                              ;   Parent Loop BB91_61 Depth=1
                                        ; =>  This Inner Loop Header: Depth=2
	v_mov_b32_e32 v5, s11
	ds_read_b64 v[8:9], v4
	ds_read_b64 v[10:11], v5
	s_add_i32 s12, s12, -1
	s_add_i32 s11, s11, -8
	v_add_u32_e32 v4, 0xffffff60, v4
	s_cmp_gt_u32 s12, s9
	s_waitcnt lgkmcnt(0)
	v_fma_f64 v[2:3], -v[8:9], v[10:11], v[2:3]
	s_cbranch_scc1 .LBB91_64
	s_branch .LBB91_60
.LBB91_65:
	s_mov_b64 s[12:13], 0
.LBB91_66:
	s_andn2_b64 vcc, exec, s[12:13]
	s_cbranch_vccnz .LBB91_78
; %bb.67:
	v_mov_b32_e32 v1, 0xc80
	v_lshl_add_u32 v1, v0, 3, v1
	s_cmp_lt_i32 s22, 4
	s_mov_b32 s7, 0
	s_cbranch_scc1 .LBB91_73
; %bb.68:
	s_mov_b32 s4, 0
	s_mov_b32 s5, 0
.LBB91_69:                              ; =>This Loop Header: Depth=1
                                        ;     Child Loop BB91_70 Depth 2
	s_mul_i32 s7, s5, 20
	v_lshl_add_u32 v10, s7, 3, v1
	ds_read2_b64 v[6:9], v10 offset1:20
	ds_read2_b64 v[2:5], v10 offset0:40 offset1:60
	s_cmp_eq_u32 s5, 0
	s_mov_b32 s8, s4
	v_mov_b32_e32 v11, v1
	s_mov_b32 s9, s5
	s_cbranch_scc1 .LBB91_71
.LBB91_70:                              ;   Parent Loop BB91_69 Depth=1
                                        ; =>  This Inner Loop Header: Depth=2
	v_mov_b32_e32 v16, s8
	ds_read_b64 v[20:21], v11
	ds_read2_b64 v[12:15], v16 offset1:20
	ds_read2_b64 v[16:19], v16 offset0:40 offset1:60
	s_add_i32 s9, s9, -1
	s_add_i32 s8, s8, 8
	v_add_u32_e32 v11, 0xa0, v11
	s_cmp_eq_u32 s9, 0
	s_waitcnt lgkmcnt(1)
	v_fma_f64 v[6:7], -v[20:21], v[12:13], v[6:7]
	v_fma_f64 v[8:9], -v[20:21], v[14:15], v[8:9]
	s_waitcnt lgkmcnt(0)
	v_fma_f64 v[2:3], -v[20:21], v[16:17], v[2:3]
	v_fma_f64 v[4:5], -v[20:21], v[18:19], v[4:5]
	s_cbranch_scc0 .LBB91_70
.LBB91_71:                              ;   in Loop: Header=BB91_69 Depth=1
	s_mul_i32 s8, s5, 0xa8
	v_mov_b32_e32 v11, s8
	ds_read_b64 v[16:17], v11
	s_lshl_b32 s7, s7, 3
	s_lshl_b32 s8, s5, 3
	s_add_i32 s7, s7, s8
	v_mov_b32_e32 v11, s7
	s_waitcnt lgkmcnt(0)
	v_div_scale_f64 v[18:19], s[8:9], v[16:17], v[16:17], v[6:7]
	v_rcp_f64_e32 v[20:21], v[18:19]
	ds_read_b128 v[12:15], v11 offset:160
	s_add_i32 s7, s5, 4
	s_add_i32 s5, s5, 7
	v_fma_f64 v[22:23], -v[18:19], v[20:21], 1.0
	v_fmac_f64_e32 v[20:21], v[20:21], v[22:23]
	v_fma_f64 v[22:23], -v[18:19], v[20:21], 1.0
	v_fmac_f64_e32 v[20:21], v[20:21], v[22:23]
	v_div_scale_f64 v[22:23], vcc, v[6:7], v[16:17], v[6:7]
	v_mul_f64 v[24:25], v[22:23], v[20:21]
	v_fma_f64 v[18:19], -v[18:19], v[24:25], v[22:23]
	s_addk_i32 s4, 0x280
	s_nop 0
	v_div_fmas_f64 v[18:19], v[18:19], v[20:21], v[24:25]
	v_div_fixup_f64 v[16:17], v[18:19], v[16:17], v[6:7]
	s_waitcnt lgkmcnt(0)
	v_fma_f64 v[12:13], -v[16:17], v[12:13], v[8:9]
	v_div_scale_f64 v[6:7], s[8:9], v[14:15], v[14:15], v[12:13]
	v_rcp_f64_e32 v[18:19], v[6:7]
	s_cmp_ge_i32 s5, s23
	v_fma_f64 v[8:9], -v[6:7], v[18:19], 1.0
	v_fmac_f64_e32 v[18:19], v[18:19], v[8:9]
	v_fma_f64 v[8:9], -v[6:7], v[18:19], 1.0
	v_fmac_f64_e32 v[18:19], v[18:19], v[8:9]
	v_div_scale_f64 v[8:9], vcc, v[12:13], v[14:15], v[12:13]
	v_mul_f64 v[20:21], v[8:9], v[18:19]
	v_fma_f64 v[22:23], -v[6:7], v[20:21], v[8:9]
	ds_read_b128 v[6:9], v11 offset:320
	s_nop 0
	v_div_fmas_f64 v[18:19], v[22:23], v[18:19], v[20:21]
	ds_read_b64 v[20:21], v11 offset:336
	v_div_fixup_f64 v[18:19], v[18:19], v[14:15], v[12:13]
	s_waitcnt lgkmcnt(1)
	v_fma_f64 v[2:3], -v[16:17], v[6:7], v[2:3]
	v_fma_f64 v[2:3], -v[18:19], v[8:9], v[2:3]
	s_waitcnt lgkmcnt(0)
	v_div_scale_f64 v[6:7], s[8:9], v[20:21], v[20:21], v[2:3]
	v_rcp_f64_e32 v[22:23], v[6:7]
	s_nop 0
	v_fma_f64 v[8:9], -v[6:7], v[22:23], 1.0
	v_fmac_f64_e32 v[22:23], v[22:23], v[8:9]
	v_fma_f64 v[8:9], -v[6:7], v[22:23], 1.0
	v_fmac_f64_e32 v[22:23], v[22:23], v[8:9]
	v_div_scale_f64 v[8:9], vcc, v[2:3], v[20:21], v[2:3]
	v_mul_f64 v[24:25], v[8:9], v[22:23]
	v_fma_f64 v[26:27], -v[6:7], v[24:25], v[8:9]
	ds_read_b128 v[6:9], v11 offset:480
	ds_read_b128 v[12:15], v11 offset:496
	v_div_fmas_f64 v[22:23], v[26:27], v[22:23], v[24:25]
	v_div_fixup_f64 v[2:3], v[22:23], v[20:21], v[2:3]
	ds_write2_b64 v10, v[16:17], v[18:19] offset1:20
	s_waitcnt lgkmcnt(2)
	v_fma_f64 v[4:5], -v[16:17], v[6:7], v[4:5]
	v_fma_f64 v[4:5], -v[18:19], v[8:9], v[4:5]
	s_waitcnt lgkmcnt(1)
	v_fma_f64 v[4:5], -v[2:3], v[12:13], v[4:5]
	v_div_scale_f64 v[6:7], s[8:9], v[14:15], v[14:15], v[4:5]
	v_rcp_f64_e32 v[8:9], v[6:7]
	s_nop 0
	v_fma_f64 v[12:13], -v[6:7], v[8:9], 1.0
	v_fmac_f64_e32 v[8:9], v[8:9], v[12:13]
	v_fma_f64 v[12:13], -v[6:7], v[8:9], 1.0
	v_fmac_f64_e32 v[8:9], v[8:9], v[12:13]
	v_div_scale_f64 v[12:13], vcc, v[4:5], v[14:15], v[4:5]
	v_mul_f64 v[16:17], v[12:13], v[8:9]
	v_fma_f64 v[6:7], -v[6:7], v[16:17], v[12:13]
	s_nop 1
	v_div_fmas_f64 v[6:7], v[6:7], v[8:9], v[16:17]
	v_div_fixup_f64 v[4:5], v[6:7], v[14:15], v[4:5]
	ds_write2_b64 v10, v[2:3], v[4:5] offset0:40 offset1:60
	s_cbranch_scc1 .LBB91_73
; %bb.72:                               ;   in Loop: Header=BB91_69 Depth=1
	s_mov_b32 s5, s7
	s_branch .LBB91_69
.LBB91_73:
	s_cmp_ge_i32 s7, s23
	s_cbranch_scc1 .LBB91_78
; %bb.74:
	v_mov_b32_e32 v2, 0xc80
	v_lshl_add_u32 v4, v0, 3, v2
	s_mul_i32 s4, s7, 0xa0
	s_branch .LBB91_76
.LBB91_75:                              ;   in Loop: Header=BB91_76 Depth=1
	s_mul_i32 s5, s7, 0xa8
	v_mov_b32_e32 v6, s5
	ds_read_b64 v[6:7], v6
	s_add_i32 s7, s7, 1
	s_addk_i32 s4, 0xa0
	s_cmp_ge_i32 s7, s23
	s_waitcnt lgkmcnt(0)
	v_div_scale_f64 v[8:9], s[8:9], v[6:7], v[6:7], v[2:3]
	v_rcp_f64_e32 v[10:11], v[8:9]
	v_div_scale_f64 v[12:13], vcc, v[2:3], v[6:7], v[2:3]
	v_fma_f64 v[14:15], -v[8:9], v[10:11], 1.0
	v_fmac_f64_e32 v[10:11], v[10:11], v[14:15]
	v_fma_f64 v[14:15], -v[8:9], v[10:11], 1.0
	v_fmac_f64_e32 v[10:11], v[10:11], v[14:15]
	v_mul_f64 v[14:15], v[12:13], v[10:11]
	v_fma_f64 v[8:9], -v[8:9], v[14:15], v[12:13]
	v_div_fmas_f64 v[8:9], v[8:9], v[10:11], v[14:15]
	v_div_fixup_f64 v[2:3], v[8:9], v[6:7], v[2:3]
	ds_write_b64 v5, v[2:3]
	s_cbranch_scc1 .LBB91_78
.LBB91_76:                              ; =>This Loop Header: Depth=1
                                        ;     Child Loop BB91_77 Depth 2
	s_mul_i32 s5, s7, 0xa0
	v_add_u32_e32 v5, s5, v1
	ds_read_b64 v[2:3], v5
	s_cmp_eq_u32 s7, 0
	s_mov_b32 s5, s4
	v_mov_b32_e32 v6, v4
	s_mov_b32 s8, s7
	s_cbranch_scc1 .LBB91_75
.LBB91_77:                              ;   Parent Loop BB91_76 Depth=1
                                        ; =>  This Inner Loop Header: Depth=2
	v_mov_b32_e32 v7, s5
	ds_read_b64 v[8:9], v6
	ds_read_b64 v[10:11], v7
	s_add_i32 s8, s8, -1
	s_add_i32 s5, s5, 8
	v_add_u32_e32 v6, 0xa0, v6
	s_cmp_eq_u32 s8, 0
	s_waitcnt lgkmcnt(0)
	v_fma_f64 v[2:3], -v[8:9], v[10:11], v[2:3]
	s_cbranch_scc0 .LBB91_77
	s_branch .LBB91_75
.LBB91_78:
	s_and_saveexec_b64 s[4:5], s[0:1]
	s_cbranch_execz .LBB91_82
; %bb.79:
	s_cmp_lt_i32 s22, 1
	s_cbranch_scc1 .LBB91_82
; %bb.80:
	s_ashr_i32 s7, s6, 31
	v_lshlrev_b32_e32 v2, 3, v0
	v_mov_b32_e32 v3, 0
	v_lshl_add_u64 v[0:1], s[2:3], 0, v[2:3]
	s_lshl_b64 s[0:1], s[6:7], 3
	v_add_u32_e32 v2, 0xc80, v2
.LBB91_81:                              ; =>This Inner Loop Header: Depth=1
	ds_read_b64 v[4:5], v2
	s_add_i32 s22, s22, -1
	v_add_u32_e32 v2, 0xa0, v2
	s_cmp_lg_u32 s22, 0
	s_waitcnt lgkmcnt(0)
	flat_store_dwordx2 v[0:1], v[4:5]
	v_lshl_add_u64 v[0:1], v[0:1], 0, s[0:1]
	s_cbranch_scc1 .LBB91_81
.LBB91_82:
	s_endpgm
	.section	.rodata,"a",@progbits
	.p2align	6, 0x0
	.amdhsa_kernel _ZL31rocblas_trsm_small_right_deviceIddPKPKdPKPdLi20EEv13rocblas_fill_18rocblas_operation_17rocblas_diagonal_iiT0_T1_lilT2_lili
		.amdhsa_group_segment_fixed_size 6400
		.amdhsa_private_segment_fixed_size 0
		.amdhsa_kernarg_size 360
		.amdhsa_user_sgpr_count 2
		.amdhsa_user_sgpr_dispatch_ptr 0
		.amdhsa_user_sgpr_queue_ptr 0
		.amdhsa_user_sgpr_kernarg_segment_ptr 1
		.amdhsa_user_sgpr_dispatch_id 0
		.amdhsa_user_sgpr_kernarg_preload_length 0
		.amdhsa_user_sgpr_kernarg_preload_offset 0
		.amdhsa_user_sgpr_private_segment_size 0
		.amdhsa_uses_dynamic_stack 0
		.amdhsa_enable_private_segment 0
		.amdhsa_system_sgpr_workgroup_id_x 1
		.amdhsa_system_sgpr_workgroup_id_y 0
		.amdhsa_system_sgpr_workgroup_id_z 1
		.amdhsa_system_sgpr_workgroup_info 0
		.amdhsa_system_vgpr_workitem_id 0
		.amdhsa_next_free_vgpr 65
		.amdhsa_next_free_sgpr 75
		.amdhsa_accum_offset 40
		.amdhsa_reserve_vcc 1
		.amdhsa_float_round_mode_32 0
		.amdhsa_float_round_mode_16_64 0
		.amdhsa_float_denorm_mode_32 3
		.amdhsa_float_denorm_mode_16_64 3
		.amdhsa_dx10_clamp 1
		.amdhsa_ieee_mode 1
		.amdhsa_fp16_overflow 0
		.amdhsa_tg_split 0
		.amdhsa_exception_fp_ieee_invalid_op 0
		.amdhsa_exception_fp_denorm_src 0
		.amdhsa_exception_fp_ieee_div_zero 0
		.amdhsa_exception_fp_ieee_overflow 0
		.amdhsa_exception_fp_ieee_underflow 0
		.amdhsa_exception_fp_ieee_inexact 0
		.amdhsa_exception_int_div_zero 0
	.end_amdhsa_kernel
	.section	.text._ZL31rocblas_trsm_small_right_deviceIddPKPKdPKPdLi20EEv13rocblas_fill_18rocblas_operation_17rocblas_diagonal_iiT0_T1_lilT2_lili,"axG",@progbits,_ZL31rocblas_trsm_small_right_deviceIddPKPKdPKPdLi20EEv13rocblas_fill_18rocblas_operation_17rocblas_diagonal_iiT0_T1_lilT2_lili,comdat
.Lfunc_end91:
	.size	_ZL31rocblas_trsm_small_right_deviceIddPKPKdPKPdLi20EEv13rocblas_fill_18rocblas_operation_17rocblas_diagonal_iiT0_T1_lilT2_lili, .Lfunc_end91-_ZL31rocblas_trsm_small_right_deviceIddPKPKdPKPdLi20EEv13rocblas_fill_18rocblas_operation_17rocblas_diagonal_iiT0_T1_lilT2_lili
                                        ; -- End function
	.set _ZL31rocblas_trsm_small_right_deviceIddPKPKdPKPdLi20EEv13rocblas_fill_18rocblas_operation_17rocblas_diagonal_iiT0_T1_lilT2_lili.num_vgpr, 38
	.set _ZL31rocblas_trsm_small_right_deviceIddPKPKdPKPdLi20EEv13rocblas_fill_18rocblas_operation_17rocblas_diagonal_iiT0_T1_lilT2_lili.num_agpr, 0
	.set _ZL31rocblas_trsm_small_right_deviceIddPKPKdPKPdLi20EEv13rocblas_fill_18rocblas_operation_17rocblas_diagonal_iiT0_T1_lilT2_lili.numbered_sgpr, 26
	.set _ZL31rocblas_trsm_small_right_deviceIddPKPKdPKPdLi20EEv13rocblas_fill_18rocblas_operation_17rocblas_diagonal_iiT0_T1_lilT2_lili.num_named_barrier, 0
	.set _ZL31rocblas_trsm_small_right_deviceIddPKPKdPKPdLi20EEv13rocblas_fill_18rocblas_operation_17rocblas_diagonal_iiT0_T1_lilT2_lili.private_seg_size, 0
	.set _ZL31rocblas_trsm_small_right_deviceIddPKPKdPKPdLi20EEv13rocblas_fill_18rocblas_operation_17rocblas_diagonal_iiT0_T1_lilT2_lili.uses_vcc, 1
	.set _ZL31rocblas_trsm_small_right_deviceIddPKPKdPKPdLi20EEv13rocblas_fill_18rocblas_operation_17rocblas_diagonal_iiT0_T1_lilT2_lili.uses_flat_scratch, 0
	.set _ZL31rocblas_trsm_small_right_deviceIddPKPKdPKPdLi20EEv13rocblas_fill_18rocblas_operation_17rocblas_diagonal_iiT0_T1_lilT2_lili.has_dyn_sized_stack, 0
	.set _ZL31rocblas_trsm_small_right_deviceIddPKPKdPKPdLi20EEv13rocblas_fill_18rocblas_operation_17rocblas_diagonal_iiT0_T1_lilT2_lili.has_recursion, 0
	.set _ZL31rocblas_trsm_small_right_deviceIddPKPKdPKPdLi20EEv13rocblas_fill_18rocblas_operation_17rocblas_diagonal_iiT0_T1_lilT2_lili.has_indirect_call, 0
	.section	.AMDGPU.csdata,"",@progbits
; Kernel info:
; codeLenInByte = 5736
; TotalNumSgprs: 32
; NumVgprs: 38
; NumAgprs: 0
; TotalNumVgprs: 38
; ScratchSize: 0
; MemoryBound: 0
; FloatMode: 240
; IeeeMode: 1
; LDSByteSize: 6400 bytes/workgroup (compile time only)
; SGPRBlocks: 10
; VGPRBlocks: 8
; NumSGPRsForWavesPerEU: 81
; NumVGPRsForWavesPerEU: 65
; AccumOffset: 40
; Occupancy: 7
; WaveLimiterHint : 0
; COMPUTE_PGM_RSRC2:SCRATCH_EN: 0
; COMPUTE_PGM_RSRC2:USER_SGPR: 2
; COMPUTE_PGM_RSRC2:TRAP_HANDLER: 0
; COMPUTE_PGM_RSRC2:TGID_X_EN: 1
; COMPUTE_PGM_RSRC2:TGID_Y_EN: 0
; COMPUTE_PGM_RSRC2:TGID_Z_EN: 1
; COMPUTE_PGM_RSRC2:TIDIG_COMP_CNT: 0
; COMPUTE_PGM_RSRC3_GFX90A:ACCUM_OFFSET: 9
; COMPUTE_PGM_RSRC3_GFX90A:TG_SPLIT: 0
	.section	.text._ZL38rocblas_trsm_small_left_device_sharedBILi24ELi24ELb0EddPKPKdPKPdEv13rocblas_fill_18rocblas_operation_17rocblas_diagonal_iiT3_T4_lilT5_lili,"axG",@progbits,_ZL38rocblas_trsm_small_left_device_sharedBILi24ELi24ELb0EddPKPKdPKPdEv13rocblas_fill_18rocblas_operation_17rocblas_diagonal_iiT3_T4_lilT5_lili,comdat
	.globl	_ZL38rocblas_trsm_small_left_device_sharedBILi24ELi24ELb0EddPKPKdPKPdEv13rocblas_fill_18rocblas_operation_17rocblas_diagonal_iiT3_T4_lilT5_lili ; -- Begin function _ZL38rocblas_trsm_small_left_device_sharedBILi24ELi24ELb0EddPKPKdPKPdEv13rocblas_fill_18rocblas_operation_17rocblas_diagonal_iiT3_T4_lilT5_lili
	.p2align	8
	.type	_ZL38rocblas_trsm_small_left_device_sharedBILi24ELi24ELb0EddPKPKdPKPdEv13rocblas_fill_18rocblas_operation_17rocblas_diagonal_iiT3_T4_lilT5_lili,@function
_ZL38rocblas_trsm_small_left_device_sharedBILi24ELi24ELb0EddPKPKdPKPdEv13rocblas_fill_18rocblas_operation_17rocblas_diagonal_iiT3_T4_lilT5_lili: ; @_ZL38rocblas_trsm_small_left_device_sharedBILi24ELi24ELb0EddPKPKdPKPdEv13rocblas_fill_18rocblas_operation_17rocblas_diagonal_iiT3_T4_lilT5_lili
; %bb.0:
	s_load_dwordx2 s[18:19], s[0:1], 0x28
	s_load_dwordx4 s[12:15], s[0:1], 0x40
	s_load_dwordx4 s[4:7], s[0:1], 0x4
	s_load_dwordx4 s[8:11], s[0:1], 0x18
	s_mov_b32 s16, s3
	s_mov_b32 s17, 0
	s_lshl_b64 s[20:21], s[16:17], 3
	s_waitcnt lgkmcnt(0)
	s_add_u32 s12, s12, s20
	s_addc_u32 s13, s13, s21
	s_load_dwordx2 s[12:13], s[12:13], 0x0
	s_min_i32 s22, s6, 24
	v_cmp_gt_i32_e32 vcc, s22, v0
	s_and_saveexec_b64 s[16:17], vcc
	s_cbranch_execz .LBB92_6
; %bb.1:
	s_load_dword s24, s[0:1], 0x30
	v_lshlrev_b32_e32 v2, 3, v0
	v_mov_b32_e32 v3, 0
	v_mov_b32_e32 v1, v2
	s_mov_b32 s3, s22
	s_waitcnt lgkmcnt(0)
	s_ashr_i32 s25, s24, 31
	s_add_u32 s10, s10, s20
	s_addc_u32 s11, s11, s21
	s_load_dwordx2 s[10:11], s[10:11], 0x0
	s_lshl_b64 s[18:19], s[18:19], 3
	s_waitcnt lgkmcnt(0)
	s_add_u32 s18, s10, s18
	s_addc_u32 s19, s11, s19
	s_lshl_b64 s[10:11], s[24:25], 3
	v_lshl_add_u64 v[4:5], s[18:19], 0, v[2:3]
.LBB92_2:                               ; =>This Inner Loop Header: Depth=1
	flat_load_dwordx2 v[6:7], v[4:5]
	s_add_i32 s3, s3, -1
	v_lshl_add_u64 v[4:5], v[4:5], 0, s[10:11]
	s_cmp_eq_u32 s3, 0
	s_waitcnt vmcnt(0) lgkmcnt(0)
	ds_write_b64 v1, v[6:7]
	v_add_u32_e32 v1, 0xc0, v1
	s_cbranch_scc0 .LBB92_2
; %bb.3:
	v_mul_u32_u24_e32 v1, 0xc0, v0
	s_cmpk_lg_i32 s5, 0x84
	v_mov_b64_e32 v[4:5], 1.0
	v_add_u32_e32 v1, v2, v1
	s_cbranch_scc0 .LBB92_5
; %bb.4:
	ds_read_b64 v[2:3], v1
	s_waitcnt lgkmcnt(0)
	v_div_scale_f64 v[4:5], s[10:11], v[2:3], v[2:3], 1.0
	v_rcp_f64_e32 v[6:7], v[4:5]
	v_div_scale_f64 v[8:9], vcc, 1.0, v[2:3], 1.0
	v_fma_f64 v[10:11], -v[4:5], v[6:7], 1.0
	v_fmac_f64_e32 v[6:7], v[6:7], v[10:11]
	v_fma_f64 v[10:11], -v[4:5], v[6:7], 1.0
	v_fmac_f64_e32 v[6:7], v[6:7], v[10:11]
	v_mul_f64 v[10:11], v[8:9], v[6:7]
	v_fma_f64 v[4:5], -v[4:5], v[10:11], v[8:9]
	v_div_fmas_f64 v[4:5], v[4:5], v[6:7], v[10:11]
	v_div_fixup_f64 v[4:5], v[4:5], v[2:3], 1.0
.LBB92_5:
	ds_write_b64 v1, v[4:5]
.LBB92_6:
	s_or_b64 exec, exec, s[16:17]
	s_load_dword s3, s[0:1], 0x68
	s_load_dword s16, s[0:1], 0x50
	s_lshl_b64 s[0:1], s[14:15], 3
	s_waitcnt lgkmcnt(0)
	s_add_u32 s5, s12, s0
	s_mul_i32 s0, s2, 0xffffffe8
	s_addc_u32 s10, s13, s1
	s_add_i32 s3, s3, -1
	s_add_i32 s0, s7, s0
	s_cmp_ge_u32 s2, s3
	s_mul_i32 s2, s2, 24
	s_cselect_b32 s7, s0, 24
	s_mul_hi_i32 s1, s16, s2
	s_mul_i32 s0, s16, s2
	s_lshl_b64 s[0:1], s[0:1], 3
	s_add_u32 s2, s5, s0
	s_addc_u32 s3, s10, s1
	s_cmp_gt_i32 s6, 0
	v_cmp_gt_i32_e64 s[0:1], s7, v0
	s_cselect_b64 s[10:11], -1, 0
	s_and_b64 s[14:15], s[0:1], s[10:11]
	s_and_saveexec_b64 s[12:13], s[14:15]
	s_cbranch_execz .LBB92_9
; %bb.7:
	v_mad_i64_i32 v[2:3], s[14:15], s16, v0, 0
	v_mov_b32_e32 v1, 0x1200
	v_lshl_add_u64 v[2:3], v[2:3], 3, s[2:3]
	v_lshl_or_b32 v1, v0, 3, v1
	s_mov_b32 s5, s22
.LBB92_8:                               ; =>This Inner Loop Header: Depth=1
	flat_load_dwordx2 v[4:5], v[2:3]
	s_add_i32 s5, s5, -1
	v_lshl_add_u64 v[2:3], v[2:3], 0, 8
	s_cmp_lg_u32 s5, 0
	s_waitcnt vmcnt(0) lgkmcnt(0)
	v_mul_f64 v[4:5], s[8:9], v[4:5]
	ds_write_b64 v1, v[4:5]
	v_add_u32_e32 v1, 0xc0, v1
	s_cbranch_scc1 .LBB92_8
.LBB92_9:
	s_or_b64 exec, exec, s[12:13]
	v_mov_b32_e32 v1, 0x1200
	s_cmpk_eq_i32 s4, 0x6f
	v_lshl_or_b32 v1, v0, 3, v1
	s_mov_b64 s[4:5], -1
	s_waitcnt lgkmcnt(0)
	; wave barrier
	s_cbranch_scc1 .LBB92_24
; %bb.10:
	s_cmp_gt_i32 s6, 23
	s_cselect_b64 s[4:5], -1, 0
	s_mov_b32 s8, 0
	s_and_b64 vcc, exec, s[4:5]
	s_cbranch_vccz .LBB92_12
; %bb.11:
	v_add_u32_e32 v53, 0x400, v1
	v_add_u32_e32 v52, 0x800, v1
	v_mov_b32_e32 v51, 0
	ds_read2_b64 v[30:33], v1 offset1:24
	ds_read2_b64 v[34:37], v1 offset0:48 offset1:72
	ds_read2_b64 v[38:41], v1 offset0:96 offset1:120
	;; [unrolled: 1-line block ×9, first 2 shown]
	ds_read2_b64 v[54:57], v51 offset1:50
	ds_read2_b64 v[6:9], v52 offset0:224 offset1:248
	ds_read_b128 v[58:61], v51 offset:192
	ds_read_b128 v[62:65], v51 offset:384
	v_add_u32_e32 v50, 0x1000, v1
	s_waitcnt lgkmcnt(3)
	v_mul_f64 v[30:31], v[54:55], v[30:31]
	ds_read2_b64 v[2:5], v50 offset0:16 offset1:40
	s_waitcnt lgkmcnt(2)
	v_fma_f64 v[32:33], -v[30:31], v[58:59], v[32:33]
	v_mul_f64 v[32:33], v[60:61], v[32:33]
	ds_read_b128 v[58:61], v51 offset:576
	s_waitcnt lgkmcnt(2)
	v_fma_f64 v[34:35], -v[30:31], v[62:63], v[34:35]
	v_fma_f64 v[34:35], -v[32:33], v[64:65], v[34:35]
	ds_read_b128 v[62:65], v51 offset:592
	v_mul_f64 v[34:35], v[56:57], v[34:35]
	ds_read_b128 v[54:57], v51 offset:768
	s_waitcnt lgkmcnt(2)
	v_fma_f64 v[36:37], -v[30:31], v[58:59], v[36:37]
	v_fma_f64 v[36:37], -v[32:33], v[60:61], v[36:37]
	ds_read_b128 v[58:61], v51 offset:784
	s_waitcnt lgkmcnt(2)
	v_fma_f64 v[36:37], -v[34:35], v[62:63], v[36:37]
	v_mul_f64 v[36:37], v[64:65], v[36:37]
	ds_write2_b64 v1, v[30:31], v[32:33] offset1:24
	ds_write2_b64 v1, v[34:35], v[36:37] offset0:48 offset1:72
	s_waitcnt lgkmcnt(3)
	v_fma_f64 v[38:39], -v[30:31], v[54:55], v[38:39]
	v_fma_f64 v[38:39], -v[32:33], v[56:57], v[38:39]
	ds_read2_b64 v[54:57], v51 offset0:100 offset1:150
	ds_read_b128 v[62:65], v51 offset:960
	s_waitcnt lgkmcnt(4)
	v_fma_f64 v[38:39], -v[34:35], v[58:59], v[38:39]
	v_fma_f64 v[38:39], -v[36:37], v[60:61], v[38:39]
	ds_read_b128 v[58:61], v51 offset:976
	ds_read_b128 v[66:69], v51 offset:992
	s_waitcnt lgkmcnt(2)
	v_fma_f64 v[40:41], -v[30:31], v[62:63], v[40:41]
	v_fma_f64 v[40:41], -v[32:33], v[64:65], v[40:41]
	v_mul_f64 v[38:39], v[54:55], v[38:39]
	s_waitcnt lgkmcnt(1)
	v_fma_f64 v[40:41], -v[34:35], v[58:59], v[40:41]
	v_fma_f64 v[40:41], -v[36:37], v[60:61], v[40:41]
	ds_read_b128 v[58:61], v51 offset:1152
	ds_read_b128 v[62:65], v51 offset:1168
	s_waitcnt lgkmcnt(2)
	v_fma_f64 v[40:41], -v[38:39], v[66:67], v[40:41]
	v_mul_f64 v[40:41], v[68:69], v[40:41]
	ds_read_b128 v[66:69], v51 offset:1184
	s_waitcnt lgkmcnt(2)
	v_fma_f64 v[42:43], -v[30:31], v[58:59], v[42:43]
	v_fma_f64 v[42:43], -v[32:33], v[60:61], v[42:43]
	s_waitcnt lgkmcnt(1)
	v_fma_f64 v[42:43], -v[34:35], v[62:63], v[42:43]
	ds_read_b128 v[58:61], v51 offset:1344
	v_fma_f64 v[42:43], -v[36:37], v[64:65], v[42:43]
	s_waitcnt lgkmcnt(1)
	v_fma_f64 v[42:43], -v[38:39], v[66:67], v[42:43]
	ds_read_b128 v[62:65], v51 offset:1360
	v_fma_f64 v[42:43], -v[40:41], v[68:69], v[42:43]
	v_mul_f64 v[42:43], v[56:57], v[42:43]
	ds_read_b128 v[54:57], v51 offset:1376
	s_waitcnt lgkmcnt(2)
	v_fma_f64 v[44:45], -v[30:31], v[58:59], v[44:45]
	v_fma_f64 v[44:45], -v[32:33], v[60:61], v[44:45]
	ds_read_b128 v[58:61], v51 offset:1392
	s_waitcnt lgkmcnt(2)
	v_fma_f64 v[44:45], -v[34:35], v[62:63], v[44:45]
	v_fma_f64 v[44:45], -v[36:37], v[64:65], v[44:45]
	s_waitcnt lgkmcnt(1)
	v_fma_f64 v[44:45], -v[38:39], v[54:55], v[44:45]
	v_fma_f64 v[44:45], -v[40:41], v[56:57], v[44:45]
	ds_read_b128 v[54:57], v51 offset:1536
	s_waitcnt lgkmcnt(1)
	v_fma_f64 v[44:45], -v[42:43], v[58:59], v[44:45]
	v_mul_f64 v[44:45], v[60:61], v[44:45]
	ds_read_b128 v[58:61], v51 offset:1552
	ds_read_b128 v[62:65], v51 offset:1568
	s_waitcnt lgkmcnt(2)
	v_fma_f64 v[46:47], -v[30:31], v[54:55], v[46:47]
	v_fma_f64 v[46:47], -v[32:33], v[56:57], v[46:47]
	ds_read_b128 v[54:57], v51 offset:1584
	s_waitcnt lgkmcnt(2)
	v_fma_f64 v[46:47], -v[34:35], v[58:59], v[46:47]
	v_fma_f64 v[46:47], -v[36:37], v[60:61], v[46:47]
	ds_write2_b64 v1, v[38:39], v[40:41] offset0:96 offset1:120
	ds_write2_b64 v1, v[42:43], v[44:45] offset0:144 offset1:168
	s_waitcnt lgkmcnt(3)
	v_fma_f64 v[46:47], -v[38:39], v[62:63], v[46:47]
	v_fma_f64 v[46:47], -v[40:41], v[64:65], v[46:47]
	ds_read2_b64 v[58:61], v51 offset0:200 offset1:250
	ds_read_b128 v[62:65], v51 offset:1728
	s_waitcnt lgkmcnt(4)
	v_fma_f64 v[46:47], -v[42:43], v[54:55], v[46:47]
	v_fma_f64 v[46:47], -v[44:45], v[56:57], v[46:47]
	ds_read_b128 v[54:57], v51 offset:1744
	ds_read_b128 v[66:69], v51 offset:1760
	s_waitcnt lgkmcnt(2)
	v_fma_f64 v[48:49], -v[30:31], v[62:63], v[48:49]
	v_fma_f64 v[48:49], -v[32:33], v[64:65], v[48:49]
	ds_read_b128 v[62:65], v51 offset:1776
	s_waitcnt lgkmcnt(2)
	v_fma_f64 v[48:49], -v[34:35], v[54:55], v[48:49]
	v_fma_f64 v[48:49], -v[36:37], v[56:57], v[48:49]
	;; [unrolled: 4-line block ×3, first 2 shown]
	s_waitcnt lgkmcnt(1)
	v_fma_f64 v[48:49], -v[42:43], v[62:63], v[48:49]
	v_mul_f64 v[46:47], v[58:59], v[46:47]
	v_fma_f64 v[48:49], -v[44:45], v[64:65], v[48:49]
	ds_read_b128 v[62:65], v51 offset:1920
	s_waitcnt lgkmcnt(1)
	v_fma_f64 v[48:49], -v[46:47], v[54:55], v[48:49]
	v_mul_f64 v[48:49], v[56:57], v[48:49]
	ds_write2_b64 v1, v[46:47], v[48:49] offset0:192 offset1:216
	ds_read_b128 v[54:57], v51 offset:1936
	ds_read_b128 v[66:69], v51 offset:1952
	;; [unrolled: 1-line block ×3, first 2 shown]
	s_waitcnt lgkmcnt(4)
	v_fma_f64 v[26:27], -v[30:31], v[62:63], v[26:27]
	v_fma_f64 v[26:27], -v[32:33], v[64:65], v[26:27]
	s_waitcnt lgkmcnt(2)
	v_fma_f64 v[26:27], -v[34:35], v[54:55], v[26:27]
	v_fma_f64 v[26:27], -v[36:37], v[56:57], v[26:27]
	ds_read_b128 v[54:57], v51 offset:1984
	ds_read_b128 v[62:65], v51 offset:2112
	s_waitcnt lgkmcnt(3)
	v_fma_f64 v[26:27], -v[38:39], v[66:67], v[26:27]
	v_fma_f64 v[26:27], -v[40:41], v[68:69], v[26:27]
	s_waitcnt lgkmcnt(2)
	v_fma_f64 v[26:27], -v[42:43], v[70:71], v[26:27]
	v_fma_f64 v[26:27], -v[44:45], v[72:73], v[26:27]
	;; [unrolled: 3-line block ×3, first 2 shown]
	ds_read_b128 v[54:57], v51 offset:2128
	v_mul_f64 v[26:27], v[60:61], v[26:27]
	ds_read_b128 v[58:61], v51 offset:2144
	s_waitcnt lgkmcnt(2)
	v_fma_f64 v[28:29], -v[30:31], v[62:63], v[28:29]
	v_fma_f64 v[28:29], -v[32:33], v[64:65], v[28:29]
	ds_read_b128 v[62:65], v51 offset:2160
	s_waitcnt lgkmcnt(2)
	v_fma_f64 v[28:29], -v[34:35], v[54:55], v[28:29]
	v_fma_f64 v[28:29], -v[36:37], v[56:57], v[28:29]
	;; [unrolled: 4-line block ×4, first 2 shown]
	s_waitcnt lgkmcnt(1)
	v_fma_f64 v[28:29], -v[46:47], v[54:55], v[28:29]
	v_fma_f64 v[28:29], -v[48:49], v[56:57], v[28:29]
	ds_read_b128 v[54:57], v51 offset:2304
	s_waitcnt lgkmcnt(1)
	v_fma_f64 v[28:29], -v[26:27], v[58:59], v[28:29]
	v_mul_f64 v[28:29], v[60:61], v[28:29]
	ds_read_b128 v[58:61], v51 offset:2320
	ds_read_b128 v[62:65], v51 offset:2336
	s_waitcnt lgkmcnt(2)
	v_fma_f64 v[22:23], -v[30:31], v[54:55], v[22:23]
	v_fma_f64 v[22:23], -v[32:33], v[56:57], v[22:23]
	ds_read_b128 v[54:57], v51 offset:2352
	s_waitcnt lgkmcnt(2)
	v_fma_f64 v[22:23], -v[34:35], v[58:59], v[22:23]
	v_fma_f64 v[22:23], -v[36:37], v[60:61], v[22:23]
	s_waitcnt lgkmcnt(1)
	v_fma_f64 v[22:23], -v[38:39], v[62:63], v[22:23]
	ds_read_b128 v[58:61], v51 offset:2368
	v_fma_f64 v[22:23], -v[40:41], v[64:65], v[22:23]
	s_waitcnt lgkmcnt(1)
	v_fma_f64 v[22:23], -v[42:43], v[54:55], v[22:23]
	v_fma_f64 v[22:23], -v[44:45], v[56:57], v[22:23]
	ds_read_b128 v[54:57], v51 offset:2384
	s_waitcnt lgkmcnt(1)
	v_fma_f64 v[22:23], -v[46:47], v[58:59], v[22:23]
	v_fma_f64 v[22:23], -v[48:49], v[60:61], v[22:23]
	s_movk_i32 s7, 0x800
	ds_write2_b64 v53, v[26:27], v[28:29] offset0:112 offset1:136
	s_waitcnt lgkmcnt(1)
	v_fma_f64 v[22:23], -v[26:27], v[54:55], v[22:23]
	v_fma_f64 v[22:23], -v[28:29], v[56:57], v[22:23]
	ds_read_b128 v[54:57], v51 offset:2496
	v_add_u32_e64 v53, s7, 0
	ds_read2_b64 v[62:65], v53 offset0:44 offset1:94
	ds_read_b128 v[58:61], v51 offset:2512
	ds_read_b128 v[66:69], v51 offset:2528
	;; [unrolled: 1-line block ×3, first 2 shown]
	s_movk_i32 s7, 0xc00
	s_waitcnt lgkmcnt(4)
	v_fma_f64 v[24:25], -v[30:31], v[54:55], v[24:25]
	v_fma_f64 v[24:25], -v[32:33], v[56:57], v[24:25]
	s_waitcnt lgkmcnt(2)
	v_fma_f64 v[24:25], -v[34:35], v[58:59], v[24:25]
	v_fma_f64 v[24:25], -v[36:37], v[60:61], v[24:25]
	ds_read_b128 v[54:57], v51 offset:2560
	ds_read_b128 v[58:61], v51 offset:2576
	s_waitcnt lgkmcnt(3)
	v_fma_f64 v[24:25], -v[38:39], v[66:67], v[24:25]
	v_fma_f64 v[24:25], -v[40:41], v[68:69], v[24:25]
	s_waitcnt lgkmcnt(2)
	v_fma_f64 v[24:25], -v[42:43], v[70:71], v[24:25]
	v_fma_f64 v[24:25], -v[44:45], v[72:73], v[24:25]
	ds_read_b128 v[66:69], v51 offset:2592
	s_waitcnt lgkmcnt(2)
	v_fma_f64 v[24:25], -v[46:47], v[54:55], v[24:25]
	v_fma_f64 v[24:25], -v[48:49], v[56:57], v[24:25]
	ds_read_b128 v[54:57], v51 offset:2688
	s_waitcnt lgkmcnt(2)
	v_fma_f64 v[24:25], -v[26:27], v[58:59], v[24:25]
	v_mul_f64 v[22:23], v[62:63], v[22:23]
	v_fma_f64 v[24:25], -v[28:29], v[60:61], v[24:25]
	ds_read_b128 v[58:61], v51 offset:2704
	s_waitcnt lgkmcnt(2)
	v_fma_f64 v[24:25], -v[22:23], v[66:67], v[24:25]
	v_mul_f64 v[24:25], v[68:69], v[24:25]
	ds_read_b128 v[66:69], v51 offset:2720
	s_waitcnt lgkmcnt(2)
	v_fma_f64 v[18:19], -v[30:31], v[54:55], v[18:19]
	v_fma_f64 v[18:19], -v[32:33], v[56:57], v[18:19]
	ds_read_b128 v[54:57], v51 offset:2736
	s_waitcnt lgkmcnt(2)
	v_fma_f64 v[18:19], -v[34:35], v[58:59], v[18:19]
	v_fma_f64 v[18:19], -v[36:37], v[60:61], v[18:19]
	;; [unrolled: 4-line block ×5, first 2 shown]
	s_waitcnt lgkmcnt(1)
	v_fma_f64 v[18:19], -v[26:27], v[66:67], v[18:19]
	v_fma_f64 v[18:19], -v[28:29], v[68:69], v[18:19]
	s_waitcnt lgkmcnt(0)
	v_fma_f64 v[18:19], -v[22:23], v[54:55], v[18:19]
	v_fma_f64 v[18:19], -v[24:25], v[56:57], v[18:19]
	ds_read_b128 v[54:57], v51 offset:2880
	ds_write2_b64 v52, v[22:23], v[24:25] offset0:32 offset1:56
	v_mul_f64 v[18:19], v[64:65], v[18:19]
	ds_read_b128 v[58:61], v51 offset:2896
	ds_read_b128 v[62:65], v51 offset:2912
	ds_read_b128 v[66:69], v51 offset:2928
	s_mov_b32 s8, 24
	s_waitcnt lgkmcnt(4)
	v_fma_f64 v[20:21], -v[30:31], v[54:55], v[20:21]
	v_fma_f64 v[20:21], -v[32:33], v[56:57], v[20:21]
	s_waitcnt lgkmcnt(2)
	v_fma_f64 v[20:21], -v[34:35], v[58:59], v[20:21]
	v_fma_f64 v[20:21], -v[36:37], v[60:61], v[20:21]
	ds_read_b128 v[54:57], v51 offset:2944
	ds_read_b128 v[58:61], v51 offset:2960
	s_waitcnt lgkmcnt(3)
	v_fma_f64 v[20:21], -v[38:39], v[62:63], v[20:21]
	v_fma_f64 v[20:21], -v[40:41], v[64:65], v[20:21]
	s_waitcnt lgkmcnt(2)
	v_fma_f64 v[20:21], -v[42:43], v[66:67], v[20:21]
	v_fma_f64 v[20:21], -v[44:45], v[68:69], v[20:21]
	ds_read_b128 v[62:65], v51 offset:2976
	s_waitcnt lgkmcnt(2)
	v_fma_f64 v[20:21], -v[46:47], v[54:55], v[20:21]
	v_fma_f64 v[20:21], -v[48:49], v[56:57], v[20:21]
	ds_read_b128 v[54:57], v51 offset:2992
	s_waitcnt lgkmcnt(2)
	v_fma_f64 v[20:21], -v[26:27], v[58:59], v[20:21]
	v_fma_f64 v[20:21], -v[28:29], v[60:61], v[20:21]
	s_waitcnt lgkmcnt(1)
	v_fma_f64 v[20:21], -v[22:23], v[62:63], v[20:21]
	v_fma_f64 v[20:21], -v[24:25], v[64:65], v[20:21]
	ds_read_b128 v[58:61], v51 offset:3072
	s_waitcnt lgkmcnt(1)
	v_fma_f64 v[20:21], -v[18:19], v[54:55], v[20:21]
	v_mul_f64 v[20:21], v[56:57], v[20:21]
	ds_read_b128 v[54:57], v51 offset:3088
	ds_read_b128 v[62:65], v51 offset:3104
	s_waitcnt lgkmcnt(2)
	v_fma_f64 v[14:15], -v[30:31], v[58:59], v[14:15]
	v_fma_f64 v[14:15], -v[32:33], v[60:61], v[14:15]
	ds_read_b128 v[58:61], v51 offset:3120
	s_waitcnt lgkmcnt(2)
	v_fma_f64 v[14:15], -v[34:35], v[54:55], v[14:15]
	v_fma_f64 v[14:15], -v[36:37], v[56:57], v[14:15]
	;; [unrolled: 4-line block ×6, first 2 shown]
	s_waitcnt lgkmcnt(1)
	v_fma_f64 v[14:15], -v[22:23], v[58:59], v[14:15]
	v_fma_f64 v[14:15], -v[24:25], v[60:61], v[14:15]
	s_waitcnt lgkmcnt(0)
	v_fma_f64 v[14:15], -v[18:19], v[54:55], v[14:15]
	v_fma_f64 v[14:15], -v[20:21], v[56:57], v[14:15]
	ds_read_b128 v[54:57], v51 offset:3264
	ds_write2_b64 v52, v[18:19], v[20:21] offset0:80 offset1:104
	ds_read2_b64 v[62:65], v53 offset0:144 offset1:194
	ds_read_b128 v[58:61], v51 offset:3280
	ds_read_b128 v[66:69], v51 offset:3296
	;; [unrolled: 1-line block ×3, first 2 shown]
	v_add_u32_e64 v53, s7, 0
	s_waitcnt lgkmcnt(5)
	v_fma_f64 v[16:17], -v[30:31], v[54:55], v[16:17]
	v_fma_f64 v[16:17], -v[32:33], v[56:57], v[16:17]
	s_waitcnt lgkmcnt(2)
	v_fma_f64 v[16:17], -v[34:35], v[58:59], v[16:17]
	v_fma_f64 v[16:17], -v[36:37], v[60:61], v[16:17]
	ds_read_b128 v[54:57], v51 offset:3328
	ds_read_b128 v[58:61], v51 offset:3344
	s_waitcnt lgkmcnt(3)
	v_fma_f64 v[16:17], -v[38:39], v[66:67], v[16:17]
	v_fma_f64 v[16:17], -v[40:41], v[68:69], v[16:17]
	s_waitcnt lgkmcnt(2)
	v_fma_f64 v[16:17], -v[42:43], v[70:71], v[16:17]
	v_fma_f64 v[16:17], -v[44:45], v[72:73], v[16:17]
	ds_read_b128 v[66:69], v51 offset:3360
	s_waitcnt lgkmcnt(2)
	v_fma_f64 v[16:17], -v[46:47], v[54:55], v[16:17]
	v_fma_f64 v[16:17], -v[48:49], v[56:57], v[16:17]
	ds_read_b128 v[54:57], v51 offset:3376
	;; [unrolled: 4-line block ×3, first 2 shown]
	s_waitcnt lgkmcnt(2)
	v_fma_f64 v[16:17], -v[22:23], v[66:67], v[16:17]
	v_fma_f64 v[16:17], -v[24:25], v[68:69], v[16:17]
	s_waitcnt lgkmcnt(1)
	v_fma_f64 v[16:17], -v[18:19], v[54:55], v[16:17]
	v_mul_f64 v[14:15], v[62:63], v[14:15]
	v_fma_f64 v[16:17], -v[20:21], v[56:57], v[16:17]
	ds_read_b128 v[54:57], v51 offset:3456
	s_waitcnt lgkmcnt(1)
	v_fma_f64 v[16:17], -v[14:15], v[58:59], v[16:17]
	v_mul_f64 v[16:17], v[60:61], v[16:17]
	ds_read_b128 v[58:61], v51 offset:3472
	ds_read_b128 v[66:69], v51 offset:3488
	s_waitcnt lgkmcnt(2)
	v_fma_f64 v[10:11], -v[30:31], v[54:55], v[10:11]
	v_fma_f64 v[10:11], -v[32:33], v[56:57], v[10:11]
	ds_read_b128 v[54:57], v51 offset:3504
	s_waitcnt lgkmcnt(2)
	v_fma_f64 v[10:11], -v[34:35], v[58:59], v[10:11]
	v_fma_f64 v[10:11], -v[36:37], v[60:61], v[10:11]
	;; [unrolled: 4-line block ×7, first 2 shown]
	s_waitcnt lgkmcnt(1)
	v_fma_f64 v[10:11], -v[18:19], v[58:59], v[10:11]
	ds_read_b128 v[54:57], v51 offset:3648
	v_fma_f64 v[10:11], -v[20:21], v[60:61], v[10:11]
	s_waitcnt lgkmcnt(1)
	v_fma_f64 v[10:11], -v[14:15], v[66:67], v[10:11]
	ds_write2_b64 v52, v[14:15], v[16:17] offset0:128 offset1:152
	v_fma_f64 v[10:11], -v[16:17], v[68:69], v[10:11]
	v_mul_f64 v[10:11], v[64:65], v[10:11]
	ds_read_b128 v[58:61], v51 offset:3664
	ds_read_b128 v[62:65], v51 offset:3680
	;; [unrolled: 1-line block ×3, first 2 shown]
	s_waitcnt lgkmcnt(4)
	v_fma_f64 v[12:13], -v[30:31], v[54:55], v[12:13]
	v_fma_f64 v[12:13], -v[32:33], v[56:57], v[12:13]
	s_waitcnt lgkmcnt(2)
	v_fma_f64 v[12:13], -v[34:35], v[58:59], v[12:13]
	v_fma_f64 v[12:13], -v[36:37], v[60:61], v[12:13]
	ds_read_b128 v[54:57], v51 offset:3712
	ds_read_b128 v[58:61], v51 offset:3728
	s_waitcnt lgkmcnt(3)
	v_fma_f64 v[12:13], -v[38:39], v[62:63], v[12:13]
	v_fma_f64 v[12:13], -v[40:41], v[64:65], v[12:13]
	s_waitcnt lgkmcnt(2)
	v_fma_f64 v[12:13], -v[42:43], v[66:67], v[12:13]
	v_fma_f64 v[12:13], -v[44:45], v[68:69], v[12:13]
	ds_read_b128 v[62:65], v51 offset:3744
	s_waitcnt lgkmcnt(2)
	v_fma_f64 v[12:13], -v[46:47], v[54:55], v[12:13]
	v_fma_f64 v[12:13], -v[48:49], v[56:57], v[12:13]
	ds_read_b128 v[54:57], v51 offset:3760
	;; [unrolled: 4-line block ×6, first 2 shown]
	s_waitcnt lgkmcnt(2)
	v_fma_f64 v[12:13], -v[10:11], v[62:63], v[12:13]
	v_mul_f64 v[12:13], v[64:65], v[12:13]
	ds_read_b128 v[62:65], v51 offset:3872
	s_waitcnt lgkmcnt(2)
	v_fma_f64 v[6:7], -v[30:31], v[54:55], v[6:7]
	v_fma_f64 v[6:7], -v[32:33], v[56:57], v[6:7]
	ds_read_b128 v[54:57], v51 offset:3888
	s_waitcnt lgkmcnt(2)
	v_fma_f64 v[6:7], -v[34:35], v[58:59], v[6:7]
	v_fma_f64 v[6:7], -v[36:37], v[60:61], v[6:7]
	;; [unrolled: 4-line block ×8, first 2 shown]
	s_waitcnt lgkmcnt(1)
	v_fma_f64 v[6:7], -v[14:15], v[62:63], v[6:7]
	v_fma_f64 v[6:7], -v[16:17], v[64:65], v[6:7]
	s_waitcnt lgkmcnt(0)
	v_fma_f64 v[6:7], -v[10:11], v[54:55], v[6:7]
	v_fma_f64 v[6:7], -v[12:13], v[56:57], v[6:7]
	ds_read_b128 v[54:57], v51 offset:4032
	ds_write2_b64 v52, v[10:11], v[12:13] offset0:176 offset1:200
	ds_read2_b64 v[58:61], v53 offset0:116 offset1:166
	ds_read_b128 v[62:65], v51 offset:4048
	ds_read_b128 v[66:69], v51 offset:4064
	;; [unrolled: 1-line block ×3, first 2 shown]
	s_waitcnt lgkmcnt(5)
	v_fma_f64 v[8:9], -v[30:31], v[54:55], v[8:9]
	v_fma_f64 v[8:9], -v[32:33], v[56:57], v[8:9]
	s_waitcnt lgkmcnt(2)
	v_fma_f64 v[8:9], -v[34:35], v[62:63], v[8:9]
	v_fma_f64 v[8:9], -v[36:37], v[64:65], v[8:9]
	ds_read_b128 v[54:57], v51 offset:4096
	ds_read_b128 v[62:65], v51 offset:4112
	s_waitcnt lgkmcnt(3)
	v_fma_f64 v[8:9], -v[38:39], v[66:67], v[8:9]
	v_fma_f64 v[8:9], -v[40:41], v[68:69], v[8:9]
	s_waitcnt lgkmcnt(2)
	v_fma_f64 v[8:9], -v[42:43], v[70:71], v[8:9]
	v_fma_f64 v[8:9], -v[44:45], v[72:73], v[8:9]
	ds_read_b128 v[66:69], v51 offset:4128
	s_waitcnt lgkmcnt(2)
	v_fma_f64 v[8:9], -v[46:47], v[54:55], v[8:9]
	v_fma_f64 v[8:9], -v[48:49], v[56:57], v[8:9]
	ds_read_b128 v[54:57], v51 offset:4144
	;; [unrolled: 4-line block ×5, first 2 shown]
	s_waitcnt lgkmcnt(2)
	v_fma_f64 v[8:9], -v[14:15], v[62:63], v[8:9]
	v_fma_f64 v[8:9], -v[16:17], v[64:65], v[8:9]
	s_waitcnt lgkmcnt(1)
	v_fma_f64 v[8:9], -v[10:11], v[66:67], v[8:9]
	v_mul_f64 v[6:7], v[58:59], v[6:7]
	v_fma_f64 v[8:9], -v[12:13], v[68:69], v[8:9]
	ds_read_b128 v[62:65], v51 offset:4224
	s_waitcnt lgkmcnt(1)
	v_fma_f64 v[8:9], -v[6:7], v[54:55], v[8:9]
	v_mul_f64 v[8:9], v[56:57], v[8:9]
	ds_read_b128 v[54:57], v51 offset:4240
	ds_read_b128 v[66:69], v51 offset:4256
	s_waitcnt lgkmcnt(2)
	v_fma_f64 v[2:3], -v[30:31], v[62:63], v[2:3]
	v_fma_f64 v[2:3], -v[32:33], v[64:65], v[2:3]
	ds_write2_b64 v52, v[6:7], v[8:9] offset0:224 offset1:248
	s_waitcnt lgkmcnt(2)
	v_fma_f64 v[2:3], -v[34:35], v[54:55], v[2:3]
	ds_read_b128 v[52:55], v51 offset:4272
	v_fma_f64 v[2:3], -v[36:37], v[56:57], v[2:3]
	ds_read_b128 v[56:59], v51 offset:4288
	s_waitcnt lgkmcnt(3)
	v_fma_f64 v[2:3], -v[38:39], v[66:67], v[2:3]
	v_fma_f64 v[2:3], -v[40:41], v[68:69], v[2:3]
	ds_read_b128 v[62:65], v51 offset:4304
	s_waitcnt lgkmcnt(2)
	v_fma_f64 v[2:3], -v[42:43], v[52:53], v[2:3]
	;; [unrolled: 4-line block ×3, first 2 shown]
	v_fma_f64 v[2:3], -v[48:49], v[58:59], v[2:3]
	s_waitcnt lgkmcnt(1)
	v_fma_f64 v[2:3], -v[26:27], v[62:63], v[2:3]
	ds_read_b128 v[56:59], v51 offset:4336
	v_fma_f64 v[2:3], -v[28:29], v[64:65], v[2:3]
	s_waitcnt lgkmcnt(1)
	v_fma_f64 v[2:3], -v[22:23], v[52:53], v[2:3]
	v_fma_f64 v[2:3], -v[24:25], v[54:55], v[2:3]
	ds_read_b128 v[52:55], v51 offset:4352
	ds_read_b128 v[62:65], v51 offset:4368
	s_waitcnt lgkmcnt(2)
	v_fma_f64 v[2:3], -v[18:19], v[56:57], v[2:3]
	v_fma_f64 v[2:3], -v[20:21], v[58:59], v[2:3]
	ds_read_b128 v[56:59], v51 offset:4384
	s_waitcnt lgkmcnt(2)
	v_fma_f64 v[2:3], -v[14:15], v[52:53], v[2:3]
	v_fma_f64 v[2:3], -v[16:17], v[54:55], v[2:3]
	s_waitcnt lgkmcnt(1)
	v_fma_f64 v[2:3], -v[10:11], v[62:63], v[2:3]
	ds_read_b128 v[52:55], v51 offset:4416
	v_fma_f64 v[2:3], -v[12:13], v[64:65], v[2:3]
	s_waitcnt lgkmcnt(1)
	v_fma_f64 v[2:3], -v[6:7], v[56:57], v[2:3]
	v_fma_f64 v[2:3], -v[8:9], v[58:59], v[2:3]
	v_mul_f64 v[68:69], v[60:61], v[2:3]
	ds_read_b128 v[56:59], v51 offset:4432
	ds_read_b128 v[60:63], v51 offset:4448
	;; [unrolled: 1-line block ×3, first 2 shown]
	s_waitcnt lgkmcnt(3)
	v_fma_f64 v[2:3], -v[30:31], v[52:53], v[4:5]
	v_fma_f64 v[2:3], -v[32:33], v[54:55], v[2:3]
	s_waitcnt lgkmcnt(2)
	v_fma_f64 v[2:3], -v[34:35], v[56:57], v[2:3]
	v_fma_f64 v[2:3], -v[36:37], v[58:59], v[2:3]
	s_waitcnt lgkmcnt(1)
	v_fma_f64 v[30:31], -v[38:39], v[60:61], v[2:3]
	ds_read_b128 v[2:5], v51 offset:4480
	v_fma_f64 v[30:31], -v[40:41], v[62:63], v[30:31]
	s_waitcnt lgkmcnt(1)
	v_fma_f64 v[34:35], -v[42:43], v[64:65], v[30:31]
	ds_read_b128 v[30:33], v51 offset:4496
	;; [unrolled: 4-line block ×5, first 2 shown]
	v_fma_f64 v[22:23], -v[24:25], v[36:37], v[22:23]
	s_waitcnt lgkmcnt(1)
	v_fma_f64 v[2:3], -v[18:19], v[2:3], v[22:23]
	v_fma_f64 v[18:19], -v[20:21], v[4:5], v[2:3]
	ds_read_b128 v[2:5], v51 offset:4560
	s_waitcnt lgkmcnt(1)
	v_fma_f64 v[14:15], -v[14:15], v[26:27], v[18:19]
	ds_read_b128 v[18:21], v51 offset:4576
	v_fma_f64 v[22:23], -v[16:17], v[28:29], v[14:15]
	ds_read_b128 v[14:17], v51 offset:4592
	s_waitcnt lgkmcnt(2)
	v_fma_f64 v[2:3], -v[10:11], v[2:3], v[22:23]
	v_fma_f64 v[2:3], -v[12:13], v[4:5], v[2:3]
	s_waitcnt lgkmcnt(1)
	v_fma_f64 v[2:3], -v[6:7], v[18:19], v[2:3]
	v_fma_f64 v[2:3], -v[8:9], v[20:21], v[2:3]
	s_waitcnt lgkmcnt(0)
	v_fma_f64 v[2:3], -v[68:69], v[14:15], v[2:3]
	v_mul_f64 v[2:3], v[16:17], v[2:3]
	ds_write2_b64 v50, v[68:69], v[2:3] offset0:16 offset1:40
.LBB92_12:
	s_cmp_lt_i32 s8, s22
	s_cbranch_scc0 .LBB92_23
; %bb.13:
	s_add_i32 s7, s8, 19
	s_cmp_ge_u32 s7, s22
	s_cbranch_scc1 .LBB92_18
; %bb.14:
	s_mul_i32 s7, s8, 0xc0
	v_add_u32_e32 v42, s7, v1
	v_add_u32_e32 v2, 0x400, v42
	ds_read2_b64 v[38:41], v42 offset1:24
	ds_read2_b64 v[34:37], v42 offset0:48 offset1:72
	ds_read2_b64 v[30:33], v42 offset0:96 offset1:120
	;; [unrolled: 1-line block ×5, first 2 shown]
	v_add_u32_e32 v2, 0x800, v42
	ds_read2_b64 v[14:17], v2 offset0:32 offset1:56
	ds_read2_b64 v[10:13], v2 offset0:80 offset1:104
	;; [unrolled: 1-line block ×4, first 2 shown]
	s_andn2_b64 vcc, exec, s[4:5]
	s_cbranch_vccnz .LBB92_17
; %bb.15:
	v_mov_b32_e32 v43, 0x1200
	v_lshl_or_b32 v43, v0, 3, v43
	s_mov_b32 s4, s8
	s_mov_b32 s5, s7
.LBB92_16:                              ; =>This Inner Loop Header: Depth=1
	ds_read2_b64 v[44:47], v43 offset1:24
	v_mov_b32_e32 v84, s5
	ds_read_b128 v[48:51], v84
	ds_read_b128 v[52:55], v84 offset:192
	ds_read_b128 v[56:59], v84 offset:384
	;; [unrolled: 1-line block ×8, first 2 shown]
	s_add_i32 s5, s5, 16
	s_add_i32 s4, s4, -2
	s_waitcnt lgkmcnt(8)
	v_fma_f64 v[38:39], -v[44:45], v[48:49], v[38:39]
	v_fma_f64 v[38:39], -v[46:47], v[50:51], v[38:39]
	ds_read_b128 v[48:51], v84 offset:1728
	s_waitcnt lgkmcnt(8)
	v_fma_f64 v[40:41], -v[44:45], v[52:53], v[40:41]
	v_fma_f64 v[40:41], -v[46:47], v[54:55], v[40:41]
	ds_read_b128 v[52:55], v84 offset:1920
	s_waitcnt lgkmcnt(8)
	v_fma_f64 v[34:35], -v[44:45], v[56:57], v[34:35]
	s_waitcnt lgkmcnt(7)
	v_fma_f64 v[36:37], -v[44:45], v[60:61], v[36:37]
	;; [unrolled: 2-line block ×8, first 2 shown]
	v_fma_f64 v[34:35], -v[46:47], v[58:59], v[34:35]
	ds_read_b128 v[56:59], v84 offset:2112
	v_fma_f64 v[36:37], -v[46:47], v[62:63], v[36:37]
	ds_read_b128 v[60:63], v84 offset:2304
	;; [unrolled: 2-line block ×8, first 2 shown]
	ds_read_b128 v[84:87], v84 offset:3648
	s_waitcnt lgkmcnt(9)
	v_fma_f64 v[18:19], -v[44:45], v[52:53], v[18:19]
	s_waitcnt lgkmcnt(8)
	v_fma_f64 v[20:21], -v[44:45], v[56:57], v[20:21]
	s_waitcnt lgkmcnt(7)
	v_fma_f64 v[14:15], -v[44:45], v[60:61], v[14:15]
	s_waitcnt lgkmcnt(6)
	v_fma_f64 v[16:17], -v[44:45], v[64:65], v[16:17]
	s_waitcnt lgkmcnt(5)
	v_fma_f64 v[10:11], -v[44:45], v[68:69], v[10:11]
	s_waitcnt lgkmcnt(4)
	v_fma_f64 v[12:13], -v[44:45], v[72:73], v[12:13]
	s_waitcnt lgkmcnt(3)
	v_fma_f64 v[6:7], -v[44:45], v[76:77], v[6:7]
	s_waitcnt lgkmcnt(2)
	v_fma_f64 v[8:9], -v[44:45], v[80:81], v[8:9]
	s_waitcnt lgkmcnt(1)
	v_fma_f64 v[2:3], -v[44:45], v[48:49], v[2:3]
	s_waitcnt lgkmcnt(0)
	v_fma_f64 v[4:5], -v[44:45], v[84:85], v[4:5]
	v_add_u32_e32 v43, 0x180, v43
	s_cmp_lg_u32 s4, 0
	v_fma_f64 v[18:19], -v[46:47], v[54:55], v[18:19]
	v_fma_f64 v[20:21], -v[46:47], v[58:59], v[20:21]
	;; [unrolled: 1-line block ×10, first 2 shown]
	s_cbranch_scc1 .LBB92_16
.LBB92_17:
	s_lshl_b32 s5, s8, 3
	s_add_i32 s4, s5, s7
	v_mov_b32_e32 v62, s4
	ds_read2_b64 v[44:47], v62 offset1:50
	s_add_i32 s4, s8, 20
	s_add_i32 s8, s7, 0xc0
	;; [unrolled: 1-line block ×3, first 2 shown]
	v_mov_b32_e32 v43, s9
	s_waitcnt lgkmcnt(0)
	v_mul_f64 v[38:39], v[44:45], v[38:39]
	s_add_i32 s9, s7, 0x180
	ds_write_b64 v42, v[38:39]
	ds_read_b128 v[42:45], v43
	s_add_i32 s12, s5, s9
	v_mov_b32_e32 v48, s12
	ds_read_b128 v[48:51], v48
	s_waitcnt lgkmcnt(1)
	v_fma_f64 v[40:41], -v[38:39], v[42:43], v[40:41]
	v_add_u32_e32 v42, s8, v1
	s_add_i32 s8, s7, 0x240
	s_add_i32 s12, s5, s8
	v_mul_f64 v[40:41], v[44:45], v[40:41]
	s_waitcnt lgkmcnt(0)
	v_fma_f64 v[34:35], -v[38:39], v[48:49], v[34:35]
	v_mov_b32_e32 v48, s12
	ds_write_b64 v42, v[40:41]
	ds_read_b128 v[42:45], v48
	v_fma_f64 v[34:35], -v[40:41], v[50:51], v[34:35]
	v_mul_f64 v[34:35], v[46:47], v[34:35]
	ds_read_b128 v[46:49], v48 offset:16
	v_add_u32_e32 v50, s9, v1
	s_waitcnt lgkmcnt(1)
	v_fma_f64 v[36:37], -v[38:39], v[42:43], v[36:37]
	s_add_i32 s9, s7, 0x300
	v_fma_f64 v[36:37], -v[40:41], v[44:45], v[36:37]
	s_add_i32 s12, s5, s9
	s_waitcnt lgkmcnt(0)
	v_fma_f64 v[36:37], -v[34:35], v[46:47], v[36:37]
	v_mov_b32_e32 v46, s12
	ds_read_b128 v[42:45], v46
	v_mul_f64 v[36:37], v[48:49], v[36:37]
	ds_read_b128 v[46:49], v46 offset:16
	ds_write_b64 v50, v[34:35]
	v_add_u32_e32 v50, s8, v1
	ds_write_b64 v50, v[36:37]
	ds_read2_b64 v[50:53], v62 offset0:100 offset1:150
	s_waitcnt lgkmcnt(4)
	v_fma_f64 v[30:31], -v[38:39], v[42:43], v[30:31]
	v_fma_f64 v[30:31], -v[40:41], v[44:45], v[30:31]
	s_waitcnt lgkmcnt(3)
	v_fma_f64 v[30:31], -v[34:35], v[46:47], v[30:31]
	s_add_i32 s8, s7, 0x3c0
	v_fma_f64 v[30:31], -v[36:37], v[48:49], v[30:31]
	s_add_i32 s12, s5, s8
	s_waitcnt lgkmcnt(0)
	v_mul_f64 v[30:31], v[50:51], v[30:31]
	v_mov_b32_e32 v50, s12
	ds_read_b128 v[42:45], v50
	ds_read_b128 v[46:49], v50 offset:16
	v_add_u32_e32 v51, s9, v1
	s_add_i32 s9, s7, 0x480
	ds_read_b128 v[54:57], v50 offset:32
	s_add_i32 s12, s5, s9
	s_waitcnt lgkmcnt(2)
	v_fma_f64 v[32:33], -v[38:39], v[42:43], v[32:33]
	v_mov_b32_e32 v50, s12
	v_fma_f64 v[32:33], -v[40:41], v[44:45], v[32:33]
	ds_read_b128 v[42:45], v50
	s_waitcnt lgkmcnt(2)
	v_fma_f64 v[32:33], -v[34:35], v[46:47], v[32:33]
	v_fma_f64 v[32:33], -v[36:37], v[48:49], v[32:33]
	ds_read_b128 v[46:49], v50 offset:16
	s_waitcnt lgkmcnt(2)
	v_fma_f64 v[32:33], -v[30:31], v[54:55], v[32:33]
	v_mul_f64 v[32:33], v[56:57], v[32:33]
	ds_read_b128 v[54:57], v50 offset:32
	s_waitcnt lgkmcnt(2)
	v_fma_f64 v[26:27], -v[38:39], v[42:43], v[26:27]
	v_fma_f64 v[26:27], -v[40:41], v[44:45], v[26:27]
	ds_write_b64 v51, v[30:31]
	v_add_u32_e32 v51, s8, v1
	s_waitcnt lgkmcnt(2)
	v_fma_f64 v[26:27], -v[34:35], v[46:47], v[26:27]
	s_add_i32 s8, s7, 0x540
	v_fma_f64 v[26:27], -v[36:37], v[48:49], v[26:27]
	v_add_u32_e32 v46, s9, v1
	s_add_i32 s9, s5, s8
	s_waitcnt lgkmcnt(1)
	v_fma_f64 v[26:27], -v[30:31], v[54:55], v[26:27]
	v_mov_b32_e32 v54, s9
	ds_read_b128 v[42:45], v54
	v_fma_f64 v[26:27], -v[32:33], v[56:57], v[26:27]
	v_mul_f64 v[26:27], v[52:53], v[26:27]
	ds_write_b64 v51, v[32:33]
	ds_write_b64 v46, v[26:27]
	ds_read_b128 v[46:49], v54 offset:16
	ds_read_b128 v[50:53], v54 offset:32
	;; [unrolled: 1-line block ×3, first 2 shown]
	s_waitcnt lgkmcnt(5)
	v_fma_f64 v[28:29], -v[38:39], v[42:43], v[28:29]
	v_fma_f64 v[28:29], -v[40:41], v[44:45], v[28:29]
	s_waitcnt lgkmcnt(2)
	v_fma_f64 v[28:29], -v[34:35], v[46:47], v[28:29]
	v_fma_f64 v[28:29], -v[36:37], v[48:49], v[28:29]
	s_waitcnt lgkmcnt(1)
	v_fma_f64 v[28:29], -v[30:31], v[50:51], v[28:29]
	v_add_u32_e32 v46, s8, v1
	s_add_i32 s8, s7, 0x600
	v_fma_f64 v[28:29], -v[32:33], v[52:53], v[28:29]
	s_add_i32 s9, s5, s8
	s_waitcnt lgkmcnt(0)
	v_fma_f64 v[28:29], -v[26:27], v[54:55], v[28:29]
	v_mov_b32_e32 v54, s9
	ds_read_b128 v[42:45], v54
	v_mul_f64 v[28:29], v[56:57], v[28:29]
	ds_write_b64 v46, v[28:29]
	ds_read_b128 v[46:49], v54 offset:16
	ds_read_b128 v[50:53], v54 offset:32
	;; [unrolled: 1-line block ×3, first 2 shown]
	s_waitcnt lgkmcnt(4)
	v_fma_f64 v[22:23], -v[38:39], v[42:43], v[22:23]
	v_fma_f64 v[22:23], -v[40:41], v[44:45], v[22:23]
	s_waitcnt lgkmcnt(2)
	v_fma_f64 v[22:23], -v[34:35], v[46:47], v[22:23]
	v_fma_f64 v[22:23], -v[36:37], v[48:49], v[22:23]
	ds_read2_b64 v[42:45], v62 offset0:200 offset1:250
	s_waitcnt lgkmcnt(2)
	v_fma_f64 v[22:23], -v[30:31], v[50:51], v[22:23]
	v_fma_f64 v[22:23], -v[32:33], v[52:53], v[22:23]
	s_waitcnt lgkmcnt(1)
	v_fma_f64 v[22:23], -v[26:27], v[54:55], v[22:23]
	v_fma_f64 v[22:23], -v[28:29], v[56:57], v[22:23]
	s_waitcnt lgkmcnt(0)
	v_mul_f64 v[22:23], v[42:43], v[22:23]
	v_add_u32_e32 v42, s8, v1
	s_add_i32 s8, s7, 0x6c0
	s_add_i32 s9, s5, s8
	v_mov_b32_e32 v43, s9
	ds_read_b128 v[46:49], v43
	ds_write_b64 v42, v[22:23]
	ds_read_b128 v[50:53], v43 offset:16
	ds_read_b128 v[54:57], v43 offset:32
	;; [unrolled: 1-line block ×3, first 2 shown]
	s_add_i32 s9, s7, 0x780
	s_add_i32 s12, s5, s9
	s_waitcnt lgkmcnt(4)
	v_fma_f64 v[24:25], -v[38:39], v[46:47], v[24:25]
	v_fma_f64 v[24:25], -v[40:41], v[48:49], v[24:25]
	s_waitcnt lgkmcnt(2)
	v_fma_f64 v[24:25], -v[34:35], v[50:51], v[24:25]
	v_fma_f64 v[24:25], -v[36:37], v[52:53], v[24:25]
	ds_read_b128 v[46:49], v43 offset:64
	s_waitcnt lgkmcnt(2)
	v_fma_f64 v[24:25], -v[30:31], v[54:55], v[24:25]
	v_fma_f64 v[24:25], -v[32:33], v[56:57], v[24:25]
	s_waitcnt lgkmcnt(1)
	v_fma_f64 v[24:25], -v[26:27], v[58:59], v[24:25]
	v_mov_b32_e32 v42, s12
	v_fma_f64 v[24:25], -v[28:29], v[60:61], v[24:25]
	ds_read_b128 v[50:53], v42
	s_waitcnt lgkmcnt(1)
	v_fma_f64 v[24:25], -v[22:23], v[46:47], v[24:25]
	v_mul_f64 v[24:25], v[48:49], v[24:25]
	v_add_u32_e32 v43, s8, v1
	ds_write_b64 v43, v[24:25]
	ds_read_b128 v[46:49], v42 offset:16
	ds_read_b128 v[54:57], v42 offset:32
	;; [unrolled: 1-line block ×3, first 2 shown]
	s_waitcnt lgkmcnt(4)
	v_fma_f64 v[18:19], -v[38:39], v[50:51], v[18:19]
	v_fma_f64 v[18:19], -v[40:41], v[52:53], v[18:19]
	s_waitcnt lgkmcnt(2)
	v_fma_f64 v[18:19], -v[34:35], v[46:47], v[18:19]
	v_fma_f64 v[18:19], -v[36:37], v[48:49], v[18:19]
	ds_read_b128 v[46:49], v42 offset:64
	s_waitcnt lgkmcnt(2)
	v_fma_f64 v[18:19], -v[30:31], v[54:55], v[18:19]
	v_fma_f64 v[18:19], -v[32:33], v[56:57], v[18:19]
	s_waitcnt lgkmcnt(1)
	v_fma_f64 v[18:19], -v[26:27], v[58:59], v[18:19]
	v_fma_f64 v[18:19], -v[28:29], v[60:61], v[18:19]
	s_add_i32 s8, s7, 0x840
	s_waitcnt lgkmcnt(0)
	v_fma_f64 v[18:19], -v[22:23], v[46:47], v[18:19]
	v_add_u32_e32 v46, s9, v1
	s_add_i32 s9, s5, s8
	v_fma_f64 v[18:19], -v[24:25], v[48:49], v[18:19]
	v_mov_b32_e32 v58, s9
	v_mul_f64 v[18:19], v[44:45], v[18:19]
	ds_read_b128 v[42:45], v58
	ds_write_b64 v46, v[18:19]
	ds_read_b128 v[46:49], v58 offset:16
	ds_read_b128 v[50:53], v58 offset:32
	;; [unrolled: 1-line block ×3, first 2 shown]
	v_add_u32_e32 v62, 0x800, v62
	s_waitcnt lgkmcnt(4)
	v_fma_f64 v[20:21], -v[38:39], v[42:43], v[20:21]
	v_fma_f64 v[20:21], -v[40:41], v[44:45], v[20:21]
	s_waitcnt lgkmcnt(2)
	v_fma_f64 v[20:21], -v[34:35], v[46:47], v[20:21]
	v_fma_f64 v[20:21], -v[36:37], v[48:49], v[20:21]
	ds_read_b128 v[42:45], v58 offset:64
	ds_read_b128 v[46:49], v58 offset:80
	s_waitcnt lgkmcnt(3)
	v_fma_f64 v[20:21], -v[30:31], v[50:51], v[20:21]
	v_fma_f64 v[20:21], -v[32:33], v[52:53], v[20:21]
	s_waitcnt lgkmcnt(2)
	v_fma_f64 v[20:21], -v[26:27], v[54:55], v[20:21]
	v_fma_f64 v[20:21], -v[28:29], v[56:57], v[20:21]
	;; [unrolled: 3-line block ×3, first 2 shown]
	s_waitcnt lgkmcnt(0)
	v_fma_f64 v[20:21], -v[18:19], v[46:47], v[20:21]
	v_add_u32_e32 v46, s8, v1
	s_add_i32 s8, s7, 0x900
	s_add_i32 s9, s5, s8
	v_mov_b32_e32 v58, s9
	ds_read_b128 v[42:45], v58
	v_mul_f64 v[20:21], v[48:49], v[20:21]
	ds_write_b64 v46, v[20:21]
	ds_read_b128 v[46:49], v58 offset:16
	ds_read_b128 v[50:53], v58 offset:32
	;; [unrolled: 1-line block ×3, first 2 shown]
	s_waitcnt lgkmcnt(4)
	v_fma_f64 v[14:15], -v[38:39], v[42:43], v[14:15]
	v_fma_f64 v[14:15], -v[40:41], v[44:45], v[14:15]
	s_waitcnt lgkmcnt(2)
	v_fma_f64 v[14:15], -v[34:35], v[46:47], v[14:15]
	v_fma_f64 v[14:15], -v[36:37], v[48:49], v[14:15]
	ds_read_b128 v[42:45], v58 offset:64
	ds_read_b128 v[46:49], v58 offset:80
	s_waitcnt lgkmcnt(3)
	v_fma_f64 v[14:15], -v[30:31], v[50:51], v[14:15]
	v_fma_f64 v[14:15], -v[32:33], v[52:53], v[14:15]
	s_waitcnt lgkmcnt(2)
	v_fma_f64 v[14:15], -v[26:27], v[54:55], v[14:15]
	v_fma_f64 v[14:15], -v[28:29], v[56:57], v[14:15]
	ds_read2_b64 v[50:53], v62 offset0:44 offset1:94
	s_waitcnt lgkmcnt(2)
	v_fma_f64 v[14:15], -v[22:23], v[42:43], v[14:15]
	v_fma_f64 v[14:15], -v[24:25], v[44:45], v[14:15]
	s_waitcnt lgkmcnt(1)
	v_fma_f64 v[14:15], -v[18:19], v[46:47], v[14:15]
	v_add_u32_e32 v46, s8, v1
	s_add_i32 s8, s7, 0x9c0
	v_fma_f64 v[14:15], -v[20:21], v[48:49], v[14:15]
	s_add_i32 s9, s5, s8
	s_waitcnt lgkmcnt(0)
	v_mul_f64 v[14:15], v[50:51], v[14:15]
	v_mov_b32_e32 v50, s9
	ds_read_b128 v[42:45], v50
	ds_write_b64 v46, v[14:15]
	ds_read_b128 v[46:49], v50 offset:16
	ds_read_b128 v[54:57], v50 offset:32
	ds_read_b128 v[58:61], v50 offset:48
	s_add_i32 s9, s7, 0xa80
	s_add_i32 s12, s5, s9
	s_waitcnt lgkmcnt(4)
	v_fma_f64 v[16:17], -v[38:39], v[42:43], v[16:17]
	v_fma_f64 v[16:17], -v[40:41], v[44:45], v[16:17]
	s_waitcnt lgkmcnt(2)
	v_fma_f64 v[16:17], -v[34:35], v[46:47], v[16:17]
	v_fma_f64 v[16:17], -v[36:37], v[48:49], v[16:17]
	ds_read_b128 v[42:45], v50 offset:64
	ds_read_b128 v[46:49], v50 offset:80
	s_waitcnt lgkmcnt(3)
	v_fma_f64 v[16:17], -v[30:31], v[54:55], v[16:17]
	v_fma_f64 v[16:17], -v[32:33], v[56:57], v[16:17]
	s_waitcnt lgkmcnt(2)
	v_fma_f64 v[16:17], -v[26:27], v[58:59], v[16:17]
	v_fma_f64 v[16:17], -v[28:29], v[60:61], v[16:17]
	s_waitcnt lgkmcnt(1)
	v_fma_f64 v[16:17], -v[22:23], v[42:43], v[16:17]
	v_fma_f64 v[16:17], -v[24:25], v[44:45], v[16:17]
	ds_read_b128 v[42:45], v50 offset:96
	s_waitcnt lgkmcnt(1)
	v_fma_f64 v[16:17], -v[18:19], v[46:47], v[16:17]
	v_mov_b32_e32 v50, s12
	v_fma_f64 v[16:17], -v[20:21], v[48:49], v[16:17]
	ds_read_b128 v[46:49], v50
	s_waitcnt lgkmcnt(1)
	v_fma_f64 v[16:17], -v[14:15], v[42:43], v[16:17]
	v_mul_f64 v[16:17], v[44:45], v[16:17]
	v_add_u32_e32 v42, s8, v1
	ds_write_b64 v42, v[16:17]
	ds_read_b128 v[42:45], v50 offset:16
	ds_read_b128 v[54:57], v50 offset:32
	ds_read_b128 v[58:61], v50 offset:48
	s_waitcnt lgkmcnt(4)
	v_fma_f64 v[10:11], -v[38:39], v[46:47], v[10:11]
	v_fma_f64 v[10:11], -v[40:41], v[48:49], v[10:11]
	s_waitcnt lgkmcnt(2)
	v_fma_f64 v[10:11], -v[34:35], v[42:43], v[10:11]
	v_fma_f64 v[10:11], -v[36:37], v[44:45], v[10:11]
	ds_read_b128 v[42:45], v50 offset:64
	ds_read_b128 v[46:49], v50 offset:80
	s_waitcnt lgkmcnt(3)
	v_fma_f64 v[10:11], -v[30:31], v[54:55], v[10:11]
	v_fma_f64 v[10:11], -v[32:33], v[56:57], v[10:11]
	s_waitcnt lgkmcnt(2)
	v_fma_f64 v[10:11], -v[26:27], v[58:59], v[10:11]
	v_fma_f64 v[10:11], -v[28:29], v[60:61], v[10:11]
	ds_read_b128 v[54:57], v50 offset:96
	s_waitcnt lgkmcnt(2)
	v_fma_f64 v[10:11], -v[22:23], v[42:43], v[10:11]
	v_fma_f64 v[10:11], -v[24:25], v[44:45], v[10:11]
	s_add_i32 s8, s7, 0xb40
	s_waitcnt lgkmcnt(1)
	v_fma_f64 v[10:11], -v[18:19], v[46:47], v[10:11]
	v_add_u32_e32 v46, s9, v1
	s_add_i32 s9, s5, s8
	v_fma_f64 v[10:11], -v[20:21], v[48:49], v[10:11]
	v_mov_b32_e32 v58, s9
	ds_read_b128 v[42:45], v58
	s_waitcnt lgkmcnt(1)
	v_fma_f64 v[10:11], -v[14:15], v[54:55], v[10:11]
	v_fma_f64 v[10:11], -v[16:17], v[56:57], v[10:11]
	v_mul_f64 v[10:11], v[52:53], v[10:11]
	ds_write_b64 v46, v[10:11]
	ds_read_b128 v[46:49], v58 offset:16
	ds_read_b128 v[50:53], v58 offset:32
	;; [unrolled: 1-line block ×3, first 2 shown]
	s_waitcnt lgkmcnt(4)
	v_fma_f64 v[12:13], -v[38:39], v[42:43], v[12:13]
	v_fma_f64 v[12:13], -v[40:41], v[44:45], v[12:13]
	s_waitcnt lgkmcnt(2)
	v_fma_f64 v[12:13], -v[34:35], v[46:47], v[12:13]
	v_fma_f64 v[12:13], -v[36:37], v[48:49], v[12:13]
	ds_read_b128 v[42:45], v58 offset:64
	ds_read_b128 v[46:49], v58 offset:80
	s_waitcnt lgkmcnt(3)
	v_fma_f64 v[12:13], -v[30:31], v[50:51], v[12:13]
	v_fma_f64 v[12:13], -v[32:33], v[52:53], v[12:13]
	s_waitcnt lgkmcnt(2)
	v_fma_f64 v[12:13], -v[26:27], v[54:55], v[12:13]
	v_fma_f64 v[12:13], -v[28:29], v[56:57], v[12:13]
	ds_read_b128 v[50:53], v58 offset:96
	s_waitcnt lgkmcnt(2)
	v_fma_f64 v[12:13], -v[22:23], v[42:43], v[12:13]
	v_fma_f64 v[12:13], -v[24:25], v[44:45], v[12:13]
	ds_read_b128 v[42:45], v58 offset:112
	s_waitcnt lgkmcnt(2)
	v_fma_f64 v[12:13], -v[18:19], v[46:47], v[12:13]
	v_fma_f64 v[12:13], -v[20:21], v[48:49], v[12:13]
	s_waitcnt lgkmcnt(1)
	v_fma_f64 v[12:13], -v[14:15], v[50:51], v[12:13]
	v_add_u32_e32 v46, s8, v1
	s_add_i32 s8, s7, 0xc00
	v_fma_f64 v[12:13], -v[16:17], v[52:53], v[12:13]
	s_add_i32 s9, s5, s8
	s_waitcnt lgkmcnt(0)
	v_fma_f64 v[12:13], -v[10:11], v[42:43], v[12:13]
	v_mov_b32_e32 v58, s9
	v_mul_f64 v[12:13], v[44:45], v[12:13]
	ds_read_b128 v[42:45], v58
	ds_write_b64 v46, v[12:13]
	ds_read_b128 v[46:49], v58 offset:16
	ds_read_b128 v[50:53], v58 offset:32
	;; [unrolled: 1-line block ×3, first 2 shown]
	s_waitcnt lgkmcnt(4)
	v_fma_f64 v[6:7], -v[38:39], v[42:43], v[6:7]
	v_fma_f64 v[6:7], -v[40:41], v[44:45], v[6:7]
	s_waitcnt lgkmcnt(2)
	v_fma_f64 v[6:7], -v[34:35], v[46:47], v[6:7]
	v_fma_f64 v[6:7], -v[36:37], v[48:49], v[6:7]
	ds_read_b128 v[42:45], v58 offset:64
	ds_read_b128 v[46:49], v58 offset:80
	s_waitcnt lgkmcnt(3)
	v_fma_f64 v[6:7], -v[30:31], v[50:51], v[6:7]
	v_fma_f64 v[6:7], -v[32:33], v[52:53], v[6:7]
	s_waitcnt lgkmcnt(2)
	v_fma_f64 v[6:7], -v[26:27], v[54:55], v[6:7]
	v_fma_f64 v[6:7], -v[28:29], v[56:57], v[6:7]
	;; [unrolled: 3-line block ×3, first 2 shown]
	ds_read_b128 v[42:45], v58 offset:96
	ds_read_b128 v[50:53], v58 offset:112
	s_waitcnt lgkmcnt(2)
	v_fma_f64 v[6:7], -v[18:19], v[46:47], v[6:7]
	v_fma_f64 v[6:7], -v[20:21], v[48:49], v[6:7]
	ds_read2_b64 v[46:49], v62 offset0:144 offset1:194
	s_waitcnt lgkmcnt(2)
	v_fma_f64 v[6:7], -v[14:15], v[42:43], v[6:7]
	v_fma_f64 v[6:7], -v[16:17], v[44:45], v[6:7]
	s_waitcnt lgkmcnt(1)
	v_fma_f64 v[6:7], -v[10:11], v[50:51], v[6:7]
	v_fma_f64 v[6:7], -v[12:13], v[52:53], v[6:7]
	s_waitcnt lgkmcnt(0)
	v_mul_f64 v[62:63], v[46:47], v[6:7]
	v_add_u32_e32 v6, s8, v1
	s_add_i32 s8, s7, 0xcc0
	s_add_i32 s9, s5, s8
	v_mov_b32_e32 v64, s9
	ds_read_b128 v[42:45], v64
	ds_write_b64 v6, v[62:63]
	ds_read_b128 v[50:53], v64 offset:16
	ds_read_b128 v[54:57], v64 offset:32
	;; [unrolled: 1-line block ×3, first 2 shown]
	s_add_i32 s9, s7, 0xd80
	s_add_i32 s12, s5, s9
	s_waitcnt lgkmcnt(4)
	v_fma_f64 v[6:7], -v[38:39], v[42:43], v[8:9]
	v_fma_f64 v[6:7], -v[40:41], v[44:45], v[6:7]
	s_waitcnt lgkmcnt(2)
	v_fma_f64 v[6:7], -v[34:35], v[50:51], v[6:7]
	v_fma_f64 v[6:7], -v[36:37], v[52:53], v[6:7]
	s_waitcnt lgkmcnt(1)
	v_fma_f64 v[42:43], -v[30:31], v[54:55], v[6:7]
	ds_read_b128 v[6:9], v64 offset:64
	v_fma_f64 v[42:43], -v[32:33], v[56:57], v[42:43]
	s_waitcnt lgkmcnt(1)
	v_fma_f64 v[42:43], -v[26:27], v[58:59], v[42:43]
	v_fma_f64 v[46:47], -v[28:29], v[60:61], v[42:43]
	ds_read_b128 v[42:45], v64 offset:80
	ds_read_b128 v[50:53], v64 offset:96
	s_waitcnt lgkmcnt(2)
	v_fma_f64 v[6:7], -v[22:23], v[6:7], v[46:47]
	v_fma_f64 v[46:47], -v[24:25], v[8:9], v[6:7]
	ds_read_b128 v[6:9], v64 offset:112
	s_waitcnt lgkmcnt(2)
	v_fma_f64 v[42:43], -v[18:19], v[42:43], v[46:47]
	v_fma_f64 v[42:43], -v[20:21], v[44:45], v[42:43]
	s_waitcnt lgkmcnt(1)
	v_fma_f64 v[42:43], -v[14:15], v[50:51], v[42:43]
	v_fma_f64 v[42:43], -v[16:17], v[52:53], v[42:43]
	;; [unrolled: 3-line block ×3, first 2 shown]
	ds_read_b128 v[6:9], v64 offset:128
	v_mov_b32_e32 v60, s12
	ds_read_b128 v[42:45], v60
	s_addk_i32 s7, 0xe40
	s_add_i32 s5, s5, s7
	s_waitcnt lgkmcnt(1)
	v_fma_f64 v[6:7], -v[62:63], v[6:7], v[46:47]
	v_mul_f64 v[58:59], v[8:9], v[6:7]
	v_add_u32_e32 v6, s8, v1
	ds_write_b64 v6, v[58:59]
	ds_read_b128 v[6:9], v60 offset:16
	ds_read_b128 v[50:53], v60 offset:32
	;; [unrolled: 1-line block ×3, first 2 shown]
	s_waitcnt lgkmcnt(4)
	v_fma_f64 v[2:3], -v[38:39], v[42:43], v[2:3]
	v_fma_f64 v[2:3], -v[40:41], v[44:45], v[2:3]
	s_waitcnt lgkmcnt(2)
	v_fma_f64 v[2:3], -v[34:35], v[6:7], v[2:3]
	v_fma_f64 v[2:3], -v[36:37], v[8:9], v[2:3]
	ds_read_b128 v[6:9], v60 offset:64
	ds_read_b128 v[42:45], v60 offset:80
	s_waitcnt lgkmcnt(3)
	v_fma_f64 v[2:3], -v[30:31], v[50:51], v[2:3]
	v_fma_f64 v[2:3], -v[32:33], v[52:53], v[2:3]
	s_waitcnt lgkmcnt(2)
	v_fma_f64 v[2:3], -v[26:27], v[54:55], v[2:3]
	v_fma_f64 v[2:3], -v[28:29], v[56:57], v[2:3]
	;; [unrolled: 3-line block ×3, first 2 shown]
	ds_read_b128 v[6:9], v60 offset:96
	ds_read_b128 v[50:53], v60 offset:112
	s_waitcnt lgkmcnt(2)
	v_fma_f64 v[2:3], -v[18:19], v[42:43], v[2:3]
	v_fma_f64 v[2:3], -v[20:21], v[44:45], v[2:3]
	ds_read_b128 v[42:45], v60 offset:128
	s_waitcnt lgkmcnt(2)
	v_fma_f64 v[2:3], -v[14:15], v[6:7], v[2:3]
	v_fma_f64 v[2:3], -v[16:17], v[8:9], v[2:3]
	v_mov_b32_e32 v56, s5
	ds_read_b128 v[6:9], v56
	s_waitcnt lgkmcnt(2)
	v_fma_f64 v[2:3], -v[10:11], v[50:51], v[2:3]
	v_fma_f64 v[2:3], -v[12:13], v[52:53], v[2:3]
	s_waitcnt lgkmcnt(1)
	v_fma_f64 v[2:3], -v[62:63], v[42:43], v[2:3]
	v_fma_f64 v[2:3], -v[58:59], v[44:45], v[2:3]
	v_mul_f64 v[54:55], v[48:49], v[2:3]
	v_add_u32_e32 v2, s9, v1
	ds_write_b64 v2, v[54:55]
	ds_read_b128 v[42:45], v56 offset:16
	ds_read_b128 v[46:49], v56 offset:32
	;; [unrolled: 1-line block ×3, first 2 shown]
	s_waitcnt lgkmcnt(4)
	v_fma_f64 v[2:3], -v[38:39], v[6:7], v[4:5]
	v_fma_f64 v[2:3], -v[40:41], v[8:9], v[2:3]
	s_waitcnt lgkmcnt(2)
	v_fma_f64 v[2:3], -v[34:35], v[42:43], v[2:3]
	v_fma_f64 v[2:3], -v[36:37], v[44:45], v[2:3]
	s_waitcnt lgkmcnt(1)
	v_fma_f64 v[6:7], -v[30:31], v[46:47], v[2:3]
	ds_read_b128 v[2:5], v56 offset:64
	v_fma_f64 v[6:7], -v[32:33], v[48:49], v[6:7]
	s_waitcnt lgkmcnt(1)
	v_fma_f64 v[26:27], -v[26:27], v[50:51], v[6:7]
	ds_read_b128 v[6:9], v56 offset:80
	;; [unrolled: 4-line block ×3, first 2 shown]
	v_fma_f64 v[2:3], -v[24:25], v[4:5], v[2:3]
	s_waitcnt lgkmcnt(1)
	v_fma_f64 v[2:3], -v[18:19], v[6:7], v[2:3]
	v_fma_f64 v[6:7], -v[20:21], v[8:9], v[2:3]
	ds_read_b128 v[2:5], v56 offset:112
	s_waitcnt lgkmcnt(1)
	v_fma_f64 v[14:15], -v[14:15], v[26:27], v[6:7]
	ds_read_b128 v[6:9], v56 offset:128
	v_fma_f64 v[18:19], -v[16:17], v[28:29], v[14:15]
	ds_read_b128 v[14:17], v56 offset:144
	s_waitcnt lgkmcnt(2)
	v_fma_f64 v[2:3], -v[10:11], v[2:3], v[18:19]
	v_fma_f64 v[2:3], -v[12:13], v[4:5], v[2:3]
	s_waitcnt lgkmcnt(1)
	v_fma_f64 v[2:3], -v[62:63], v[6:7], v[2:3]
	v_fma_f64 v[2:3], -v[58:59], v[8:9], v[2:3]
	s_waitcnt lgkmcnt(0)
	v_fma_f64 v[2:3], -v[54:55], v[14:15], v[2:3]
	v_mul_f64 v[2:3], v[16:17], v[2:3]
	v_add_u32_e32 v4, s7, v1
	s_mov_b32 s8, s4
	ds_write_b64 v4, v[2:3]
.LBB92_18:
	s_cmp_ge_i32 s8, s22
	s_cbranch_scc1 .LBB92_23
; %bb.19:
	v_mov_b32_e32 v2, 0x1200
	s_mul_i32 s4, s8, 0xc0
	v_lshl_or_b32 v4, v0, 3, v2
	s_branch .LBB92_21
.LBB92_20:                              ;   in Loop: Header=BB92_21 Depth=1
	s_mul_i32 s5, s8, 0xc8
	v_mov_b32_e32 v6, s5
	ds_read_b64 v[6:7], v6
	s_add_i32 s8, s8, 1
	s_addk_i32 s4, 0xc0
	s_cmp_ge_i32 s8, s22
	s_waitcnt lgkmcnt(0)
	v_mul_f64 v[2:3], v[6:7], v[2:3]
	ds_write_b64 v5, v[2:3]
	s_cbranch_scc1 .LBB92_23
.LBB92_21:                              ; =>This Loop Header: Depth=1
                                        ;     Child Loop BB92_22 Depth 2
	s_mul_i32 s5, s8, 0xc0
	v_add_u32_e32 v5, s5, v1
	ds_read_b64 v[2:3], v5
	s_cmp_eq_u32 s8, 0
	v_mov_b32_e32 v6, v4
	s_mov_b32 s5, s8
	s_mov_b32 s7, s4
	s_cbranch_scc1 .LBB92_20
.LBB92_22:                              ;   Parent Loop BB92_21 Depth=1
                                        ; =>  This Inner Loop Header: Depth=2
	v_mov_b32_e32 v7, s7
	ds_read_b64 v[8:9], v6
	ds_read_b64 v[10:11], v7
	s_add_i32 s7, s7, 8
	s_add_i32 s5, s5, -1
	v_add_u32_e32 v6, 0xc0, v6
	s_cmp_lg_u32 s5, 0
	s_waitcnt lgkmcnt(0)
	v_fma_f64 v[2:3], -v[8:9], v[10:11], v[2:3]
	s_cbranch_scc1 .LBB92_22
	s_branch .LBB92_20
.LBB92_23:
	s_mov_b64 s[4:5], 0
.LBB92_24:
	s_and_b64 vcc, exec, s[4:5]
	s_cbranch_vccz .LBB92_50
; %bb.25:
	s_add_i32 s4, s22, -1
	s_cmp_gt_i32 s6, 23
	s_mov_b32 s5, s4
	s_cbranch_scc0 .LBB92_27
; %bb.26:
	v_add_u32_e32 v55, 0x1000, v1
	v_add_u32_e32 v54, 0x800, v1
	v_mov_b32_e32 v52, 0
	ds_read2_b64 v[34:37], v55 offset0:16 offset1:40
	ds_read2_b64 v[22:25], v54 offset0:224 offset1:248
	;; [unrolled: 1-line block ×6, first 2 shown]
	ds_read_b128 v[38:41], v52 offset:4592
	s_movk_i32 s6, 0xc00
	v_add_u32_e32 v53, 0x400, v1
	v_add_u32_e64 v26, s6, 0
	ds_read2_b64 v[2:5], v53 offset0:112 offset1:136
	ds_read2_b64 v[26:29], v26 offset0:116 offset1:166
	ds_read_b128 v[30:33], v52 offset:4576
	s_waitcnt lgkmcnt(3)
	v_mul_f64 v[50:51], v[40:41], v[36:37]
	v_fma_f64 v[38:39], -v[50:51], v[38:39], v[34:35]
	ds_read_b128 v[34:37], v52 offset:4384
	ds_read_b128 v[56:59], v52 offset:4560
	s_waitcnt lgkmcnt(3)
	v_mul_f64 v[28:29], v[28:29], v[38:39]
	ds_read_b128 v[38:41], v52 offset:4192
	ds_read_b128 v[42:45], v52 offset:4368
	;; [unrolled: 1-line block ×3, first 2 shown]
	s_waitcnt lgkmcnt(3)
	v_fma_f64 v[20:21], -v[50:51], v[58:59], v[20:21]
	ds_read_b128 v[58:61], v52 offset:4176
	v_fma_f64 v[24:25], -v[50:51], v[32:33], v[24:25]
	v_fma_f64 v[24:25], -v[28:29], v[36:37], v[24:25]
	v_fma_f64 v[22:23], -v[50:51], v[30:31], v[22:23]
	s_movk_i32 s5, 0x800
	s_waitcnt lgkmcnt(3)
	v_mul_f64 v[32:33], v[40:41], v[24:25]
	v_fma_f64 v[22:23], -v[28:29], v[34:35], v[22:23]
	v_fma_f64 v[18:19], -v[50:51], v[56:57], v[18:19]
	;; [unrolled: 1-line block ×3, first 2 shown]
	ds_read_b128 v[36:39], v52 offset:4544
	ds_read_b128 v[62:65], v52 offset:3984
	;; [unrolled: 1-line block ×4, first 2 shown]
	s_waitcnt lgkmcnt(6)
	v_fma_f64 v[18:19], -v[28:29], v[42:43], v[18:19]
	v_add_u32_e64 v86, s5, 0
	v_fma_f64 v[20:21], -v[28:29], v[44:45], v[20:21]
	ds_read2_b64 v[40:43], v86 offset0:144 offset1:194
	s_waitcnt lgkmcnt(5)
	v_fma_f64 v[18:19], -v[32:33], v[58:59], v[18:19]
	ds_read_b128 v[56:59], v52 offset:4352
	v_mul_f64 v[24:25], v[26:27], v[22:23]
	v_fma_f64 v[20:21], -v[32:33], v[60:61], v[20:21]
	s_waitcnt lgkmcnt(4)
	v_fma_f64 v[20:21], -v[24:25], v[64:65], v[20:21]
	ds_read_b128 v[74:77], v52 offset:3968
	ds_read_b128 v[78:81], v52 offset:3776
	s_waitcnt lgkmcnt(5)
	v_mul_f64 v[20:21], v[68:69], v[20:21]
	v_fma_f64 v[18:19], -v[24:25], v[62:63], v[18:19]
	v_fma_f64 v[18:19], -v[20:21], v[66:67], v[18:19]
	;; [unrolled: 1-line block ×3, first 2 shown]
	s_waitcnt lgkmcnt(3)
	v_mul_f64 v[22:23], v[42:43], v[18:19]
	ds_read_b128 v[42:45], v52 offset:4336
	s_waitcnt lgkmcnt(3)
	v_fma_f64 v[16:17], -v[28:29], v[58:59], v[16:17]
	ds_read_b128 v[58:61], v52 offset:3584
	ds_read_b128 v[66:69], v52 offset:3568
	ds_read_b128 v[62:65], v52 offset:3392
	v_fma_f64 v[14:15], -v[50:51], v[36:37], v[14:15]
	v_fma_f64 v[16:17], -v[32:33], v[72:73], v[16:17]
	;; [unrolled: 1-line block ×3, first 2 shown]
	ds_read_b128 v[36:39], v52 offset:4528
	s_waitcnt lgkmcnt(6)
	v_fma_f64 v[16:17], -v[24:25], v[76:77], v[16:17]
	v_fma_f64 v[14:15], -v[32:33], v[70:71], v[14:15]
	s_waitcnt lgkmcnt(5)
	v_fma_f64 v[16:17], -v[20:21], v[80:81], v[16:17]
	v_fma_f64 v[14:15], -v[24:25], v[74:75], v[14:15]
	;; [unrolled: 3-line block ×3, first 2 shown]
	ds_read_b128 v[16:19], v52 offset:3456
	s_waitcnt lgkmcnt(2)
	v_mul_f64 v[34:35], v[64:65], v[26:27]
	v_fma_f64 v[14:15], -v[22:23], v[58:59], v[14:15]
	v_fma_f64 v[14:15], -v[34:35], v[62:63], v[14:15]
	ds_read_b128 v[56:59], v52 offset:4144
	ds_read_b128 v[60:63], v52 offset:4512
	s_waitcnt lgkmcnt(3)
	v_fma_f64 v[12:13], -v[50:51], v[38:39], v[12:13]
	v_mul_f64 v[30:31], v[40:41], v[14:15]
	v_fma_f64 v[26:27], -v[28:29], v[44:45], v[12:13]
	ds_read_b128 v[12:15], v52 offset:3952
	ds_read_b128 v[38:41], v52 offset:4128
	;; [unrolled: 1-line block ×4, first 2 shown]
	v_fma_f64 v[10:11], -v[50:51], v[36:37], v[10:11]
	ds_read_b128 v[78:81], v52 offset:3376
	v_fma_f64 v[10:11], -v[28:29], v[42:43], v[10:11]
	s_waitcnt lgkmcnt(6)
	v_fma_f64 v[26:27], -v[32:33], v[58:59], v[26:27]
	v_fma_f64 v[10:11], -v[32:33], v[56:57], v[10:11]
	ds_read_b128 v[56:59], v52 offset:3184
	s_waitcnt lgkmcnt(5)
	v_fma_f64 v[14:15], -v[24:25], v[14:15], v[26:27]
	v_fma_f64 v[26:27], -v[24:25], v[12:13], v[10:11]
	ds_read_b128 v[10:13], v52 offset:2992
	;; [unrolled: 4-line block ×5, first 2 shown]
	s_waitcnt lgkmcnt(3)
	v_mul_f64 v[12:13], v[12:13], v[14:15]
	v_fma_f64 v[14:15], -v[34:35], v[78:79], v[26:27]
	v_fma_f64 v[14:15], -v[30:31], v[56:57], v[14:15]
	ds_read_b128 v[56:59], v52 offset:4320
	ds_read_b128 v[82:85], v52 offset:3744
	;; [unrolled: 1-line block ×3, first 2 shown]
	v_fma_f64 v[8:9], -v[50:51], v[62:63], v[8:9]
	ds_read2_b64 v[86:89], v86 offset0:44 offset1:94
	s_waitcnt lgkmcnt(3)
	v_fma_f64 v[8:9], -v[28:29], v[58:59], v[8:9]
	v_fma_f64 v[6:7], -v[50:51], v[60:61], v[6:7]
	ds_read_b128 v[58:61], v52 offset:3552
	v_fma_f64 v[8:9], -v[32:33], v[40:41], v[8:9]
	v_fma_f64 v[8:9], -v[24:25], v[76:77], v[8:9]
	v_fma_f64 v[10:11], -v[12:13], v[10:11], v[14:15]
	s_waitcnt lgkmcnt(3)
	v_fma_f64 v[8:9], -v[20:21], v[84:85], v[8:9]
	s_waitcnt lgkmcnt(1)
	v_mul_f64 v[10:11], v[88:89], v[10:11]
	ds_read_b128 v[88:91], v52 offset:3536
	s_waitcnt lgkmcnt(1)
	v_fma_f64 v[8:9], -v[22:23], v[60:61], v[8:9]
	v_fma_f64 v[6:7], -v[28:29], v[56:57], v[6:7]
	ds_read_b128 v[60:63], v52 offset:2784
	v_fma_f64 v[6:7], -v[32:33], v[38:39], v[6:7]
	ds_read_b128 v[36:39], v52 offset:2592
	v_fma_f64 v[8:9], -v[34:35], v[44:45], v[8:9]
	v_fma_f64 v[8:9], -v[30:31], v[70:71], v[8:9]
	;; [unrolled: 1-line block ×4, first 2 shown]
	ds_read_b128 v[70:73], v52 offset:2768
	s_waitcnt lgkmcnt(2)
	v_fma_f64 v[14:15], -v[10:11], v[62:63], v[8:9]
	v_fma_f64 v[26:27], -v[20:21], v[82:83], v[6:7]
	ds_read_b128 v[6:9], v52 offset:2688
	s_waitcnt lgkmcnt(2)
	v_mul_f64 v[14:15], v[38:39], v[14:15]
	ds_read_b128 v[38:41], v52 offset:4496
	v_fma_f64 v[26:27], -v[22:23], v[58:59], v[26:27]
	v_fma_f64 v[26:27], -v[34:35], v[42:43], v[26:27]
	ds_read_b128 v[42:45], v52 offset:4480
	ds_read_b128 v[56:59], v52 offset:4112
	v_fma_f64 v[26:27], -v[30:31], v[68:69], v[26:27]
	v_fma_f64 v[26:27], -v[12:13], v[64:65], v[26:27]
	;; [unrolled: 1-line block ×3, first 2 shown]
	s_waitcnt lgkmcnt(2)
	v_fma_f64 v[4:5], -v[50:51], v[40:41], v[4:5]
	ds_read_b128 v[60:63], v52 offset:3920
	ds_read_b128 v[64:67], v52 offset:3728
	;; [unrolled: 1-line block ×3, first 2 shown]
	v_fma_f64 v[4:5], -v[28:29], v[80:81], v[4:5]
	v_fma_f64 v[26:27], -v[14:15], v[36:37], v[26:27]
	s_waitcnt lgkmcnt(3)
	v_fma_f64 v[36:37], -v[32:33], v[58:59], v[4:5]
	v_fma_f64 v[58:59], -v[50:51], v[38:39], v[2:3]
	s_waitcnt lgkmcnt(2)
	v_fma_f64 v[36:37], -v[24:25], v[62:63], v[36:37]
	ds_read_b128 v[38:41], v52 offset:3712
	s_waitcnt lgkmcnt(2)
	v_fma_f64 v[36:37], -v[20:21], v[66:67], v[36:37]
	v_fma_f64 v[58:59], -v[28:29], v[78:79], v[58:59]
	ds_read_b128 v[66:69], v52 offset:3344
	v_fma_f64 v[62:63], -v[32:33], v[56:57], v[58:59]
	ds_read_b128 v[56:59], v52 offset:3152
	v_fma_f64 v[36:37], -v[22:23], v[90:91], v[36:37]
	v_fma_f64 v[78:79], -v[24:25], v[60:61], v[62:63]
	s_waitcnt lgkmcnt(1)
	v_fma_f64 v[36:37], -v[34:35], v[68:69], v[36:37]
	v_fma_f64 v[64:65], -v[20:21], v[64:65], v[78:79]
	ds_read_b128 v[78:81], v52 offset:3136
	ds_read_b128 v[82:85], v52 offset:2960
	;; [unrolled: 1-line block ×3, first 2 shown]
	s_waitcnt lgkmcnt(3)
	v_fma_f64 v[36:37], -v[30:31], v[58:59], v[36:37]
	v_fma_f64 v[58:59], -v[22:23], v[88:89], v[64:65]
	;; [unrolled: 1-line block ×3, first 2 shown]
	ds_read_b128 v[64:67], v52 offset:2576
	v_fma_f64 v[68:69], -v[30:31], v[56:57], v[58:59]
	s_waitcnt lgkmcnt(2)
	v_fma_f64 v[36:37], -v[12:13], v[84:85], v[36:37]
	v_fma_f64 v[36:37], -v[10:11], v[72:73], v[36:37]
	;; [unrolled: 1-line block ×3, first 2 shown]
	ds_read_b128 v[56:59], v52 offset:2944
	s_waitcnt lgkmcnt(1)
	v_fma_f64 v[36:37], -v[14:15], v[66:67], v[36:37]
	ds_read_b128 v[66:69], v52 offset:2384
	v_fma_f64 v[82:83], -v[10:11], v[70:71], v[72:73]
	ds_read2_b64 v[70:73], v1 offset0:192 offset1:216
	v_mul_f64 v[26:27], v[86:87], v[26:27]
	v_fma_f64 v[64:65], -v[14:15], v[64:65], v[82:83]
	ds_read_b128 v[82:85], v52 offset:2192
	ds_read_b128 v[2:5], v52 offset:3904
	s_waitcnt lgkmcnt(3)
	v_fma_f64 v[36:37], -v[26:27], v[68:69], v[36:37]
	v_fma_f64 v[68:69], -v[26:27], v[66:67], v[64:65]
	s_waitcnt lgkmcnt(2)
	v_fma_f64 v[72:73], -v[50:51], v[44:45], v[72:73]
	v_fma_f64 v[86:87], -v[50:51], v[42:43], v[70:71]
	ds_read_b128 v[42:45], v52 offset:4288
	ds_read_b128 v[64:67], v52 offset:2560
	s_waitcnt lgkmcnt(3)
	v_mul_f64 v[36:37], v[84:85], v[36:37]
	v_fma_f64 v[90:91], -v[36:37], v[82:83], v[68:69]
	ds_read_b128 v[68:71], v52 offset:2368
	s_waitcnt lgkmcnt(2)
	v_fma_f64 v[72:73], -v[28:29], v[44:45], v[72:73]
	v_fma_f64 v[82:83], -v[28:29], v[42:43], v[86:87]
	;; [unrolled: 1-line block ×5, first 2 shown]
	ds_read_b128 v[72:75], v52 offset:3520
	ds_read_b128 v[82:85], v52 offset:4272
	v_fma_f64 v[2:3], -v[24:25], v[2:3], v[76:77]
	v_fma_f64 v[4:5], -v[20:21], v[40:41], v[4:5]
	;; [unrolled: 1-line block ×3, first 2 shown]
	s_waitcnt lgkmcnt(1)
	v_fma_f64 v[4:5], -v[22:23], v[74:75], v[4:5]
	v_fma_f64 v[2:3], -v[22:23], v[72:73], v[2:3]
	;; [unrolled: 1-line block ×4, first 2 shown]
	ds_read_b128 v[72:75], v52 offset:3504
	v_fma_f64 v[40:41], -v[30:31], v[80:81], v[4:5]
	v_fma_f64 v[76:77], -v[30:31], v[78:79], v[2:3]
	ds_read_b128 v[2:5], v52 offset:2752
	ds_read_b128 v[42:45], v52 offset:2176
	ds_read2_b64 v[86:89], v52 offset0:200 offset1:250
	v_fma_f64 v[76:77], -v[12:13], v[56:57], v[76:77]
	v_fma_f64 v[40:41], -v[12:13], v[58:59], v[40:41]
	s_waitcnt lgkmcnt(2)
	v_fma_f64 v[2:3], -v[10:11], v[2:3], v[76:77]
	ds_read_b128 v[76:79], v52 offset:1984
	v_fma_f64 v[4:5], -v[10:11], v[4:5], v[40:41]
	v_fma_f64 v[4:5], -v[14:15], v[66:67], v[4:5]
	;; [unrolled: 1-line block ×3, first 2 shown]
	ds_read_b128 v[64:67], v52 offset:1792
	ds_read_b128 v[56:59], v52 offset:2736
	v_fma_f64 v[4:5], -v[26:27], v[70:71], v[4:5]
	v_fma_f64 v[2:3], -v[26:27], v[68:69], v[2:3]
	s_waitcnt lgkmcnt(3)
	v_mul_f64 v[38:39], v[88:89], v[90:91]
	v_fma_f64 v[4:5], -v[36:37], v[44:45], v[4:5]
	v_fma_f64 v[42:43], -v[36:37], v[42:43], v[2:3]
	ds_read2_b64 v[60:63], v1 offset0:144 offset1:168
	s_waitcnt lgkmcnt(3)
	v_fma_f64 v[40:41], -v[38:39], v[78:79], v[4:5]
	v_fma_f64 v[42:43], -v[38:39], v[76:77], v[42:43]
	ds_read_b128 v[76:79], v52 offset:4464
	ds_read_b128 v[68:71], v52 offset:1968
	s_waitcnt lgkmcnt(4)
	v_mul_f64 v[40:41], v[66:67], v[40:41]
	v_fma_f64 v[42:43], -v[40:41], v[64:65], v[42:43]
	ds_read_b128 v[64:67], v52 offset:4080
	s_waitcnt lgkmcnt(2)
	v_fma_f64 v[44:45], -v[50:51], v[78:79], v[62:63]
	v_fma_f64 v[80:81], -v[50:51], v[76:77], v[60:61]
	ds_read_b128 v[76:79], v52 offset:3888
	v_fma_f64 v[44:45], -v[28:29], v[84:85], v[44:45]
	s_waitcnt lgkmcnt(1)
	v_fma_f64 v[44:45], -v[32:33], v[66:67], v[44:45]
	v_fma_f64 v[66:67], -v[28:29], v[82:83], v[80:81]
	ds_read_b128 v[80:83], v52 offset:3696
	v_fma_f64 v[84:85], -v[32:33], v[64:65], v[66:67]
	ds_read_b128 v[60:63], v52 offset:4448
	ds_read_b128 v[64:67], v52 offset:4064
	s_waitcnt lgkmcnt(3)
	v_fma_f64 v[44:45], -v[24:25], v[78:79], v[44:45]
	v_fma_f64 v[84:85], -v[24:25], v[76:77], v[84:85]
	ds_read2_b64 v[76:79], v1 offset0:96 offset1:120
	s_waitcnt lgkmcnt(3)
	v_fma_f64 v[44:45], -v[20:21], v[82:83], v[44:45]
	v_fma_f64 v[84:85], -v[20:21], v[80:81], v[84:85]
	ds_read_b128 v[80:83], v52 offset:3312
	v_mul_f64 v[42:43], v[86:87], v[42:43]
	s_waitcnt lgkmcnt(1)
	v_fma_f64 v[86:87], -v[50:51], v[62:63], v[78:79]
	v_fma_f64 v[88:89], -v[50:51], v[60:61], v[76:77]
	ds_read_b128 v[60:63], v52 offset:3120
	v_fma_f64 v[44:45], -v[22:23], v[74:75], v[44:45]
	v_fma_f64 v[84:85], -v[22:23], v[72:73], v[84:85]
	ds_read_b128 v[72:75], v52 offset:2928
	s_waitcnt lgkmcnt(2)
	v_fma_f64 v[44:45], -v[34:35], v[82:83], v[44:45]
	v_fma_f64 v[80:81], -v[34:35], v[80:81], v[84:85]
	s_waitcnt lgkmcnt(1)
	v_fma_f64 v[44:45], -v[30:31], v[62:63], v[44:45]
	v_fma_f64 v[80:81], -v[30:31], v[60:61], v[80:81]
	ds_read_b128 v[60:63], v52 offset:2544
	s_waitcnt lgkmcnt(1)
	v_fma_f64 v[44:45], -v[12:13], v[74:75], v[44:45]
	v_fma_f64 v[72:73], -v[12:13], v[72:73], v[80:81]
	;; [unrolled: 1-line block ×4, first 2 shown]
	ds_read_b128 v[56:59], v52 offset:2352
	ds_read_b128 v[72:75], v52 offset:2160
	s_waitcnt lgkmcnt(2)
	v_fma_f64 v[44:45], -v[14:15], v[62:63], v[44:45]
	v_fma_f64 v[80:81], -v[14:15], v[60:61], v[80:81]
	ds_read_b128 v[2:5], v52 offset:1920
	s_waitcnt lgkmcnt(2)
	v_fma_f64 v[44:45], -v[26:27], v[58:59], v[44:45]
	v_fma_f64 v[80:81], -v[26:27], v[56:57], v[80:81]
	s_waitcnt lgkmcnt(1)
	v_fma_f64 v[44:45], -v[36:37], v[74:75], v[44:45]
	ds_read_b128 v[56:59], v52 offset:1776
	v_fma_f64 v[74:75], -v[36:37], v[72:73], v[80:81]
	v_fma_f64 v[44:45], -v[38:39], v[70:71], v[44:45]
	ds_read_b128 v[70:73], v52 offset:1584
	v_fma_f64 v[68:69], -v[38:39], v[68:69], v[74:75]
	s_waitcnt lgkmcnt(1)
	v_fma_f64 v[44:45], -v[40:41], v[58:59], v[44:45]
	v_fma_f64 v[68:69], -v[40:41], v[56:57], v[68:69]
	ds_read_b128 v[76:79], v52 offset:3872
	ds_read_b128 v[60:63], v52 offset:3680
	;; [unrolled: 1-line block ×3, first 2 shown]
	s_waitcnt lgkmcnt(3)
	v_fma_f64 v[44:45], -v[42:43], v[72:73], v[44:45]
	v_fma_f64 v[80:81], -v[42:43], v[70:71], v[68:69]
	ds_read_b128 v[68:71], v52 offset:4256
	ds_read_b128 v[72:75], v52 offset:3296
	s_mov_b32 s5, -1
	s_waitcnt lgkmcnt(2)
	v_mul_f64 v[44:45], v[58:59], v[44:45]
	v_fma_f64 v[80:81], -v[44:45], v[56:57], v[80:81]
	s_waitcnt lgkmcnt(1)
	v_fma_f64 v[82:83], -v[28:29], v[70:71], v[86:87]
	v_fma_f64 v[84:85], -v[28:29], v[68:69], v[88:89]
	;; [unrolled: 1-line block ×4, first 2 shown]
	ds_read_b128 v[56:59], v52 offset:3104
	ds_read_b128 v[68:71], v52 offset:2912
	v_fma_f64 v[82:83], -v[24:25], v[78:79], v[66:67]
	v_fma_f64 v[84:85], -v[24:25], v[76:77], v[64:65]
	ds_read_b128 v[64:67], v52 offset:3488
	ds_read_b128 v[76:79], v52 offset:2528
	v_fma_f64 v[82:83], -v[20:21], v[62:63], v[82:83]
	v_fma_f64 v[84:85], -v[20:21], v[60:61], v[84:85]
	ds_read_b128 v[60:63], v52 offset:2336
	s_waitcnt lgkmcnt(2)
	v_fma_f64 v[82:83], -v[22:23], v[66:67], v[82:83]
	v_fma_f64 v[84:85], -v[22:23], v[64:65], v[84:85]
	;; [unrolled: 1-line block ×4, first 2 shown]
	ds_read_b128 v[64:67], v52 offset:2144
	v_fma_f64 v[82:83], -v[30:31], v[58:59], v[74:75]
	v_fma_f64 v[84:85], -v[30:31], v[56:57], v[72:73]
	ds_read_b128 v[56:59], v52 offset:2720
	ds_read_b128 v[72:75], v52 offset:1760
	v_fma_f64 v[82:83], -v[12:13], v[70:71], v[82:83]
	v_fma_f64 v[84:85], -v[12:13], v[68:69], v[84:85]
	ds_read_b128 v[68:71], v52 offset:1568
	s_waitcnt lgkmcnt(2)
	v_fma_f64 v[58:59], -v[10:11], v[58:59], v[82:83]
	v_fma_f64 v[56:57], -v[10:11], v[56:57], v[84:85]
	;; [unrolled: 1-line block ×7, first 2 shown]
	ds_read_b128 v[56:59], v52 offset:1952
	v_fma_f64 v[84:85], -v[36:37], v[64:65], v[60:61]
	ds_read2_b64 v[60:63], v1 offset0:48 offset1:72
	ds_read_b128 v[64:67], v52 offset:4432
	ds_read_b128 v[76:79], v52 offset:1376
	s_waitcnt lgkmcnt(3)
	v_fma_f64 v[58:59], -v[38:39], v[58:59], v[82:83]
	v_fma_f64 v[82:83], -v[38:39], v[56:57], v[84:85]
	;; [unrolled: 1-line block ×3, first 2 shown]
	s_waitcnt lgkmcnt(1)
	v_fma_f64 v[84:85], -v[50:51], v[66:67], v[62:63]
	v_fma_f64 v[86:87], -v[50:51], v[64:65], v[60:61]
	ds_read_b128 v[56:59], v52 offset:4416
	ds_read2_b64 v[60:63], v1 offset1:24
	v_fma_f64 v[72:73], -v[40:41], v[72:73], v[82:83]
	ds_read_b128 v[64:67], v52 offset:4240
	v_fma_f64 v[70:71], -v[42:43], v[70:71], v[74:75]
	v_fma_f64 v[68:69], -v[42:43], v[68:69], v[72:73]
	s_waitcnt lgkmcnt(1)
	v_fma_f64 v[82:83], -v[50:51], v[58:59], v[62:63]
	v_fma_f64 v[88:89], -v[50:51], v[56:57], v[60:61]
	ds_read2_b64 v[56:59], v52 offset0:100 offset1:150
	ds_read_b128 v[60:63], v52 offset:1184
	v_fma_f64 v[72:73], -v[44:45], v[78:79], v[70:71]
	v_fma_f64 v[74:75], -v[44:45], v[76:77], v[68:69]
	ds_read_b128 v[68:71], v52 offset:992
	s_waitcnt lgkmcnt(2)
	v_mul_f64 v[90:91], v[58:59], v[80:81]
	s_waitcnt lgkmcnt(1)
	v_fma_f64 v[62:63], -v[90:91], v[62:63], v[72:73]
	v_fma_f64 v[72:73], -v[90:91], v[60:61], v[74:75]
	ds_read_b128 v[58:61], v52 offset:3472
	s_waitcnt lgkmcnt(1)
	v_mul_f64 v[92:93], v[70:71], v[62:63]
	v_fma_f64 v[62:63], -v[92:93], v[68:69], v[72:73]
	ds_read_b128 v[68:71], v52 offset:2704
	v_mul_f64 v[94:95], v[56:57], v[62:63]
	v_fma_f64 v[56:57], -v[28:29], v[66:67], v[84:85]
	v_fma_f64 v[66:67], -v[28:29], v[64:65], v[86:87]
	ds_write2_b64 v55, v[28:29], v[50:51] offset0:16 offset1:40
	v_fma_f64 v[50:51], -v[28:29], v[48:49], v[82:83]
	v_fma_f64 v[28:29], -v[28:29], v[46:47], v[88:89]
	ds_read_b128 v[46:49], v52 offset:4048
	ds_read_b128 v[72:75], v52 offset:1936
	;; [unrolled: 1-line block ×3, first 2 shown]
	ds_write2_b64 v54, v[24:25], v[32:33] offset0:224 offset1:248
	ds_write2_b64 v54, v[22:23], v[20:21] offset0:176 offset1:200
	ds_write2_b64 v54, v[30:31], v[34:35] offset0:128 offset1:152
	ds_read_b128 v[76:79], v52 offset:3856
	s_waitcnt lgkmcnt(6)
	v_fma_f64 v[56:57], -v[32:33], v[48:49], v[56:57]
	v_fma_f64 v[66:67], -v[32:33], v[46:47], v[66:67]
	ds_read_b128 v[46:49], v52 offset:4032
	ds_write2_b64 v54, v[10:11], v[12:13] offset0:80 offset1:104
	s_waitcnt lgkmcnt(2)
	v_fma_f64 v[80:81], -v[24:25], v[78:79], v[56:57]
	v_fma_f64 v[66:67], -v[24:25], v[76:77], v[66:67]
	ds_read_b128 v[76:79], v52 offset:3840
	s_waitcnt lgkmcnt(2)
	v_fma_f64 v[50:51], -v[32:33], v[48:49], v[50:51]
	v_fma_f64 v[28:29], -v[32:33], v[46:47], v[28:29]
	ds_read_b128 v[46:49], v52 offset:3664
	ds_write2_b64 v54, v[26:27], v[14:15] offset0:32 offset1:56
	s_waitcnt lgkmcnt(2)
	v_fma_f64 v[32:33], -v[24:25], v[78:79], v[50:51]
	v_fma_f64 v[24:25], -v[24:25], v[76:77], v[28:29]
	ds_read_b128 v[76:79], v52 offset:3648
	ds_read_b128 v[54:57], v52 offset:1152
	s_waitcnt lgkmcnt(3)
	v_fma_f64 v[28:29], -v[20:21], v[48:49], v[80:81]
	v_fma_f64 v[50:51], -v[20:21], v[46:47], v[66:67]
	ds_read_b128 v[46:49], v52 offset:3280
	v_fma_f64 v[28:29], -v[22:23], v[60:61], v[28:29]
	s_waitcnt lgkmcnt(2)
	v_fma_f64 v[32:33], -v[20:21], v[78:79], v[32:33]
	v_fma_f64 v[20:21], -v[20:21], v[76:77], v[24:25]
	ds_read_b128 v[76:79], v52 offset:3088
	ds_read_b128 v[80:83], v52 offset:3264
	s_waitcnt lgkmcnt(2)
	v_fma_f64 v[24:25], -v[34:35], v[48:49], v[28:29]
	v_fma_f64 v[28:29], -v[22:23], v[58:59], v[50:51]
	;; [unrolled: 1-line block ×4, first 2 shown]
	ds_read_b128 v[16:19], v52 offset:2896
	ds_read_b128 v[20:23], v52 offset:2512
	ds_read_b128 v[48:51], v52 offset:3072
	s_waitcnt lgkmcnt(4)
	v_fma_f64 v[24:25], -v[30:31], v[78:79], v[24:25]
	v_fma_f64 v[28:29], -v[34:35], v[46:47], v[28:29]
	s_waitcnt lgkmcnt(3)
	v_fma_f64 v[46:47], -v[34:35], v[82:83], v[32:33]
	v_fma_f64 v[66:67], -v[34:35], v[80:81], v[58:59]
	ds_read_b128 v[32:35], v52 offset:2880
	s_waitcnt lgkmcnt(3)
	v_fma_f64 v[18:19], -v[12:13], v[18:19], v[24:25]
	v_fma_f64 v[18:19], -v[10:11], v[70:71], v[18:19]
	ds_read_b128 v[58:61], v52 offset:2496
	s_waitcnt lgkmcnt(3)
	v_fma_f64 v[70:71], -v[14:15], v[22:23], v[18:19]
	ds_read_b128 v[22:25], v52 offset:2320
	v_fma_f64 v[18:19], -v[30:31], v[76:77], v[28:29]
	s_waitcnt lgkmcnt(3)
	v_fma_f64 v[46:47], -v[30:31], v[50:51], v[46:47]
	v_fma_f64 v[48:49], -v[30:31], v[48:49], v[66:67]
	ds_read_b128 v[28:31], v52 offset:2128
	v_fma_f64 v[50:51], -v[12:13], v[16:17], v[18:19]
	s_waitcnt lgkmcnt(3)
	v_fma_f64 v[82:83], -v[12:13], v[34:35], v[46:47]
	v_fma_f64 v[12:13], -v[12:13], v[32:33], v[48:49]
	ds_read_b128 v[46:49], v52 offset:1744
	ds_read_b128 v[16:19], v52 offset:2304
	s_waitcnt lgkmcnt(3)
	v_fma_f64 v[24:25], -v[26:27], v[24:25], v[70:71]
	ds_read_b128 v[32:35], v52 offset:2112
	s_waitcnt lgkmcnt(3)
	v_fma_f64 v[24:25], -v[36:37], v[30:31], v[24:25]
	v_fma_f64 v[30:31], -v[10:11], v[68:69], v[50:51]
	ds_read_b128 v[66:69], v52 offset:1552
	v_fma_f64 v[20:21], -v[14:15], v[20:21], v[30:31]
	v_fma_f64 v[24:25], -v[38:39], v[74:75], v[24:25]
	;; [unrolled: 1-line block ×3, first 2 shown]
	ds_read_b128 v[74:77], v52 offset:1728
	s_waitcnt lgkmcnt(4)
	v_fma_f64 v[24:25], -v[40:41], v[48:49], v[24:25]
	v_fma_f64 v[48:49], -v[36:37], v[28:29], v[30:31]
	ds_read_b128 v[28:31], v52 offset:1360
	ds_read_b128 v[20:23], v52 offset:1536
	s_waitcnt lgkmcnt(3)
	v_fma_f64 v[24:25], -v[42:43], v[68:69], v[24:25]
	v_fma_f64 v[68:69], -v[38:39], v[72:73], v[48:49]
	;; [unrolled: 1-line block ×3, first 2 shown]
	ds_read_b128 v[48:51], v52 offset:976
	ds_read_b128 v[68:71], v52 offset:1344
	s_waitcnt lgkmcnt(3)
	v_fma_f64 v[24:25], -v[44:45], v[30:31], v[24:25]
	v_fma_f64 v[30:31], -v[42:43], v[66:67], v[46:47]
	;; [unrolled: 1-line block ×3, first 2 shown]
	ds_read_b128 v[28:31], v52 offset:784
	ds_read_b128 v[78:81], v52 offset:592
	v_fma_f64 v[24:25], -v[90:91], v[64:65], v[24:25]
	ds_read_b128 v[64:67], v52 offset:960
	s_waitcnt lgkmcnt(4)
	v_fma_f64 v[24:25], -v[92:93], v[50:51], v[24:25]
	v_fma_f64 v[46:47], -v[90:91], v[62:63], v[46:47]
	;; [unrolled: 1-line block ×3, first 2 shown]
	ds_read_b128 v[46:49], v52 offset:768
	s_waitcnt lgkmcnt(3)
	v_fma_f64 v[24:25], -v[94:95], v[30:31], v[24:25]
	v_fma_f64 v[50:51], -v[94:95], v[28:29], v[50:51]
	ds_read_b128 v[28:31], v52 offset:576
	s_waitcnt lgkmcnt(3)
	v_mul_f64 v[24:25], v[80:81], v[24:25]
	v_fma_f64 v[8:9], -v[10:11], v[8:9], v[82:83]
	v_fma_f64 v[50:51], -v[24:25], v[78:79], v[50:51]
	ds_read2_b64 v[78:81], v52 offset1:50
	v_fma_f64 v[8:9], -v[14:15], v[60:61], v[8:9]
	v_fma_f64 v[8:9], -v[26:27], v[18:19], v[8:9]
	v_fma_f64 v[8:9], -v[36:37], v[34:35], v[8:9]
	v_fma_f64 v[4:5], -v[38:39], v[4:5], v[8:9]
	v_fma_f64 v[4:5], -v[40:41], v[76:77], v[4:5]
	s_waitcnt lgkmcnt(0)
	v_mul_f64 v[50:51], v[80:81], v[50:51]
	v_fma_f64 v[4:5], -v[42:43], v[22:23], v[4:5]
	ds_write2_b64 v53, v[38:39], v[36:37] offset0:112 offset1:136
	ds_write2_b64 v1, v[42:43], v[40:41] offset0:192 offset1:216
	;; [unrolled: 1-line block ×5, first 2 shown]
	v_fma_f64 v[4:5], -v[44:45], v[70:71], v[4:5]
	v_fma_f64 v[18:19], -v[90:91], v[56:57], v[4:5]
	;; [unrolled: 1-line block ×3, first 2 shown]
	ds_read_b128 v[4:7], v52 offset:384
	ds_read_b128 v[8:11], v52 offset:192
	v_fma_f64 v[18:19], -v[92:93], v[66:67], v[18:19]
	v_fma_f64 v[18:19], -v[94:95], v[48:49], v[18:19]
	;; [unrolled: 1-line block ×3, first 2 shown]
	s_waitcnt lgkmcnt(1)
	v_fma_f64 v[6:7], -v[50:51], v[6:7], v[18:19]
	s_waitcnt lgkmcnt(0)
	v_mul_f64 v[6:7], v[10:11], v[6:7]
	v_fma_f64 v[10:11], -v[14:15], v[58:59], v[12:13]
	v_fma_f64 v[10:11], -v[26:27], v[16:17], v[10:11]
	;; [unrolled: 1-line block ×13, first 2 shown]
	v_mul_f64 v[2:3], v[78:79], v[2:3]
	ds_write2_b64 v1, v[2:3], v[6:7] offset1:24
.LBB92_27:
	s_cmp_gt_i32 s5, -1
	s_cbranch_scc0 .LBB92_50
; %bb.28:
	s_cmp_lt_u32 s5, 19
	s_cbranch_scc1 .LBB92_33
; %bb.29:
	s_mul_i32 s6, s5, 0xc0
	v_add_u32_e32 v42, s6, v1
	v_add_u32_e32 v2, 0xffffff40, v42
	v_add_u32_e32 v3, 0xfffffe80, v42
	v_add_u32_e32 v4, 0xfffffdc0, v42
	ds_read_b64 v[10:11], v42
	ds_read_b64 v[8:9], v2
	ds_read_b64 v[14:15], v3
	ds_read_b64 v[12:13], v4
	v_add_u32_e32 v2, 0xfffffd00, v42
	v_add_u32_e32 v3, 0xfffffc40, v42
	v_add_u32_e32 v4, 0xfffffb80, v42
	v_add_u32_e32 v5, 0xfffffac0, v42
	ds_read_b64 v[18:19], v2
	ds_read_b64 v[16:17], v3
	ds_read_b64 v[24:25], v4
	ds_read_b64 v[26:27], v5
	;; [unrolled: 8-line block ×5, first 2 shown]
	s_cmp_le_i32 s4, s5
	s_cbranch_scc1 .LBB92_32
; %bb.30:
	s_mul_i32 s7, s22, 0xc0
	s_lshl_b32 s8, s5, 3
	v_lshl_add_u32 v43, v0, 3, s7
	s_add_i32 s7, s7, s8
	v_add_u32_e32 v43, 0x1140, v43
	s_addk_i32 s7, 0xfea8
	s_mov_b32 s8, s4
.LBB92_31:                              ; =>This Inner Loop Header: Depth=1
	v_mov_b32_e32 v80, s7
	ds_read_b64 v[84:85], v43
	ds_read2_b64 v[44:47], v80 offset0:18 offset1:19
	ds_read2_b64 v[48:51], v80 offset0:16 offset1:17
	ds_read2_b64 v[52:55], v80 offset0:14 offset1:15
	ds_read2_b64 v[56:59], v80 offset0:12 offset1:13
	ds_read2_b64 v[60:63], v80 offset0:10 offset1:11
	ds_read2_b64 v[64:67], v80 offset0:8 offset1:9
	ds_read2_b64 v[68:71], v80 offset0:6 offset1:7
	ds_read2_b64 v[72:75], v80 offset0:4 offset1:5
	ds_read2_b64 v[76:79], v80 offset0:2 offset1:3
	ds_read2_b64 v[80:83], v80 offset1:1
	s_add_i32 s8, s8, -1
	s_addk_i32 s7, 0xff40
	v_add_u32_e32 v43, 0xffffff40, v43
	s_cmp_gt_i32 s8, s5
	s_waitcnt lgkmcnt(9)
	v_fma_f64 v[10:11], -v[84:85], v[46:47], v[10:11]
	v_fma_f64 v[8:9], -v[84:85], v[44:45], v[8:9]
	s_waitcnt lgkmcnt(8)
	v_fma_f64 v[14:15], -v[84:85], v[50:51], v[14:15]
	v_fma_f64 v[12:13], -v[84:85], v[48:49], v[12:13]
	;; [unrolled: 3-line block ×10, first 2 shown]
	s_cbranch_scc1 .LBB92_31
.LBB92_32:
	s_lshl_b32 s7, s5, 3
	s_add_i32 s8, s7, -8
	s_add_i32 s8, s8, s6
	v_mov_b32_e32 v43, s8
	ds_read2_b64 v[44:47], v43 offset1:1
	s_addk_i32 s8, 0xff40
	v_mov_b32_e32 v43, s8
	ds_read_b64 v[48:49], v43
	s_sub_i32 s12, s7, 24
	s_waitcnt lgkmcnt(1)
	v_mul_f64 v[10:11], v[46:47], v[10:11]
	s_add_i32 s13, s12, s6
	ds_write_b64 v42, v[10:11]
	v_mov_b32_e32 v42, s13
	v_fma_f64 v[8:9], -v[10:11], v[44:45], v[8:9]
	ds_read2_b64 v[42:45], v42 offset1:1
	s_add_i32 s8, s6, 0xffffff40
	s_waitcnt lgkmcnt(2)
	v_mul_f64 v[8:9], v[48:49], v[8:9]
	v_add_u32_e32 v46, s8, v1
	s_add_i32 s9, s12, s8
	ds_write_b64 v46, v[8:9]
	v_mov_b32_e32 v46, s9
	s_add_i32 s9, s6, 0xfffffe80
	s_add_i32 s12, s12, s9
	ds_read2_b64 v[46:49], v46 offset1:1
	s_waitcnt lgkmcnt(2)
	v_fma_f64 v[14:15], -v[10:11], v[44:45], v[14:15]
	v_mov_b32_e32 v44, s12
	ds_read2_b64 v[50:53], v44 offset1:1
	s_add_i32 s12, s13, 0xfffffdc0
	v_mov_b32_e32 v44, s12
	ds_read_b64 v[44:45], v44
	s_waitcnt lgkmcnt(2)
	v_fma_f64 v[14:15], -v[8:9], v[48:49], v[14:15]
	v_fma_f64 v[12:13], -v[10:11], v[42:43], v[12:13]
	s_sub_i32 s14, s7, 40
	s_waitcnt lgkmcnt(1)
	v_mul_f64 v[14:15], v[52:53], v[14:15]
	v_fma_f64 v[12:13], -v[8:9], v[46:47], v[12:13]
	s_add_i32 s15, s14, s6
	v_fma_f64 v[12:13], -v[14:15], v[50:51], v[12:13]
	v_mov_b32_e32 v42, s15
	s_waitcnt lgkmcnt(0)
	v_mul_f64 v[12:13], v[44:45], v[12:13]
	ds_read2_b64 v[42:45], v42 offset1:1
	s_add_i32 s12, s6, 0xfffffdc0
	v_add_u32_e32 v46, s12, v1
	s_add_i32 s13, s14, s8
	v_add_u32_e32 v48, s9, v1
	ds_write_b64 v46, v[12:13]
	v_mov_b32_e32 v46, s13
	s_add_i32 s13, s14, s9
	ds_write_b64 v48, v[14:15]
	ds_read2_b64 v[46:49], v46 offset1:1
	s_waitcnt lgkmcnt(3)
	v_fma_f64 v[18:19], -v[10:11], v[44:45], v[18:19]
	v_mov_b32_e32 v44, s13
	s_add_i32 s13, s14, s12
	ds_read2_b64 v[50:53], v44 offset1:1
	v_mov_b32_e32 v44, s13
	s_add_i32 s13, s6, 0xfffffd00
	s_add_i32 s14, s14, s13
	ds_read2_b64 v[54:57], v44 offset1:1
	v_mov_b32_e32 v44, s14
	ds_read2_b64 v[58:61], v44 offset1:1
	s_add_i32 s14, s15, 0xfffffc40
	v_mov_b32_e32 v44, s14
	s_waitcnt lgkmcnt(3)
	v_fma_f64 v[18:19], -v[8:9], v[48:49], v[18:19]
	ds_read_b64 v[44:45], v44
	v_fma_f64 v[16:17], -v[10:11], v[42:43], v[16:17]
	s_waitcnt lgkmcnt(3)
	v_fma_f64 v[18:19], -v[14:15], v[52:53], v[18:19]
	v_fma_f64 v[16:17], -v[8:9], v[46:47], v[16:17]
	s_waitcnt lgkmcnt(2)
	v_fma_f64 v[18:19], -v[12:13], v[56:57], v[18:19]
	v_fma_f64 v[16:17], -v[14:15], v[50:51], v[16:17]
	s_sub_i32 s17, s7, 56
	s_waitcnt lgkmcnt(1)
	v_mul_f64 v[18:19], v[60:61], v[18:19]
	v_fma_f64 v[16:17], -v[12:13], v[54:55], v[16:17]
	s_add_i32 s18, s17, s6
	v_fma_f64 v[16:17], -v[18:19], v[58:59], v[16:17]
	v_mov_b32_e32 v42, s18
	s_waitcnt lgkmcnt(0)
	v_mul_f64 v[16:17], v[44:45], v[16:17]
	ds_read2_b64 v[42:45], v42 offset1:1
	s_add_i32 s14, s6, 0xfffffc40
	v_add_u32_e32 v46, s14, v1
	s_add_i32 s15, s17, s8
	v_add_u32_e32 v48, s13, v1
	ds_write_b64 v46, v[16:17]
	v_mov_b32_e32 v46, s15
	s_add_i32 s15, s17, s9
	ds_write_b64 v48, v[18:19]
	ds_read2_b64 v[46:49], v46 offset1:1
	s_waitcnt lgkmcnt(3)
	v_fma_f64 v[24:25], -v[10:11], v[44:45], v[24:25]
	v_mov_b32_e32 v44, s15
	s_add_i32 s15, s17, s12
	ds_read2_b64 v[50:53], v44 offset1:1
	v_mov_b32_e32 v44, s15
	s_add_i32 s15, s17, s13
	ds_read2_b64 v[54:57], v44 offset1:1
	v_mov_b32_e32 v44, s15
	s_add_i32 s15, s17, s14
	ds_read2_b64 v[58:61], v44 offset1:1
	v_mov_b32_e32 v44, s15
	s_add_i32 s15, s6, 0xfffffb80
	s_add_i32 s17, s17, s15
	ds_read2_b64 v[62:65], v44 offset1:1
	v_mov_b32_e32 v44, s17
	s_waitcnt lgkmcnt(4)
	v_fma_f64 v[24:25], -v[8:9], v[48:49], v[24:25]
	ds_read2_b64 v[66:69], v44 offset1:1
	s_add_i32 s17, s18, 0xfffffac0
	v_fma_f64 v[26:27], -v[10:11], v[42:43], v[26:27]
	s_waitcnt lgkmcnt(4)
	v_fma_f64 v[24:25], -v[14:15], v[52:53], v[24:25]
	v_mov_b32_e32 v44, s17
	v_fma_f64 v[26:27], -v[8:9], v[46:47], v[26:27]
	s_waitcnt lgkmcnt(3)
	v_fma_f64 v[24:25], -v[12:13], v[56:57], v[24:25]
	ds_read_b64 v[44:45], v44
	v_fma_f64 v[26:27], -v[14:15], v[50:51], v[26:27]
	s_waitcnt lgkmcnt(3)
	v_fma_f64 v[24:25], -v[18:19], v[60:61], v[24:25]
	v_fma_f64 v[26:27], -v[12:13], v[54:55], v[26:27]
	s_waitcnt lgkmcnt(2)
	v_fma_f64 v[24:25], -v[16:17], v[64:65], v[24:25]
	v_fma_f64 v[26:27], -v[18:19], v[58:59], v[26:27]
	s_add_i32 s19, s7, 0xffffffb8
	s_waitcnt lgkmcnt(1)
	v_mul_f64 v[24:25], v[68:69], v[24:25]
	v_fma_f64 v[26:27], -v[16:17], v[62:63], v[26:27]
	s_add_i32 s20, s19, s6
	v_fma_f64 v[26:27], -v[24:25], v[66:67], v[26:27]
	v_mov_b32_e32 v42, s20
	s_waitcnt lgkmcnt(0)
	v_mul_f64 v[26:27], v[44:45], v[26:27]
	ds_read2_b64 v[42:45], v42 offset1:1
	s_add_i32 s17, s6, 0xfffffac0
	v_add_u32_e32 v46, s17, v1
	s_add_i32 s18, s19, s8
	v_add_u32_e32 v48, s15, v1
	ds_write_b64 v46, v[26:27]
	v_mov_b32_e32 v46, s18
	s_add_i32 s18, s19, s9
	ds_write_b64 v48, v[24:25]
	ds_read2_b64 v[46:49], v46 offset1:1
	s_waitcnt lgkmcnt(3)
	v_fma_f64 v[28:29], -v[10:11], v[44:45], v[28:29]
	v_mov_b32_e32 v44, s18
	s_add_i32 s18, s19, s12
	ds_read2_b64 v[50:53], v44 offset1:1
	v_mov_b32_e32 v44, s18
	s_add_i32 s18, s19, s13
	ds_read2_b64 v[54:57], v44 offset1:1
	;; [unrolled: 3-line block ×5, first 2 shown]
	v_mov_b32_e32 v44, s18
	s_add_i32 s18, s6, 0xfffffa00
	s_waitcnt lgkmcnt(5)
	v_fma_f64 v[28:29], -v[8:9], v[48:49], v[28:29]
	s_add_i32 s19, s19, s18
	v_fma_f64 v[32:33], -v[10:11], v[42:43], v[32:33]
	s_waitcnt lgkmcnt(4)
	v_fma_f64 v[28:29], -v[14:15], v[52:53], v[28:29]
	ds_read2_b64 v[70:73], v44 offset1:1
	v_mov_b32_e32 v44, s19
	v_fma_f64 v[32:33], -v[8:9], v[46:47], v[32:33]
	s_waitcnt lgkmcnt(4)
	v_fma_f64 v[28:29], -v[12:13], v[56:57], v[28:29]
	ds_read2_b64 v[74:77], v44 offset1:1
	s_add_i32 s19, s20, 0xfffff940
	v_fma_f64 v[32:33], -v[14:15], v[50:51], v[32:33]
	s_waitcnt lgkmcnt(4)
	v_fma_f64 v[28:29], -v[18:19], v[60:61], v[28:29]
	v_mov_b32_e32 v44, s19
	v_fma_f64 v[32:33], -v[12:13], v[54:55], v[32:33]
	s_waitcnt lgkmcnt(3)
	v_fma_f64 v[28:29], -v[16:17], v[64:65], v[28:29]
	ds_read_b64 v[44:45], v44
	v_fma_f64 v[32:33], -v[18:19], v[58:59], v[32:33]
	s_waitcnt lgkmcnt(3)
	v_fma_f64 v[28:29], -v[24:25], v[68:69], v[28:29]
	v_fma_f64 v[32:33], -v[16:17], v[62:63], v[32:33]
	s_waitcnt lgkmcnt(2)
	v_fma_f64 v[28:29], -v[26:27], v[72:73], v[28:29]
	v_fma_f64 v[32:33], -v[24:25], v[66:67], v[32:33]
	s_add_i32 s21, s7, 0xffffffa8
	s_waitcnt lgkmcnt(1)
	v_mul_f64 v[28:29], v[76:77], v[28:29]
	v_fma_f64 v[32:33], -v[26:27], v[70:71], v[32:33]
	s_add_i32 s23, s21, s6
	v_fma_f64 v[32:33], -v[28:29], v[74:75], v[32:33]
	v_mov_b32_e32 v42, s23
	s_waitcnt lgkmcnt(0)
	v_mul_f64 v[32:33], v[44:45], v[32:33]
	ds_read2_b64 v[42:45], v42 offset1:1
	s_add_i32 s19, s6, 0xfffff940
	v_add_u32_e32 v46, s19, v1
	s_add_i32 s20, s21, s8
	v_add_u32_e32 v48, s18, v1
	ds_write_b64 v46, v[32:33]
	v_mov_b32_e32 v46, s20
	s_add_i32 s20, s21, s9
	ds_write_b64 v48, v[28:29]
	ds_read2_b64 v[46:49], v46 offset1:1
	s_waitcnt lgkmcnt(3)
	v_fma_f64 v[36:37], -v[10:11], v[44:45], v[36:37]
	v_mov_b32_e32 v44, s20
	s_add_i32 s20, s21, s12
	ds_read2_b64 v[50:53], v44 offset1:1
	v_mov_b32_e32 v44, s20
	s_add_i32 s20, s21, s13
	ds_read2_b64 v[54:57], v44 offset1:1
	;; [unrolled: 3-line block ×5, first 2 shown]
	v_mov_b32_e32 v44, s20
	s_add_i32 s20, s21, s18
	s_waitcnt lgkmcnt(5)
	v_fma_f64 v[36:37], -v[8:9], v[48:49], v[36:37]
	ds_read2_b64 v[70:73], v44 offset1:1
	v_mov_b32_e32 v44, s20
	s_add_i32 s20, s21, s19
	v_fma_f64 v[38:39], -v[10:11], v[42:43], v[38:39]
	s_waitcnt lgkmcnt(5)
	v_fma_f64 v[36:37], -v[14:15], v[52:53], v[36:37]
	ds_read2_b64 v[74:77], v44 offset1:1
	v_mov_b32_e32 v44, s20
	s_add_i32 s20, s6, 0xfffff880
	v_fma_f64 v[38:39], -v[8:9], v[46:47], v[38:39]
	s_waitcnt lgkmcnt(5)
	v_fma_f64 v[36:37], -v[12:13], v[56:57], v[36:37]
	s_add_i32 s21, s21, s20
	v_fma_f64 v[38:39], -v[14:15], v[50:51], v[38:39]
	s_waitcnt lgkmcnt(4)
	v_fma_f64 v[36:37], -v[18:19], v[60:61], v[36:37]
	ds_read2_b64 v[78:81], v44 offset1:1
	v_mov_b32_e32 v44, s21
	v_fma_f64 v[38:39], -v[12:13], v[54:55], v[38:39]
	s_waitcnt lgkmcnt(4)
	v_fma_f64 v[36:37], -v[16:17], v[64:65], v[36:37]
	ds_read2_b64 v[82:85], v44 offset1:1
	s_add_i32 s21, s23, 0xfffff7c0
	v_fma_f64 v[38:39], -v[18:19], v[58:59], v[38:39]
	s_waitcnt lgkmcnt(4)
	v_fma_f64 v[36:37], -v[24:25], v[68:69], v[36:37]
	v_mov_b32_e32 v44, s21
	v_fma_f64 v[38:39], -v[16:17], v[62:63], v[38:39]
	s_waitcnt lgkmcnt(3)
	v_fma_f64 v[36:37], -v[26:27], v[72:73], v[36:37]
	ds_read_b64 v[44:45], v44
	v_fma_f64 v[38:39], -v[24:25], v[66:67], v[38:39]
	s_waitcnt lgkmcnt(3)
	v_fma_f64 v[36:37], -v[28:29], v[76:77], v[36:37]
	v_fma_f64 v[38:39], -v[26:27], v[70:71], v[38:39]
	s_waitcnt lgkmcnt(2)
	v_fma_f64 v[36:37], -v[32:33], v[80:81], v[36:37]
	v_fma_f64 v[38:39], -v[28:29], v[74:75], v[38:39]
	s_add_i32 s24, s7, 0xffffff98
	s_waitcnt lgkmcnt(1)
	v_mul_f64 v[36:37], v[84:85], v[36:37]
	v_fma_f64 v[38:39], -v[32:33], v[78:79], v[38:39]
	s_add_i32 s25, s24, s6
	v_fma_f64 v[38:39], -v[36:37], v[82:83], v[38:39]
	v_mov_b32_e32 v42, s25
	s_waitcnt lgkmcnt(0)
	v_mul_f64 v[38:39], v[44:45], v[38:39]
	ds_read2_b64 v[42:45], v42 offset1:1
	s_add_i32 s21, s6, 0xfffff7c0
	v_add_u32_e32 v46, s21, v1
	s_add_i32 s23, s24, s8
	v_add_u32_e32 v48, s20, v1
	ds_write_b64 v46, v[38:39]
	v_mov_b32_e32 v46, s23
	s_add_i32 s23, s24, s9
	ds_write_b64 v48, v[36:37]
	ds_read2_b64 v[46:49], v46 offset1:1
	s_waitcnt lgkmcnt(3)
	v_fma_f64 v[40:41], -v[10:11], v[44:45], v[40:41]
	v_mov_b32_e32 v44, s23
	s_add_i32 s23, s24, s12
	ds_read2_b64 v[50:53], v44 offset1:1
	v_mov_b32_e32 v44, s23
	s_add_i32 s23, s24, s13
	ds_read2_b64 v[54:57], v44 offset1:1
	;; [unrolled: 3-line block ×4, first 2 shown]
	v_mov_b32_e32 v44, s23
	s_add_i32 s23, s24, s17
	s_waitcnt lgkmcnt(4)
	v_fma_f64 v[40:41], -v[8:9], v[48:49], v[40:41]
	ds_read2_b64 v[66:69], v44 offset1:1
	v_mov_b32_e32 v44, s23
	s_add_i32 s23, s24, s18
	s_waitcnt lgkmcnt(4)
	v_fma_f64 v[40:41], -v[14:15], v[52:53], v[40:41]
	ds_read2_b64 v[70:73], v44 offset1:1
	;; [unrolled: 5-line block ×4, first 2 shown]
	v_mov_b32_e32 v44, s23
	s_waitcnt lgkmcnt(4)
	v_fma_f64 v[40:41], -v[16:17], v[64:65], v[40:41]
	ds_read2_b64 v[82:85], v44 offset1:1
	s_waitcnt lgkmcnt(4)
	v_fma_f64 v[40:41], -v[24:25], v[68:69], v[40:41]
	s_waitcnt lgkmcnt(3)
	v_fma_f64 v[40:41], -v[26:27], v[72:73], v[40:41]
	s_add_i32 s23, s24, s21
	s_waitcnt lgkmcnt(2)
	v_fma_f64 v[40:41], -v[28:29], v[76:77], v[40:41]
	v_mov_b32_e32 v44, s23
	s_add_i32 s23, s6, 0xfffff700
	s_waitcnt lgkmcnt(1)
	v_fma_f64 v[40:41], -v[32:33], v[80:81], v[40:41]
	s_add_i32 s24, s24, s23
	ds_read2_b64 v[86:89], v44 offset1:1
	s_waitcnt lgkmcnt(1)
	v_fma_f64 v[44:45], -v[36:37], v[84:85], v[40:41]
	v_mov_b32_e32 v40, s24
	v_fma_f64 v[48:49], -v[10:11], v[42:43], v[34:35]
	ds_read2_b64 v[40:43], v40 offset1:1
	s_add_i32 s24, s25, 0xfffff640
	s_waitcnt lgkmcnt(1)
	v_fma_f64 v[34:35], -v[38:39], v[88:89], v[44:45]
	v_mov_b32_e32 v44, s24
	ds_read_b64 v[44:45], v44
	s_waitcnt lgkmcnt(1)
	v_mul_f64 v[34:35], v[42:43], v[34:35]
	v_add_u32_e32 v42, s23, v1
	ds_write_b64 v42, v[34:35]
	v_fma_f64 v[42:43], -v[8:9], v[46:47], v[48:49]
	v_fma_f64 v[42:43], -v[14:15], v[50:51], v[42:43]
	;; [unrolled: 1-line block ×10, first 2 shown]
	s_add_i32 s26, s7, 0xffffff88
	v_fma_f64 v[42:43], -v[38:39], v[86:87], v[42:43]
	s_add_i32 s27, s26, s6
	v_fma_f64 v[40:41], -v[34:35], v[40:41], v[42:43]
	v_mov_b32_e32 v42, s27
	s_waitcnt lgkmcnt(1)
	v_mul_f64 v[40:41], v[44:45], v[40:41]
	ds_read2_b64 v[42:45], v42 offset1:1
	s_add_i32 s24, s6, 0xfffff640
	v_add_u32_e32 v46, s24, v1
	s_add_i32 s25, s26, s8
	ds_write_b64 v46, v[40:41]
	v_mov_b32_e32 v46, s25
	s_add_i32 s25, s26, s9
	ds_read2_b64 v[46:49], v46 offset1:1
	s_waitcnt lgkmcnt(2)
	v_fma_f64 v[30:31], -v[10:11], v[44:45], v[30:31]
	v_mov_b32_e32 v44, s25
	s_add_i32 s25, s26, s12
	ds_read2_b64 v[50:53], v44 offset1:1
	v_mov_b32_e32 v44, s25
	s_add_i32 s25, s26, s13
	ds_read2_b64 v[54:57], v44 offset1:1
	;; [unrolled: 3-line block ×4, first 2 shown]
	v_mov_b32_e32 v44, s25
	s_add_i32 s25, s26, s17
	s_waitcnt lgkmcnt(4)
	v_fma_f64 v[30:31], -v[8:9], v[48:49], v[30:31]
	ds_read2_b64 v[66:69], v44 offset1:1
	v_mov_b32_e32 v44, s25
	s_add_i32 s25, s26, s18
	s_waitcnt lgkmcnt(4)
	v_fma_f64 v[30:31], -v[14:15], v[52:53], v[30:31]
	ds_read2_b64 v[70:73], v44 offset1:1
	v_mov_b32_e32 v44, s25
	s_add_i32 s25, s26, s19
	s_waitcnt lgkmcnt(4)
	v_fma_f64 v[30:31], -v[12:13], v[56:57], v[30:31]
	v_mov_b32_e32 v45, s25
	s_add_i32 s25, s26, s20
	s_waitcnt lgkmcnt(3)
	v_fma_f64 v[30:31], -v[18:19], v[60:61], v[30:31]
	ds_read2_b64 v[74:77], v44 offset1:1
	ds_read2_b64 v[78:81], v45 offset1:1
	v_mov_b32_e32 v44, s25
	s_add_i32 s25, s26, s21
	s_waitcnt lgkmcnt(4)
	v_fma_f64 v[30:31], -v[16:17], v[64:65], v[30:31]
	v_mov_b32_e32 v45, s25
	s_add_i32 s25, s26, s23
	s_waitcnt lgkmcnt(3)
	v_fma_f64 v[30:31], -v[24:25], v[68:69], v[30:31]
	ds_read2_b64 v[82:85], v44 offset1:1
	ds_read2_b64 v[86:89], v45 offset1:1
	v_mov_b32_e32 v44, s25
	s_waitcnt lgkmcnt(4)
	v_fma_f64 v[30:31], -v[26:27], v[72:73], v[30:31]
	v_fma_f64 v[22:23], -v[10:11], v[42:43], v[22:23]
	ds_read2_b64 v[42:45], v44 offset1:1
	s_waitcnt lgkmcnt(4)
	v_fma_f64 v[30:31], -v[28:29], v[76:77], v[30:31]
	s_waitcnt lgkmcnt(3)
	v_fma_f64 v[30:31], -v[32:33], v[80:81], v[30:31]
	;; [unrolled: 2-line block ×3, first 2 shown]
	s_add_i32 s25, s26, s24
	s_waitcnt lgkmcnt(1)
	v_fma_f64 v[30:31], -v[38:39], v[88:89], v[30:31]
	v_mov_b32_e32 v48, s25
	v_fma_f64 v[22:23], -v[8:9], v[46:47], v[22:23]
	ds_read2_b64 v[46:49], v48 offset1:1
	s_waitcnt lgkmcnt(1)
	v_fma_f64 v[30:31], -v[34:35], v[44:45], v[30:31]
	v_fma_f64 v[44:45], -v[14:15], v[50:51], v[22:23]
	;; [unrolled: 1-line block ×4, first 2 shown]
	s_add_i32 s25, s6, 0xfffff580
	v_fma_f64 v[44:45], -v[16:17], v[62:63], v[44:45]
	s_add_i32 s26, s26, s25
	v_fma_f64 v[44:45], -v[24:25], v[66:67], v[44:45]
	v_mov_b32_e32 v52, s26
	v_fma_f64 v[44:45], -v[26:27], v[70:71], v[44:45]
	ds_read2_b64 v[50:53], v52 offset1:1
	s_add_i32 s26, s27, 0xfffff4c0
	v_fma_f64 v[44:45], -v[28:29], v[74:75], v[44:45]
	s_waitcnt lgkmcnt(1)
	v_fma_f64 v[22:23], -v[40:41], v[48:49], v[30:31]
	v_mov_b32_e32 v30, s26
	v_fma_f64 v[44:45], -v[32:33], v[78:79], v[44:45]
	ds_read_b64 v[30:31], v30
	v_fma_f64 v[44:45], -v[36:37], v[82:83], v[44:45]
	v_fma_f64 v[44:45], -v[38:39], v[86:87], v[44:45]
	;; [unrolled: 1-line block ×3, first 2 shown]
	s_waitcnt lgkmcnt(1)
	v_mul_f64 v[22:23], v[52:53], v[22:23]
	v_fma_f64 v[42:43], -v[40:41], v[46:47], v[42:43]
	s_add_i32 s28, s7, 0xffffff78
	v_fma_f64 v[42:43], -v[22:23], v[50:51], v[42:43]
	s_add_i32 s29, s28, s6
	s_waitcnt lgkmcnt(0)
	v_mul_f64 v[30:31], v[30:31], v[42:43]
	v_mov_b32_e32 v42, s29
	ds_read2_b64 v[42:45], v42 offset1:1
	s_add_i32 s26, s6, 0xfffff4c0
	v_add_u32_e32 v48, s25, v1
	v_add_u32_e32 v46, s26, v1
	s_add_i32 s27, s28, s8
	ds_write_b64 v48, v[22:23]
	ds_write_b64 v46, v[30:31]
	v_mov_b32_e32 v46, s27
	s_add_i32 s27, s28, s9
	ds_read2_b64 v[46:49], v46 offset1:1
	s_waitcnt lgkmcnt(3)
	v_fma_f64 v[20:21], -v[10:11], v[44:45], v[20:21]
	v_mov_b32_e32 v44, s27
	s_add_i32 s27, s28, s12
	ds_read2_b64 v[50:53], v44 offset1:1
	v_mov_b32_e32 v44, s27
	s_add_i32 s27, s28, s13
	ds_read2_b64 v[54:57], v44 offset1:1
	;; [unrolled: 3-line block ×4, first 2 shown]
	v_mov_b32_e32 v44, s27
	s_add_i32 s27, s28, s17
	s_waitcnt lgkmcnt(4)
	v_fma_f64 v[20:21], -v[8:9], v[48:49], v[20:21]
	ds_read2_b64 v[66:69], v44 offset1:1
	v_mov_b32_e32 v44, s27
	s_add_i32 s27, s28, s18
	s_waitcnt lgkmcnt(4)
	v_fma_f64 v[20:21], -v[14:15], v[52:53], v[20:21]
	ds_read2_b64 v[70:73], v44 offset1:1
	;; [unrolled: 5-line block ×4, first 2 shown]
	v_mov_b32_e32 v44, s27
	s_add_i32 s27, s28, s21
	s_waitcnt lgkmcnt(4)
	v_fma_f64 v[20:21], -v[16:17], v[64:65], v[20:21]
	v_mov_b32_e32 v45, s27
	s_add_i32 s27, s28, s23
	s_waitcnt lgkmcnt(3)
	v_fma_f64 v[20:21], -v[24:25], v[68:69], v[20:21]
	ds_read2_b64 v[82:85], v44 offset1:1
	ds_read2_b64 v[86:89], v45 offset1:1
	v_mov_b32_e32 v44, s27
	s_add_i32 s27, s28, s24
	v_fma_f64 v[6:7], -v[10:11], v[42:43], v[6:7]
	s_waitcnt lgkmcnt(4)
	v_fma_f64 v[20:21], -v[26:27], v[72:73], v[20:21]
	v_mov_b32_e32 v48, s27
	v_fma_f64 v[6:7], -v[8:9], v[46:47], v[6:7]
	s_waitcnt lgkmcnt(3)
	v_fma_f64 v[20:21], -v[28:29], v[76:77], v[20:21]
	ds_read2_b64 v[42:45], v44 offset1:1
	ds_read2_b64 v[46:49], v48 offset1:1
	v_fma_f64 v[6:7], -v[14:15], v[50:51], v[6:7]
	s_waitcnt lgkmcnt(4)
	v_fma_f64 v[20:21], -v[32:33], v[80:81], v[20:21]
	v_fma_f64 v[6:7], -v[12:13], v[54:55], v[6:7]
	s_waitcnt lgkmcnt(3)
	v_fma_f64 v[20:21], -v[36:37], v[84:85], v[20:21]
	;; [unrolled: 3-line block ×3, first 2 shown]
	s_add_i32 s27, s28, s25
	v_fma_f64 v[6:7], -v[16:17], v[62:63], v[6:7]
	s_waitcnt lgkmcnt(1)
	v_fma_f64 v[20:21], -v[34:35], v[44:45], v[20:21]
	v_mov_b32_e32 v44, s27
	s_add_i32 s27, s28, s26
	v_fma_f64 v[6:7], -v[24:25], v[66:67], v[6:7]
	s_waitcnt lgkmcnt(0)
	v_fma_f64 v[20:21], -v[40:41], v[48:49], v[20:21]
	ds_read2_b64 v[48:51], v44 offset1:1
	v_mov_b32_e32 v44, s27
	s_add_i32 s27, s6, 0xfffff400
	v_fma_f64 v[6:7], -v[26:27], v[70:71], v[6:7]
	s_add_i32 s28, s28, s27
	v_fma_f64 v[6:7], -v[28:29], v[74:75], v[6:7]
	ds_read2_b64 v[52:55], v44 offset1:1
	v_mov_b32_e32 v44, s28
	v_fma_f64 v[6:7], -v[32:33], v[78:79], v[6:7]
	ds_read2_b64 v[56:59], v44 offset1:1
	s_add_i32 s28, s29, 0xfffff340
	v_fma_f64 v[6:7], -v[36:37], v[82:83], v[6:7]
	v_mov_b32_e32 v44, s28
	v_fma_f64 v[6:7], -v[38:39], v[86:87], v[6:7]
	ds_read_b64 v[44:45], v44
	v_fma_f64 v[6:7], -v[34:35], v[42:43], v[6:7]
	s_waitcnt lgkmcnt(3)
	v_fma_f64 v[20:21], -v[22:23], v[50:51], v[20:21]
	v_fma_f64 v[6:7], -v[40:41], v[46:47], v[6:7]
	s_waitcnt lgkmcnt(2)
	v_fma_f64 v[20:21], -v[30:31], v[54:55], v[20:21]
	v_fma_f64 v[6:7], -v[22:23], v[48:49], v[6:7]
	s_waitcnt lgkmcnt(1)
	v_mul_f64 v[88:89], v[58:59], v[20:21]
	v_fma_f64 v[6:7], -v[30:31], v[52:53], v[6:7]
	s_add_i32 s29, s7, 0xffffff68
	v_fma_f64 v[6:7], -v[88:89], v[56:57], v[6:7]
	s_add_i32 s7, s29, s6
	s_waitcnt lgkmcnt(0)
	v_mul_f64 v[90:91], v[44:45], v[6:7]
	v_mov_b32_e32 v7, s7
	ds_read2_b64 v[42:45], v7 offset1:1
	s_add_i32 s28, s6, 0xfffff340
	v_add_u32_e32 v20, s27, v1
	v_add_u32_e32 v6, s28, v1
	s_add_i32 s8, s29, s8
	ds_write_b64 v20, v[88:89]
	ds_write_b64 v6, v[90:91]
	v_mov_b32_e32 v6, s8
	s_add_i32 s8, s29, s9
	ds_read2_b64 v[46:49], v6 offset1:1
	s_waitcnt lgkmcnt(3)
	v_fma_f64 v[20:21], -v[10:11], v[44:45], v[4:5]
	v_mov_b32_e32 v4, s8
	ds_read2_b64 v[4:7], v4 offset1:1
	s_add_i32 s8, s29, s12
	s_waitcnt lgkmcnt(1)
	v_fma_f64 v[20:21], -v[8:9], v[48:49], v[20:21]
	v_mov_b32_e32 v44, s8
	s_add_i32 s8, s29, s13
	ds_read2_b64 v[48:51], v44 offset1:1
	s_waitcnt lgkmcnt(1)
	v_fma_f64 v[6:7], -v[14:15], v[6:7], v[20:21]
	v_mov_b32_e32 v20, s8
	s_add_i32 s8, s29, s14
	ds_read2_b64 v[52:55], v20 offset1:1
	v_mov_b32_e32 v20, s8
	s_add_i32 s8, s29, s15
	ds_read2_b64 v[56:59], v20 offset1:1
	;; [unrolled: 3-line block ×4, first 2 shown]
	v_mov_b32_e32 v20, s8
	s_add_i32 s8, s29, s19
	s_waitcnt lgkmcnt(4)
	v_fma_f64 v[6:7], -v[12:13], v[50:51], v[6:7]
	ds_read2_b64 v[68:71], v20 offset1:1
	v_mov_b32_e32 v20, s8
	s_add_i32 s8, s29, s20
	s_waitcnt lgkmcnt(4)
	v_fma_f64 v[6:7], -v[18:19], v[54:55], v[6:7]
	ds_read2_b64 v[72:75], v20 offset1:1
	v_mov_b32_e32 v20, s8
	s_waitcnt lgkmcnt(4)
	v_fma_f64 v[6:7], -v[16:17], v[58:59], v[6:7]
	ds_read2_b64 v[76:79], v20 offset1:1
	s_waitcnt lgkmcnt(4)
	v_fma_f64 v[6:7], -v[24:25], v[62:63], v[6:7]
	s_waitcnt lgkmcnt(3)
	v_fma_f64 v[6:7], -v[26:27], v[66:67], v[6:7]
	;; [unrolled: 2-line block ×3, first 2 shown]
	s_add_i32 s8, s29, s21
	s_waitcnt lgkmcnt(1)
	v_fma_f64 v[6:7], -v[32:33], v[74:75], v[6:7]
	v_mov_b32_e32 v20, s8
	s_add_i32 s8, s29, s23
	ds_read2_b64 v[80:83], v20 offset1:1
	s_waitcnt lgkmcnt(1)
	v_fma_f64 v[20:21], -v[36:37], v[78:79], v[6:7]
	v_mov_b32_e32 v6, s8
	s_add_i32 s8, s29, s24
	v_mov_b32_e32 v7, s8
	s_add_i32 s8, s29, s25
	v_fma_f64 v[2:3], -v[10:11], v[42:43], v[2:3]
	ds_read2_b64 v[42:45], v6 offset1:1
	ds_read2_b64 v[84:87], v7 offset1:1
	v_mov_b32_e32 v6, s8
	s_add_i32 s8, s29, s26
	v_fma_f64 v[2:3], -v[8:9], v[46:47], v[2:3]
	v_mov_b32_e32 v7, s8
	v_fma_f64 v[14:15], -v[14:15], v[4:5], v[2:3]
	ds_read2_b64 v[2:5], v6 offset1:1
	ds_read2_b64 v[6:9], v7 offset1:1
	s_waitcnt lgkmcnt(4)
	v_fma_f64 v[10:11], -v[38:39], v[82:83], v[20:21]
	s_waitcnt lgkmcnt(3)
	v_fma_f64 v[10:11], -v[34:35], v[44:45], v[10:11]
	;; [unrolled: 2-line block ×4, first 2 shown]
	s_add_i32 s8, s29, s27
	s_waitcnt lgkmcnt(0)
	v_fma_f64 v[4:5], -v[30:31], v[8:9], v[4:5]
	v_mov_b32_e32 v8, s8
	ds_read2_b64 v[8:11], v8 offset1:1
	s_add_i32 s8, s29, s28
	v_mov_b32_e32 v44, s8
	v_fma_f64 v[20:21], -v[12:13], v[48:49], v[14:15]
	ds_read2_b64 v[12:15], v44 offset1:1
	s_waitcnt lgkmcnt(1)
	v_fma_f64 v[4:5], -v[88:89], v[10:11], v[4:5]
	v_fma_f64 v[10:11], -v[18:19], v[52:53], v[20:21]
	;; [unrolled: 1-line block ×6, first 2 shown]
	s_addk_i32 s6, 0xf280
	v_fma_f64 v[10:11], -v[32:33], v[72:73], v[10:11]
	s_add_i32 s8, s29, s6
	v_fma_f64 v[10:11], -v[36:37], v[76:77], v[10:11]
	v_mov_b32_e32 v44, s8
	v_fma_f64 v[10:11], -v[38:39], v[80:81], v[10:11]
	ds_read2_b64 v[18:21], v44 offset1:1
	s_addk_i32 s7, 0xf1c0
	v_fma_f64 v[10:11], -v[34:35], v[42:43], v[10:11]
	s_waitcnt lgkmcnt(1)
	v_fma_f64 v[4:5], -v[90:91], v[14:15], v[4:5]
	v_mov_b32_e32 v14, s7
	v_fma_f64 v[10:11], -v[40:41], v[84:85], v[10:11]
	ds_read_b64 v[14:15], v14
	v_fma_f64 v[2:3], -v[22:23], v[2:3], v[10:11]
	v_fma_f64 v[2:3], -v[30:31], v[6:7], v[2:3]
	;; [unrolled: 1-line block ×3, first 2 shown]
	s_waitcnt lgkmcnt(1)
	v_mul_f64 v[4:5], v[20:21], v[4:5]
	v_fma_f64 v[2:3], -v[90:91], v[12:13], v[2:3]
	v_add_u32_e32 v20, s6, v1
	v_fma_f64 v[2:3], -v[4:5], v[18:19], v[2:3]
	ds_write_b64 v20, v[4:5]
	s_waitcnt lgkmcnt(1)
	v_mul_f64 v[2:3], v[14:15], v[2:3]
	v_add_u32_e32 v4, 0xffffff40, v20
	s_sub_i32 s5, s5, 20
	ds_write_b64 v4, v[2:3]
.LBB92_33:
	s_cmp_lt_i32 s5, 0
	s_cbranch_scc1 .LBB92_50
; %bb.34:
	s_and_b32 s6, s5, 3
	s_cmp_eq_u32 s6, 3
	s_mul_i32 s7, s22, 0xc0
	s_mov_b32 s6, s5
	s_cbranch_scc1 .LBB92_39
; %bb.35:
	s_add_i32 s6, s5, 1
	s_and_b32 s8, s6, 3
	s_lshl_b32 s6, s5, 3
	s_add_i32 s6, s7, s6
	v_lshl_add_u32 v2, v0, 3, s7
	s_add_i32 s9, s6, 0xffffff40
	v_add_u32_e32 v4, 0x1140, v2
	s_mov_b32 s12, 0
	s_mov_b32 s6, s5
	s_branch .LBB92_37
.LBB92_36:                              ;   in Loop: Header=BB92_37 Depth=1
	s_mul_i32 s13, s6, 0xc8
	v_mov_b32_e32 v6, s13
	ds_read_b64 v[6:7], v6
	s_add_i32 s6, s6, -1
	s_add_i32 s12, s12, 1
	s_add_i32 s9, s9, -8
	s_cmp_lg_u32 s12, s8
	s_waitcnt lgkmcnt(0)
	v_mul_f64 v[2:3], v[6:7], v[2:3]
	ds_write_b64 v5, v[2:3]
	s_cbranch_scc0 .LBB92_39
.LBB92_37:                              ; =>This Loop Header: Depth=1
                                        ;     Child Loop BB92_38 Depth 2
	s_mul_i32 s13, s6, 0xc0
	v_add_u32_e32 v5, s13, v1
	ds_read_b64 v[2:3], v5
	s_cmp_le_i32 s4, s6
	v_mov_b32_e32 v6, v4
	s_mov_b32 s13, s9
	s_mov_b32 s14, s4
	s_cbranch_scc1 .LBB92_36
.LBB92_38:                              ;   Parent Loop BB92_37 Depth=1
                                        ; =>  This Inner Loop Header: Depth=2
	v_mov_b32_e32 v7, s13
	ds_read_b64 v[8:9], v6
	ds_read_b64 v[10:11], v7
	s_add_i32 s14, s14, -1
	s_addk_i32 s13, 0xff40
	v_add_u32_e32 v6, 0xffffff40, v6
	s_cmp_gt_i32 s14, s6
	s_waitcnt lgkmcnt(0)
	v_fma_f64 v[2:3], -v[8:9], v[10:11], v[2:3]
	s_cbranch_scc1 .LBB92_38
	s_branch .LBB92_36
.LBB92_39:
	s_cmp_lt_u32 s5, 3
	s_cbranch_scc1 .LBB92_50
; %bb.40:
	s_lshl_b32 s5, s6, 3
	s_add_i32 s9, s7, s5
	v_lshl_add_u32 v2, v0, 3, s7
	s_add_i32 s5, s9, 0xffffff40
	v_add_u32_e32 v6, 0x1140, v2
	s_add_i32 s7, s9, 0xffffff38
	s_add_i32 s8, s9, 0xffffff30
	s_addk_i32 s9, 0xff28
	s_branch .LBB92_42
.LBB92_41:                              ;   in Loop: Header=BB92_42 Depth=1
	s_add_i32 s12, s13, 0xffffff38
	v_mov_b32_e32 v2, s12
	ds_read_b64 v[2:3], v2
	s_add_i32 s12, s6, -4
	s_sub_i32 s5, s5, 32
	s_sub_i32 s7, s7, 32
	;; [unrolled: 1-line block ×4, first 2 shown]
	s_waitcnt lgkmcnt(0)
	v_mul_f64 v[2:3], v[2:3], v[4:5]
	s_cmp_lt_i32 s6, 4
	s_mov_b32 s6, s12
	ds_write_b64 v7, v[2:3]
	s_cbranch_scc1 .LBB92_50
.LBB92_42:                              ; =>This Loop Header: Depth=1
                                        ;     Child Loop BB92_43 Depth 2
                                        ;     Child Loop BB92_45 Depth 2
	;; [unrolled: 1-line block ×4, first 2 shown]
	s_mul_i32 s12, s6, 0xc0
	v_add_u32_e32 v8, s12, v1
	ds_read_b64 v[2:3], v8
	s_cmp_le_i32 s4, s6
	v_mov_b32_e32 v4, v6
	s_mov_b32 s13, s5
	s_mov_b32 s14, s4
	s_cbranch_scc1 .LBB92_44
.LBB92_43:                              ;   Parent Loop BB92_42 Depth=1
                                        ; =>  This Inner Loop Header: Depth=2
	v_mov_b32_e32 v5, s13
	ds_read_b64 v[10:11], v4
	ds_read_b64 v[12:13], v5
	s_add_i32 s14, s14, -1
	s_addk_i32 s13, 0xff40
	v_add_u32_e32 v4, 0xffffff40, v4
	s_cmp_gt_i32 s14, s6
	s_waitcnt lgkmcnt(0)
	v_fma_f64 v[2:3], -v[10:11], v[12:13], v[2:3]
	s_cbranch_scc1 .LBB92_43
.LBB92_44:                              ;   in Loop: Header=BB92_42 Depth=1
	s_mul_i32 s13, s6, 0xc8
	v_mov_b32_e32 v4, s13
	ds_read_b64 v[10:11], v4
	s_addk_i32 s12, 0xff40
	v_add_u32_e32 v7, s12, v1
	ds_read_b64 v[4:5], v7
	s_cmp_le_i32 s22, s6
	s_waitcnt lgkmcnt(1)
	v_mul_f64 v[2:3], v[10:11], v[2:3]
	ds_write_b64 v8, v[2:3]
	v_mov_b32_e32 v2, v6
	s_mov_b32 s14, s7
	s_mov_b32 s15, s22
	s_cbranch_scc1 .LBB92_46
.LBB92_45:                              ;   Parent Loop BB92_42 Depth=1
                                        ; =>  This Inner Loop Header: Depth=2
	v_mov_b32_e32 v3, s14
	ds_read_b64 v[8:9], v2
	ds_read_b64 v[10:11], v3
	s_add_i32 s15, s15, -1
	s_addk_i32 s14, 0xff40
	v_add_u32_e32 v2, 0xffffff40, v2
	s_cmp_gt_i32 s15, s6
	s_waitcnt lgkmcnt(0)
	v_fma_f64 v[4:5], -v[8:9], v[10:11], v[4:5]
	s_cbranch_scc1 .LBB92_45
.LBB92_46:                              ;   in Loop: Header=BB92_42 Depth=1
	s_addk_i32 s13, 0xff38
	v_mov_b32_e32 v2, s13
	ds_read_b64 v[10:11], v2
	s_addk_i32 s12, 0xff40
	v_add_u32_e32 v8, s12, v1
	ds_read_b64 v[2:3], v8
	s_add_i32 s14, s6, -2
	s_waitcnt lgkmcnt(1)
	v_mul_f64 v[4:5], v[10:11], v[4:5]
	ds_write_b64 v7, v[4:5]
	s_cmp_le_i32 s4, s14
	v_mov_b32_e32 v4, v6
	s_mov_b32 s15, s8
	s_mov_b32 s17, s4
	s_cbranch_scc1 .LBB92_48
.LBB92_47:                              ;   Parent Loop BB92_42 Depth=1
                                        ; =>  This Inner Loop Header: Depth=2
	v_mov_b32_e32 v5, s15
	ds_read_b64 v[10:11], v4
	ds_read_b64 v[12:13], v5
	s_add_i32 s17, s17, -1
	s_addk_i32 s15, 0xff40
	v_add_u32_e32 v4, 0xffffff40, v4
	s_cmp_gt_i32 s17, s14
	s_waitcnt lgkmcnt(0)
	v_fma_f64 v[2:3], -v[10:11], v[12:13], v[2:3]
	s_cbranch_scc1 .LBB92_47
.LBB92_48:                              ;   in Loop: Header=BB92_42 Depth=1
	s_addk_i32 s13, 0xff38
	v_mov_b32_e32 v4, s13
	ds_read_b64 v[10:11], v4
	s_addk_i32 s12, 0xff40
	v_add_u32_e32 v7, s12, v1
	ds_read_b64 v[4:5], v7
	s_add_i32 s14, s6, -3
	s_waitcnt lgkmcnt(1)
	v_mul_f64 v[2:3], v[10:11], v[2:3]
	ds_write_b64 v8, v[2:3]
	s_cmp_le_i32 s4, s14
	v_mov_b32_e32 v2, v6
	s_mov_b32 s12, s9
	s_mov_b32 s15, s4
	s_cbranch_scc1 .LBB92_41
.LBB92_49:                              ;   Parent Loop BB92_42 Depth=1
                                        ; =>  This Inner Loop Header: Depth=2
	v_mov_b32_e32 v3, s12
	ds_read_b64 v[8:9], v2
	ds_read_b64 v[10:11], v3
	s_add_i32 s15, s15, -1
	s_addk_i32 s12, 0xff40
	v_add_u32_e32 v2, 0xffffff40, v2
	s_cmp_gt_i32 s15, s14
	s_waitcnt lgkmcnt(0)
	v_fma_f64 v[4:5], -v[8:9], v[10:11], v[4:5]
	s_cbranch_scc1 .LBB92_49
	s_branch .LBB92_41
.LBB92_50:
	s_waitcnt lgkmcnt(0)
	; wave barrier
	s_and_saveexec_b64 s[4:5], s[0:1]
	s_cbranch_execz .LBB92_54
; %bb.51:
	s_andn2_b64 vcc, exec, s[10:11]
	s_cbranch_vccnz .LBB92_54
; %bb.52:
	v_mad_i64_i32 v[2:3], s[0:1], s16, v0, 0
	v_mov_b32_e32 v1, 0x1200
	v_lshl_add_u64 v[2:3], v[2:3], 3, s[2:3]
	v_lshl_or_b32 v0, v0, 3, v1
.LBB92_53:                              ; =>This Inner Loop Header: Depth=1
	ds_read_b64 v[4:5], v0
	s_add_i32 s22, s22, -1
	v_add_u32_e32 v0, 0xc0, v0
	s_cmp_lg_u32 s22, 0
	s_waitcnt lgkmcnt(0)
	flat_store_dwordx2 v[2:3], v[4:5]
	v_lshl_add_u64 v[2:3], v[2:3], 0, 8
	s_cbranch_scc1 .LBB92_53
.LBB92_54:
	s_endpgm
	.section	.rodata,"a",@progbits
	.p2align	6, 0x0
	.amdhsa_kernel _ZL38rocblas_trsm_small_left_device_sharedBILi24ELi24ELb0EddPKPKdPKPdEv13rocblas_fill_18rocblas_operation_17rocblas_diagonal_iiT3_T4_lilT5_lili
		.amdhsa_group_segment_fixed_size 9216
		.amdhsa_private_segment_fixed_size 0
		.amdhsa_kernarg_size 360
		.amdhsa_user_sgpr_count 2
		.amdhsa_user_sgpr_dispatch_ptr 0
		.amdhsa_user_sgpr_queue_ptr 0
		.amdhsa_user_sgpr_kernarg_segment_ptr 1
		.amdhsa_user_sgpr_dispatch_id 0
		.amdhsa_user_sgpr_kernarg_preload_length 0
		.amdhsa_user_sgpr_kernarg_preload_offset 0
		.amdhsa_user_sgpr_private_segment_size 0
		.amdhsa_uses_dynamic_stack 0
		.amdhsa_enable_private_segment 0
		.amdhsa_system_sgpr_workgroup_id_x 1
		.amdhsa_system_sgpr_workgroup_id_y 0
		.amdhsa_system_sgpr_workgroup_id_z 1
		.amdhsa_system_sgpr_workgroup_info 0
		.amdhsa_system_vgpr_workitem_id 0
		.amdhsa_next_free_vgpr 96
		.amdhsa_next_free_sgpr 96
		.amdhsa_accum_offset 96
		.amdhsa_reserve_vcc 1
		.amdhsa_float_round_mode_32 0
		.amdhsa_float_round_mode_16_64 0
		.amdhsa_float_denorm_mode_32 3
		.amdhsa_float_denorm_mode_16_64 3
		.amdhsa_dx10_clamp 1
		.amdhsa_ieee_mode 1
		.amdhsa_fp16_overflow 0
		.amdhsa_tg_split 0
		.amdhsa_exception_fp_ieee_invalid_op 0
		.amdhsa_exception_fp_denorm_src 0
		.amdhsa_exception_fp_ieee_div_zero 0
		.amdhsa_exception_fp_ieee_overflow 0
		.amdhsa_exception_fp_ieee_underflow 0
		.amdhsa_exception_fp_ieee_inexact 0
		.amdhsa_exception_int_div_zero 0
	.end_amdhsa_kernel
	.section	.text._ZL38rocblas_trsm_small_left_device_sharedBILi24ELi24ELb0EddPKPKdPKPdEv13rocblas_fill_18rocblas_operation_17rocblas_diagonal_iiT3_T4_lilT5_lili,"axG",@progbits,_ZL38rocblas_trsm_small_left_device_sharedBILi24ELi24ELb0EddPKPKdPKPdEv13rocblas_fill_18rocblas_operation_17rocblas_diagonal_iiT3_T4_lilT5_lili,comdat
.Lfunc_end92:
	.size	_ZL38rocblas_trsm_small_left_device_sharedBILi24ELi24ELb0EddPKPKdPKPdEv13rocblas_fill_18rocblas_operation_17rocblas_diagonal_iiT3_T4_lilT5_lili, .Lfunc_end92-_ZL38rocblas_trsm_small_left_device_sharedBILi24ELi24ELb0EddPKPKdPKPdEv13rocblas_fill_18rocblas_operation_17rocblas_diagonal_iiT3_T4_lilT5_lili
                                        ; -- End function
	.set _ZL38rocblas_trsm_small_left_device_sharedBILi24ELi24ELb0EddPKPKdPKPdEv13rocblas_fill_18rocblas_operation_17rocblas_diagonal_iiT3_T4_lilT5_lili.num_vgpr, 96
	.set _ZL38rocblas_trsm_small_left_device_sharedBILi24ELi24ELb0EddPKPKdPKPdEv13rocblas_fill_18rocblas_operation_17rocblas_diagonal_iiT3_T4_lilT5_lili.num_agpr, 0
	.set _ZL38rocblas_trsm_small_left_device_sharedBILi24ELi24ELb0EddPKPKdPKPdEv13rocblas_fill_18rocblas_operation_17rocblas_diagonal_iiT3_T4_lilT5_lili.numbered_sgpr, 30
	.set _ZL38rocblas_trsm_small_left_device_sharedBILi24ELi24ELb0EddPKPKdPKPdEv13rocblas_fill_18rocblas_operation_17rocblas_diagonal_iiT3_T4_lilT5_lili.num_named_barrier, 0
	.set _ZL38rocblas_trsm_small_left_device_sharedBILi24ELi24ELb0EddPKPKdPKPdEv13rocblas_fill_18rocblas_operation_17rocblas_diagonal_iiT3_T4_lilT5_lili.private_seg_size, 0
	.set _ZL38rocblas_trsm_small_left_device_sharedBILi24ELi24ELb0EddPKPKdPKPdEv13rocblas_fill_18rocblas_operation_17rocblas_diagonal_iiT3_T4_lilT5_lili.uses_vcc, 1
	.set _ZL38rocblas_trsm_small_left_device_sharedBILi24ELi24ELb0EddPKPKdPKPdEv13rocblas_fill_18rocblas_operation_17rocblas_diagonal_iiT3_T4_lilT5_lili.uses_flat_scratch, 0
	.set _ZL38rocblas_trsm_small_left_device_sharedBILi24ELi24ELb0EddPKPKdPKPdEv13rocblas_fill_18rocblas_operation_17rocblas_diagonal_iiT3_T4_lilT5_lili.has_dyn_sized_stack, 0
	.set _ZL38rocblas_trsm_small_left_device_sharedBILi24ELi24ELb0EddPKPKdPKPdEv13rocblas_fill_18rocblas_operation_17rocblas_diagonal_iiT3_T4_lilT5_lili.has_recursion, 0
	.set _ZL38rocblas_trsm_small_left_device_sharedBILi24ELi24ELb0EddPKPKdPKPdEv13rocblas_fill_18rocblas_operation_17rocblas_diagonal_iiT3_T4_lilT5_lili.has_indirect_call, 0
	.section	.AMDGPU.csdata,"",@progbits
; Kernel info:
; codeLenInByte = 19752
; TotalNumSgprs: 36
; NumVgprs: 96
; NumAgprs: 0
; TotalNumVgprs: 96
; ScratchSize: 0
; MemoryBound: 0
; FloatMode: 240
; IeeeMode: 1
; LDSByteSize: 9216 bytes/workgroup (compile time only)
; SGPRBlocks: 12
; VGPRBlocks: 11
; NumSGPRsForWavesPerEU: 102
; NumVGPRsForWavesPerEU: 96
; AccumOffset: 96
; Occupancy: 5
; WaveLimiterHint : 0
; COMPUTE_PGM_RSRC2:SCRATCH_EN: 0
; COMPUTE_PGM_RSRC2:USER_SGPR: 2
; COMPUTE_PGM_RSRC2:TRAP_HANDLER: 0
; COMPUTE_PGM_RSRC2:TGID_X_EN: 1
; COMPUTE_PGM_RSRC2:TGID_Y_EN: 0
; COMPUTE_PGM_RSRC2:TGID_Z_EN: 1
; COMPUTE_PGM_RSRC2:TIDIG_COMP_CNT: 0
; COMPUTE_PGM_RSRC3_GFX90A:ACCUM_OFFSET: 23
; COMPUTE_PGM_RSRC3_GFX90A:TG_SPLIT: 0
	.section	.text._ZL30rocblas_trsm_small_left_deviceILi24ELi24ELb0EddPKPKdPKPdEv13rocblas_fill_18rocblas_operation_17rocblas_diagonal_iiT3_T4_lilT5_lili,"axG",@progbits,_ZL30rocblas_trsm_small_left_deviceILi24ELi24ELb0EddPKPKdPKPdEv13rocblas_fill_18rocblas_operation_17rocblas_diagonal_iiT3_T4_lilT5_lili,comdat
	.globl	_ZL30rocblas_trsm_small_left_deviceILi24ELi24ELb0EddPKPKdPKPdEv13rocblas_fill_18rocblas_operation_17rocblas_diagonal_iiT3_T4_lilT5_lili ; -- Begin function _ZL30rocblas_trsm_small_left_deviceILi24ELi24ELb0EddPKPKdPKPdEv13rocblas_fill_18rocblas_operation_17rocblas_diagonal_iiT3_T4_lilT5_lili
	.p2align	8
	.type	_ZL30rocblas_trsm_small_left_deviceILi24ELi24ELb0EddPKPKdPKPdEv13rocblas_fill_18rocblas_operation_17rocblas_diagonal_iiT3_T4_lilT5_lili,@function
_ZL30rocblas_trsm_small_left_deviceILi24ELi24ELb0EddPKPKdPKPdEv13rocblas_fill_18rocblas_operation_17rocblas_diagonal_iiT3_T4_lilT5_lili: ; @_ZL30rocblas_trsm_small_left_deviceILi24ELi24ELb0EddPKPKdPKPdEv13rocblas_fill_18rocblas_operation_17rocblas_diagonal_iiT3_T4_lilT5_lili
; %bb.0:
	s_load_dwordx2 s[18:19], s[0:1], 0x28
	s_load_dwordx4 s[12:15], s[0:1], 0x40
	s_load_dwordx4 s[8:11], s[0:1], 0x4
	;; [unrolled: 1-line block ×3, first 2 shown]
	s_mov_b32 s16, s3
	s_mov_b32 s17, 0
	s_lshl_b64 s[20:21], s[16:17], 3
	s_waitcnt lgkmcnt(0)
	s_add_u32 s12, s12, s20
	s_addc_u32 s13, s13, s21
	s_load_dwordx2 s[12:13], s[12:13], 0x0
	s_min_i32 s22, s10, 24
	v_cmp_gt_i32_e32 vcc, s22, v0
	s_and_saveexec_b64 s[16:17], vcc
	s_cbranch_execz .LBB93_6
; %bb.1:
	s_load_dword s24, s[0:1], 0x30
	v_lshlrev_b32_e32 v2, 3, v0
	v_mov_b32_e32 v3, 0
	v_mov_b32_e32 v1, v2
	s_mov_b32 s3, s22
	s_waitcnt lgkmcnt(0)
	s_ashr_i32 s25, s24, 31
	s_add_u32 s6, s6, s20
	s_addc_u32 s7, s7, s21
	s_load_dwordx2 s[6:7], s[6:7], 0x0
	s_lshl_b64 s[18:19], s[18:19], 3
	s_waitcnt lgkmcnt(0)
	s_add_u32 s18, s6, s18
	s_addc_u32 s19, s7, s19
	s_lshl_b64 s[6:7], s[24:25], 3
	v_lshl_add_u64 v[4:5], s[18:19], 0, v[2:3]
.LBB93_2:                               ; =>This Inner Loop Header: Depth=1
	flat_load_dwordx2 v[6:7], v[4:5]
	s_add_i32 s3, s3, -1
	v_lshl_add_u64 v[4:5], v[4:5], 0, s[6:7]
	s_cmp_eq_u32 s3, 0
	s_waitcnt vmcnt(0) lgkmcnt(0)
	ds_write_b64 v1, v[6:7]
	v_add_u32_e32 v1, 0xc0, v1
	s_cbranch_scc0 .LBB93_2
; %bb.3:
	v_mul_u32_u24_e32 v1, 0xc0, v0
	s_cmpk_lg_i32 s9, 0x84
	v_mov_b64_e32 v[4:5], 1.0
	v_add_u32_e32 v1, v2, v1
	s_cbranch_scc0 .LBB93_5
; %bb.4:
	ds_read_b64 v[2:3], v1
	s_waitcnt lgkmcnt(0)
	v_div_scale_f64 v[4:5], s[6:7], v[2:3], v[2:3], 1.0
	v_rcp_f64_e32 v[6:7], v[4:5]
	v_div_scale_f64 v[8:9], vcc, 1.0, v[2:3], 1.0
	v_fma_f64 v[10:11], -v[4:5], v[6:7], 1.0
	v_fmac_f64_e32 v[6:7], v[6:7], v[10:11]
	v_fma_f64 v[10:11], -v[4:5], v[6:7], 1.0
	v_fmac_f64_e32 v[6:7], v[6:7], v[10:11]
	v_mul_f64 v[10:11], v[8:9], v[6:7]
	v_fma_f64 v[4:5], -v[4:5], v[10:11], v[8:9]
	v_div_fmas_f64 v[4:5], v[4:5], v[6:7], v[10:11]
	v_div_fixup_f64 v[4:5], v[4:5], v[2:3], 1.0
.LBB93_5:
	ds_write_b64 v1, v[4:5]
.LBB93_6:
	s_or_b64 exec, exec, s[16:17]
	s_load_dword s3, s[0:1], 0x68
	s_mul_i32 s6, s2, 0xffffffe8
	s_add_i32 s6, s11, s6
	s_waitcnt lgkmcnt(0)
	; wave barrier
	s_add_i32 s3, s3, -1
	s_cmp_ge_u32 s2, s3
	s_cselect_b32 s3, s6, 24
	v_cmp_gt_i32_e32 vcc, s3, v0
	s_and_saveexec_b64 s[6:7], vcc
	s_cbranch_execz .LBB93_51
; %bb.7:
	s_load_dword s6, s[0:1], 0x50
	s_lshl_b64 s[0:1], s[14:15], 3
	s_add_u32 s0, s12, s0
	v_mad_u64_u32 v[0:1], s[2:3], s2, 24, v[0:1]
	s_addc_u32 s1, s13, s1
	s_waitcnt lgkmcnt(0)
	v_mad_i64_i32 v[0:1], s[2:3], s6, v0, 0
	v_lshl_add_u64 v[40:41], v[0:1], 3, s[0:1]
	s_cmpk_eq_i32 s8, 0x6f
	s_mov_b64 s[0:1], -1
	s_cbranch_scc1 .LBB93_25
; %bb.8:
	s_cmp_lt_i32 s10, 24
	s_cselect_b64 s[0:1], -1, 0
	s_cmp_gt_i32 s10, 23
	s_mov_b32 s2, 0
	s_cbranch_scc0 .LBB93_10
; %bb.9:
	flat_load_dwordx4 v[0:3], v[40:41]
	flat_load_dwordx4 v[4:7], v[40:41] offset:16
	flat_load_dwordx4 v[8:11], v[40:41] offset:32
	;; [unrolled: 1-line block ×3, first 2 shown]
	v_mov_b32_e32 v50, 0
	ds_read_b64 v[12:13], v50
	flat_load_dwordx4 v[32:35], v[40:41] offset:64
	s_mov_b32 s2, 24
	s_waitcnt vmcnt(0) lgkmcnt(0)
	v_mul_f64 v[0:1], s[4:5], v[0:1]
	v_mul_f64 v[22:23], v[12:13], v[0:1]
	flat_store_dwordx2 v[40:41], v[22:23]
	ds_read_b128 v[12:15], v50 offset:192
	s_waitcnt lgkmcnt(0)
	v_mul_f64 v[0:1], v[22:23], v[12:13]
	v_fma_f64 v[0:1], s[4:5], v[2:3], -v[0:1]
	v_mul_f64 v[24:25], v[14:15], v[0:1]
	flat_store_dwordx2 v[40:41], v[24:25] offset:8
	ds_read_b128 v[0:3], v50 offset:384
	ds_read_b64 v[12:13], v50 offset:400
	s_waitcnt lgkmcnt(0)
	v_mul_f64 v[0:1], v[22:23], v[0:1]
	v_fma_f64 v[0:1], s[4:5], v[4:5], -v[0:1]
	v_fma_f64 v[0:1], -v[24:25], v[2:3], v[0:1]
	v_mul_f64 v[16:17], v[12:13], v[0:1]
	flat_store_dwordx2 v[40:41], v[16:17] offset:16
	ds_read_b128 v[0:3], v50 offset:576
	ds_read_b128 v[12:15], v50 offset:592
	s_waitcnt lgkmcnt(0)
	v_mul_f64 v[0:1], v[22:23], v[0:1]
	v_fma_f64 v[0:1], s[4:5], v[6:7], -v[0:1]
	v_fma_f64 v[0:1], -v[24:25], v[2:3], v[0:1]
	v_fma_f64 v[0:1], -v[16:17], v[12:13], v[0:1]
	v_mul_f64 v[18:19], v[14:15], v[0:1]
	flat_store_dwordx2 v[40:41], v[18:19] offset:24
	ds_read_b128 v[0:3], v50 offset:768
	ds_read_b128 v[4:7], v50 offset:784
	ds_read_b64 v[12:13], v50 offset:800
	s_waitcnt lgkmcnt(0)
	v_mul_f64 v[0:1], v[22:23], v[0:1]
	v_fma_f64 v[0:1], s[4:5], v[8:9], -v[0:1]
	v_fma_f64 v[0:1], -v[24:25], v[2:3], v[0:1]
	v_fma_f64 v[0:1], -v[16:17], v[4:5], v[0:1]
	;; [unrolled: 1-line block ×3, first 2 shown]
	v_mul_f64 v[20:21], v[12:13], v[0:1]
	flat_load_dwordx4 v[12:15], v[40:41] offset:80
	s_nop 0
	flat_store_dwordx2 v[40:41], v[20:21] offset:32
	ds_read_b128 v[0:3], v50 offset:960
	ds_read_b128 v[4:7], v50 offset:976
	;; [unrolled: 1-line block ×3, first 2 shown]
	s_waitcnt lgkmcnt(0)
	v_mul_f64 v[0:1], v[22:23], v[0:1]
	v_fma_f64 v[0:1], s[4:5], v[10:11], -v[0:1]
	v_fma_f64 v[0:1], -v[24:25], v[2:3], v[0:1]
	v_fma_f64 v[0:1], -v[16:17], v[4:5], v[0:1]
	;; [unrolled: 1-line block ×4, first 2 shown]
	v_mul_f64 v[26:27], v[38:39], v[0:1]
	flat_store_dwordx2 v[40:41], v[26:27] offset:40
	ds_read_b128 v[0:3], v50 offset:1152
	flat_load_dwordx4 v[8:11], v[40:41] offset:96
	flat_load_dwordx4 v[4:7], v[40:41] offset:112
	ds_read_b128 v[36:39], v50 offset:1168
	ds_read_b128 v[42:45], v50 offset:1184
	ds_read_b64 v[46:47], v50 offset:1200
	s_waitcnt lgkmcnt(0)
	v_mul_f64 v[0:1], v[22:23], v[0:1]
	v_fma_f64 v[0:1], s[4:5], v[28:29], -v[0:1]
	v_fma_f64 v[0:1], -v[24:25], v[2:3], v[0:1]
	v_fma_f64 v[0:1], -v[16:17], v[36:37], v[0:1]
	;; [unrolled: 1-line block ×5, first 2 shown]
	v_mul_f64 v[28:29], v[46:47], v[0:1]
	flat_store_dwordx2 v[40:41], v[28:29] offset:48
	ds_read_b128 v[36:39], v50 offset:1344
	flat_load_dwordx4 v[0:3], v[40:41] offset:128
	ds_read_b128 v[42:45], v50 offset:1360
	ds_read_b128 v[46:49], v50 offset:1376
	;; [unrolled: 1-line block ×3, first 2 shown]
	s_waitcnt lgkmcnt(0)
	v_mul_f64 v[36:37], v[22:23], v[36:37]
	v_fma_f64 v[30:31], s[4:5], v[30:31], -v[36:37]
	v_fma_f64 v[30:31], -v[24:25], v[38:39], v[30:31]
	v_fma_f64 v[30:31], -v[16:17], v[42:43], v[30:31]
	;; [unrolled: 1-line block ×6, first 2 shown]
	v_mul_f64 v[30:31], v[54:55], v[30:31]
	flat_store_dwordx2 v[40:41], v[30:31] offset:56
	ds_read_b128 v[36:39], v50 offset:1536
	ds_read_b128 v[42:45], v50 offset:1552
	;; [unrolled: 1-line block ×4, first 2 shown]
	ds_read_b64 v[56:57], v50 offset:1600
	s_waitcnt lgkmcnt(0)
	v_mul_f64 v[36:37], v[22:23], v[36:37]
	v_fma_f64 v[32:33], s[4:5], v[32:33], -v[36:37]
	v_fma_f64 v[32:33], -v[24:25], v[38:39], v[32:33]
	v_fma_f64 v[32:33], -v[16:17], v[42:43], v[32:33]
	;; [unrolled: 1-line block ×7, first 2 shown]
	v_mul_f64 v[32:33], v[56:57], v[32:33]
	flat_store_dwordx2 v[40:41], v[32:33] offset:64
	ds_read_b128 v[36:39], v50 offset:1728
	ds_read_b128 v[42:45], v50 offset:1744
	ds_read_b128 v[46:49], v50 offset:1760
	ds_read_b128 v[52:55], v50 offset:1776
	ds_read_b128 v[56:59], v50 offset:1792
	s_waitcnt lgkmcnt(0)
	v_mul_f64 v[36:37], v[22:23], v[36:37]
	v_fma_f64 v[34:35], s[4:5], v[34:35], -v[36:37]
	v_fma_f64 v[34:35], -v[24:25], v[38:39], v[34:35]
	v_fma_f64 v[34:35], -v[16:17], v[42:43], v[34:35]
	;; [unrolled: 1-line block ×8, first 2 shown]
	v_mul_f64 v[34:35], v[58:59], v[34:35]
	flat_store_dwordx2 v[40:41], v[34:35] offset:72
	ds_read_b128 v[36:39], v50 offset:1920
	ds_read_b128 v[42:45], v50 offset:1936
	;; [unrolled: 1-line block ×5, first 2 shown]
	ds_read_b64 v[60:61], v50 offset:2000
	s_waitcnt lgkmcnt(0)
	v_mul_f64 v[36:37], v[22:23], v[36:37]
	s_waitcnt vmcnt(0)
	v_fma_f64 v[12:13], s[4:5], v[12:13], -v[36:37]
	v_fma_f64 v[12:13], -v[24:25], v[38:39], v[12:13]
	v_fma_f64 v[12:13], -v[16:17], v[42:43], v[12:13]
	;; [unrolled: 1-line block ×9, first 2 shown]
	v_mul_f64 v[12:13], v[60:61], v[12:13]
	flat_store_dwordx2 v[40:41], v[12:13] offset:80
	ds_read_b128 v[36:39], v50 offset:2112
	ds_read_b128 v[42:45], v50 offset:2128
	;; [unrolled: 1-line block ×6, first 2 shown]
	s_waitcnt lgkmcnt(0)
	v_mul_f64 v[36:37], v[22:23], v[36:37]
	v_fma_f64 v[14:15], s[4:5], v[14:15], -v[36:37]
	v_fma_f64 v[14:15], -v[24:25], v[38:39], v[14:15]
	v_fma_f64 v[14:15], -v[16:17], v[42:43], v[14:15]
	;; [unrolled: 1-line block ×10, first 2 shown]
	v_mul_f64 v[14:15], v[62:63], v[14:15]
	flat_store_dwordx2 v[40:41], v[14:15] offset:88
	ds_read_b128 v[36:39], v50 offset:2304
	ds_read_b128 v[42:45], v50 offset:2320
	;; [unrolled: 1-line block ×6, first 2 shown]
	ds_read_b64 v[64:65], v50 offset:2400
	s_waitcnt lgkmcnt(0)
	v_mul_f64 v[36:37], v[22:23], v[36:37]
	v_fma_f64 v[8:9], s[4:5], v[8:9], -v[36:37]
	v_fma_f64 v[8:9], -v[24:25], v[38:39], v[8:9]
	v_fma_f64 v[8:9], -v[16:17], v[42:43], v[8:9]
	;; [unrolled: 1-line block ×11, first 2 shown]
	v_mul_f64 v[36:37], v[64:65], v[8:9]
	flat_store_dwordx2 v[40:41], v[36:37] offset:96
	ds_read_b128 v[42:45], v50 offset:2496
	ds_read_b128 v[46:49], v50 offset:2512
	;; [unrolled: 1-line block ×6, first 2 shown]
	s_waitcnt lgkmcnt(0)
	v_mul_f64 v[8:9], v[22:23], v[42:43]
	v_fma_f64 v[38:39], s[4:5], v[10:11], -v[8:9]
	v_fma_f64 v[38:39], -v[24:25], v[44:45], v[38:39]
	v_fma_f64 v[38:39], -v[16:17], v[46:47], v[38:39]
	;; [unrolled: 1-line block ×6, first 2 shown]
	ds_read_b128 v[8:11], v50 offset:2592
	v_fma_f64 v[38:39], -v[30:31], v[58:59], v[38:39]
	v_fma_f64 v[38:39], -v[32:33], v[60:61], v[38:39]
	;; [unrolled: 1-line block ×5, first 2 shown]
	s_waitcnt lgkmcnt(0)
	v_fma_f64 v[8:9], -v[36:37], v[8:9], v[38:39]
	v_mul_f64 v[38:39], v[10:11], v[8:9]
	flat_store_dwordx2 v[40:41], v[38:39] offset:104
	ds_read_b128 v[8:11], v50 offset:2688
	ds_read_b128 v[42:45], v50 offset:2704
	;; [unrolled: 1-line block ×6, first 2 shown]
	s_waitcnt lgkmcnt(0)
	v_mul_f64 v[8:9], v[22:23], v[8:9]
	v_fma_f64 v[4:5], s[4:5], v[4:5], -v[8:9]
	v_fma_f64 v[4:5], -v[24:25], v[10:11], v[4:5]
	v_fma_f64 v[4:5], -v[16:17], v[42:43], v[4:5]
	;; [unrolled: 1-line block ×7, first 2 shown]
	ds_read_b128 v[8:11], v50 offset:2784
	ds_read_b64 v[64:65], v50 offset:2800
	v_fma_f64 v[4:5], -v[32:33], v[56:57], v[4:5]
	v_fma_f64 v[4:5], -v[34:35], v[58:59], v[4:5]
	;; [unrolled: 1-line block ×4, first 2 shown]
	s_waitcnt lgkmcnt(0)
	v_fma_f64 v[4:5], -v[36:37], v[8:9], v[4:5]
	v_fma_f64 v[4:5], -v[38:39], v[10:11], v[4:5]
	flat_load_dwordx4 v[8:11], v[40:41] offset:144
	v_mul_f64 v[42:43], v[64:65], v[4:5]
	flat_store_dwordx2 v[40:41], v[42:43] offset:112
	ds_read_b128 v[44:47], v50 offset:2880
	ds_read_b128 v[52:55], v50 offset:2896
	;; [unrolled: 1-line block ×4, first 2 shown]
	s_waitcnt lgkmcnt(0)
	v_mul_f64 v[4:5], v[22:23], v[44:45]
	v_fma_f64 v[44:45], s[4:5], v[6:7], -v[4:5]
	v_fma_f64 v[44:45], -v[24:25], v[46:47], v[44:45]
	v_fma_f64 v[44:45], -v[16:17], v[52:53], v[44:45]
	;; [unrolled: 1-line block ×3, first 2 shown]
	ds_read_b128 v[4:7], v50 offset:2944
	ds_read_b128 v[64:67], v50 offset:2960
	v_fma_f64 v[48:49], -v[20:21], v[56:57], v[48:49]
	v_fma_f64 v[48:49], -v[26:27], v[58:59], v[48:49]
	;; [unrolled: 1-line block ×4, first 2 shown]
	ds_read_b128 v[44:47], v50 offset:2976
	ds_read_b128 v[52:55], v50 offset:2992
	s_waitcnt lgkmcnt(0)
	v_fma_f64 v[4:5], -v[32:33], v[4:5], v[48:49]
	v_fma_f64 v[4:5], -v[34:35], v[6:7], v[4:5]
	;; [unrolled: 1-line block ×7, first 2 shown]
	v_mul_f64 v[44:45], v[54:55], v[4:5]
	flat_store_dwordx2 v[40:41], v[44:45] offset:120
	ds_read_b128 v[4:7], v50 offset:3072
	ds_read_b128 v[46:49], v50 offset:3088
	;; [unrolled: 1-line block ×4, first 2 shown]
	s_waitcnt lgkmcnt(0)
	v_mul_f64 v[4:5], v[22:23], v[4:5]
	v_fma_f64 v[0:1], s[4:5], v[0:1], -v[4:5]
	v_fma_f64 v[0:1], -v[24:25], v[6:7], v[0:1]
	v_fma_f64 v[0:1], -v[16:17], v[46:47], v[0:1]
	;; [unrolled: 1-line block ×3, first 2 shown]
	ds_read_b128 v[4:7], v50 offset:3136
	ds_read_b128 v[60:63], v50 offset:3152
	v_fma_f64 v[0:1], -v[20:21], v[52:53], v[0:1]
	v_fma_f64 v[0:1], -v[26:27], v[54:55], v[0:1]
	;; [unrolled: 1-line block ×4, first 2 shown]
	s_waitcnt lgkmcnt(0)
	v_fma_f64 v[0:1], -v[32:33], v[4:5], v[0:1]
	ds_read_b128 v[46:49], v50 offset:3168
	ds_read_b128 v[52:55], v50 offset:3184
	ds_read_b64 v[64:65], v50 offset:3200
	v_fma_f64 v[0:1], -v[34:35], v[6:7], v[0:1]
	v_fma_f64 v[0:1], -v[12:13], v[60:61], v[0:1]
	;; [unrolled: 1-line block ×3, first 2 shown]
	s_waitcnt lgkmcnt(0)
	v_fma_f64 v[0:1], -v[36:37], v[46:47], v[0:1]
	v_fma_f64 v[0:1], -v[38:39], v[48:49], v[0:1]
	;; [unrolled: 1-line block ×4, first 2 shown]
	v_mul_f64 v[46:47], v[64:65], v[0:1]
	flat_store_dwordx2 v[40:41], v[46:47] offset:128
	flat_load_dwordx4 v[4:7], v[40:41] offset:160
	ds_read_b128 v[52:55], v50 offset:3264
	ds_read_b128 v[56:59], v50 offset:3280
	;; [unrolled: 1-line block ×4, first 2 shown]
	s_waitcnt lgkmcnt(0)
	v_mul_f64 v[0:1], v[22:23], v[52:53]
	v_fma_f64 v[0:1], s[4:5], v[2:3], -v[0:1]
	v_fma_f64 v[48:49], -v[24:25], v[54:55], v[0:1]
	v_fma_f64 v[48:49], -v[16:17], v[56:57], v[48:49]
	;; [unrolled: 1-line block ×3, first 2 shown]
	ds_read_b128 v[0:3], v50 offset:3328
	ds_read_b128 v[52:55], v50 offset:3344
	v_fma_f64 v[48:49], -v[20:21], v[60:61], v[48:49]
	v_fma_f64 v[48:49], -v[26:27], v[62:63], v[48:49]
	;; [unrolled: 1-line block ×4, first 2 shown]
	ds_read_b128 v[56:59], v50 offset:3360
	ds_read_b128 v[60:63], v50 offset:3376
	s_waitcnt lgkmcnt(0)
	v_fma_f64 v[0:1], -v[32:33], v[0:1], v[48:49]
	v_fma_f64 v[0:1], -v[34:35], v[2:3], v[0:1]
	;; [unrolled: 1-line block ×3, first 2 shown]
	ds_read_b128 v[64:67], v50 offset:3392
	v_fma_f64 v[0:1], -v[14:15], v[54:55], v[0:1]
	v_fma_f64 v[0:1], -v[36:37], v[56:57], v[0:1]
	;; [unrolled: 1-line block ×5, first 2 shown]
	s_waitcnt lgkmcnt(0)
	v_fma_f64 v[0:1], -v[46:47], v[64:65], v[0:1]
	v_mul_f64 v[48:49], v[66:67], v[0:1]
	flat_store_dwordx2 v[40:41], v[48:49] offset:136
	ds_read_b128 v[0:3], v50 offset:3456
	ds_read_b128 v[52:55], v50 offset:3472
	;; [unrolled: 1-line block ×4, first 2 shown]
	s_waitcnt lgkmcnt(0)
	v_mul_f64 v[0:1], v[22:23], v[0:1]
	s_waitcnt vmcnt(0)
	v_fma_f64 v[0:1], s[4:5], v[8:9], -v[0:1]
	v_fma_f64 v[0:1], -v[24:25], v[2:3], v[0:1]
	v_fma_f64 v[0:1], -v[16:17], v[52:53], v[0:1]
	v_fma_f64 v[8:9], -v[18:19], v[54:55], v[0:1]
	ds_read_b128 v[0:3], v50 offset:3520
	ds_read_b128 v[52:55], v50 offset:3536
	v_fma_f64 v[8:9], -v[20:21], v[56:57], v[8:9]
	v_fma_f64 v[8:9], -v[26:27], v[58:59], v[8:9]
	;; [unrolled: 1-line block ×4, first 2 shown]
	ds_read_b128 v[56:59], v50 offset:3552
	ds_read_b128 v[60:63], v50 offset:3568
	s_waitcnt lgkmcnt(3)
	v_fma_f64 v[0:1], -v[32:33], v[0:1], v[8:9]
	v_fma_f64 v[8:9], -v[34:35], v[2:3], v[0:1]
	s_waitcnt lgkmcnt(2)
	v_fma_f64 v[8:9], -v[12:13], v[52:53], v[8:9]
	v_fma_f64 v[8:9], -v[14:15], v[54:55], v[8:9]
	ds_read_b128 v[0:3], v50 offset:3584
	ds_read_b64 v[64:65], v50 offset:3600
	s_waitcnt lgkmcnt(3)
	v_fma_f64 v[8:9], -v[36:37], v[56:57], v[8:9]
	v_fma_f64 v[8:9], -v[38:39], v[58:59], v[8:9]
	s_waitcnt lgkmcnt(2)
	v_fma_f64 v[8:9], -v[42:43], v[60:61], v[8:9]
	v_fma_f64 v[8:9], -v[44:45], v[62:63], v[8:9]
	;; [unrolled: 3-line block ×3, first 2 shown]
	s_waitcnt lgkmcnt(0)
	v_mul_f64 v[8:9], v[64:65], v[0:1]
	flat_store_dwordx2 v[40:41], v[8:9] offset:144
	ds_read_b128 v[52:55], v50 offset:3648
	ds_read_b128 v[56:59], v50 offset:3664
	flat_load_dwordx4 v[0:3], v[40:41] offset:176
	ds_read_b128 v[60:63], v50 offset:3680
	ds_read_b128 v[64:67], v50 offset:3696
	s_waitcnt lgkmcnt(0)
	v_mul_f64 v[52:53], v[22:23], v[52:53]
	v_fma_f64 v[10:11], s[4:5], v[10:11], -v[52:53]
	v_fma_f64 v[10:11], -v[24:25], v[54:55], v[10:11]
	v_fma_f64 v[10:11], -v[16:17], v[56:57], v[10:11]
	;; [unrolled: 1-line block ×3, first 2 shown]
	ds_read_b128 v[52:55], v50 offset:3712
	ds_read_b128 v[56:59], v50 offset:3728
	v_fma_f64 v[10:11], -v[20:21], v[60:61], v[10:11]
	v_fma_f64 v[10:11], -v[26:27], v[62:63], v[10:11]
	;; [unrolled: 1-line block ×4, first 2 shown]
	ds_read_b128 v[60:63], v50 offset:3744
	ds_read_b128 v[64:67], v50 offset:3760
	s_waitcnt lgkmcnt(0)
	v_fma_f64 v[10:11], -v[32:33], v[52:53], v[10:11]
	v_fma_f64 v[10:11], -v[34:35], v[54:55], v[10:11]
	;; [unrolled: 1-line block ×4, first 2 shown]
	ds_read_b128 v[52:55], v50 offset:3776
	ds_read_b128 v[56:59], v50 offset:3792
	v_fma_f64 v[10:11], -v[36:37], v[60:61], v[10:11]
	v_fma_f64 v[10:11], -v[38:39], v[62:63], v[10:11]
	;; [unrolled: 1-line block ×4, first 2 shown]
	s_waitcnt lgkmcnt(0)
	v_fma_f64 v[10:11], -v[46:47], v[52:53], v[10:11]
	v_fma_f64 v[10:11], -v[48:49], v[54:55], v[10:11]
	;; [unrolled: 1-line block ×3, first 2 shown]
	v_mul_f64 v[10:11], v[58:59], v[10:11]
	flat_store_dwordx2 v[40:41], v[10:11] offset:152
	ds_read_b128 v[52:55], v50 offset:3840
	ds_read_b128 v[56:59], v50 offset:3856
	;; [unrolled: 1-line block ×3, first 2 shown]
	s_waitcnt lgkmcnt(0)
	v_mul_f64 v[52:53], v[22:23], v[52:53]
	v_fma_f64 v[4:5], s[4:5], v[4:5], -v[52:53]
	v_fma_f64 v[4:5], -v[24:25], v[54:55], v[4:5]
	ds_read_b128 v[52:55], v50 offset:3888
	v_fma_f64 v[4:5], -v[16:17], v[56:57], v[4:5]
	v_fma_f64 v[4:5], -v[18:19], v[58:59], v[4:5]
	;; [unrolled: 1-line block ×4, first 2 shown]
	ds_read_b128 v[56:59], v50 offset:3904
	ds_read_b128 v[60:63], v50 offset:3920
	s_waitcnt lgkmcnt(0)
	v_fma_f64 v[4:5], -v[28:29], v[52:53], v[4:5]
	v_fma_f64 v[4:5], -v[30:31], v[54:55], v[4:5]
	ds_read_b128 v[52:55], v50 offset:3936
	v_fma_f64 v[4:5], -v[32:33], v[56:57], v[4:5]
	v_fma_f64 v[4:5], -v[34:35], v[58:59], v[4:5]
	ds_read_b128 v[56:59], v50 offset:3952
	v_fma_f64 v[4:5], -v[12:13], v[60:61], v[4:5]
	v_fma_f64 v[4:5], -v[14:15], v[62:63], v[4:5]
	s_waitcnt lgkmcnt(0)
	v_fma_f64 v[4:5], -v[36:37], v[52:53], v[4:5]
	v_fma_f64 v[4:5], -v[38:39], v[54:55], v[4:5]
	ds_read_b128 v[52:55], v50 offset:3968
	ds_read_b128 v[60:63], v50 offset:3984
	ds_read_b64 v[64:65], v50 offset:4000
	v_fma_f64 v[4:5], -v[42:43], v[56:57], v[4:5]
	v_fma_f64 v[4:5], -v[44:45], v[58:59], v[4:5]
	s_waitcnt lgkmcnt(0)
	v_fma_f64 v[4:5], -v[46:47], v[52:53], v[4:5]
	v_fma_f64 v[4:5], -v[48:49], v[54:55], v[4:5]
	;; [unrolled: 1-line block ×4, first 2 shown]
	v_mul_f64 v[4:5], v[64:65], v[4:5]
	flat_store_dwordx2 v[40:41], v[4:5] offset:160
	ds_read_b128 v[52:55], v50 offset:4032
	ds_read_b128 v[56:59], v50 offset:4048
	ds_read_b128 v[60:63], v50 offset:4064
	ds_read_b128 v[64:67], v50 offset:4080
	s_waitcnt lgkmcnt(0)
	v_mul_f64 v[52:53], v[22:23], v[52:53]
	v_fma_f64 v[6:7], s[4:5], v[6:7], -v[52:53]
	v_fma_f64 v[6:7], -v[24:25], v[54:55], v[6:7]
	v_fma_f64 v[6:7], -v[16:17], v[56:57], v[6:7]
	;; [unrolled: 1-line block ×3, first 2 shown]
	ds_read_b128 v[52:55], v50 offset:4096
	ds_read_b128 v[56:59], v50 offset:4112
	v_fma_f64 v[6:7], -v[20:21], v[60:61], v[6:7]
	v_fma_f64 v[6:7], -v[26:27], v[62:63], v[6:7]
	v_fma_f64 v[6:7], -v[28:29], v[64:65], v[6:7]
	v_fma_f64 v[6:7], -v[30:31], v[66:67], v[6:7]
	ds_read_b128 v[60:63], v50 offset:4128
	ds_read_b128 v[64:67], v50 offset:4144
	s_waitcnt lgkmcnt(0)
	v_fma_f64 v[6:7], -v[32:33], v[52:53], v[6:7]
	v_fma_f64 v[6:7], -v[34:35], v[54:55], v[6:7]
	;; [unrolled: 1-line block ×4, first 2 shown]
	ds_read_b128 v[52:55], v50 offset:4160
	ds_read_b128 v[56:59], v50 offset:4176
	v_fma_f64 v[6:7], -v[36:37], v[60:61], v[6:7]
	v_fma_f64 v[6:7], -v[38:39], v[62:63], v[6:7]
	;; [unrolled: 1-line block ×3, first 2 shown]
	ds_read_b128 v[60:63], v50 offset:4192
	v_fma_f64 v[6:7], -v[44:45], v[66:67], v[6:7]
	s_waitcnt lgkmcnt(0)
	v_fma_f64 v[6:7], -v[46:47], v[52:53], v[6:7]
	v_fma_f64 v[6:7], -v[48:49], v[54:55], v[6:7]
	;; [unrolled: 1-line block ×5, first 2 shown]
	v_mul_f64 v[6:7], v[62:63], v[6:7]
	flat_store_dwordx2 v[40:41], v[6:7] offset:168
	ds_read_b128 v[52:55], v50 offset:4224
	ds_read_b128 v[56:59], v50 offset:4240
	;; [unrolled: 1-line block ×3, first 2 shown]
	s_waitcnt lgkmcnt(0)
	v_mul_f64 v[52:53], v[22:23], v[52:53]
	s_waitcnt vmcnt(0)
	v_fma_f64 v[0:1], s[4:5], v[0:1], -v[52:53]
	v_fma_f64 v[0:1], -v[24:25], v[54:55], v[0:1]
	ds_read_b128 v[52:55], v50 offset:4272
	v_fma_f64 v[0:1], -v[16:17], v[56:57], v[0:1]
	v_fma_f64 v[0:1], -v[18:19], v[58:59], v[0:1]
	;; [unrolled: 1-line block ×4, first 2 shown]
	ds_read_b128 v[56:59], v50 offset:4288
	ds_read_b128 v[60:63], v50 offset:4304
	s_waitcnt lgkmcnt(2)
	v_fma_f64 v[0:1], -v[28:29], v[52:53], v[0:1]
	v_fma_f64 v[0:1], -v[30:31], v[54:55], v[0:1]
	ds_read_b128 v[52:55], v50 offset:4320
	s_waitcnt lgkmcnt(2)
	v_fma_f64 v[0:1], -v[32:33], v[56:57], v[0:1]
	v_fma_f64 v[0:1], -v[34:35], v[58:59], v[0:1]
	;; [unrolled: 4-line block ×3, first 2 shown]
	s_waitcnt lgkmcnt(1)
	v_fma_f64 v[0:1], -v[36:37], v[52:53], v[0:1]
	v_fma_f64 v[0:1], -v[38:39], v[54:55], v[0:1]
	ds_read_b128 v[52:55], v50 offset:4352
	ds_read_b128 v[60:63], v50 offset:4368
	s_waitcnt lgkmcnt(2)
	v_fma_f64 v[0:1], -v[42:43], v[56:57], v[0:1]
	v_fma_f64 v[0:1], -v[44:45], v[58:59], v[0:1]
	ds_read_b128 v[56:59], v50 offset:4384
	ds_read_b64 v[64:65], v50 offset:4400
	s_waitcnt lgkmcnt(3)
	v_fma_f64 v[0:1], -v[46:47], v[52:53], v[0:1]
	v_fma_f64 v[0:1], -v[48:49], v[54:55], v[0:1]
	s_waitcnt lgkmcnt(2)
	v_fma_f64 v[0:1], -v[8:9], v[60:61], v[0:1]
	v_fma_f64 v[0:1], -v[10:11], v[62:63], v[0:1]
	;; [unrolled: 3-line block ×3, first 2 shown]
	s_waitcnt lgkmcnt(0)
	v_mul_f64 v[68:69], v[64:65], v[0:1]
	flat_store_dwordx2 v[40:41], v[68:69] offset:176
	ds_read_b128 v[52:55], v50 offset:4416
	ds_read_b128 v[56:59], v50 offset:4432
	s_waitcnt lgkmcnt(0)
	v_mul_f64 v[0:1], v[22:23], v[52:53]
	v_fma_f64 v[22:23], s[4:5], v[2:3], -v[0:1]
	ds_read_b128 v[0:3], v50 offset:4448
	ds_read_b128 v[60:63], v50 offset:4464
	v_fma_f64 v[64:65], -v[24:25], v[54:55], v[22:23]
	v_fma_f64 v[16:17], -v[16:17], v[56:57], v[64:65]
	;; [unrolled: 1-line block ×3, first 2 shown]
	ds_read_b128 v[22:25], v50 offset:4480
	ds_read_b128 v[52:55], v50 offset:4496
	s_waitcnt lgkmcnt(0)
	v_fma_f64 v[0:1], -v[20:21], v[0:1], v[64:65]
	v_fma_f64 v[20:21], -v[26:27], v[2:3], v[0:1]
	v_fma_f64 v[20:21], -v[28:29], v[60:61], v[20:21]
	v_fma_f64 v[20:21], -v[30:31], v[62:63], v[20:21]
	ds_read_b128 v[16:19], v50 offset:4512
	ds_read_b128 v[56:59], v50 offset:4528
	v_fma_f64 v[20:21], -v[32:33], v[22:23], v[20:21]
	v_fma_f64 v[20:21], -v[34:35], v[24:25], v[20:21]
	;; [unrolled: 1-line block ×4, first 2 shown]
	ds_read_b128 v[0:3], v50 offset:4544
	ds_read_b128 v[64:67], v50 offset:4560
	s_waitcnt lgkmcnt(0)
	v_fma_f64 v[12:13], -v[36:37], v[16:17], v[12:13]
	v_fma_f64 v[12:13], -v[38:39], v[18:19], v[12:13]
	;; [unrolled: 1-line block ×4, first 2 shown]
	ds_read_b128 v[26:29], v50 offset:4576
	ds_read_b128 v[60:63], v50 offset:4592
	v_fma_f64 v[0:1], -v[46:47], v[0:1], v[12:13]
	v_fma_f64 v[0:1], -v[48:49], v[2:3], v[0:1]
	v_fma_f64 v[0:1], -v[8:9], v[64:65], v[0:1]
	v_fma_f64 v[0:1], -v[10:11], v[66:67], v[0:1]
	s_waitcnt lgkmcnt(0)
	v_fma_f64 v[0:1], -v[4:5], v[26:27], v[0:1]
	v_fma_f64 v[0:1], -v[6:7], v[28:29], v[0:1]
	;; [unrolled: 1-line block ×3, first 2 shown]
	v_mul_f64 v[0:1], v[62:63], v[0:1]
	flat_store_dwordx2 v[40:41], v[0:1] offset:184
.LBB93_10:
	s_cmp_lt_i32 s2, s22
	s_cbranch_scc0 .LBB93_24
; %bb.11:
	s_add_i32 s3, s2, 19
	s_cmp_ge_u32 s3, s22
	s_cbranch_scc1 .LBB93_19
; %bb.12:
	s_lshl_b32 s6, s2, 3
	s_mov_b32 s7, 0
	v_lshl_add_u64 v[42:43], v[40:41], 0, s[6:7]
	flat_load_dwordx4 v[0:3], v[42:43]
	flat_load_dwordx4 v[4:7], v[42:43] offset:16
	flat_load_dwordx4 v[8:11], v[42:43] offset:32
	;; [unrolled: 1-line block ×9, first 2 shown]
	s_andn2_b64 vcc, exec, s[0:1]
	s_cbranch_vccnz .LBB93_14
; %bb.13:
	s_mul_i32 s3, s2, 0xc0
	s_mov_b64 s[0:1], 0
	s_branch .LBB93_15
.LBB93_14:
	s_mov_b64 s[0:1], -1
                                        ; implicit-def: $sgpr3
.LBB93_15:
	s_waitcnt vmcnt(0) lgkmcnt(0)
	v_mul_f64 v[68:69], s[4:5], v[0:1]
	v_mul_f64 v[66:67], s[4:5], v[2:3]
	;; [unrolled: 1-line block ×19, first 2 shown]
	s_andn2_b64 vcc, exec, s[0:1]
	v_mul_f64 v[0:1], s[4:5], v[34:35]
	s_cbranch_vccnz .LBB93_18
; %bb.16:
	s_mul_i32 s3, s2, 0xc0
	s_mov_b32 s0, s2
	v_mov_b64_e32 v[10:11], v[40:41]
	s_mov_b32 s1, s3
.LBB93_17:                              ; =>This Inner Loop Header: Depth=1
	flat_load_dwordx4 v[14:17], v[10:11]
	v_mov_b32_e32 v22, s1
	ds_read_b128 v[18:21], v22
	s_add_i32 s1, s1, 16
	s_add_i32 s0, s0, -2
	v_lshl_add_u64 v[10:11], v[10:11], 0, 16
	s_cmp_lg_u32 s0, 0
	s_waitcnt vmcnt(0) lgkmcnt(0)
	v_fma_f64 v[18:19], -v[14:15], v[18:19], v[68:69]
	v_fma_f64 v[68:69], -v[16:17], v[20:21], v[18:19]
	ds_read_b128 v[18:21], v22 offset:192
	s_waitcnt lgkmcnt(0)
	v_fma_f64 v[18:19], -v[14:15], v[18:19], v[66:67]
	v_fma_f64 v[66:67], -v[16:17], v[20:21], v[18:19]
	ds_read_b128 v[18:21], v22 offset:384
	s_waitcnt lgkmcnt(0)
	;; [unrolled: 4-line block ×19, first 2 shown]
	v_fma_f64 v[0:1], -v[14:15], v[18:19], v[0:1]
	v_fma_f64 v[0:1], -v[16:17], v[20:21], v[0:1]
	s_cbranch_scc1 .LBB93_17
.LBB93_18:
	s_add_i32 s0, s6, s3
	v_mov_b32_e32 v71, s0
	ds_read_b64 v[10:11], v71
	s_or_b32 s0, s2, 1
	s_mulk_i32 s0, 0xc0
	s_add_i32 s0, s6, s0
	v_mov_b32_e32 v70, s0
	s_waitcnt lgkmcnt(0)
	v_mul_f64 v[10:11], v[10:11], v[68:69]
	flat_store_dwordx2 v[42:43], v[10:11]
	ds_read_b128 v[14:17], v70
	s_add_i32 s2, s2, 20
	s_waitcnt lgkmcnt(0)
	v_fma_f64 v[14:15], -v[10:11], v[14:15], v[66:67]
	v_mul_f64 v[14:15], v[16:17], v[14:15]
	flat_store_dwordx2 v[42:43], v[14:15] offset:8
	ds_read_b128 v[16:19], v70 offset:192
	ds_read_b64 v[20:21], v71 offset:400
	s_waitcnt lgkmcnt(0)
	v_fma_f64 v[16:17], -v[10:11], v[16:17], v[64:65]
	v_fma_f64 v[16:17], -v[14:15], v[18:19], v[16:17]
	v_mul_f64 v[16:17], v[20:21], v[16:17]
	flat_store_dwordx2 v[42:43], v[16:17] offset:16
	ds_read_b128 v[18:21], v70 offset:384
	ds_read_b128 v[26:29], v70 offset:400
	s_waitcnt lgkmcnt(0)
	v_fma_f64 v[18:19], -v[10:11], v[18:19], v[62:63]
	v_fma_f64 v[18:19], -v[14:15], v[20:21], v[18:19]
	v_fma_f64 v[18:19], -v[16:17], v[26:27], v[18:19]
	v_mul_f64 v[18:19], v[28:29], v[18:19]
	flat_store_dwordx2 v[42:43], v[18:19] offset:24
	ds_read_b128 v[20:23], v70 offset:576
	ds_read_b128 v[26:29], v70 offset:592
	ds_read_b64 v[30:31], v71 offset:800
	s_waitcnt lgkmcnt(0)
	v_fma_f64 v[20:21], -v[10:11], v[20:21], v[60:61]
	v_fma_f64 v[20:21], -v[14:15], v[22:23], v[20:21]
	;; [unrolled: 1-line block ×4, first 2 shown]
	v_mul_f64 v[20:21], v[30:31], v[20:21]
	flat_store_dwordx2 v[42:43], v[20:21] offset:32
	ds_read_b128 v[26:29], v70 offset:768
	ds_read_b128 v[30:33], v70 offset:784
	;; [unrolled: 1-line block ×3, first 2 shown]
	s_waitcnt lgkmcnt(0)
	v_fma_f64 v[22:23], -v[10:11], v[26:27], v[58:59]
	v_fma_f64 v[22:23], -v[14:15], v[28:29], v[22:23]
	;; [unrolled: 1-line block ×5, first 2 shown]
	v_mul_f64 v[22:23], v[36:37], v[22:23]
	flat_store_dwordx2 v[42:43], v[22:23] offset:40
	ds_read_b128 v[26:29], v70 offset:960
	ds_read_b128 v[30:33], v70 offset:976
	;; [unrolled: 1-line block ×3, first 2 shown]
	ds_read_b64 v[38:39], v71 offset:1200
	s_waitcnt lgkmcnt(0)
	v_fma_f64 v[26:27], -v[10:11], v[26:27], v[56:57]
	v_fma_f64 v[26:27], -v[14:15], v[28:29], v[26:27]
	;; [unrolled: 1-line block ×6, first 2 shown]
	v_mul_f64 v[26:27], v[38:39], v[26:27]
	flat_store_dwordx2 v[42:43], v[26:27] offset:48
	ds_read_b128 v[28:31], v70 offset:1152
	ds_read_b128 v[32:35], v70 offset:1168
	;; [unrolled: 1-line block ×4, first 2 shown]
	s_waitcnt lgkmcnt(0)
	v_fma_f64 v[28:29], -v[10:11], v[28:29], v[54:55]
	v_fma_f64 v[28:29], -v[14:15], v[30:31], v[28:29]
	;; [unrolled: 1-line block ×7, first 2 shown]
	v_mul_f64 v[28:29], v[58:59], v[28:29]
	flat_store_dwordx2 v[42:43], v[28:29] offset:56
	ds_read_b128 v[30:33], v70 offset:1344
	ds_read_b128 v[34:37], v70 offset:1360
	;; [unrolled: 1-line block ×4, first 2 shown]
	ds_read_b64 v[38:39], v71 offset:1600
	s_waitcnt lgkmcnt(0)
	v_fma_f64 v[30:31], -v[10:11], v[30:31], v[52:53]
	v_fma_f64 v[30:31], -v[14:15], v[32:33], v[30:31]
	;; [unrolled: 1-line block ×8, first 2 shown]
	v_mul_f64 v[30:31], v[38:39], v[30:31]
	flat_store_dwordx2 v[42:43], v[30:31] offset:64
	ds_read_b128 v[32:35], v70 offset:1536
	ds_read_b128 v[36:39], v70 offset:1552
	;; [unrolled: 1-line block ×5, first 2 shown]
	s_waitcnt lgkmcnt(0)
	v_fma_f64 v[32:33], -v[10:11], v[32:33], v[50:51]
	v_fma_f64 v[32:33], -v[14:15], v[34:35], v[32:33]
	;; [unrolled: 1-line block ×9, first 2 shown]
	v_mul_f64 v[32:33], v[62:63], v[32:33]
	flat_store_dwordx2 v[42:43], v[32:33] offset:72
	ds_read_b128 v[34:37], v70 offset:1728
	ds_read_b128 v[50:53], v70 offset:1744
	;; [unrolled: 1-line block ×5, first 2 shown]
	ds_read_b64 v[38:39], v71 offset:2000
	s_waitcnt lgkmcnt(0)
	v_fma_f64 v[34:35], -v[10:11], v[34:35], v[48:49]
	v_fma_f64 v[34:35], -v[14:15], v[36:37], v[34:35]
	;; [unrolled: 1-line block ×10, first 2 shown]
	v_mul_f64 v[34:35], v[38:39], v[34:35]
	flat_store_dwordx2 v[42:43], v[34:35] offset:80
	ds_read_b128 v[36:39], v70 offset:1920
	ds_read_b128 v[48:51], v70 offset:1936
	;; [unrolled: 1-line block ×6, first 2 shown]
	s_waitcnt lgkmcnt(0)
	v_fma_f64 v[36:37], -v[10:11], v[36:37], v[46:47]
	v_fma_f64 v[36:37], -v[14:15], v[38:39], v[36:37]
	;; [unrolled: 1-line block ×11, first 2 shown]
	v_mul_f64 v[36:37], v[66:67], v[36:37]
	flat_store_dwordx2 v[42:43], v[36:37] offset:88
	ds_read_b128 v[46:49], v70 offset:2112
	ds_read_b128 v[50:53], v70 offset:2128
	ds_read_b128 v[54:57], v70 offset:2144
	ds_read_b128 v[58:61], v70 offset:2160
	ds_read_b128 v[62:65], v70 offset:2176
	ds_read_b128 v[66:69], v70 offset:2192
	s_waitcnt lgkmcnt(0)
	v_fma_f64 v[38:39], -v[10:11], v[46:47], v[44:45]
	v_fma_f64 v[38:39], -v[14:15], v[48:49], v[38:39]
	;; [unrolled: 1-line block ×7, first 2 shown]
	ds_read_b64 v[44:45], v71 offset:2400
	v_fma_f64 v[38:39], -v[28:29], v[60:61], v[38:39]
	v_fma_f64 v[38:39], -v[30:31], v[62:63], v[38:39]
	;; [unrolled: 1-line block ×5, first 2 shown]
	s_waitcnt lgkmcnt(0)
	v_mul_f64 v[38:39], v[44:45], v[38:39]
	flat_store_dwordx2 v[42:43], v[38:39] offset:96
	ds_read_b128 v[44:47], v70 offset:2304
	ds_read_b128 v[48:51], v70 offset:2320
	;; [unrolled: 1-line block ×6, first 2 shown]
	s_waitcnt lgkmcnt(0)
	v_fma_f64 v[24:25], -v[10:11], v[44:45], v[24:25]
	v_fma_f64 v[24:25], -v[14:15], v[46:47], v[24:25]
	;; [unrolled: 1-line block ×7, first 2 shown]
	ds_read_b128 v[44:47], v70 offset:2400
	v_fma_f64 v[24:25], -v[28:29], v[58:59], v[24:25]
	v_fma_f64 v[24:25], -v[30:31], v[60:61], v[24:25]
	;; [unrolled: 1-line block ×5, first 2 shown]
	s_waitcnt lgkmcnt(0)
	v_fma_f64 v[24:25], -v[38:39], v[44:45], v[24:25]
	v_mul_f64 v[24:25], v[46:47], v[24:25]
	flat_store_dwordx2 v[42:43], v[24:25] offset:104
	ds_read_b128 v[44:47], v70 offset:2496
	ds_read_b128 v[48:51], v70 offset:2512
	;; [unrolled: 1-line block ×6, first 2 shown]
	s_waitcnt lgkmcnt(0)
	v_fma_f64 v[12:13], -v[10:11], v[44:45], v[12:13]
	v_fma_f64 v[12:13], -v[14:15], v[46:47], v[12:13]
	;; [unrolled: 1-line block ×7, first 2 shown]
	ds_read_b128 v[44:47], v70 offset:2592
	v_fma_f64 v[12:13], -v[28:29], v[58:59], v[12:13]
	v_fma_f64 v[12:13], -v[30:31], v[60:61], v[12:13]
	ds_read_b64 v[48:49], v71 offset:2800
	v_fma_f64 v[12:13], -v[32:33], v[62:63], v[12:13]
	v_fma_f64 v[12:13], -v[34:35], v[64:65], v[12:13]
	;; [unrolled: 1-line block ×3, first 2 shown]
	s_waitcnt lgkmcnt(0)
	v_fma_f64 v[12:13], -v[38:39], v[44:45], v[12:13]
	v_fma_f64 v[12:13], -v[24:25], v[46:47], v[12:13]
	v_mul_f64 v[12:13], v[48:49], v[12:13]
	flat_store_dwordx2 v[42:43], v[12:13] offset:112
	ds_read_b128 v[44:47], v70 offset:2688
	ds_read_b128 v[48:51], v70 offset:2704
	;; [unrolled: 1-line block ×6, first 2 shown]
	s_waitcnt lgkmcnt(0)
	v_fma_f64 v[8:9], -v[10:11], v[44:45], v[8:9]
	v_fma_f64 v[8:9], -v[14:15], v[46:47], v[8:9]
	;; [unrolled: 1-line block ×8, first 2 shown]
	ds_read_b128 v[44:47], v70 offset:2784
	ds_read_b128 v[48:51], v70 offset:2800
	v_fma_f64 v[8:9], -v[30:31], v[60:61], v[8:9]
	v_fma_f64 v[8:9], -v[32:33], v[62:63], v[8:9]
	;; [unrolled: 1-line block ×4, first 2 shown]
	s_waitcnt lgkmcnt(0)
	v_fma_f64 v[8:9], -v[38:39], v[44:45], v[8:9]
	v_fma_f64 v[8:9], -v[24:25], v[46:47], v[8:9]
	;; [unrolled: 1-line block ×3, first 2 shown]
	v_mul_f64 v[8:9], v[50:51], v[8:9]
	flat_store_dwordx2 v[42:43], v[8:9] offset:120
	ds_read_b128 v[44:47], v70 offset:2880
	ds_read_b128 v[48:51], v70 offset:2896
	;; [unrolled: 1-line block ×6, first 2 shown]
	s_waitcnt lgkmcnt(0)
	v_fma_f64 v[6:7], -v[10:11], v[44:45], v[6:7]
	v_fma_f64 v[6:7], -v[14:15], v[46:47], v[6:7]
	;; [unrolled: 1-line block ×8, first 2 shown]
	ds_read_b128 v[44:47], v70 offset:2976
	ds_read_b128 v[48:51], v70 offset:2992
	v_fma_f64 v[6:7], -v[30:31], v[60:61], v[6:7]
	v_fma_f64 v[6:7], -v[32:33], v[62:63], v[6:7]
	;; [unrolled: 1-line block ×3, first 2 shown]
	ds_read_b64 v[52:53], v71 offset:3200
	v_fma_f64 v[6:7], -v[36:37], v[66:67], v[6:7]
	s_waitcnt lgkmcnt(0)
	v_fma_f64 v[6:7], -v[38:39], v[44:45], v[6:7]
	v_fma_f64 v[6:7], -v[24:25], v[46:47], v[6:7]
	;; [unrolled: 1-line block ×4, first 2 shown]
	v_mul_f64 v[6:7], v[52:53], v[6:7]
	flat_store_dwordx2 v[42:43], v[6:7] offset:128
	ds_read_b128 v[44:47], v70 offset:3072
	ds_read_b128 v[48:51], v70 offset:3088
	;; [unrolled: 1-line block ×5, first 2 shown]
	s_waitcnt lgkmcnt(0)
	v_fma_f64 v[4:5], -v[10:11], v[44:45], v[4:5]
	v_fma_f64 v[4:5], -v[14:15], v[46:47], v[4:5]
	;; [unrolled: 1-line block ×6, first 2 shown]
	ds_read_b128 v[44:47], v70 offset:3152
	ds_read_b128 v[48:51], v70 offset:3168
	v_fma_f64 v[4:5], -v[26:27], v[56:57], v[4:5]
	v_fma_f64 v[4:5], -v[28:29], v[58:59], v[4:5]
	;; [unrolled: 1-line block ×4, first 2 shown]
	ds_read_b128 v[52:55], v70 offset:3184
	s_waitcnt lgkmcnt(0)
	v_fma_f64 v[4:5], -v[34:35], v[44:45], v[4:5]
	v_fma_f64 v[4:5], -v[36:37], v[46:47], v[4:5]
	ds_read_b128 v[44:47], v70 offset:3200
	v_fma_f64 v[4:5], -v[38:39], v[48:49], v[4:5]
	v_fma_f64 v[4:5], -v[24:25], v[50:51], v[4:5]
	;; [unrolled: 1-line block ×4, first 2 shown]
	s_waitcnt lgkmcnt(0)
	v_fma_f64 v[4:5], -v[6:7], v[44:45], v[4:5]
	v_mul_f64 v[60:61], v[46:47], v[4:5]
	flat_store_dwordx2 v[42:43], v[60:61] offset:136
	ds_read_b128 v[44:47], v70 offset:3264
	ds_read_b128 v[48:51], v70 offset:3280
	;; [unrolled: 1-line block ×4, first 2 shown]
	s_waitcnt lgkmcnt(0)
	v_fma_f64 v[2:3], -v[10:11], v[44:45], v[2:3]
	v_fma_f64 v[2:3], -v[14:15], v[46:47], v[2:3]
	;; [unrolled: 1-line block ×5, first 2 shown]
	ds_read_b128 v[2:5], v70 offset:3328
	v_fma_f64 v[44:45], -v[22:23], v[54:55], v[44:45]
	v_fma_f64 v[48:49], -v[26:27], v[56:57], v[44:45]
	ds_read_b128 v[44:47], v70 offset:3344
	v_fma_f64 v[48:49], -v[28:29], v[58:59], v[48:49]
	s_waitcnt lgkmcnt(0)
	v_fma_f64 v[2:3], -v[30:31], v[2:3], v[48:49]
	ds_read_b128 v[48:51], v70 offset:3360
	v_fma_f64 v[2:3], -v[32:33], v[4:5], v[2:3]
	v_fma_f64 v[2:3], -v[34:35], v[44:45], v[2:3]
	;; [unrolled: 1-line block ×3, first 2 shown]
	ds_read_b128 v[2:5], v70 offset:3376
	s_waitcnt lgkmcnt(0)
	v_fma_f64 v[48:49], -v[38:39], v[48:49], v[44:45]
	ds_read_b128 v[44:47], v70 offset:3392
	v_fma_f64 v[48:49], -v[24:25], v[50:51], v[48:49]
	ds_read_b64 v[50:51], v71 offset:3600
	v_fma_f64 v[2:3], -v[12:13], v[2:3], v[48:49]
	v_fma_f64 v[2:3], -v[8:9], v[4:5], v[2:3]
	s_waitcnt lgkmcnt(0)
	v_fma_f64 v[2:3], -v[6:7], v[44:45], v[2:3]
	v_fma_f64 v[2:3], -v[60:61], v[46:47], v[2:3]
	v_mul_f64 v[56:57], v[50:51], v[2:3]
	flat_store_dwordx2 v[42:43], v[56:57] offset:144
	ds_read_b128 v[2:5], v70 offset:3456
	ds_read_b128 v[44:47], v70 offset:3472
	;; [unrolled: 1-line block ×4, first 2 shown]
	s_waitcnt lgkmcnt(0)
	v_fma_f64 v[0:1], -v[10:11], v[2:3], v[0:1]
	v_fma_f64 v[0:1], -v[14:15], v[4:5], v[0:1]
	;; [unrolled: 1-line block ×5, first 2 shown]
	ds_read_b128 v[0:3], v70 offset:3520
	ds_read_b128 v[14:17], v70 offset:3536
	v_fma_f64 v[4:5], -v[22:23], v[50:51], v[4:5]
	v_fma_f64 v[4:5], -v[26:27], v[52:53], v[4:5]
	;; [unrolled: 1-line block ×3, first 2 shown]
	s_waitcnt lgkmcnt(0)
	v_fma_f64 v[0:1], -v[30:31], v[0:1], v[4:5]
	ds_read_b128 v[18:21], v70 offset:3552
	v_fma_f64 v[0:1], -v[32:33], v[2:3], v[0:1]
	v_fma_f64 v[0:1], -v[34:35], v[14:15], v[0:1]
	;; [unrolled: 1-line block ×3, first 2 shown]
	ds_read_b128 v[0:3], v70 offset:3568
	ds_read_b128 v[14:17], v70 offset:3584
	s_waitcnt lgkmcnt(0)
	v_fma_f64 v[4:5], -v[38:39], v[18:19], v[4:5]
	v_fma_f64 v[4:5], -v[24:25], v[20:21], v[4:5]
	ds_read_b128 v[18:21], v70 offset:3600
	v_fma_f64 v[0:1], -v[12:13], v[0:1], v[4:5]
	v_fma_f64 v[0:1], -v[8:9], v[2:3], v[0:1]
	v_fma_f64 v[0:1], -v[6:7], v[14:15], v[0:1]
	v_fma_f64 v[0:1], -v[60:61], v[16:17], v[0:1]
	s_waitcnt lgkmcnt(0)
	v_fma_f64 v[0:1], -v[56:57], v[18:19], v[0:1]
	v_mul_f64 v[0:1], v[20:21], v[0:1]
	flat_store_dwordx2 v[42:43], v[0:1] offset:152
.LBB93_19:
	s_cmp_ge_i32 s2, s22
	s_cbranch_scc1 .LBB93_24
; %bb.20:
	s_mul_i32 s0, s2, 0xc0
	s_mov_b32 s3, 0
	s_branch .LBB93_22
.LBB93_21:                              ;   in Loop: Header=BB93_22 Depth=1
	s_mul_i32 s1, s2, 0xc8
	v_mov_b32_e32 v4, s1
	ds_read_b64 v[4:5], v4
	s_add_i32 s2, s2, 1
	s_addk_i32 s0, 0xc0
	s_cmp_ge_i32 s2, s22
	s_waitcnt lgkmcnt(0)
	v_mul_f64 v[2:3], v[4:5], v[2:3]
	flat_store_dwordx2 v[0:1], v[2:3]
	s_cbranch_scc1 .LBB93_24
.LBB93_22:                              ; =>This Loop Header: Depth=1
                                        ;     Child Loop BB93_23 Depth 2
	v_lshl_add_u64 v[0:1], s[2:3], 3, v[40:41]
	flat_load_dwordx2 v[2:3], v[0:1]
	s_cmp_eq_u32 s2, 0
	v_mov_b64_e32 v[4:5], v[40:41]
	s_mov_b32 s1, s2
	s_mov_b32 s6, s0
	s_waitcnt vmcnt(0) lgkmcnt(0)
	v_mul_f64 v[2:3], s[4:5], v[2:3]
	s_cbranch_scc1 .LBB93_21
.LBB93_23:                              ;   Parent Loop BB93_22 Depth=1
                                        ; =>  This Inner Loop Header: Depth=2
	flat_load_dwordx2 v[6:7], v[4:5]
	v_mov_b32_e32 v8, s6
	ds_read_b64 v[8:9], v8
	s_add_i32 s6, s6, 8
	s_add_i32 s1, s1, -1
	v_lshl_add_u64 v[4:5], v[4:5], 0, 8
	s_cmp_lg_u32 s1, 0
	s_waitcnt vmcnt(0) lgkmcnt(0)
	v_fma_f64 v[2:3], -v[6:7], v[8:9], v[2:3]
	s_cbranch_scc1 .LBB93_23
	s_branch .LBB93_21
.LBB93_24:
	s_mov_b64 s[0:1], 0
.LBB93_25:
	s_and_b64 vcc, exec, s[0:1]
	s_cbranch_vccz .LBB93_51
; %bb.26:
	s_add_i32 s8, s22, -1
	s_cmp_gt_i32 s10, 23
	s_mov_b32 s0, s8
	s_cbranch_scc0 .LBB93_28
; %bb.27:
	flat_load_dwordx4 v[0:3], v[40:41] offset:176
	flat_load_dwordx4 v[18:21], v[40:41] offset:160
	flat_load_dwordx4 v[22:25], v[40:41] offset:144
	flat_load_dwordx4 v[26:29], v[40:41] offset:128
	v_mov_b32_e32 v42, 0
	ds_read_b64 v[4:5], v42 offset:4600
	s_mov_b32 s0, -1
	s_waitcnt vmcnt(0) lgkmcnt(0)
	v_mul_f64 v[2:3], s[4:5], v[2:3]
	v_mul_f64 v[12:13], v[4:5], v[2:3]
	flat_store_dwordx2 v[40:41], v[12:13] offset:184
	ds_read_b64 v[2:3], v42 offset:4592
	ds_read_b64 v[4:5], v42 offset:4400
	flat_load_dwordx4 v[30:33], v[40:41] offset:112
	flat_load_dwordx4 v[34:37], v[40:41] offset:96
	s_waitcnt lgkmcnt(0)
	v_mul_f64 v[2:3], v[12:13], v[2:3]
	v_fma_f64 v[0:1], s[4:5], v[0:1], -v[2:3]
	v_mul_f64 v[14:15], v[4:5], v[0:1]
	flat_store_dwordx2 v[40:41], v[14:15] offset:176
	ds_read_b64 v[0:1], v42 offset:4584
	ds_read_b64 v[2:3], v42 offset:4392
	;; [unrolled: 1-line block ×3, first 2 shown]
	flat_load_dwordx4 v[8:11], v[40:41] offset:80
	flat_load_dwordx4 v[4:7], v[40:41] offset:64
	s_waitcnt lgkmcnt(0)
	v_mul_f64 v[0:1], v[12:13], v[0:1]
	v_fma_f64 v[0:1], s[4:5], v[20:21], -v[0:1]
	v_fma_f64 v[0:1], -v[14:15], v[2:3], v[0:1]
	v_mul_f64 v[16:17], v[16:17], v[0:1]
	flat_store_dwordx2 v[40:41], v[16:17] offset:168
	ds_read_b64 v[20:21], v42 offset:4576
	flat_load_dwordx4 v[0:3], v[40:41] offset:48
	ds_read_b64 v[38:39], v42 offset:4384
	ds_read_b64 v[44:45], v42 offset:4192
	ds_read_b64 v[46:47], v42 offset:4000
	s_waitcnt lgkmcnt(0)
	v_mul_f64 v[20:21], v[12:13], v[20:21]
	v_fma_f64 v[18:19], s[4:5], v[18:19], -v[20:21]
	v_fma_f64 v[18:19], -v[14:15], v[38:39], v[18:19]
	v_fma_f64 v[18:19], -v[16:17], v[44:45], v[18:19]
	v_mul_f64 v[18:19], v[46:47], v[18:19]
	flat_store_dwordx2 v[40:41], v[18:19] offset:160
	ds_read_b64 v[20:21], v42 offset:4568
	ds_read_b64 v[38:39], v42 offset:4376
	;; [unrolled: 1-line block ×5, first 2 shown]
	s_waitcnt lgkmcnt(0)
	v_mul_f64 v[20:21], v[12:13], v[20:21]
	v_fma_f64 v[20:21], s[4:5], v[24:25], -v[20:21]
	v_fma_f64 v[20:21], -v[14:15], v[38:39], v[20:21]
	v_fma_f64 v[20:21], -v[16:17], v[44:45], v[20:21]
	;; [unrolled: 1-line block ×3, first 2 shown]
	v_mul_f64 v[20:21], v[48:49], v[20:21]
	flat_store_dwordx2 v[40:41], v[20:21] offset:152
	ds_read_b64 v[24:25], v42 offset:4560
	ds_read_b64 v[38:39], v42 offset:4368
	;; [unrolled: 1-line block ×6, first 2 shown]
	s_waitcnt lgkmcnt(0)
	v_mul_f64 v[24:25], v[12:13], v[24:25]
	v_fma_f64 v[22:23], s[4:5], v[22:23], -v[24:25]
	v_fma_f64 v[22:23], -v[14:15], v[38:39], v[22:23]
	v_fma_f64 v[22:23], -v[16:17], v[44:45], v[22:23]
	;; [unrolled: 1-line block ×4, first 2 shown]
	v_mul_f64 v[22:23], v[50:51], v[22:23]
	flat_store_dwordx2 v[40:41], v[22:23] offset:144
	ds_read_b64 v[24:25], v42 offset:4552
	ds_read_b64 v[38:39], v42 offset:4360
	;; [unrolled: 1-line block ×7, first 2 shown]
	s_waitcnt lgkmcnt(0)
	v_mul_f64 v[24:25], v[12:13], v[24:25]
	v_fma_f64 v[24:25], s[4:5], v[28:29], -v[24:25]
	v_fma_f64 v[24:25], -v[14:15], v[38:39], v[24:25]
	v_fma_f64 v[24:25], -v[16:17], v[44:45], v[24:25]
	;; [unrolled: 1-line block ×5, first 2 shown]
	v_mul_f64 v[24:25], v[52:53], v[24:25]
	flat_store_dwordx2 v[40:41], v[24:25] offset:136
	ds_read_b64 v[28:29], v42 offset:4544
	ds_read_b64 v[38:39], v42 offset:4352
	ds_read_b64 v[44:45], v42 offset:4160
	ds_read_b64 v[46:47], v42 offset:3968
	ds_read_b64 v[48:49], v42 offset:3776
	ds_read_b64 v[50:51], v42 offset:3584
	ds_read_b64 v[52:53], v42 offset:3392
	ds_read_b64 v[54:55], v42 offset:3200
	s_waitcnt lgkmcnt(0)
	v_mul_f64 v[28:29], v[12:13], v[28:29]
	v_fma_f64 v[26:27], s[4:5], v[26:27], -v[28:29]
	v_fma_f64 v[26:27], -v[14:15], v[38:39], v[26:27]
	v_fma_f64 v[26:27], -v[16:17], v[44:45], v[26:27]
	;; [unrolled: 1-line block ×6, first 2 shown]
	v_mul_f64 v[26:27], v[54:55], v[26:27]
	flat_store_dwordx2 v[40:41], v[26:27] offset:128
	ds_read_b64 v[28:29], v42 offset:4536
	ds_read_b64 v[38:39], v42 offset:4344
	ds_read_b64 v[44:45], v42 offset:4152
	ds_read_b64 v[46:47], v42 offset:3960
	ds_read_b64 v[48:49], v42 offset:3768
	ds_read_b64 v[50:51], v42 offset:3576
	ds_read_b64 v[52:53], v42 offset:3384
	ds_read_b64 v[54:55], v42 offset:3192
	ds_read_b64 v[56:57], v42 offset:3000
	s_waitcnt lgkmcnt(0)
	v_mul_f64 v[28:29], v[12:13], v[28:29]
	s_waitcnt vmcnt(0)
	v_fma_f64 v[28:29], s[4:5], v[32:33], -v[28:29]
	v_fma_f64 v[28:29], -v[14:15], v[38:39], v[28:29]
	v_fma_f64 v[28:29], -v[16:17], v[44:45], v[28:29]
	v_fma_f64 v[28:29], -v[18:19], v[46:47], v[28:29]
	v_fma_f64 v[28:29], -v[20:21], v[48:49], v[28:29]
	v_fma_f64 v[28:29], -v[22:23], v[50:51], v[28:29]
	v_fma_f64 v[28:29], -v[24:25], v[52:53], v[28:29]
	v_fma_f64 v[28:29], -v[26:27], v[54:55], v[28:29]
	v_mul_f64 v[28:29], v[56:57], v[28:29]
	flat_store_dwordx2 v[40:41], v[28:29] offset:120
	ds_read_b64 v[32:33], v42 offset:4528
	ds_read_b64 v[38:39], v42 offset:4336
	;; [unrolled: 1-line block ×6, first 2 shown]
	s_waitcnt lgkmcnt(0)
	v_mul_f64 v[32:33], v[12:13], v[32:33]
	v_fma_f64 v[30:31], s[4:5], v[30:31], -v[32:33]
	v_fma_f64 v[30:31], -v[14:15], v[38:39], v[30:31]
	v_fma_f64 v[30:31], -v[16:17], v[44:45], v[30:31]
	;; [unrolled: 1-line block ×3, first 2 shown]
	ds_read_b64 v[32:33], v42 offset:3376
	ds_read_b64 v[52:53], v42 offset:3184
	;; [unrolled: 1-line block ×4, first 2 shown]
	v_fma_f64 v[30:31], -v[20:21], v[48:49], v[30:31]
	v_fma_f64 v[30:31], -v[22:23], v[50:51], v[30:31]
	s_waitcnt lgkmcnt(0)
	v_fma_f64 v[30:31], -v[24:25], v[32:33], v[30:31]
	v_fma_f64 v[30:31], -v[26:27], v[52:53], v[30:31]
	;; [unrolled: 1-line block ×3, first 2 shown]
	v_mul_f64 v[30:31], v[56:57], v[30:31]
	flat_store_dwordx2 v[40:41], v[30:31] offset:112
	ds_read_b64 v[32:33], v42 offset:4520
	ds_read_b64 v[38:39], v42 offset:4328
	;; [unrolled: 1-line block ×7, first 2 shown]
	s_waitcnt lgkmcnt(0)
	v_mul_f64 v[32:33], v[12:13], v[32:33]
	v_fma_f64 v[32:33], s[4:5], v[36:37], -v[32:33]
	v_fma_f64 v[32:33], -v[14:15], v[38:39], v[32:33]
	v_fma_f64 v[32:33], -v[16:17], v[44:45], v[32:33]
	;; [unrolled: 1-line block ×4, first 2 shown]
	ds_read_b64 v[36:37], v42 offset:3176
	ds_read_b64 v[38:39], v42 offset:2984
	;; [unrolled: 1-line block ×4, first 2 shown]
	v_fma_f64 v[32:33], -v[22:23], v[50:51], v[32:33]
	v_fma_f64 v[32:33], -v[24:25], v[52:53], v[32:33]
	s_waitcnt lgkmcnt(0)
	v_fma_f64 v[32:33], -v[26:27], v[36:37], v[32:33]
	v_fma_f64 v[32:33], -v[28:29], v[38:39], v[32:33]
	;; [unrolled: 1-line block ×3, first 2 shown]
	v_mul_f64 v[32:33], v[56:57], v[32:33]
	flat_store_dwordx2 v[40:41], v[32:33] offset:104
	ds_read_b64 v[36:37], v42 offset:4512
	ds_read_b64 v[38:39], v42 offset:4320
	ds_read_b64 v[44:45], v42 offset:4128
	ds_read_b64 v[46:47], v42 offset:3936
	ds_read_b64 v[48:49], v42 offset:3744
	ds_read_b64 v[50:51], v42 offset:3552
	ds_read_b64 v[52:53], v42 offset:3360
	ds_read_b64 v[54:55], v42 offset:3168
	s_waitcnt lgkmcnt(0)
	v_mul_f64 v[36:37], v[12:13], v[36:37]
	v_fma_f64 v[34:35], s[4:5], v[34:35], -v[36:37]
	v_fma_f64 v[34:35], -v[14:15], v[38:39], v[34:35]
	v_fma_f64 v[34:35], -v[16:17], v[44:45], v[34:35]
	;; [unrolled: 1-line block ×5, first 2 shown]
	ds_read_b64 v[36:37], v42 offset:2976
	ds_read_b64 v[38:39], v42 offset:2784
	;; [unrolled: 1-line block ×4, first 2 shown]
	v_fma_f64 v[34:35], -v[24:25], v[52:53], v[34:35]
	v_fma_f64 v[34:35], -v[26:27], v[54:55], v[34:35]
	s_waitcnt lgkmcnt(0)
	v_fma_f64 v[34:35], -v[28:29], v[36:37], v[34:35]
	v_fma_f64 v[34:35], -v[30:31], v[38:39], v[34:35]
	;; [unrolled: 1-line block ×3, first 2 shown]
	v_mul_f64 v[34:35], v[58:59], v[34:35]
	flat_store_dwordx2 v[40:41], v[34:35] offset:96
	ds_read_b64 v[36:37], v42 offset:4504
	ds_read_b64 v[38:39], v42 offset:4312
	;; [unrolled: 1-line block ×9, first 2 shown]
	s_waitcnt lgkmcnt(0)
	v_mul_f64 v[36:37], v[12:13], v[36:37]
	v_fma_f64 v[10:11], s[4:5], v[10:11], -v[36:37]
	v_fma_f64 v[10:11], -v[14:15], v[38:39], v[10:11]
	v_fma_f64 v[10:11], -v[16:17], v[44:45], v[10:11]
	;; [unrolled: 1-line block ×6, first 2 shown]
	ds_read_b64 v[36:37], v42 offset:2776
	ds_read_b64 v[38:39], v42 offset:2584
	ds_read_b64 v[44:45], v42 offset:2392
	ds_read_b64 v[46:47], v42 offset:2200
	v_fma_f64 v[10:11], -v[26:27], v[54:55], v[10:11]
	v_fma_f64 v[10:11], -v[28:29], v[56:57], v[10:11]
	s_waitcnt lgkmcnt(0)
	v_fma_f64 v[10:11], -v[30:31], v[36:37], v[10:11]
	v_fma_f64 v[10:11], -v[32:33], v[38:39], v[10:11]
	;; [unrolled: 1-line block ×3, first 2 shown]
	v_mul_f64 v[10:11], v[46:47], v[10:11]
	flat_store_dwordx2 v[40:41], v[10:11] offset:88
	ds_read_b64 v[36:37], v42 offset:4496
	ds_read_b64 v[38:39], v42 offset:4304
	;; [unrolled: 1-line block ×6, first 2 shown]
	s_waitcnt lgkmcnt(0)
	v_mul_f64 v[36:37], v[12:13], v[36:37]
	v_fma_f64 v[8:9], s[4:5], v[8:9], -v[36:37]
	v_fma_f64 v[8:9], -v[14:15], v[38:39], v[8:9]
	v_fma_f64 v[8:9], -v[16:17], v[44:45], v[8:9]
	;; [unrolled: 1-line block ×3, first 2 shown]
	ds_read_b64 v[36:37], v42 offset:3344
	ds_read_b64 v[52:53], v42 offset:3152
	;; [unrolled: 1-line block ×4, first 2 shown]
	v_fma_f64 v[8:9], -v[20:21], v[48:49], v[8:9]
	v_fma_f64 v[8:9], -v[22:23], v[50:51], v[8:9]
	s_waitcnt lgkmcnt(0)
	v_fma_f64 v[8:9], -v[24:25], v[36:37], v[8:9]
	v_fma_f64 v[8:9], -v[26:27], v[52:53], v[8:9]
	ds_read_b64 v[38:39], v42 offset:2576
	ds_read_b64 v[44:45], v42 offset:2384
	;; [unrolled: 1-line block ×4, first 2 shown]
	v_fma_f64 v[8:9], -v[28:29], v[54:55], v[8:9]
	v_fma_f64 v[8:9], -v[30:31], v[56:57], v[8:9]
	s_waitcnt lgkmcnt(0)
	v_fma_f64 v[8:9], -v[32:33], v[38:39], v[8:9]
	v_fma_f64 v[8:9], -v[34:35], v[44:45], v[8:9]
	;; [unrolled: 1-line block ×3, first 2 shown]
	v_mul_f64 v[8:9], v[58:59], v[8:9]
	flat_store_dwordx2 v[40:41], v[8:9] offset:80
	ds_read_b64 v[36:37], v42 offset:4488
	ds_read_b64 v[38:39], v42 offset:4296
	;; [unrolled: 1-line block ×7, first 2 shown]
	s_waitcnt lgkmcnt(0)
	v_mul_f64 v[36:37], v[12:13], v[36:37]
	v_fma_f64 v[6:7], s[4:5], v[6:7], -v[36:37]
	v_fma_f64 v[6:7], -v[14:15], v[38:39], v[6:7]
	v_fma_f64 v[6:7], -v[16:17], v[44:45], v[6:7]
	;; [unrolled: 1-line block ×4, first 2 shown]
	ds_read_b64 v[36:37], v42 offset:3144
	ds_read_b64 v[38:39], v42 offset:2952
	;; [unrolled: 1-line block ×4, first 2 shown]
	v_fma_f64 v[6:7], -v[22:23], v[50:51], v[6:7]
	v_fma_f64 v[6:7], -v[24:25], v[52:53], v[6:7]
	s_waitcnt lgkmcnt(0)
	v_fma_f64 v[6:7], -v[26:27], v[36:37], v[6:7]
	v_fma_f64 v[6:7], -v[28:29], v[38:39], v[6:7]
	ds_read_b64 v[44:45], v42 offset:2376
	ds_read_b64 v[46:47], v42 offset:2184
	;; [unrolled: 1-line block ×4, first 2 shown]
	v_fma_f64 v[6:7], -v[30:31], v[54:55], v[6:7]
	v_fma_f64 v[6:7], -v[32:33], v[56:57], v[6:7]
	s_waitcnt lgkmcnt(0)
	v_fma_f64 v[6:7], -v[34:35], v[44:45], v[6:7]
	v_fma_f64 v[6:7], -v[10:11], v[46:47], v[6:7]
	;; [unrolled: 1-line block ×3, first 2 shown]
	v_mul_f64 v[6:7], v[50:51], v[6:7]
	flat_store_dwordx2 v[40:41], v[6:7] offset:72
	ds_read_b64 v[36:37], v42 offset:4480
	flat_load_dwordx4 v[44:47], v[40:41] offset:32
	ds_read_b64 v[38:39], v42 offset:4288
	ds_read_b64 v[48:49], v42 offset:4096
	;; [unrolled: 1-line block ×3, first 2 shown]
	s_waitcnt lgkmcnt(0)
	v_mul_f64 v[36:37], v[12:13], v[36:37]
	v_fma_f64 v[4:5], s[4:5], v[4:5], -v[36:37]
	v_fma_f64 v[4:5], -v[14:15], v[38:39], v[4:5]
	ds_read_b64 v[36:37], v42 offset:3712
	ds_read_b64 v[52:53], v42 offset:3520
	ds_read_b64 v[54:55], v42 offset:3328
	ds_read_b64 v[56:57], v42 offset:3136
	v_fma_f64 v[4:5], -v[16:17], v[48:49], v[4:5]
	v_fma_f64 v[4:5], -v[18:19], v[50:51], v[4:5]
	s_waitcnt lgkmcnt(0)
	v_fma_f64 v[4:5], -v[20:21], v[36:37], v[4:5]
	v_fma_f64 v[4:5], -v[22:23], v[52:53], v[4:5]
	ds_read_b64 v[38:39], v42 offset:2944
	ds_read_b64 v[48:49], v42 offset:2752
	ds_read_b64 v[50:51], v42 offset:2560
	ds_read_b64 v[58:59], v42 offset:2368
	v_fma_f64 v[4:5], -v[24:25], v[54:55], v[4:5]
	v_fma_f64 v[4:5], -v[26:27], v[56:57], v[4:5]
	s_waitcnt lgkmcnt(0)
	v_fma_f64 v[4:5], -v[28:29], v[38:39], v[4:5]
	;; [unrolled: 9-line block ×3, first 2 shown]
	v_fma_f64 v[4:5], -v[8:9], v[52:53], v[4:5]
	v_fma_f64 v[4:5], -v[6:7], v[54:55], v[4:5]
	v_mul_f64 v[4:5], v[56:57], v[4:5]
	flat_store_dwordx2 v[40:41], v[4:5] offset:64
	ds_read_b64 v[36:37], v42 offset:4472
	ds_read_b64 v[38:39], v42 offset:4280
	;; [unrolled: 1-line block ×5, first 2 shown]
	s_waitcnt lgkmcnt(0)
	v_mul_f64 v[36:37], v[12:13], v[36:37]
	v_fma_f64 v[2:3], s[4:5], v[2:3], -v[36:37]
	v_fma_f64 v[2:3], -v[14:15], v[38:39], v[2:3]
	v_fma_f64 v[2:3], -v[16:17], v[48:49], v[2:3]
	ds_read_b64 v[36:37], v42 offset:3512
	ds_read_b64 v[38:39], v42 offset:3320
	;; [unrolled: 1-line block ×4, first 2 shown]
	v_fma_f64 v[2:3], -v[18:19], v[50:51], v[2:3]
	v_fma_f64 v[2:3], -v[20:21], v[52:53], v[2:3]
	s_waitcnt lgkmcnt(0)
	v_fma_f64 v[2:3], -v[22:23], v[36:37], v[2:3]
	v_fma_f64 v[2:3], -v[24:25], v[38:39], v[2:3]
	ds_read_b64 v[36:37], v42 offset:2744
	ds_read_b64 v[48:49], v42 offset:2552
	ds_read_b64 v[50:51], v42 offset:2360
	ds_read_b64 v[52:53], v42 offset:2168
	v_fma_f64 v[2:3], -v[26:27], v[54:55], v[2:3]
	v_fma_f64 v[2:3], -v[28:29], v[56:57], v[2:3]
	s_waitcnt lgkmcnt(0)
	v_fma_f64 v[2:3], -v[30:31], v[36:37], v[2:3]
	v_fma_f64 v[2:3], -v[32:33], v[48:49], v[2:3]
	;; [unrolled: 1-line block ×3, first 2 shown]
	ds_read_b64 v[36:37], v42 offset:1976
	ds_read_b64 v[38:39], v42 offset:1784
	;; [unrolled: 1-line block ×4, first 2 shown]
	v_fma_f64 v[2:3], -v[10:11], v[52:53], v[2:3]
	s_waitcnt lgkmcnt(0)
	v_fma_f64 v[2:3], -v[8:9], v[36:37], v[2:3]
	v_fma_f64 v[2:3], -v[6:7], v[38:39], v[2:3]
	;; [unrolled: 1-line block ×3, first 2 shown]
	v_mul_f64 v[2:3], v[50:51], v[2:3]
	flat_store_dwordx2 v[40:41], v[2:3] offset:56
	ds_read_b64 v[36:37], v42 offset:4464
	ds_read_b64 v[38:39], v42 offset:4272
	;; [unrolled: 1-line block ×3, first 2 shown]
	s_waitcnt lgkmcnt(0)
	v_mul_f64 v[36:37], v[12:13], v[36:37]
	v_fma_f64 v[0:1], s[4:5], v[0:1], -v[36:37]
	ds_read_b64 v[36:37], v42 offset:3888
	v_fma_f64 v[0:1], -v[14:15], v[38:39], v[0:1]
	v_fma_f64 v[0:1], -v[16:17], v[48:49], v[0:1]
	ds_read_b64 v[38:39], v42 offset:3696
	ds_read_b64 v[48:49], v42 offset:3504
	ds_read_b64 v[50:51], v42 offset:3312
	s_waitcnt lgkmcnt(0)
	v_fma_f64 v[0:1], -v[18:19], v[36:37], v[0:1]
	ds_read_b64 v[36:37], v42 offset:3120
	v_fma_f64 v[0:1], -v[20:21], v[38:39], v[0:1]
	ds_read_b64 v[38:39], v42 offset:2928
	v_fma_f64 v[0:1], -v[22:23], v[48:49], v[0:1]
	v_fma_f64 v[0:1], -v[24:25], v[50:51], v[0:1]
	s_waitcnt lgkmcnt(0)
	v_fma_f64 v[0:1], -v[26:27], v[36:37], v[0:1]
	ds_read_b64 v[36:37], v42 offset:2736
	ds_read_b64 v[48:49], v42 offset:2544
	;; [unrolled: 1-line block ×3, first 2 shown]
	v_fma_f64 v[0:1], -v[28:29], v[38:39], v[0:1]
	ds_read_b64 v[38:39], v42 offset:2160
	s_waitcnt lgkmcnt(0)
	v_fma_f64 v[0:1], -v[30:31], v[36:37], v[0:1]
	ds_read_b64 v[36:37], v42 offset:1968
	v_fma_f64 v[0:1], -v[32:33], v[48:49], v[0:1]
	v_fma_f64 v[0:1], -v[34:35], v[50:51], v[0:1]
	;; [unrolled: 1-line block ×3, first 2 shown]
	ds_read_b64 v[38:39], v42 offset:1776
	ds_read_b64 v[48:49], v42 offset:1584
	;; [unrolled: 1-line block ×4, first 2 shown]
	s_waitcnt lgkmcnt(0)
	v_fma_f64 v[0:1], -v[8:9], v[36:37], v[0:1]
	v_fma_f64 v[0:1], -v[6:7], v[38:39], v[0:1]
	;; [unrolled: 1-line block ×4, first 2 shown]
	flat_load_dwordx4 v[48:51], v[40:41] offset:16
	v_mul_f64 v[0:1], v[52:53], v[0:1]
	flat_store_dwordx2 v[40:41], v[0:1] offset:48
	ds_read_b64 v[36:37], v42 offset:4456
	ds_read_b64 v[38:39], v42 offset:4264
	;; [unrolled: 1-line block ×4, first 2 shown]
	s_waitcnt lgkmcnt(0)
	v_mul_f64 v[36:37], v[12:13], v[36:37]
	s_waitcnt vmcnt(0)
	v_fma_f64 v[36:37], s[4:5], v[46:47], -v[36:37]
	v_fma_f64 v[36:37], -v[14:15], v[38:39], v[36:37]
	ds_read_b64 v[38:39], v42 offset:3688
	v_fma_f64 v[36:37], -v[16:17], v[52:53], v[36:37]
	v_fma_f64 v[36:37], -v[18:19], v[54:55], v[36:37]
	ds_read_b64 v[46:47], v42 offset:3496
	ds_read_b64 v[52:53], v42 offset:3304
	;; [unrolled: 1-line block ×3, first 2 shown]
	s_waitcnt lgkmcnt(3)
	v_fma_f64 v[36:37], -v[20:21], v[38:39], v[36:37]
	ds_read_b64 v[38:39], v42 offset:2920
	s_waitcnt lgkmcnt(3)
	v_fma_f64 v[36:37], -v[22:23], v[46:47], v[36:37]
	ds_read_b64 v[46:47], v42 offset:2728
	s_waitcnt lgkmcnt(3)
	v_fma_f64 v[36:37], -v[24:25], v[52:53], v[36:37]
	s_waitcnt lgkmcnt(2)
	v_fma_f64 v[36:37], -v[26:27], v[54:55], v[36:37]
	;; [unrolled: 2-line block ×3, first 2 shown]
	ds_read_b64 v[38:39], v42 offset:2536
	ds_read_b64 v[52:53], v42 offset:2344
	;; [unrolled: 1-line block ×3, first 2 shown]
	s_waitcnt lgkmcnt(3)
	v_fma_f64 v[36:37], -v[30:31], v[46:47], v[36:37]
	ds_read_b64 v[46:47], v42 offset:1960
	s_waitcnt lgkmcnt(3)
	v_fma_f64 v[36:37], -v[32:33], v[38:39], v[36:37]
	ds_read_b64 v[38:39], v42 offset:1768
	s_waitcnt lgkmcnt(3)
	v_fma_f64 v[36:37], -v[34:35], v[52:53], v[36:37]
	s_waitcnt lgkmcnt(2)
	v_fma_f64 v[36:37], -v[10:11], v[54:55], v[36:37]
	;; [unrolled: 2-line block ×3, first 2 shown]
	ds_read_b64 v[46:47], v42 offset:1576
	ds_read_b64 v[52:53], v42 offset:1384
	;; [unrolled: 1-line block ×4, first 2 shown]
	s_waitcnt lgkmcnt(4)
	v_fma_f64 v[36:37], -v[6:7], v[38:39], v[36:37]
	s_waitcnt lgkmcnt(3)
	v_fma_f64 v[36:37], -v[4:5], v[46:47], v[36:37]
	;; [unrolled: 2-line block ×4, first 2 shown]
	s_waitcnt lgkmcnt(0)
	v_mul_f64 v[36:37], v[56:57], v[36:37]
	flat_store_dwordx2 v[40:41], v[36:37] offset:40
	ds_read_b64 v[38:39], v42 offset:4448
	ds_read_b64 v[46:47], v42 offset:4256
	;; [unrolled: 1-line block ×4, first 2 shown]
	s_waitcnt lgkmcnt(0)
	v_mul_f64 v[38:39], v[12:13], v[38:39]
	v_fma_f64 v[38:39], s[4:5], v[44:45], -v[38:39]
	ds_read_b64 v[44:45], v42 offset:3680
	v_fma_f64 v[38:39], -v[14:15], v[46:47], v[38:39]
	ds_read_b64 v[46:47], v42 offset:3488
	v_fma_f64 v[38:39], -v[16:17], v[52:53], v[38:39]
	v_fma_f64 v[38:39], -v[18:19], v[54:55], v[38:39]
	s_waitcnt lgkmcnt(0)
	v_fma_f64 v[38:39], -v[20:21], v[44:45], v[38:39]
	ds_read_b64 v[44:45], v42 offset:3296
	ds_read_b64 v[52:53], v42 offset:3104
	ds_read_b64 v[54:55], v42 offset:2912
	v_fma_f64 v[38:39], -v[22:23], v[46:47], v[38:39]
	ds_read_b64 v[46:47], v42 offset:2720
	s_waitcnt lgkmcnt(0)
	v_fma_f64 v[38:39], -v[24:25], v[44:45], v[38:39]
	ds_read_b64 v[44:45], v42 offset:2528
	v_fma_f64 v[38:39], -v[26:27], v[52:53], v[38:39]
	v_fma_f64 v[38:39], -v[28:29], v[54:55], v[38:39]
	;; [unrolled: 1-line block ×3, first 2 shown]
	ds_read_b64 v[46:47], v42 offset:2336
	ds_read_b64 v[52:53], v42 offset:2144
	;; [unrolled: 1-line block ×3, first 2 shown]
	s_waitcnt lgkmcnt(0)
	v_fma_f64 v[38:39], -v[32:33], v[44:45], v[38:39]
	ds_read_b64 v[44:45], v42 offset:1760
	v_fma_f64 v[38:39], -v[34:35], v[46:47], v[38:39]
	ds_read_b64 v[46:47], v42 offset:1568
	v_fma_f64 v[38:39], -v[10:11], v[52:53], v[38:39]
	v_fma_f64 v[38:39], -v[8:9], v[54:55], v[38:39]
	s_waitcnt lgkmcnt(0)
	v_fma_f64 v[38:39], -v[6:7], v[44:45], v[38:39]
	ds_read_b64 v[44:45], v42 offset:1376
	ds_read_b64 v[52:53], v42 offset:1184
	ds_read_b64 v[54:55], v42 offset:992
	ds_read_b64 v[56:57], v42 offset:800
	v_fma_f64 v[38:39], -v[4:5], v[46:47], v[38:39]
	s_waitcnt lgkmcnt(0)
	v_fma_f64 v[38:39], -v[2:3], v[44:45], v[38:39]
	v_fma_f64 v[38:39], -v[0:1], v[52:53], v[38:39]
	;; [unrolled: 1-line block ×3, first 2 shown]
	flat_load_dwordx4 v[44:47], v[40:41]
	v_mul_f64 v[38:39], v[56:57], v[38:39]
	flat_store_dwordx2 v[40:41], v[38:39] offset:32
	ds_read_b64 v[52:53], v42 offset:4440
	ds_read_b64 v[54:55], v42 offset:4248
	;; [unrolled: 1-line block ×4, first 2 shown]
	s_waitcnt lgkmcnt(0)
	v_mul_f64 v[52:53], v[12:13], v[52:53]
	v_fma_f64 v[50:51], s[4:5], v[50:51], -v[52:53]
	ds_read_b64 v[52:53], v42 offset:3672
	v_fma_f64 v[50:51], -v[14:15], v[54:55], v[50:51]
	v_fma_f64 v[50:51], -v[16:17], v[56:57], v[50:51]
	ds_read_b64 v[54:55], v42 offset:3480
	ds_read_b64 v[56:57], v42 offset:3288
	v_fma_f64 v[50:51], -v[18:19], v[58:59], v[50:51]
	s_waitcnt lgkmcnt(0)
	v_fma_f64 v[50:51], -v[20:21], v[52:53], v[50:51]
	ds_read_b64 v[52:53], v42 offset:3096
	v_fma_f64 v[50:51], -v[22:23], v[54:55], v[50:51]
	v_fma_f64 v[50:51], -v[24:25], v[56:57], v[50:51]
	ds_read_b64 v[54:55], v42 offset:2904
	ds_read_b64 v[56:57], v42 offset:2712
	s_waitcnt lgkmcnt(0)
	v_fma_f64 v[50:51], -v[26:27], v[52:53], v[50:51]
	ds_read_b64 v[52:53], v42 offset:2520
	v_fma_f64 v[50:51], -v[28:29], v[54:55], v[50:51]
	ds_read_b64 v[54:55], v42 offset:2328
	v_fma_f64 v[50:51], -v[30:31], v[56:57], v[50:51]
	s_waitcnt lgkmcnt(0)
	v_fma_f64 v[50:51], -v[32:33], v[52:53], v[50:51]
	ds_read_b64 v[52:53], v42 offset:2136
	ds_read_b64 v[56:57], v42 offset:1944
	v_fma_f64 v[50:51], -v[34:35], v[54:55], v[50:51]
	ds_read_b64 v[54:55], v42 offset:1752
	s_waitcnt lgkmcnt(0)
	v_fma_f64 v[50:51], -v[10:11], v[52:53], v[50:51]
	v_fma_f64 v[50:51], -v[8:9], v[56:57], v[50:51]
	ds_read_b64 v[52:53], v42 offset:1560
	ds_read_b64 v[56:57], v42 offset:1368
	v_fma_f64 v[50:51], -v[6:7], v[54:55], v[50:51]
	ds_read_b64 v[54:55], v42 offset:1176
	s_waitcnt lgkmcnt(0)
	v_fma_f64 v[50:51], -v[4:5], v[52:53], v[50:51]
	ds_read_b64 v[52:53], v42 offset:984
	v_fma_f64 v[50:51], -v[2:3], v[56:57], v[50:51]
	v_fma_f64 v[50:51], -v[0:1], v[54:55], v[50:51]
	ds_read_b64 v[54:55], v42 offset:792
	ds_read_b64 v[56:57], v42 offset:600
	s_waitcnt lgkmcnt(0)
	v_fma_f64 v[50:51], -v[36:37], v[52:53], v[50:51]
	v_fma_f64 v[50:51], -v[38:39], v[54:55], v[50:51]
	v_mul_f64 v[50:51], v[56:57], v[50:51]
	flat_store_dwordx2 v[40:41], v[50:51] offset:24
	ds_read_b64 v[52:53], v42 offset:4432
	ds_read_b64 v[54:55], v42 offset:4240
	s_waitcnt lgkmcnt(0)
	v_mul_f64 v[52:53], v[12:13], v[52:53]
	v_fma_f64 v[48:49], s[4:5], v[48:49], -v[52:53]
	v_fma_f64 v[48:49], -v[14:15], v[54:55], v[48:49]
	ds_read_b64 v[52:53], v42 offset:4048
	ds_read_b64 v[54:55], v42 offset:3856
	ds_read_b64 v[56:57], v42 offset:3664
	ds_read_b64 v[58:59], v42 offset:3472
	s_waitcnt lgkmcnt(0)
	v_fma_f64 v[48:49], -v[16:17], v[52:53], v[48:49]
	v_fma_f64 v[48:49], -v[18:19], v[54:55], v[48:49]
	v_fma_f64 v[48:49], -v[20:21], v[56:57], v[48:49]
	v_fma_f64 v[48:49], -v[22:23], v[58:59], v[48:49]
	ds_read_b64 v[52:53], v42 offset:3280
	ds_read_b64 v[54:55], v42 offset:3088
	ds_read_b64 v[56:57], v42 offset:2896
	ds_read_b64 v[58:59], v42 offset:2704
	s_waitcnt lgkmcnt(0)
	v_fma_f64 v[48:49], -v[24:25], v[52:53], v[48:49]
	v_fma_f64 v[48:49], -v[26:27], v[54:55], v[48:49]
	v_fma_f64 v[48:49], -v[28:29], v[56:57], v[48:49]
	;; [unrolled: 9-line block ×5, first 2 shown]
	v_mul_f64 v[48:49], v[58:59], v[48:49]
	flat_store_dwordx2 v[40:41], v[48:49] offset:16
	ds_read_b64 v[52:53], v42 offset:4424
	ds_read_b64 v[54:55], v42 offset:4232
	;; [unrolled: 1-line block ×3, first 2 shown]
	s_waitcnt lgkmcnt(0)
	v_mul_f64 v[52:53], v[12:13], v[52:53]
	s_waitcnt vmcnt(0)
	v_fma_f64 v[46:47], s[4:5], v[46:47], -v[52:53]
	v_fma_f64 v[46:47], -v[14:15], v[54:55], v[46:47]
	ds_read_b64 v[52:53], v42 offset:3848
	ds_read_b64 v[54:55], v42 offset:3656
	v_fma_f64 v[46:47], -v[16:17], v[56:57], v[46:47]
	ds_read_b64 v[56:57], v42 offset:3464
	s_waitcnt lgkmcnt(2)
	v_fma_f64 v[46:47], -v[18:19], v[52:53], v[46:47]
	ds_read_b64 v[52:53], v42 offset:3272
	s_waitcnt lgkmcnt(2)
	v_fma_f64 v[46:47], -v[20:21], v[54:55], v[46:47]
	s_waitcnt lgkmcnt(1)
	v_fma_f64 v[46:47], -v[22:23], v[56:57], v[46:47]
	ds_read_b64 v[54:55], v42 offset:3080
	ds_read_b64 v[56:57], v42 offset:2888
	s_waitcnt lgkmcnt(2)
	v_fma_f64 v[46:47], -v[24:25], v[52:53], v[46:47]
	ds_read_b64 v[52:53], v42 offset:2696
	s_waitcnt lgkmcnt(2)
	v_fma_f64 v[46:47], -v[26:27], v[54:55], v[46:47]
	s_waitcnt lgkmcnt(1)
	v_fma_f64 v[46:47], -v[28:29], v[56:57], v[46:47]
	ds_read_b64 v[54:55], v42 offset:2504
	ds_read_b64 v[56:57], v42 offset:2312
	s_waitcnt lgkmcnt(2)
	v_fma_f64 v[46:47], -v[30:31], v[52:53], v[46:47]
	ds_read_b64 v[52:53], v42 offset:2120
	s_waitcnt lgkmcnt(2)
	v_fma_f64 v[46:47], -v[32:33], v[54:55], v[46:47]
	ds_read_b64 v[54:55], v42 offset:1928
	s_waitcnt lgkmcnt(2)
	v_fma_f64 v[46:47], -v[34:35], v[56:57], v[46:47]
	s_waitcnt lgkmcnt(1)
	v_fma_f64 v[46:47], -v[10:11], v[52:53], v[46:47]
	ds_read_b64 v[52:53], v42 offset:1736
	ds_read_b64 v[56:57], v42 offset:1544
	s_waitcnt lgkmcnt(2)
	v_fma_f64 v[46:47], -v[8:9], v[54:55], v[46:47]
	ds_read_b64 v[54:55], v42 offset:1352
	s_waitcnt lgkmcnt(2)
	v_fma_f64 v[46:47], -v[6:7], v[52:53], v[46:47]
	s_waitcnt lgkmcnt(1)
	v_fma_f64 v[46:47], -v[4:5], v[56:57], v[46:47]
	ds_read_b64 v[52:53], v42 offset:1160
	ds_read_b64 v[56:57], v42 offset:968
	s_waitcnt lgkmcnt(2)
	v_fma_f64 v[46:47], -v[2:3], v[54:55], v[46:47]
	ds_read_b64 v[54:55], v42 offset:776
	s_waitcnt lgkmcnt(2)
	v_fma_f64 v[46:47], -v[0:1], v[52:53], v[46:47]
	ds_read_b64 v[52:53], v42 offset:584
	s_waitcnt lgkmcnt(2)
	v_fma_f64 v[46:47], -v[36:37], v[56:57], v[46:47]
	s_waitcnt lgkmcnt(1)
	v_fma_f64 v[46:47], -v[38:39], v[54:55], v[46:47]
	ds_read_b64 v[54:55], v42 offset:392
	ds_read_b64 v[56:57], v42 offset:200
	s_waitcnt lgkmcnt(2)
	v_fma_f64 v[46:47], -v[50:51], v[52:53], v[46:47]
	s_waitcnt lgkmcnt(1)
	v_fma_f64 v[46:47], -v[48:49], v[54:55], v[46:47]
	s_waitcnt lgkmcnt(0)
	v_mul_f64 v[46:47], v[56:57], v[46:47]
	flat_store_dwordx2 v[40:41], v[46:47] offset:8
	ds_read_b64 v[52:53], v42 offset:4416
	ds_read_b64 v[54:55], v42 offset:4224
	;; [unrolled: 1-line block ×3, first 2 shown]
	s_waitcnt lgkmcnt(0)
	v_mul_f64 v[12:13], v[12:13], v[52:53]
	v_fma_f64 v[12:13], s[4:5], v[44:45], -v[12:13]
	v_fma_f64 v[12:13], -v[14:15], v[54:55], v[12:13]
	ds_read_b64 v[14:15], v42 offset:3840
	v_fma_f64 v[12:13], -v[16:17], v[56:57], v[12:13]
	ds_read_b64 v[16:17], v42 offset:3648
	ds_read_b64 v[44:45], v42 offset:3456
	;; [unrolled: 1-line block ×3, first 2 shown]
	s_waitcnt lgkmcnt(0)
	v_fma_f64 v[12:13], -v[18:19], v[14:15], v[12:13]
	ds_read_b64 v[14:15], v42 offset:3072
	v_fma_f64 v[12:13], -v[20:21], v[16:17], v[12:13]
	ds_read_b64 v[16:17], v42 offset:2880
	v_fma_f64 v[12:13], -v[22:23], v[44:45], v[12:13]
	v_fma_f64 v[12:13], -v[24:25], v[52:53], v[12:13]
	s_waitcnt lgkmcnt(0)
	v_fma_f64 v[12:13], -v[26:27], v[14:15], v[12:13]
	ds_read_b64 v[14:15], v42 offset:2688
	ds_read_b64 v[18:19], v42 offset:2496
	;; [unrolled: 1-line block ×3, first 2 shown]
	v_fma_f64 v[12:13], -v[28:29], v[16:17], v[12:13]
	ds_read_b64 v[16:17], v42 offset:2112
	s_waitcnt lgkmcnt(0)
	v_fma_f64 v[12:13], -v[30:31], v[14:15], v[12:13]
	ds_read_b64 v[14:15], v42 offset:1920
	v_fma_f64 v[12:13], -v[32:33], v[18:19], v[12:13]
	v_fma_f64 v[12:13], -v[34:35], v[20:21], v[12:13]
	;; [unrolled: 1-line block ×3, first 2 shown]
	ds_read_b64 v[12:13], v42 offset:1728
	ds_read_b64 v[16:17], v42 offset:1536
	;; [unrolled: 1-line block ×4, first 2 shown]
	s_waitcnt lgkmcnt(0)
	v_fma_f64 v[8:9], -v[8:9], v[14:15], v[10:11]
	v_fma_f64 v[6:7], -v[6:7], v[12:13], v[8:9]
	v_fma_f64 v[4:5], -v[4:5], v[16:17], v[6:7]
	v_fma_f64 v[2:3], -v[2:3], v[18:19], v[4:5]
	v_fma_f64 v[4:5], -v[0:1], v[20:21], v[2:3]
	ds_read_b64 v[6:7], v42 offset:960
	ds_read_b64 v[8:9], v42 offset:768
	ds_read_b64 v[10:11], v42 offset:576
	ds_read_b64 v[12:13], v42 offset:384
	ds_read2_b64 v[0:3], v42 offset1:24
	s_waitcnt lgkmcnt(0)
	v_fma_f64 v[4:5], -v[36:37], v[6:7], v[4:5]
	v_fma_f64 v[4:5], -v[38:39], v[8:9], v[4:5]
	;; [unrolled: 1-line block ×5, first 2 shown]
	v_mul_f64 v[0:1], v[0:1], v[2:3]
	flat_store_dwordx2 v[40:41], v[0:1]
.LBB93_28:
	s_cmp_gt_i32 s0, -1
	s_cbranch_scc0 .LBB93_51
; %bb.29:
	s_cmp_lt_u32 s0, 19
	s_cbranch_scc1 .LBB93_34
; %bb.30:
	s_mov_b32 s3, 0
	s_mov_b32 s1, s3
	v_lshl_add_u64 v[8:9], s[0:1], 3, v[40:41]
	v_add_co_u32_e32 v4, vcc, -8, v8
	s_cmp_le_i32 s8, s0
	s_nop 0
	v_addc_co_u32_e32 v5, vcc, -1, v9, vcc
	v_add_co_u32_e32 v6, vcc, 0xffffffe8, v8
	s_nop 1
	v_addc_co_u32_e32 v7, vcc, -1, v9, vcc
	flat_load_dwordx4 v[0:3], v[4:5]
	flat_load_dwordx4 v[12:15], v[6:7]
	v_add_co_u32_e32 v4, vcc, 0xffffffd8, v8
	s_waitcnt vmcnt(0) lgkmcnt(0)
	v_mul_f64 v[42:43], s[4:5], v[0:1]
	v_addc_co_u32_e32 v5, vcc, -1, v9, vcc
	v_add_co_u32_e32 v6, vcc, 0xffffffc8, v8
	v_mul_f64 v[10:11], s[4:5], v[14:15]
	s_nop 0
	v_addc_co_u32_e32 v7, vcc, -1, v9, vcc
	flat_load_dwordx4 v[18:21], v[4:5]
	flat_load_dwordx4 v[24:27], v[6:7]
	v_add_co_u32_e32 v4, vcc, 0xffffffb8, v8
	v_mul_f64 v[14:15], s[4:5], v[12:13]
	s_nop 0
	v_addc_co_u32_e32 v5, vcc, -1, v9, vcc
	v_add_co_u32_e32 v6, vcc, 0xffffffa8, v8
	s_waitcnt vmcnt(0) lgkmcnt(0)
	v_mul_f64 v[16:17], s[4:5], v[20:21]
	v_addc_co_u32_e32 v7, vcc, -1, v9, vcc
	flat_load_dwordx4 v[30:33], v[4:5]
	flat_load_dwordx4 v[36:39], v[6:7]
	v_add_co_u32_e32 v4, vcc, 0xffffff98, v8
	v_mul_f64 v[18:19], s[4:5], v[18:19]
	s_nop 0
	v_addc_co_u32_e32 v5, vcc, -1, v9, vcc
	v_add_co_u32_e32 v6, vcc, 0xffffff88, v8
	v_mul_f64 v[22:23], s[4:5], v[26:27]
	s_nop 0
	v_addc_co_u32_e32 v7, vcc, -1, v9, vcc
	flat_load_dwordx4 v[44:47], v[4:5]
	flat_load_dwordx4 v[48:51], v[6:7]
	v_add_co_u32_e32 v4, vcc, 0xffffff78, v8
	v_mul_f64 v[6:7], s[4:5], v[2:3]
	s_nop 0
	v_addc_co_u32_e32 v5, vcc, -1, v9, vcc
	flat_load_dwordx4 v[52:55], v[4:5]
	v_add_co_u32_e32 v4, vcc, 0xffffff68, v8
	v_mul_f64 v[24:25], s[4:5], v[24:25]
	s_nop 0
	v_addc_co_u32_e32 v5, vcc, -1, v9, vcc
	flat_load_dwordx4 v[56:59], v[4:5]
	s_waitcnt vmcnt(0) lgkmcnt(0)
	v_mul_f64 v[28:29], s[4:5], v[32:33]
	v_mul_f64 v[30:31], s[4:5], v[30:31]
	;; [unrolled: 1-line block ×12, first 2 shown]
	s_cbranch_scc1 .LBB93_33
; %bb.31:
	s_mul_i32 s1, s22, 0xc0
	s_lshl_b32 s2, s0, 3
	s_add_i32 s1, s1, s2
	s_addk_i32 s1, 0xfea8
	s_mov_b32 s2, s8
.LBB93_32:                              ; =>This Inner Loop Header: Depth=1
	v_lshl_add_u64 v[44:45], s[2:3], 3, v[40:41]
	flat_load_dwordx2 v[60:61], v[44:45]
	v_mov_b32_e32 v56, s1
	ds_read2_b64 v[44:47], v56 offset0:18 offset1:19
	ds_read2_b64 v[48:51], v56 offset0:16 offset1:17
	ds_read2_b64 v[52:55], v56 offset0:14 offset1:15
	s_add_i32 s2, s2, -1
	s_addk_i32 s1, 0xff40
	s_cmp_gt_i32 s2, s0
	s_waitcnt vmcnt(0) lgkmcnt(0)
	v_fma_f64 v[6:7], -v[60:61], v[46:47], v[6:7]
	v_fma_f64 v[42:43], -v[60:61], v[44:45], v[42:43]
	ds_read2_b64 v[44:47], v56 offset0:12 offset1:13
	v_fma_f64 v[10:11], -v[60:61], v[50:51], v[10:11]
	v_fma_f64 v[14:15], -v[60:61], v[48:49], v[14:15]
	ds_read2_b64 v[48:51], v56 offset0:10 offset1:11
	;; [unrolled: 3-line block ×3, first 2 shown]
	s_waitcnt lgkmcnt(2)
	v_fma_f64 v[22:23], -v[60:61], v[46:47], v[22:23]
	v_fma_f64 v[24:25], -v[60:61], v[44:45], v[24:25]
	ds_read2_b64 v[44:47], v56 offset0:6 offset1:7
	s_waitcnt lgkmcnt(2)
	v_fma_f64 v[28:29], -v[60:61], v[50:51], v[28:29]
	v_fma_f64 v[30:31], -v[60:61], v[48:49], v[30:31]
	ds_read2_b64 v[48:51], v56 offset0:4 offset1:5
	;; [unrolled: 4-line block ×3, first 2 shown]
	ds_read2_b64 v[56:59], v56 offset1:1
	s_waitcnt lgkmcnt(3)
	v_fma_f64 v[36:37], -v[60:61], v[46:47], v[36:37]
	v_fma_f64 v[32:33], -v[60:61], v[44:45], v[32:33]
	s_waitcnt lgkmcnt(2)
	v_fma_f64 v[26:27], -v[60:61], v[50:51], v[26:27]
	v_fma_f64 v[20:21], -v[60:61], v[48:49], v[20:21]
	;; [unrolled: 3-line block ×4, first 2 shown]
	s_cbranch_scc1 .LBB93_32
.LBB93_33:
	s_mul_i32 s1, s0, 0xc8
	v_mov_b32_e32 v44, s1
	ds_read_b64 v[44:45], v44
	s_add_i32 s2, s0, -1
	s_mul_i32 s6, s0, 0xc0
	s_lshl_b32 s3, s2, 3
	s_add_i32 s7, s3, s6
	s_waitcnt lgkmcnt(0)
	v_mul_f64 v[6:7], v[44:45], v[6:7]
	flat_store_dwordx2 v[8:9], v[6:7]
	v_mov_b32_e32 v8, s7
	s_add_i32 s7, s6, 0xffffff40
	s_add_i32 s3, s3, s7
	v_mov_b32_e32 v44, s3
	ds_read_b64 v[8:9], v8
	ds_read_b64 v[44:45], v44
	s_mov_b32 s3, 0
	s_waitcnt lgkmcnt(0)
	v_fma_f64 v[8:9], -v[6:7], v[8:9], v[42:43]
	v_lshl_add_u64 v[42:43], s[2:3], 3, v[40:41]
	s_add_i32 s2, s0, -2
	s_lshl_b32 s10, s2, 3
	v_mul_f64 v[8:9], v[44:45], v[8:9]
	s_add_i32 s9, s10, s6
	flat_store_dwordx2 v[42:43], v[8:9]
	v_mov_b32_e32 v42, s9
	s_add_i32 s9, s10, s7
	v_mov_b32_e32 v44, s9
	s_add_i32 s9, s6, 0xfffffe80
	s_add_i32 s10, s10, s9
	v_mov_b32_e32 v46, s10
	ds_read_b64 v[42:43], v42
	ds_read_b64 v[44:45], v44
	;; [unrolled: 1-line block ×3, first 2 shown]
	s_waitcnt lgkmcnt(0)
	v_fma_f64 v[10:11], -v[6:7], v[42:43], v[10:11]
	v_lshl_add_u64 v[42:43], s[2:3], 3, v[40:41]
	s_add_i32 s2, s0, -3
	v_fma_f64 v[10:11], -v[8:9], v[44:45], v[10:11]
	s_lshl_b32 s11, s2, 3
	v_mul_f64 v[10:11], v[46:47], v[10:11]
	s_add_i32 s10, s11, s6
	flat_store_dwordx2 v[42:43], v[10:11]
	v_mov_b32_e32 v42, s10
	s_add_i32 s10, s11, s7
	v_mov_b32_e32 v44, s10
	s_add_i32 s10, s11, s9
	;; [unrolled: 2-line block ×3, first 2 shown]
	s_add_i32 s11, s11, s10
	v_mov_b32_e32 v48, s11
	ds_read_b64 v[42:43], v42
	ds_read_b64 v[44:45], v44
	;; [unrolled: 1-line block ×4, first 2 shown]
	s_waitcnt lgkmcnt(0)
	v_fma_f64 v[14:15], -v[6:7], v[42:43], v[14:15]
	v_fma_f64 v[14:15], -v[8:9], v[44:45], v[14:15]
	v_lshl_add_u64 v[42:43], s[2:3], 3, v[40:41]
	s_add_i32 s2, s0, -4
	v_fma_f64 v[14:15], -v[10:11], v[46:47], v[14:15]
	s_lshl_b32 s12, s2, 3
	v_mul_f64 v[14:15], v[48:49], v[14:15]
	s_add_i32 s11, s12, s6
	flat_store_dwordx2 v[42:43], v[14:15]
	v_mov_b32_e32 v42, s11
	s_add_i32 s11, s12, s7
	v_mov_b32_e32 v44, s11
	s_add_i32 s11, s12, s9
	;; [unrolled: 2-line block ×4, first 2 shown]
	s_add_i32 s12, s12, s11
	ds_read_b64 v[42:43], v42
	ds_read_b64 v[44:45], v44
	ds_read_b64 v[46:47], v46
	ds_read_b64 v[48:49], v48
	v_mov_b32_e32 v50, s12
	ds_read_b64 v[50:51], v50
	s_waitcnt lgkmcnt(0)
	v_fma_f64 v[16:17], -v[6:7], v[42:43], v[16:17]
	v_fma_f64 v[16:17], -v[8:9], v[44:45], v[16:17]
	;; [unrolled: 1-line block ×3, first 2 shown]
	v_lshl_add_u64 v[42:43], s[2:3], 3, v[40:41]
	s_add_i32 s2, s0, -5
	v_fma_f64 v[16:17], -v[14:15], v[48:49], v[16:17]
	s_lshl_b32 s13, s2, 3
	v_mul_f64 v[16:17], v[50:51], v[16:17]
	s_add_i32 s12, s13, s6
	flat_store_dwordx2 v[42:43], v[16:17]
	v_mov_b32_e32 v42, s12
	ds_read_b64 v[42:43], v42
	s_add_i32 s12, s13, s7
	v_mov_b32_e32 v44, s12
	s_add_i32 s12, s13, s9
	v_mov_b32_e32 v46, s12
	s_add_i32 s12, s13, s10
	v_mov_b32_e32 v48, s12
	s_add_i32 s12, s13, s11
	s_waitcnt lgkmcnt(0)
	v_fma_f64 v[18:19], -v[6:7], v[42:43], v[18:19]
	v_mov_b32_e32 v42, s12
	s_add_i32 s12, s6, 0xfffffc40
	ds_read_b64 v[44:45], v44
	ds_read_b64 v[46:47], v46
	;; [unrolled: 1-line block ×3, first 2 shown]
	s_add_i32 s13, s13, s12
	v_mov_b32_e32 v50, s13
	ds_read_b64 v[42:43], v42
	ds_read_b64 v[50:51], v50
	s_waitcnt lgkmcnt(0)
	v_fma_f64 v[18:19], -v[8:9], v[44:45], v[18:19]
	v_fma_f64 v[18:19], -v[10:11], v[46:47], v[18:19]
	;; [unrolled: 1-line block ×4, first 2 shown]
	v_lshl_add_u64 v[42:43], s[2:3], 3, v[40:41]
	s_add_i32 s2, s0, -6
	s_lshl_b32 s14, s2, 3
	v_mul_f64 v[18:19], v[50:51], v[18:19]
	s_add_i32 s13, s14, s6
	flat_store_dwordx2 v[42:43], v[18:19]
	v_mov_b32_e32 v42, s13
	s_add_i32 s13, s14, s7
	v_mov_b32_e32 v44, s13
	ds_read_b64 v[42:43], v42
	ds_read_b64 v[44:45], v44
	s_add_i32 s13, s14, s9
	v_mov_b32_e32 v46, s13
	s_add_i32 s13, s14, s10
	v_mov_b32_e32 v48, s13
	s_add_i32 s13, s14, s11
	s_waitcnt lgkmcnt(0)
	v_fma_f64 v[22:23], -v[6:7], v[42:43], v[22:23]
	v_mov_b32_e32 v42, s13
	s_add_i32 s13, s14, s12
	ds_read_b64 v[46:47], v46
	ds_read_b64 v[48:49], v48
	v_fma_f64 v[22:23], -v[8:9], v[44:45], v[22:23]
	v_mov_b32_e32 v44, s13
	s_add_i32 s13, s6, 0xfffffb80
	s_add_i32 s14, s14, s13
	v_mov_b32_e32 v50, s14
	ds_read_b64 v[42:43], v42
	ds_read_b64 v[44:45], v44
	;; [unrolled: 1-line block ×3, first 2 shown]
	s_waitcnt lgkmcnt(0)
	v_fma_f64 v[22:23], -v[10:11], v[46:47], v[22:23]
	v_fma_f64 v[22:23], -v[14:15], v[48:49], v[22:23]
	;; [unrolled: 1-line block ×3, first 2 shown]
	v_lshl_add_u64 v[42:43], s[2:3], 3, v[40:41]
	s_add_i32 s2, s0, -7
	v_fma_f64 v[22:23], -v[18:19], v[44:45], v[22:23]
	s_lshl_b32 s15, s2, 3
	v_mul_f64 v[22:23], v[50:51], v[22:23]
	s_add_i32 s14, s15, s6
	flat_store_dwordx2 v[42:43], v[22:23]
	v_mov_b32_e32 v42, s14
	s_add_i32 s14, s15, s7
	v_mov_b32_e32 v44, s14
	s_add_i32 s14, s15, s9
	v_mov_b32_e32 v46, s14
	ds_read_b64 v[42:43], v42
	ds_read_b64 v[44:45], v44
	;; [unrolled: 1-line block ×3, first 2 shown]
	s_add_i32 s14, s15, s10
	v_mov_b32_e32 v48, s14
	s_add_i32 s14, s15, s11
	s_waitcnt lgkmcnt(0)
	v_fma_f64 v[24:25], -v[6:7], v[42:43], v[24:25]
	v_mov_b32_e32 v42, s14
	s_add_i32 s14, s15, s12
	ds_read_b64 v[48:49], v48
	v_fma_f64 v[24:25], -v[8:9], v[44:45], v[24:25]
	v_mov_b32_e32 v44, s14
	s_add_i32 s14, s15, s13
	v_fma_f64 v[24:25], -v[10:11], v[46:47], v[24:25]
	v_mov_b32_e32 v46, s14
	s_add_i32 s14, s6, 0xfffffac0
	s_add_i32 s15, s15, s14
	v_mov_b32_e32 v50, s15
	ds_read_b64 v[42:43], v42
	ds_read_b64 v[44:45], v44
	;; [unrolled: 1-line block ×4, first 2 shown]
	s_waitcnt lgkmcnt(0)
	v_fma_f64 v[24:25], -v[14:15], v[48:49], v[24:25]
	v_fma_f64 v[24:25], -v[16:17], v[42:43], v[24:25]
	;; [unrolled: 1-line block ×3, first 2 shown]
	v_lshl_add_u64 v[42:43], s[2:3], 3, v[40:41]
	s_add_i32 s2, s0, -8
	v_fma_f64 v[24:25], -v[22:23], v[46:47], v[24:25]
	s_lshl_b32 s16, s2, 3
	v_mul_f64 v[24:25], v[50:51], v[24:25]
	s_add_i32 s15, s16, s6
	flat_store_dwordx2 v[42:43], v[24:25]
	v_mov_b32_e32 v42, s15
	s_add_i32 s15, s16, s7
	v_mov_b32_e32 v44, s15
	s_add_i32 s15, s16, s9
	;; [unrolled: 2-line block ×3, first 2 shown]
	v_mov_b32_e32 v48, s15
	ds_read_b64 v[42:43], v42
	ds_read_b64 v[44:45], v44
	;; [unrolled: 1-line block ×4, first 2 shown]
	s_add_i32 s15, s16, s11
	s_waitcnt lgkmcnt(0)
	v_fma_f64 v[28:29], -v[6:7], v[42:43], v[28:29]
	v_mov_b32_e32 v42, s15
	s_add_i32 s15, s16, s12
	v_fma_f64 v[28:29], -v[8:9], v[44:45], v[28:29]
	v_mov_b32_e32 v44, s15
	s_add_i32 s15, s16, s13
	;; [unrolled: 3-line block ×4, first 2 shown]
	s_add_i32 s16, s16, s15
	ds_read_b64 v[42:43], v42
	ds_read_b64 v[44:45], v44
	;; [unrolled: 1-line block ×4, first 2 shown]
	v_mov_b32_e32 v50, s16
	ds_read_b64 v[50:51], v50
	s_waitcnt lgkmcnt(0)
	v_fma_f64 v[28:29], -v[16:17], v[42:43], v[28:29]
	v_fma_f64 v[28:29], -v[18:19], v[44:45], v[28:29]
	;; [unrolled: 1-line block ×3, first 2 shown]
	v_lshl_add_u64 v[42:43], s[2:3], 3, v[40:41]
	s_add_i32 s2, s0, -9
	v_fma_f64 v[28:29], -v[24:25], v[48:49], v[28:29]
	s_lshl_b32 s17, s2, 3
	v_mul_f64 v[28:29], v[50:51], v[28:29]
	s_add_i32 s16, s17, s6
	flat_store_dwordx2 v[42:43], v[28:29]
	v_mov_b32_e32 v42, s16
	s_add_i32 s16, s17, s7
	v_mov_b32_e32 v44, s16
	s_add_i32 s16, s17, s9
	;; [unrolled: 2-line block ×3, first 2 shown]
	v_mov_b32_e32 v48, s16
	ds_read_b64 v[42:43], v42
	ds_read_b64 v[44:45], v44
	;; [unrolled: 1-line block ×4, first 2 shown]
	s_add_i32 s16, s17, s11
	s_waitcnt lgkmcnt(0)
	v_fma_f64 v[30:31], -v[6:7], v[42:43], v[30:31]
	v_mov_b32_e32 v42, s16
	ds_read_b64 v[42:43], v42
	s_add_i32 s16, s17, s12
	v_fma_f64 v[30:31], -v[8:9], v[44:45], v[30:31]
	v_mov_b32_e32 v44, s16
	s_add_i32 s16, s17, s13
	v_fma_f64 v[30:31], -v[10:11], v[46:47], v[30:31]
	v_mov_b32_e32 v46, s16
	;; [unrolled: 3-line block ×3, first 2 shown]
	s_add_i32 s16, s17, s15
	s_waitcnt lgkmcnt(0)
	v_fma_f64 v[30:31], -v[16:17], v[42:43], v[30:31]
	v_mov_b32_e32 v42, s16
	s_add_i32 s16, s6, 0xfffff940
	ds_read_b64 v[44:45], v44
	ds_read_b64 v[46:47], v46
	;; [unrolled: 1-line block ×3, first 2 shown]
	s_add_i32 s17, s17, s16
	v_mov_b32_e32 v50, s17
	ds_read_b64 v[42:43], v42
	ds_read_b64 v[50:51], v50
	s_waitcnt lgkmcnt(0)
	v_fma_f64 v[30:31], -v[18:19], v[44:45], v[30:31]
	v_fma_f64 v[30:31], -v[22:23], v[46:47], v[30:31]
	;; [unrolled: 1-line block ×4, first 2 shown]
	v_lshl_add_u64 v[42:43], s[2:3], 3, v[40:41]
	s_add_i32 s2, s0, -10
	s_lshl_b32 s18, s2, 3
	v_mul_f64 v[30:31], v[50:51], v[30:31]
	s_add_i32 s17, s18, s6
	flat_store_dwordx2 v[42:43], v[30:31]
	v_mov_b32_e32 v42, s17
	s_add_i32 s17, s18, s7
	v_mov_b32_e32 v44, s17
	s_add_i32 s17, s18, s9
	v_mov_b32_e32 v46, s17
	s_add_i32 s17, s18, s10
	v_mov_b32_e32 v48, s17
	ds_read_b64 v[42:43], v42
	ds_read_b64 v[44:45], v44
	;; [unrolled: 1-line block ×4, first 2 shown]
	s_add_i32 s17, s18, s11
	s_waitcnt lgkmcnt(0)
	v_fma_f64 v[34:35], -v[6:7], v[42:43], v[34:35]
	v_mov_b32_e32 v42, s17
	s_add_i32 s17, s18, s12
	v_fma_f64 v[34:35], -v[8:9], v[44:45], v[34:35]
	v_mov_b32_e32 v44, s17
	ds_read_b64 v[42:43], v42
	ds_read_b64 v[44:45], v44
	s_add_i32 s17, s18, s13
	v_fma_f64 v[34:35], -v[10:11], v[46:47], v[34:35]
	v_mov_b32_e32 v46, s17
	s_add_i32 s17, s18, s14
	v_fma_f64 v[34:35], -v[14:15], v[48:49], v[34:35]
	v_mov_b32_e32 v48, s17
	s_add_i32 s17, s18, s15
	s_waitcnt lgkmcnt(0)
	v_fma_f64 v[34:35], -v[16:17], v[42:43], v[34:35]
	v_mov_b32_e32 v42, s17
	s_add_i32 s17, s18, s16
	ds_read_b64 v[46:47], v46
	ds_read_b64 v[48:49], v48
	v_fma_f64 v[34:35], -v[18:19], v[44:45], v[34:35]
	v_mov_b32_e32 v44, s17
	s_add_i32 s17, s6, 0xfffff880
	s_add_i32 s18, s18, s17
	v_mov_b32_e32 v50, s18
	ds_read_b64 v[42:43], v42
	ds_read_b64 v[44:45], v44
	;; [unrolled: 1-line block ×3, first 2 shown]
	s_waitcnt lgkmcnt(0)
	v_fma_f64 v[34:35], -v[22:23], v[46:47], v[34:35]
	v_fma_f64 v[34:35], -v[24:25], v[48:49], v[34:35]
	;; [unrolled: 1-line block ×3, first 2 shown]
	v_lshl_add_u64 v[42:43], s[2:3], 3, v[40:41]
	s_add_i32 s2, s0, -11
	v_fma_f64 v[34:35], -v[30:31], v[44:45], v[34:35]
	s_lshl_b32 s19, s2, 3
	v_mul_f64 v[34:35], v[50:51], v[34:35]
	s_add_i32 s18, s19, s6
	flat_store_dwordx2 v[42:43], v[34:35]
	v_mov_b32_e32 v42, s18
	s_add_i32 s18, s19, s7
	v_mov_b32_e32 v44, s18
	s_add_i32 s18, s19, s9
	;; [unrolled: 2-line block ×3, first 2 shown]
	v_mov_b32_e32 v48, s18
	ds_read_b64 v[42:43], v42
	ds_read_b64 v[44:45], v44
	;; [unrolled: 1-line block ×4, first 2 shown]
	s_add_i32 s18, s19, s11
	s_waitcnt lgkmcnt(0)
	v_fma_f64 v[38:39], -v[6:7], v[42:43], v[38:39]
	v_mov_b32_e32 v42, s18
	s_add_i32 s18, s19, s12
	v_fma_f64 v[38:39], -v[8:9], v[44:45], v[38:39]
	v_mov_b32_e32 v44, s18
	s_add_i32 s18, s19, s13
	v_fma_f64 v[38:39], -v[10:11], v[46:47], v[38:39]
	v_mov_b32_e32 v46, s18
	ds_read_b64 v[42:43], v42
	ds_read_b64 v[44:45], v44
	;; [unrolled: 1-line block ×3, first 2 shown]
	s_add_i32 s18, s19, s14
	v_fma_f64 v[38:39], -v[14:15], v[48:49], v[38:39]
	v_mov_b32_e32 v48, s18
	s_add_i32 s18, s19, s15
	s_waitcnt lgkmcnt(0)
	v_fma_f64 v[38:39], -v[16:17], v[42:43], v[38:39]
	v_mov_b32_e32 v42, s18
	s_add_i32 s18, s19, s16
	ds_read_b64 v[48:49], v48
	v_fma_f64 v[38:39], -v[18:19], v[44:45], v[38:39]
	v_mov_b32_e32 v44, s18
	s_add_i32 s18, s19, s17
	v_fma_f64 v[38:39], -v[22:23], v[46:47], v[38:39]
	v_mov_b32_e32 v46, s18
	s_add_i32 s18, s6, 0xfffff7c0
	s_add_i32 s19, s19, s18
	v_mov_b32_e32 v50, s19
	ds_read_b64 v[42:43], v42
	ds_read_b64 v[44:45], v44
	;; [unrolled: 1-line block ×4, first 2 shown]
	s_waitcnt lgkmcnt(0)
	v_fma_f64 v[38:39], -v[24:25], v[48:49], v[38:39]
	v_fma_f64 v[38:39], -v[28:29], v[42:43], v[38:39]
	;; [unrolled: 1-line block ×3, first 2 shown]
	v_lshl_add_u64 v[42:43], s[2:3], 3, v[40:41]
	s_add_i32 s2, s0, -12
	v_fma_f64 v[38:39], -v[34:35], v[46:47], v[38:39]
	s_lshl_b32 s19, s2, 3
	v_mul_f64 v[38:39], v[50:51], v[38:39]
	s_add_i32 s20, s19, s6
	flat_store_dwordx2 v[42:43], v[38:39]
	v_mov_b32_e32 v42, s20
	s_add_i32 s20, s19, s7
	v_mov_b32_e32 v44, s20
	s_add_i32 s20, s19, s9
	v_mov_b32_e32 v46, s20
	ds_read_b64 v[42:43], v42
	ds_read_b64 v[44:45], v44
	;; [unrolled: 1-line block ×3, first 2 shown]
	s_add_i32 s20, s19, s10
	v_mov_b32_e32 v48, s20
	s_add_i32 s20, s19, s11
	ds_read_b64 v[48:49], v48
	s_waitcnt lgkmcnt(0)
	v_fma_f64 v[36:37], -v[6:7], v[42:43], v[36:37]
	v_mov_b32_e32 v42, s20
	s_add_i32 s20, s19, s12
	v_fma_f64 v[36:37], -v[8:9], v[44:45], v[36:37]
	v_mov_b32_e32 v44, s20
	s_add_i32 s20, s19, s13
	;; [unrolled: 3-line block ×3, first 2 shown]
	v_mov_b32_e32 v50, s20
	ds_read_b64 v[42:43], v42
	ds_read_b64 v[44:45], v44
	;; [unrolled: 1-line block ×4, first 2 shown]
	v_fma_f64 v[36:37], -v[14:15], v[48:49], v[36:37]
	s_add_i32 s20, s19, s15
	s_waitcnt lgkmcnt(0)
	v_fma_f64 v[36:37], -v[16:17], v[42:43], v[36:37]
	v_mov_b32_e32 v42, s20
	s_add_i32 s20, s19, s16
	v_fma_f64 v[36:37], -v[18:19], v[44:45], v[36:37]
	v_mov_b32_e32 v44, s20
	s_add_i32 s20, s19, s17
	s_add_i32 s19, s19, s18
	v_fma_f64 v[36:37], -v[22:23], v[46:47], v[36:37]
	v_mov_b32_e32 v46, s20
	v_mov_b32_e32 v48, s19
	s_add_i32 s19, s1, 0xfffff6a0
	v_fma_f64 v[36:37], -v[24:25], v[50:51], v[36:37]
	ds_read_b64 v[42:43], v42
	ds_read_b64 v[44:45], v44
	ds_read_b64 v[46:47], v46
	ds_read_b64 v[48:49], v48
	v_mov_b32_e32 v50, s19
	ds_read_b64 v[50:51], v50
	s_waitcnt lgkmcnt(0)
	v_fma_f64 v[36:37], -v[28:29], v[42:43], v[36:37]
	v_fma_f64 v[36:37], -v[30:31], v[44:45], v[36:37]
	;; [unrolled: 1-line block ×3, first 2 shown]
	v_lshl_add_u64 v[42:43], s[2:3], 3, v[40:41]
	s_add_i32 s2, s0, -13
	v_fma_f64 v[36:37], -v[38:39], v[48:49], v[36:37]
	s_lshl_b32 s20, s2, 3
	v_mul_f64 v[36:37], v[50:51], v[36:37]
	s_add_i32 s19, s20, s6
	flat_store_dwordx2 v[42:43], v[36:37]
	v_mov_b32_e32 v42, s19
	s_add_i32 s19, s20, s7
	v_mov_b32_e32 v44, s19
	s_add_i32 s19, s20, s9
	v_mov_b32_e32 v46, s19
	ds_read_b64 v[42:43], v42
	ds_read_b64 v[44:45], v44
	;; [unrolled: 1-line block ×3, first 2 shown]
	s_add_i32 s19, s20, s10
	v_mov_b32_e32 v48, s19
	s_add_i32 s19, s20, s11
	ds_read_b64 v[48:49], v48
	s_waitcnt lgkmcnt(0)
	v_fma_f64 v[32:33], -v[6:7], v[42:43], v[32:33]
	v_mov_b32_e32 v42, s19
	s_add_i32 s19, s20, s12
	v_fma_f64 v[32:33], -v[8:9], v[44:45], v[32:33]
	v_mov_b32_e32 v44, s19
	s_add_i32 s19, s20, s13
	;; [unrolled: 3-line block ×3, first 2 shown]
	v_mov_b32_e32 v50, s19
	ds_read_b64 v[42:43], v42
	ds_read_b64 v[44:45], v44
	;; [unrolled: 1-line block ×4, first 2 shown]
	v_fma_f64 v[32:33], -v[14:15], v[48:49], v[32:33]
	s_add_i32 s19, s20, s15
	s_waitcnt lgkmcnt(0)
	v_fma_f64 v[32:33], -v[16:17], v[42:43], v[32:33]
	v_mov_b32_e32 v42, s19
	ds_read_b64 v[42:43], v42
	s_add_i32 s19, s20, s16
	v_fma_f64 v[32:33], -v[18:19], v[44:45], v[32:33]
	v_mov_b32_e32 v44, s19
	s_add_i32 s19, s20, s17
	v_fma_f64 v[32:33], -v[22:23], v[46:47], v[32:33]
	v_mov_b32_e32 v46, s19
	s_add_i32 s19, s20, s18
	v_mov_b32_e32 v48, s19
	s_add_i32 s19, s6, 0xfffff700
	v_fma_f64 v[32:33], -v[24:25], v[50:51], v[32:33]
	s_add_i32 s20, s20, s19
	ds_read_b64 v[44:45], v44
	ds_read_b64 v[46:47], v46
	;; [unrolled: 1-line block ×3, first 2 shown]
	s_waitcnt lgkmcnt(0)
	v_fma_f64 v[32:33], -v[28:29], v[42:43], v[32:33]
	v_mov_b32_e32 v42, s20
	s_add_i32 s20, s1, 0xfffff5d8
	v_mov_b32_e32 v50, s20
	ds_read_b64 v[42:43], v42
	ds_read_b64 v[50:51], v50
	v_fma_f64 v[32:33], -v[30:31], v[44:45], v[32:33]
	v_fma_f64 v[32:33], -v[34:35], v[46:47], v[32:33]
	;; [unrolled: 1-line block ×3, first 2 shown]
	s_waitcnt lgkmcnt(0)
	v_fma_f64 v[32:33], -v[36:37], v[42:43], v[32:33]
	v_lshl_add_u64 v[42:43], s[2:3], 3, v[40:41]
	s_add_i32 s2, s0, -14
	s_lshl_b32 s21, s2, 3
	v_mul_f64 v[32:33], v[50:51], v[32:33]
	s_add_i32 s20, s21, s6
	flat_store_dwordx2 v[42:43], v[32:33]
	v_mov_b32_e32 v42, s20
	s_add_i32 s20, s21, s7
	v_mov_b32_e32 v44, s20
	s_add_i32 s20, s21, s9
	v_mov_b32_e32 v46, s20
	ds_read_b64 v[42:43], v42
	ds_read_b64 v[44:45], v44
	;; [unrolled: 1-line block ×3, first 2 shown]
	s_add_i32 s20, s21, s10
	v_mov_b32_e32 v48, s20
	s_add_i32 s20, s21, s11
	ds_read_b64 v[48:49], v48
	s_waitcnt lgkmcnt(0)
	v_fma_f64 v[26:27], -v[6:7], v[42:43], v[26:27]
	v_mov_b32_e32 v42, s20
	s_add_i32 s20, s21, s12
	v_fma_f64 v[26:27], -v[8:9], v[44:45], v[26:27]
	v_mov_b32_e32 v44, s20
	s_add_i32 s20, s21, s13
	;; [unrolled: 3-line block ×3, first 2 shown]
	v_mov_b32_e32 v50, s20
	ds_read_b64 v[42:43], v42
	ds_read_b64 v[44:45], v44
	;; [unrolled: 1-line block ×4, first 2 shown]
	v_fma_f64 v[26:27], -v[14:15], v[48:49], v[26:27]
	s_add_i32 s20, s21, s15
	s_waitcnt lgkmcnt(0)
	v_fma_f64 v[26:27], -v[16:17], v[42:43], v[26:27]
	v_mov_b32_e32 v42, s20
	s_add_i32 s20, s21, s16
	v_fma_f64 v[26:27], -v[18:19], v[44:45], v[26:27]
	v_mov_b32_e32 v44, s20
	ds_read_b64 v[42:43], v42
	ds_read_b64 v[44:45], v44
	s_add_i32 s20, s21, s17
	v_fma_f64 v[26:27], -v[22:23], v[46:47], v[26:27]
	v_mov_b32_e32 v46, s20
	s_add_i32 s20, s21, s18
	v_fma_f64 v[26:27], -v[24:25], v[50:51], v[26:27]
	v_mov_b32_e32 v48, s20
	s_add_i32 s20, s21, s19
	s_waitcnt lgkmcnt(0)
	v_fma_f64 v[26:27], -v[28:29], v[42:43], v[26:27]
	v_mov_b32_e32 v42, s20
	s_add_i32 s20, s6, 0xfffff640
	ds_read_b64 v[46:47], v46
	ds_read_b64 v[48:49], v48
	s_add_i32 s21, s21, s20
	v_fma_f64 v[26:27], -v[30:31], v[44:45], v[26:27]
	v_mov_b32_e32 v44, s21
	s_add_i32 s21, s1, 0xfffff510
	v_mov_b32_e32 v50, s21
	ds_read_b64 v[42:43], v42
	ds_read_b64 v[44:45], v44
	;; [unrolled: 1-line block ×3, first 2 shown]
	s_waitcnt lgkmcnt(0)
	v_fma_f64 v[26:27], -v[34:35], v[46:47], v[26:27]
	v_fma_f64 v[26:27], -v[38:39], v[48:49], v[26:27]
	v_fma_f64 v[26:27], -v[36:37], v[42:43], v[26:27]
	v_lshl_add_u64 v[42:43], s[2:3], 3, v[40:41]
	s_add_i32 s2, s0, -15
	v_fma_f64 v[26:27], -v[32:33], v[44:45], v[26:27]
	s_lshl_b32 s23, s2, 3
	v_mul_f64 v[26:27], v[50:51], v[26:27]
	s_add_i32 s21, s23, s6
	flat_store_dwordx2 v[42:43], v[26:27]
	v_mov_b32_e32 v42, s21
	s_add_i32 s21, s23, s7
	v_mov_b32_e32 v44, s21
	s_add_i32 s21, s23, s9
	v_mov_b32_e32 v46, s21
	ds_read_b64 v[42:43], v42
	ds_read_b64 v[44:45], v44
	;; [unrolled: 1-line block ×3, first 2 shown]
	s_add_i32 s21, s23, s10
	v_mov_b32_e32 v48, s21
	s_add_i32 s21, s23, s11
	ds_read_b64 v[48:49], v48
	s_waitcnt lgkmcnt(0)
	v_fma_f64 v[20:21], -v[6:7], v[42:43], v[20:21]
	v_mov_b32_e32 v42, s21
	s_add_i32 s21, s23, s12
	v_fma_f64 v[20:21], -v[8:9], v[44:45], v[20:21]
	v_mov_b32_e32 v44, s21
	s_add_i32 s21, s23, s13
	;; [unrolled: 3-line block ×3, first 2 shown]
	v_mov_b32_e32 v50, s21
	ds_read_b64 v[42:43], v42
	ds_read_b64 v[44:45], v44
	;; [unrolled: 1-line block ×4, first 2 shown]
	v_fma_f64 v[20:21], -v[14:15], v[48:49], v[20:21]
	s_add_i32 s21, s23, s15
	s_waitcnt lgkmcnt(0)
	v_fma_f64 v[20:21], -v[16:17], v[42:43], v[20:21]
	v_mov_b32_e32 v42, s21
	s_add_i32 s21, s23, s16
	v_fma_f64 v[20:21], -v[18:19], v[44:45], v[20:21]
	v_mov_b32_e32 v44, s21
	s_add_i32 s21, s23, s17
	v_fma_f64 v[20:21], -v[22:23], v[46:47], v[20:21]
	v_mov_b32_e32 v46, s21
	ds_read_b64 v[42:43], v42
	ds_read_b64 v[44:45], v44
	;; [unrolled: 1-line block ×3, first 2 shown]
	s_add_i32 s21, s23, s18
	v_fma_f64 v[20:21], -v[24:25], v[50:51], v[20:21]
	v_mov_b32_e32 v48, s21
	s_add_i32 s21, s23, s19
	s_waitcnt lgkmcnt(0)
	v_fma_f64 v[20:21], -v[28:29], v[42:43], v[20:21]
	v_mov_b32_e32 v42, s21
	s_add_i32 s21, s23, s20
	ds_read_b64 v[48:49], v48
	v_fma_f64 v[20:21], -v[30:31], v[44:45], v[20:21]
	v_mov_b32_e32 v44, s21
	s_add_i32 s21, s6, 0xfffff580
	s_add_i32 s23, s23, s21
	v_fma_f64 v[20:21], -v[34:35], v[46:47], v[20:21]
	v_mov_b32_e32 v46, s23
	s_add_i32 s23, s1, 0xfffff448
	v_mov_b32_e32 v50, s23
	ds_read_b64 v[42:43], v42
	ds_read_b64 v[44:45], v44
	;; [unrolled: 1-line block ×4, first 2 shown]
	s_waitcnt lgkmcnt(0)
	v_fma_f64 v[20:21], -v[38:39], v[48:49], v[20:21]
	v_fma_f64 v[20:21], -v[36:37], v[42:43], v[20:21]
	;; [unrolled: 1-line block ×3, first 2 shown]
	v_lshl_add_u64 v[42:43], s[2:3], 3, v[40:41]
	s_add_i32 s2, s0, -16
	v_fma_f64 v[20:21], -v[26:27], v[46:47], v[20:21]
	s_lshl_b32 s24, s2, 3
	v_mul_f64 v[20:21], v[50:51], v[20:21]
	s_add_i32 s23, s24, s6
	flat_store_dwordx2 v[42:43], v[20:21]
	v_mov_b32_e32 v42, s23
	s_add_i32 s23, s24, s7
	v_mov_b32_e32 v44, s23
	s_add_i32 s23, s24, s9
	;; [unrolled: 2-line block ×3, first 2 shown]
	v_mov_b32_e32 v48, s23
	ds_read_b64 v[42:43], v42
	ds_read_b64 v[44:45], v44
	;; [unrolled: 1-line block ×4, first 2 shown]
	s_add_i32 s23, s24, s11
	s_waitcnt lgkmcnt(0)
	v_fma_f64 v[12:13], -v[6:7], v[42:43], v[12:13]
	v_mov_b32_e32 v42, s23
	s_add_i32 s23, s24, s12
	v_fma_f64 v[12:13], -v[8:9], v[44:45], v[12:13]
	v_mov_b32_e32 v44, s23
	s_add_i32 s23, s24, s13
	v_fma_f64 v[12:13], -v[10:11], v[46:47], v[12:13]
	v_mov_b32_e32 v46, s23
	ds_read_b64 v[42:43], v42
	ds_read_b64 v[44:45], v44
	;; [unrolled: 1-line block ×3, first 2 shown]
	s_add_i32 s23, s24, s14
	v_fma_f64 v[12:13], -v[14:15], v[48:49], v[12:13]
	v_mov_b32_e32 v48, s23
	s_add_i32 s23, s24, s15
	ds_read_b64 v[48:49], v48
	s_waitcnt lgkmcnt(0)
	v_fma_f64 v[12:13], -v[16:17], v[42:43], v[12:13]
	v_mov_b32_e32 v42, s23
	s_add_i32 s23, s24, s16
	v_fma_f64 v[12:13], -v[18:19], v[44:45], v[12:13]
	v_mov_b32_e32 v44, s23
	s_add_i32 s23, s24, s17
	;; [unrolled: 3-line block ×3, first 2 shown]
	v_mov_b32_e32 v50, s23
	ds_read_b64 v[42:43], v42
	ds_read_b64 v[44:45], v44
	;; [unrolled: 1-line block ×4, first 2 shown]
	v_fma_f64 v[12:13], -v[24:25], v[48:49], v[12:13]
	s_add_i32 s23, s24, s19
	s_waitcnt lgkmcnt(0)
	v_fma_f64 v[12:13], -v[28:29], v[42:43], v[12:13]
	v_mov_b32_e32 v42, s23
	s_add_i32 s23, s24, s20
	v_fma_f64 v[12:13], -v[30:31], v[44:45], v[12:13]
	v_mov_b32_e32 v44, s23
	s_add_i32 s23, s24, s21
	v_fma_f64 v[12:13], -v[34:35], v[46:47], v[12:13]
	v_mov_b32_e32 v46, s23
	s_add_i32 s23, s6, 0xfffff4c0
	s_add_i32 s24, s24, s23
	v_mov_b32_e32 v48, s24
	s_add_i32 s24, s1, 0xfffff380
	v_fma_f64 v[12:13], -v[38:39], v[50:51], v[12:13]
	ds_read_b64 v[42:43], v42
	ds_read_b64 v[44:45], v44
	;; [unrolled: 1-line block ×4, first 2 shown]
	v_mov_b32_e32 v50, s24
	ds_read_b64 v[50:51], v50
	s_waitcnt lgkmcnt(0)
	v_fma_f64 v[12:13], -v[36:37], v[42:43], v[12:13]
	v_fma_f64 v[12:13], -v[32:33], v[44:45], v[12:13]
	v_fma_f64 v[12:13], -v[26:27], v[46:47], v[12:13]
	v_lshl_add_u64 v[42:43], s[2:3], 3, v[40:41]
	s_sub_i32 s2, s0, 17
	v_fma_f64 v[12:13], -v[20:21], v[48:49], v[12:13]
	s_lshl_b32 s25, s2, 3
	v_mul_f64 v[12:13], v[50:51], v[12:13]
	s_add_i32 s24, s25, s6
	flat_store_dwordx2 v[42:43], v[12:13]
	v_mov_b32_e32 v42, s24
	s_add_i32 s24, s25, s7
	v_mov_b32_e32 v44, s24
	s_add_i32 s24, s25, s9
	;; [unrolled: 2-line block ×3, first 2 shown]
	v_mov_b32_e32 v48, s24
	ds_read_b64 v[42:43], v42
	ds_read_b64 v[44:45], v44
	;; [unrolled: 1-line block ×4, first 2 shown]
	s_add_i32 s24, s25, s11
	s_waitcnt lgkmcnt(0)
	v_fma_f64 v[4:5], -v[6:7], v[42:43], v[4:5]
	v_mov_b32_e32 v42, s24
	s_add_i32 s24, s25, s12
	v_fma_f64 v[4:5], -v[8:9], v[44:45], v[4:5]
	v_mov_b32_e32 v44, s24
	s_add_i32 s24, s25, s13
	v_fma_f64 v[4:5], -v[10:11], v[46:47], v[4:5]
	v_mov_b32_e32 v46, s24
	ds_read_b64 v[42:43], v42
	ds_read_b64 v[44:45], v44
	;; [unrolled: 1-line block ×3, first 2 shown]
	s_add_i32 s24, s25, s14
	v_fma_f64 v[4:5], -v[14:15], v[48:49], v[4:5]
	v_mov_b32_e32 v48, s24
	s_add_i32 s24, s25, s15
	ds_read_b64 v[48:49], v48
	s_waitcnt lgkmcnt(0)
	v_fma_f64 v[4:5], -v[16:17], v[42:43], v[4:5]
	v_mov_b32_e32 v42, s24
	s_add_i32 s24, s25, s16
	v_fma_f64 v[4:5], -v[18:19], v[44:45], v[4:5]
	v_mov_b32_e32 v44, s24
	s_add_i32 s24, s25, s17
	;; [unrolled: 3-line block ×3, first 2 shown]
	v_mov_b32_e32 v50, s24
	ds_read_b64 v[42:43], v42
	ds_read_b64 v[44:45], v44
	;; [unrolled: 1-line block ×4, first 2 shown]
	v_fma_f64 v[4:5], -v[24:25], v[48:49], v[4:5]
	s_add_i32 s24, s25, s19
	s_waitcnt lgkmcnt(0)
	v_fma_f64 v[4:5], -v[28:29], v[42:43], v[4:5]
	v_mov_b32_e32 v42, s24
	ds_read_b64 v[42:43], v42
	s_add_i32 s24, s25, s20
	v_fma_f64 v[4:5], -v[30:31], v[44:45], v[4:5]
	v_mov_b32_e32 v44, s24
	s_add_i32 s24, s25, s21
	v_fma_f64 v[4:5], -v[34:35], v[46:47], v[4:5]
	v_mov_b32_e32 v46, s24
	s_add_i32 s24, s25, s23
	v_mov_b32_e32 v48, s24
	s_add_i32 s24, s6, 0xfffff400
	v_fma_f64 v[4:5], -v[38:39], v[50:51], v[4:5]
	s_add_i32 s25, s25, s24
	ds_read_b64 v[44:45], v44
	ds_read_b64 v[46:47], v46
	;; [unrolled: 1-line block ×3, first 2 shown]
	s_waitcnt lgkmcnt(0)
	v_fma_f64 v[4:5], -v[36:37], v[42:43], v[4:5]
	v_mov_b32_e32 v42, s25
	s_add_i32 s25, s1, 0xfffff2b8
	v_mov_b32_e32 v50, s25
	ds_read_b64 v[42:43], v42
	ds_read_b64 v[50:51], v50
	v_fma_f64 v[4:5], -v[32:33], v[44:45], v[4:5]
	v_fma_f64 v[4:5], -v[26:27], v[46:47], v[4:5]
	;; [unrolled: 1-line block ×3, first 2 shown]
	s_waitcnt lgkmcnt(0)
	v_fma_f64 v[4:5], -v[12:13], v[42:43], v[4:5]
	v_lshl_add_u64 v[42:43], s[2:3], 3, v[40:41]
	s_sub_i32 s2, s0, 18
	s_lshl_b32 s25, s2, 3
	v_mul_f64 v[4:5], v[50:51], v[4:5]
	s_add_i32 s26, s25, s6
	flat_store_dwordx2 v[42:43], v[4:5]
	v_mov_b32_e32 v42, s26
	s_add_i32 s26, s25, s7
	v_mov_b32_e32 v44, s26
	s_add_i32 s26, s25, s9
	;; [unrolled: 2-line block ×3, first 2 shown]
	v_mov_b32_e32 v48, s26
	ds_read_b64 v[42:43], v42
	ds_read_b64 v[44:45], v44
	;; [unrolled: 1-line block ×4, first 2 shown]
	s_add_i32 s26, s25, s11
	s_waitcnt lgkmcnt(0)
	v_fma_f64 v[2:3], -v[6:7], v[42:43], v[2:3]
	v_mov_b32_e32 v42, s26
	s_add_i32 s26, s25, s12
	v_fma_f64 v[2:3], -v[8:9], v[44:45], v[2:3]
	v_mov_b32_e32 v44, s26
	s_add_i32 s26, s25, s13
	v_fma_f64 v[2:3], -v[10:11], v[46:47], v[2:3]
	v_mov_b32_e32 v46, s26
	ds_read_b64 v[42:43], v42
	ds_read_b64 v[44:45], v44
	;; [unrolled: 1-line block ×3, first 2 shown]
	s_add_i32 s26, s25, s14
	v_fma_f64 v[2:3], -v[14:15], v[48:49], v[2:3]
	v_mov_b32_e32 v48, s26
	s_add_i32 s26, s25, s15
	ds_read_b64 v[48:49], v48
	s_waitcnt lgkmcnt(0)
	v_fma_f64 v[2:3], -v[16:17], v[42:43], v[2:3]
	v_mov_b32_e32 v42, s26
	s_add_i32 s26, s25, s16
	v_fma_f64 v[2:3], -v[18:19], v[44:45], v[2:3]
	v_mov_b32_e32 v44, s26
	s_add_i32 s26, s25, s17
	;; [unrolled: 3-line block ×3, first 2 shown]
	v_mov_b32_e32 v50, s26
	ds_read_b64 v[42:43], v42
	ds_read_b64 v[44:45], v44
	;; [unrolled: 1-line block ×4, first 2 shown]
	v_fma_f64 v[2:3], -v[24:25], v[48:49], v[2:3]
	s_add_i32 s26, s25, s19
	s_waitcnt lgkmcnt(0)
	v_fma_f64 v[2:3], -v[28:29], v[42:43], v[2:3]
	v_mov_b32_e32 v42, s26
	s_add_i32 s26, s25, s20
	v_fma_f64 v[2:3], -v[30:31], v[44:45], v[2:3]
	v_mov_b32_e32 v44, s26
	ds_read_b64 v[42:43], v42
	ds_read_b64 v[44:45], v44
	s_add_i32 s26, s25, s21
	v_fma_f64 v[2:3], -v[34:35], v[46:47], v[2:3]
	v_mov_b32_e32 v46, s26
	s_add_i32 s26, s25, s23
	v_fma_f64 v[2:3], -v[38:39], v[50:51], v[2:3]
	v_mov_b32_e32 v48, s26
	s_add_i32 s26, s25, s24
	s_waitcnt lgkmcnt(0)
	v_fma_f64 v[2:3], -v[36:37], v[42:43], v[2:3]
	v_mov_b32_e32 v42, s26
	s_add_i32 s26, s6, 0xfffff340
	ds_read_b64 v[46:47], v46
	ds_read_b64 v[48:49], v48
	s_add_i32 s25, s25, s26
	v_fma_f64 v[2:3], -v[32:33], v[44:45], v[2:3]
	v_mov_b32_e32 v44, s25
	s_add_i32 s25, s1, 0xfffff1f0
	v_mov_b32_e32 v50, s25
	ds_read_b64 v[42:43], v42
	ds_read_b64 v[44:45], v44
	ds_read_b64 v[50:51], v50
	s_waitcnt lgkmcnt(0)
	v_fma_f64 v[2:3], -v[26:27], v[46:47], v[2:3]
	v_fma_f64 v[2:3], -v[20:21], v[48:49], v[2:3]
	;; [unrolled: 1-line block ×3, first 2 shown]
	v_lshl_add_u64 v[42:43], s[2:3], 3, v[40:41]
	s_sub_i32 s2, s0, 19
	v_fma_f64 v[2:3], -v[4:5], v[44:45], v[2:3]
	s_lshl_b32 s25, s2, 3
	v_mul_f64 v[2:3], v[50:51], v[2:3]
	s_add_i32 s6, s25, s6
	flat_store_dwordx2 v[42:43], v[2:3]
	v_mov_b32_e32 v42, s6
	s_add_i32 s6, s25, s7
	v_mov_b32_e32 v44, s6
	s_add_i32 s6, s25, s9
	;; [unrolled: 2-line block ×3, first 2 shown]
	v_mov_b32_e32 v48, s6
	ds_read_b64 v[42:43], v42
	ds_read_b64 v[44:45], v44
	;; [unrolled: 1-line block ×4, first 2 shown]
	s_add_i32 s6, s25, s11
	s_waitcnt lgkmcnt(0)
	v_fma_f64 v[0:1], -v[6:7], v[42:43], v[0:1]
	v_mov_b32_e32 v6, s6
	s_add_i32 s6, s25, s12
	v_fma_f64 v[0:1], -v[8:9], v[44:45], v[0:1]
	v_mov_b32_e32 v8, s6
	s_add_i32 s6, s25, s13
	v_fma_f64 v[0:1], -v[10:11], v[46:47], v[0:1]
	v_mov_b32_e32 v10, s6
	ds_read_b64 v[6:7], v6
	ds_read_b64 v[8:9], v8
	;; [unrolled: 1-line block ×3, first 2 shown]
	s_add_i32 s6, s25, s14
	v_fma_f64 v[0:1], -v[14:15], v[48:49], v[0:1]
	v_mov_b32_e32 v14, s6
	s_add_i32 s6, s25, s15
	ds_read_b64 v[14:15], v14
	s_waitcnt lgkmcnt(0)
	v_fma_f64 v[0:1], -v[16:17], v[6:7], v[0:1]
	v_mov_b32_e32 v6, s6
	s_add_i32 s6, s25, s16
	v_fma_f64 v[0:1], -v[18:19], v[8:9], v[0:1]
	v_mov_b32_e32 v8, s6
	s_add_i32 s6, s25, s17
	;; [unrolled: 3-line block ×3, first 2 shown]
	v_mov_b32_e32 v16, s6
	ds_read_b64 v[6:7], v6
	ds_read_b64 v[8:9], v8
	;; [unrolled: 1-line block ×4, first 2 shown]
	v_fma_f64 v[0:1], -v[24:25], v[14:15], v[0:1]
	s_add_i32 s6, s25, s19
	s_waitcnt lgkmcnt(0)
	v_fma_f64 v[0:1], -v[28:29], v[6:7], v[0:1]
	v_mov_b32_e32 v6, s6
	s_add_i32 s6, s25, s20
	v_fma_f64 v[0:1], -v[30:31], v[8:9], v[0:1]
	v_mov_b32_e32 v8, s6
	s_add_i32 s6, s25, s21
	v_fma_f64 v[0:1], -v[34:35], v[10:11], v[0:1]
	v_mov_b32_e32 v10, s6
	ds_read_b64 v[6:7], v6
	ds_read_b64 v[8:9], v8
	;; [unrolled: 1-line block ×3, first 2 shown]
	s_add_i32 s6, s25, s23
	v_mov_b32_e32 v14, s6
	v_fma_f64 v[0:1], -v[38:39], v[16:17], v[0:1]
	ds_read_b64 v[14:15], v14
	s_add_i32 s6, s25, s24
	s_waitcnt lgkmcnt(0)
	v_fma_f64 v[0:1], -v[36:37], v[6:7], v[0:1]
	v_mov_b32_e32 v6, s6
	s_add_i32 s6, s25, s26
	v_fma_f64 v[0:1], -v[32:33], v[8:9], v[0:1]
	v_mov_b32_e32 v8, s6
	s_addk_i32 s6, 0xff40
	s_addk_i32 s1, 0xf128
	v_fma_f64 v[0:1], -v[26:27], v[10:11], v[0:1]
	v_mov_b32_e32 v10, s6
	v_mov_b32_e32 v16, s1
	ds_read_b64 v[6:7], v6
	ds_read_b64 v[8:9], v8
	;; [unrolled: 1-line block ×4, first 2 shown]
	v_fma_f64 v[0:1], -v[20:21], v[14:15], v[0:1]
	s_waitcnt lgkmcnt(0)
	v_fma_f64 v[0:1], -v[12:13], v[6:7], v[0:1]
	v_fma_f64 v[0:1], -v[4:5], v[8:9], v[0:1]
	;; [unrolled: 1-line block ×3, first 2 shown]
	v_mul_f64 v[0:1], v[16:17], v[0:1]
	v_lshl_add_u64 v[2:3], s[2:3], 3, v[40:41]
	s_sub_i32 s0, s0, 20
	flat_store_dwordx2 v[2:3], v[0:1]
.LBB93_34:
	s_cmp_lt_i32 s0, 0
	s_cbranch_scc1 .LBB93_51
; %bb.35:
	s_and_b32 s1, s0, 3
	s_cmp_eq_u32 s1, 3
	s_mul_i32 s1, s22, 0xc0
	s_mov_b32 s2, s0
	s_cbranch_scc1 .LBB93_40
; %bb.36:
	s_add_i32 s2, s0, 1
	s_and_b32 s9, s2, 3
	s_lshl_b32 s2, s0, 3
	s_add_i32 s2, s1, s2
	s_add_i32 s10, s2, 0xffffff40
	s_mov_b32 s7, 0
	s_mov_b32 s2, s0
	;; [unrolled: 1-line block ×3, first 2 shown]
	s_branch .LBB93_38
.LBB93_37:                              ;   in Loop: Header=BB93_38 Depth=1
	s_mul_i32 s3, s2, 0xc8
	v_mov_b32_e32 v4, s3
	ds_read_b64 v[4:5], v4
	s_add_i32 s2, s2, -1
	s_add_i32 s11, s11, 1
	s_add_i32 s10, s10, -8
	s_cmp_lg_u32 s11, s9
	s_waitcnt lgkmcnt(0)
	v_mul_f64 v[2:3], v[4:5], v[2:3]
	flat_store_dwordx2 v[0:1], v[2:3]
	s_cbranch_scc0 .LBB93_40
.LBB93_38:                              ; =>This Loop Header: Depth=1
                                        ;     Child Loop BB93_39 Depth 2
	s_mov_b32 s3, s7
	v_lshl_add_u64 v[0:1], s[2:3], 3, v[40:41]
	flat_load_dwordx2 v[2:3], v[0:1]
	s_cmp_le_i32 s8, s2
	s_mov_b32 s3, s10
	s_mov_b32 s6, s8
	s_waitcnt vmcnt(0) lgkmcnt(0)
	v_mul_f64 v[2:3], s[4:5], v[2:3]
	s_cbranch_scc1 .LBB93_37
.LBB93_39:                              ;   Parent Loop BB93_38 Depth=1
                                        ; =>  This Inner Loop Header: Depth=2
	v_lshl_add_u64 v[4:5], s[6:7], 3, v[40:41]
	flat_load_dwordx2 v[4:5], v[4:5]
	v_mov_b32_e32 v6, s3
	ds_read_b64 v[6:7], v6
	s_add_i32 s6, s6, -1
	s_addk_i32 s3, 0xff40
	s_cmp_gt_i32 s6, s2
	s_waitcnt vmcnt(0) lgkmcnt(0)
	v_fma_f64 v[2:3], -v[4:5], v[6:7], v[2:3]
	s_cbranch_scc1 .LBB93_39
	s_branch .LBB93_37
.LBB93_40:
	s_cmp_lt_u32 s0, 3
	s_cbranch_scc1 .LBB93_51
; %bb.41:
	s_lshl_b32 s0, s2, 3
	s_add_i32 s0, s1, s0
	s_add_i32 s9, s0, 0xffffff40
	;; [unrolled: 1-line block ×5, first 2 shown]
	s_mov_b32 s1, 0
	s_branch .LBB93_43
.LBB93_42:                              ;   in Loop: Header=BB93_43 Depth=1
	s_add_i32 s0, s3, 0xffffff38
	v_mov_b32_e32 v4, s0
	ds_read_b64 v[4:5], v4
	s_add_i32 s0, s2, -4
	s_sub_i32 s9, s9, 32
	s_sub_i32 s10, s10, 32
	;; [unrolled: 1-line block ×4, first 2 shown]
	s_waitcnt lgkmcnt(0)
	v_mul_f64 v[2:3], v[4:5], v[2:3]
	s_cmp_lt_i32 s2, 4
	s_mov_b32 s2, s0
	flat_store_dwordx2 v[0:1], v[2:3]
	s_cbranch_scc1 .LBB93_51
.LBB93_43:                              ; =>This Loop Header: Depth=1
                                        ;     Child Loop BB93_44 Depth 2
                                        ;     Child Loop BB93_46 Depth 2
	;; [unrolled: 1-line block ×4, first 2 shown]
	s_mov_b32 s3, s1
	v_lshl_add_u64 v[2:3], s[2:3], 3, v[40:41]
	flat_load_dwordx2 v[0:1], v[2:3]
	s_cmp_le_i32 s8, s2
	s_mov_b32 s3, s9
	s_mov_b32 s0, s8
	s_waitcnt vmcnt(0) lgkmcnt(0)
	v_mul_f64 v[4:5], s[4:5], v[0:1]
	s_cbranch_scc1 .LBB93_45
.LBB93_44:                              ;   Parent Loop BB93_43 Depth=1
                                        ; =>  This Inner Loop Header: Depth=2
	v_lshl_add_u64 v[0:1], s[0:1], 3, v[40:41]
	flat_load_dwordx2 v[0:1], v[0:1]
	v_mov_b32_e32 v6, s3
	ds_read_b64 v[6:7], v6
	s_add_i32 s0, s0, -1
	s_addk_i32 s3, 0xff40
	s_cmp_gt_i32 s0, s2
	s_waitcnt vmcnt(0) lgkmcnt(0)
	v_fma_f64 v[4:5], -v[0:1], v[6:7], v[4:5]
	s_cbranch_scc1 .LBB93_44
.LBB93_45:                              ;   in Loop: Header=BB93_43 Depth=1
	s_add_i32 s0, s2, -1
	v_lshl_add_u64 v[0:1], s[0:1], 3, v[40:41]
	flat_load_dwordx2 v[6:7], v[0:1]
	s_mul_i32 s3, s2, 0xc8
	v_mov_b32_e32 v8, s3
	ds_read_b64 v[8:9], v8
	s_mov_b32 s6, s10
	s_cmp_le_i32 s22, s2
	s_mov_b32 s0, s22
	s_waitcnt lgkmcnt(0)
	v_mul_f64 v[4:5], v[8:9], v[4:5]
	flat_store_dwordx2 v[2:3], v[4:5]
	s_waitcnt vmcnt(0)
	v_mul_f64 v[4:5], s[4:5], v[6:7]
	s_cbranch_scc1 .LBB93_47
.LBB93_46:                              ;   Parent Loop BB93_43 Depth=1
                                        ; =>  This Inner Loop Header: Depth=2
	s_add_i32 s0, s0, -1
	v_lshl_add_u64 v[2:3], s[0:1], 3, v[40:41]
	flat_load_dwordx2 v[2:3], v[2:3]
	v_mov_b32_e32 v6, s6
	ds_read_b64 v[6:7], v6
	s_addk_i32 s6, 0xff40
	s_cmp_gt_i32 s0, s2
	s_waitcnt vmcnt(0) lgkmcnt(0)
	v_fma_f64 v[4:5], -v[2:3], v[6:7], v[4:5]
	s_cbranch_scc1 .LBB93_46
.LBB93_47:                              ;   in Loop: Header=BB93_43 Depth=1
	s_add_i32 s6, s2, -2
	s_mov_b32 s7, s1
	v_lshl_add_u64 v[2:3], s[6:7], 3, v[40:41]
	flat_load_dwordx2 v[6:7], v[2:3]
	s_addk_i32 s3, 0xff38
	v_mov_b32_e32 v8, s3
	ds_read_b64 v[8:9], v8
	s_mov_b32 s7, s11
	s_cmp_le_i32 s8, s6
	s_mov_b32 s0, s8
	s_waitcnt lgkmcnt(0)
	v_mul_f64 v[4:5], v[8:9], v[4:5]
	flat_store_dwordx2 v[0:1], v[4:5]
	s_waitcnt vmcnt(0)
	v_mul_f64 v[4:5], s[4:5], v[6:7]
	s_cbranch_scc1 .LBB93_49
.LBB93_48:                              ;   Parent Loop BB93_43 Depth=1
                                        ; =>  This Inner Loop Header: Depth=2
	v_lshl_add_u64 v[0:1], s[0:1], 3, v[40:41]
	flat_load_dwordx2 v[0:1], v[0:1]
	v_mov_b32_e32 v6, s7
	ds_read_b64 v[6:7], v6
	s_add_i32 s0, s0, -1
	s_addk_i32 s7, 0xff40
	s_cmp_gt_i32 s0, s6
	s_waitcnt vmcnt(0) lgkmcnt(0)
	v_fma_f64 v[4:5], -v[0:1], v[6:7], v[4:5]
	s_cbranch_scc1 .LBB93_48
.LBB93_49:                              ;   in Loop: Header=BB93_43 Depth=1
	s_add_i32 s6, s2, -3
	s_mov_b32 s7, s1
	v_lshl_add_u64 v[0:1], s[6:7], 3, v[40:41]
	flat_load_dwordx2 v[6:7], v[0:1]
	s_addk_i32 s3, 0xff38
	v_mov_b32_e32 v8, s3
	ds_read_b64 v[8:9], v8
	s_mov_b32 s7, s12
	s_cmp_le_i32 s8, s6
	s_mov_b32 s0, s8
	s_waitcnt lgkmcnt(0)
	v_mul_f64 v[4:5], v[8:9], v[4:5]
	flat_store_dwordx2 v[2:3], v[4:5]
	s_waitcnt vmcnt(0)
	v_mul_f64 v[2:3], s[4:5], v[6:7]
	s_cbranch_scc1 .LBB93_42
.LBB93_50:                              ;   Parent Loop BB93_43 Depth=1
                                        ; =>  This Inner Loop Header: Depth=2
	v_lshl_add_u64 v[4:5], s[0:1], 3, v[40:41]
	flat_load_dwordx2 v[4:5], v[4:5]
	v_mov_b32_e32 v6, s7
	ds_read_b64 v[6:7], v6
	s_add_i32 s0, s0, -1
	s_addk_i32 s7, 0xff40
	s_cmp_gt_i32 s0, s6
	s_waitcnt vmcnt(0) lgkmcnt(0)
	v_fma_f64 v[2:3], -v[4:5], v[6:7], v[2:3]
	s_cbranch_scc1 .LBB93_50
	s_branch .LBB93_42
.LBB93_51:
	s_endpgm
	.section	.rodata,"a",@progbits
	.p2align	6, 0x0
	.amdhsa_kernel _ZL30rocblas_trsm_small_left_deviceILi24ELi24ELb0EddPKPKdPKPdEv13rocblas_fill_18rocblas_operation_17rocblas_diagonal_iiT3_T4_lilT5_lili
		.amdhsa_group_segment_fixed_size 4608
		.amdhsa_private_segment_fixed_size 0
		.amdhsa_kernarg_size 360
		.amdhsa_user_sgpr_count 2
		.amdhsa_user_sgpr_dispatch_ptr 0
		.amdhsa_user_sgpr_queue_ptr 0
		.amdhsa_user_sgpr_kernarg_segment_ptr 1
		.amdhsa_user_sgpr_dispatch_id 0
		.amdhsa_user_sgpr_kernarg_preload_length 0
		.amdhsa_user_sgpr_kernarg_preload_offset 0
		.amdhsa_user_sgpr_private_segment_size 0
		.amdhsa_uses_dynamic_stack 0
		.amdhsa_enable_private_segment 0
		.amdhsa_system_sgpr_workgroup_id_x 1
		.amdhsa_system_sgpr_workgroup_id_y 0
		.amdhsa_system_sgpr_workgroup_id_z 1
		.amdhsa_system_sgpr_workgroup_info 0
		.amdhsa_system_vgpr_workitem_id 0
		.amdhsa_next_free_vgpr 72
		.amdhsa_next_free_sgpr 27
		.amdhsa_accum_offset 72
		.amdhsa_reserve_vcc 1
		.amdhsa_float_round_mode_32 0
		.amdhsa_float_round_mode_16_64 0
		.amdhsa_float_denorm_mode_32 3
		.amdhsa_float_denorm_mode_16_64 3
		.amdhsa_dx10_clamp 1
		.amdhsa_ieee_mode 1
		.amdhsa_fp16_overflow 0
		.amdhsa_tg_split 0
		.amdhsa_exception_fp_ieee_invalid_op 0
		.amdhsa_exception_fp_denorm_src 0
		.amdhsa_exception_fp_ieee_div_zero 0
		.amdhsa_exception_fp_ieee_overflow 0
		.amdhsa_exception_fp_ieee_underflow 0
		.amdhsa_exception_fp_ieee_inexact 0
		.amdhsa_exception_int_div_zero 0
	.end_amdhsa_kernel
	.section	.text._ZL30rocblas_trsm_small_left_deviceILi24ELi24ELb0EddPKPKdPKPdEv13rocblas_fill_18rocblas_operation_17rocblas_diagonal_iiT3_T4_lilT5_lili,"axG",@progbits,_ZL30rocblas_trsm_small_left_deviceILi24ELi24ELb0EddPKPKdPKPdEv13rocblas_fill_18rocblas_operation_17rocblas_diagonal_iiT3_T4_lilT5_lili,comdat
.Lfunc_end93:
	.size	_ZL30rocblas_trsm_small_left_deviceILi24ELi24ELb0EddPKPKdPKPdEv13rocblas_fill_18rocblas_operation_17rocblas_diagonal_iiT3_T4_lilT5_lili, .Lfunc_end93-_ZL30rocblas_trsm_small_left_deviceILi24ELi24ELb0EddPKPKdPKPdEv13rocblas_fill_18rocblas_operation_17rocblas_diagonal_iiT3_T4_lilT5_lili
                                        ; -- End function
	.set _ZL30rocblas_trsm_small_left_deviceILi24ELi24ELb0EddPKPKdPKPdEv13rocblas_fill_18rocblas_operation_17rocblas_diagonal_iiT3_T4_lilT5_lili.num_vgpr, 72
	.set _ZL30rocblas_trsm_small_left_deviceILi24ELi24ELb0EddPKPKdPKPdEv13rocblas_fill_18rocblas_operation_17rocblas_diagonal_iiT3_T4_lilT5_lili.num_agpr, 0
	.set _ZL30rocblas_trsm_small_left_deviceILi24ELi24ELb0EddPKPKdPKPdEv13rocblas_fill_18rocblas_operation_17rocblas_diagonal_iiT3_T4_lilT5_lili.numbered_sgpr, 27
	.set _ZL30rocblas_trsm_small_left_deviceILi24ELi24ELb0EddPKPKdPKPdEv13rocblas_fill_18rocblas_operation_17rocblas_diagonal_iiT3_T4_lilT5_lili.num_named_barrier, 0
	.set _ZL30rocblas_trsm_small_left_deviceILi24ELi24ELb0EddPKPKdPKPdEv13rocblas_fill_18rocblas_operation_17rocblas_diagonal_iiT3_T4_lilT5_lili.private_seg_size, 0
	.set _ZL30rocblas_trsm_small_left_deviceILi24ELi24ELb0EddPKPKdPKPdEv13rocblas_fill_18rocblas_operation_17rocblas_diagonal_iiT3_T4_lilT5_lili.uses_vcc, 1
	.set _ZL30rocblas_trsm_small_left_deviceILi24ELi24ELb0EddPKPKdPKPdEv13rocblas_fill_18rocblas_operation_17rocblas_diagonal_iiT3_T4_lilT5_lili.uses_flat_scratch, 0
	.set _ZL30rocblas_trsm_small_left_deviceILi24ELi24ELb0EddPKPKdPKPdEv13rocblas_fill_18rocblas_operation_17rocblas_diagonal_iiT3_T4_lilT5_lili.has_dyn_sized_stack, 0
	.set _ZL30rocblas_trsm_small_left_deviceILi24ELi24ELb0EddPKPKdPKPdEv13rocblas_fill_18rocblas_operation_17rocblas_diagonal_iiT3_T4_lilT5_lili.has_recursion, 0
	.set _ZL30rocblas_trsm_small_left_deviceILi24ELi24ELb0EddPKPKdPKPdEv13rocblas_fill_18rocblas_operation_17rocblas_diagonal_iiT3_T4_lilT5_lili.has_indirect_call, 0
	.section	.AMDGPU.csdata,"",@progbits
; Kernel info:
; codeLenInByte = 22140
; TotalNumSgprs: 33
; NumVgprs: 72
; NumAgprs: 0
; TotalNumVgprs: 72
; ScratchSize: 0
; MemoryBound: 1
; FloatMode: 240
; IeeeMode: 1
; LDSByteSize: 4608 bytes/workgroup (compile time only)
; SGPRBlocks: 4
; VGPRBlocks: 8
; NumSGPRsForWavesPerEU: 33
; NumVGPRsForWavesPerEU: 72
; AccumOffset: 72
; Occupancy: 7
; WaveLimiterHint : 1
; COMPUTE_PGM_RSRC2:SCRATCH_EN: 0
; COMPUTE_PGM_RSRC2:USER_SGPR: 2
; COMPUTE_PGM_RSRC2:TRAP_HANDLER: 0
; COMPUTE_PGM_RSRC2:TGID_X_EN: 1
; COMPUTE_PGM_RSRC2:TGID_Y_EN: 0
; COMPUTE_PGM_RSRC2:TGID_Z_EN: 1
; COMPUTE_PGM_RSRC2:TIDIG_COMP_CNT: 0
; COMPUTE_PGM_RSRC3_GFX90A:ACCUM_OFFSET: 17
; COMPUTE_PGM_RSRC3_GFX90A:TG_SPLIT: 0
	.section	.text._ZL38rocblas_trsm_small_left_device_sharedBILi24ELi24ELb1EddPKPKdPKPdEv13rocblas_fill_18rocblas_operation_17rocblas_diagonal_iiT3_T4_lilT5_lili,"axG",@progbits,_ZL38rocblas_trsm_small_left_device_sharedBILi24ELi24ELb1EddPKPKdPKPdEv13rocblas_fill_18rocblas_operation_17rocblas_diagonal_iiT3_T4_lilT5_lili,comdat
	.globl	_ZL38rocblas_trsm_small_left_device_sharedBILi24ELi24ELb1EddPKPKdPKPdEv13rocblas_fill_18rocblas_operation_17rocblas_diagonal_iiT3_T4_lilT5_lili ; -- Begin function _ZL38rocblas_trsm_small_left_device_sharedBILi24ELi24ELb1EddPKPKdPKPdEv13rocblas_fill_18rocblas_operation_17rocblas_diagonal_iiT3_T4_lilT5_lili
	.p2align	8
	.type	_ZL38rocblas_trsm_small_left_device_sharedBILi24ELi24ELb1EddPKPKdPKPdEv13rocblas_fill_18rocblas_operation_17rocblas_diagonal_iiT3_T4_lilT5_lili,@function
_ZL38rocblas_trsm_small_left_device_sharedBILi24ELi24ELb1EddPKPKdPKPdEv13rocblas_fill_18rocblas_operation_17rocblas_diagonal_iiT3_T4_lilT5_lili: ; @_ZL38rocblas_trsm_small_left_device_sharedBILi24ELi24ELb1EddPKPKdPKPdEv13rocblas_fill_18rocblas_operation_17rocblas_diagonal_iiT3_T4_lilT5_lili
; %bb.0:
	s_load_dwordx2 s[18:19], s[0:1], 0x28
	s_load_dwordx4 s[12:15], s[0:1], 0x40
	s_load_dwordx4 s[4:7], s[0:1], 0x4
	;; [unrolled: 1-line block ×3, first 2 shown]
	s_mov_b32 s16, s3
	s_mov_b32 s17, 0
	s_lshl_b64 s[20:21], s[16:17], 3
	s_waitcnt lgkmcnt(0)
	s_add_u32 s12, s12, s20
	s_addc_u32 s13, s13, s21
	s_load_dwordx2 s[12:13], s[12:13], 0x0
	s_min_i32 s22, s6, 24
	v_cmp_gt_i32_e32 vcc, s22, v0
	s_and_saveexec_b64 s[16:17], vcc
	s_cbranch_execz .LBB94_6
; %bb.1:
	s_load_dword s24, s[0:1], 0x30
	v_lshlrev_b32_e32 v2, 3, v0
	v_mov_b32_e32 v3, 0
	v_mov_b32_e32 v1, v2
	s_mov_b32 s3, s22
	s_waitcnt lgkmcnt(0)
	s_ashr_i32 s25, s24, 31
	s_add_u32 s10, s10, s20
	s_addc_u32 s11, s11, s21
	s_load_dwordx2 s[10:11], s[10:11], 0x0
	s_lshl_b64 s[18:19], s[18:19], 3
	s_waitcnt lgkmcnt(0)
	s_add_u32 s18, s10, s18
	s_addc_u32 s19, s11, s19
	s_lshl_b64 s[10:11], s[24:25], 3
	v_lshl_add_u64 v[4:5], s[18:19], 0, v[2:3]
.LBB94_2:                               ; =>This Inner Loop Header: Depth=1
	flat_load_dwordx2 v[6:7], v[4:5]
	s_add_i32 s3, s3, -1
	v_lshl_add_u64 v[4:5], v[4:5], 0, s[10:11]
	s_cmp_eq_u32 s3, 0
	s_waitcnt vmcnt(0) lgkmcnt(0)
	ds_write_b64 v1, v[6:7]
	v_add_u32_e32 v1, 0xc0, v1
	s_cbranch_scc0 .LBB94_2
; %bb.3:
	v_mul_u32_u24_e32 v1, 0xc0, v0
	s_cmpk_lg_i32 s5, 0x84
	v_mov_b64_e32 v[4:5], 1.0
	v_add_u32_e32 v1, v2, v1
	s_cbranch_scc0 .LBB94_5
; %bb.4:
	ds_read_b64 v[2:3], v1
	s_waitcnt lgkmcnt(0)
	v_div_scale_f64 v[4:5], s[10:11], v[2:3], v[2:3], 1.0
	v_rcp_f64_e32 v[6:7], v[4:5]
	v_div_scale_f64 v[8:9], vcc, 1.0, v[2:3], 1.0
	v_fma_f64 v[10:11], -v[4:5], v[6:7], 1.0
	v_fmac_f64_e32 v[6:7], v[6:7], v[10:11]
	v_fma_f64 v[10:11], -v[4:5], v[6:7], 1.0
	v_fmac_f64_e32 v[6:7], v[6:7], v[10:11]
	v_mul_f64 v[10:11], v[8:9], v[6:7]
	v_fma_f64 v[4:5], -v[4:5], v[10:11], v[8:9]
	v_div_fmas_f64 v[4:5], v[4:5], v[6:7], v[10:11]
	v_div_fixup_f64 v[4:5], v[4:5], v[2:3], 1.0
.LBB94_5:
	ds_write_b64 v1, v[4:5]
.LBB94_6:
	s_or_b64 exec, exec, s[16:17]
	s_load_dword s3, s[0:1], 0x68
	s_load_dword s16, s[0:1], 0x50
	s_lshl_b64 s[0:1], s[14:15], 3
	s_waitcnt lgkmcnt(0)
	s_add_u32 s5, s12, s0
	s_mul_i32 s0, s2, 0xffffffe8
	s_addc_u32 s10, s13, s1
	s_add_i32 s3, s3, -1
	s_add_i32 s0, s7, s0
	s_cmp_ge_u32 s2, s3
	s_mul_i32 s2, s2, 24
	s_cselect_b32 s7, s0, 24
	s_mul_hi_i32 s1, s16, s2
	s_mul_i32 s0, s16, s2
	s_lshl_b64 s[0:1], s[0:1], 3
	s_add_u32 s2, s5, s0
	s_addc_u32 s3, s10, s1
	s_cmp_gt_i32 s6, 0
	v_cmp_gt_i32_e64 s[0:1], s7, v0
	s_cselect_b64 s[10:11], -1, 0
	s_and_b64 s[14:15], s[0:1], s[10:11]
	s_and_saveexec_b64 s[12:13], s[14:15]
	s_cbranch_execz .LBB94_9
; %bb.7:
	v_mad_i64_i32 v[2:3], s[14:15], s16, v0, 0
	v_mov_b32_e32 v1, 0x1200
	v_lshl_add_u64 v[2:3], v[2:3], 3, s[2:3]
	v_lshl_or_b32 v1, v0, 3, v1
	s_mov_b32 s5, s22
.LBB94_8:                               ; =>This Inner Loop Header: Depth=1
	flat_load_dwordx2 v[4:5], v[2:3]
	s_add_i32 s5, s5, -1
	v_lshl_add_u64 v[2:3], v[2:3], 0, 8
	s_cmp_lg_u32 s5, 0
	s_waitcnt vmcnt(0) lgkmcnt(0)
	v_mul_f64 v[4:5], s[8:9], v[4:5]
	ds_write_b64 v1, v[4:5]
	v_add_u32_e32 v1, 0xc0, v1
	s_cbranch_scc1 .LBB94_8
.LBB94_9:
	s_or_b64 exec, exec, s[12:13]
	v_mov_b32_e32 v1, 0x1200
	s_cmpk_eq_i32 s4, 0x6f
	v_lshl_or_b32 v1, v0, 3, v1
	s_mov_b64 s[4:5], -1
	s_waitcnt lgkmcnt(0)
	; wave barrier
	s_cbranch_scc1 .LBB94_32
; %bb.10:
	s_add_i32 s4, s22, -1
	s_cmp_gt_i32 s6, 23
	s_mov_b32 s5, s4
	s_cbranch_scc0 .LBB94_12
; %bb.11:
	s_movk_i32 s7, 0x1000
	v_add_u32_e32 v48, 0x1000, v1
	ds_read2_b64 v[36:39], v48 offset0:16 offset1:40
	v_add_u32_e32 v78, 0x800, v1
	v_add_u32_e32 v51, 0x400, v1
	v_add_u32_e64 v2, s7, 0
	ds_read2_b64 v[40:43], v78 offset0:224 offset1:248
	ds_read2_b64 v[44:47], v78 offset0:176 offset1:200
	;; [unrolled: 1-line block ×11, first 2 shown]
	v_mov_b32_e32 v50, 0
	ds_read_b128 v[60:63], v50 offset:4400
	ds_read2_b64 v[2:5], v1 offset1:24
	ds_read_b128 v[68:71], v50 offset:4000
	s_waitcnt lgkmcnt(4)
	v_mul_f64 v[34:35], v[58:59], v[38:39]
	v_mov_b32_e32 v38, 0x1068
	s_waitcnt lgkmcnt(2)
	v_fma_f64 v[36:37], -v[34:35], v[62:63], v[36:37]
	ds_read2_b64 v[64:67], v38 offset1:1
	v_mul_f64 v[36:37], v[60:61], v[36:37]
	ds_read_b128 v[58:61], v50 offset:4016
	v_fma_f64 v[38:39], -v[34:35], v[56:57], v[42:43]
	s_movk_i32 s8, 0x800
	s_waitcnt lgkmcnt(1)
	v_fma_f64 v[38:39], -v[36:37], v[66:67], v[38:39]
	v_mul_f64 v[38:39], v[64:65], v[38:39]
	s_waitcnt lgkmcnt(0)
	v_fma_f64 v[40:41], -v[34:35], v[60:61], v[40:41]
	v_fma_f64 v[40:41], -v[36:37], v[58:59], v[40:41]
	;; [unrolled: 1-line block ×3, first 2 shown]
	v_add_u32_e64 v70, s8, 0
	ds_read2_b64 v[56:59], v70 offset0:175 offset1:223
	v_mov_b32_e32 v42, 0xee8
	ds_read2_b64 v[60:63], v42 offset1:1
	ds_write2_b64 v48, v[36:37], v[34:35] offset0:16 offset1:40
	v_mul_f64 v[40:41], v[68:69], v[40:41]
	s_waitcnt lgkmcnt(2)
	v_fma_f64 v[42:43], -v[34:35], v[58:59], v[46:47]
	v_mov_b32_e32 v46, 0xed8
	ds_read2_b64 v[46:49], v46 offset1:1
	ds_write2_b64 v78, v[40:41], v[38:39] offset0:224 offset1:248
	s_waitcnt lgkmcnt(3)
	v_fma_f64 v[42:43], -v[36:37], v[62:63], v[42:43]
	ds_read_b128 v[62:65], v50 offset:3616
	ds_read_b128 v[66:69], v50 offset:3632
	v_fma_f64 v[42:43], -v[38:39], v[60:61], v[42:43]
	s_waitcnt lgkmcnt(3)
	v_fma_f64 v[42:43], -v[40:41], v[48:49], v[42:43]
	v_mul_f64 v[42:43], v[46:47], v[42:43]
	ds_read_b128 v[46:49], v50 offset:3600
	s_waitcnt lgkmcnt(1)
	v_fma_f64 v[44:45], -v[34:35], v[68:69], v[44:45]
	v_fma_f64 v[44:45], -v[36:37], v[66:67], v[44:45]
	;; [unrolled: 1-line block ×5, first 2 shown]
	v_mov_b32_e32 v54, 0xd58
	ds_read2_b64 v[54:57], v54 offset1:1
	s_waitcnt lgkmcnt(1)
	v_fma_f64 v[44:45], -v[42:43], v[48:49], v[44:45]
	v_mul_f64 v[44:45], v[46:47], v[44:45]
	v_mov_b32_e32 v46, 0xd68
	ds_read2_b64 v[46:49], v46 offset1:1
	ds_read_b128 v[66:69], v50 offset:3216
	ds_read_b128 v[58:61], v50 offset:3248
	ds_write2_b64 v78, v[44:45], v[42:43] offset0:176 offset1:200
	s_movk_i32 s5, 0x400
	s_waitcnt lgkmcnt(3)
	v_fma_f64 v[48:49], -v[36:37], v[48:49], v[62:63]
	v_fma_f64 v[62:63], -v[38:39], v[46:47], v[48:49]
	v_mov_b32_e32 v46, 0xd48
	ds_read2_b64 v[46:49], v46 offset1:1
	v_fma_f64 v[56:57], -v[40:41], v[56:57], v[62:63]
	v_fma_f64 v[62:63], -v[42:43], v[54:55], v[56:57]
	v_mov_b32_e32 v54, 0xbe8
	ds_read2_b64 v[54:57], v54 offset1:1
	s_waitcnt lgkmcnt(1)
	v_fma_f64 v[48:49], -v[44:45], v[48:49], v[62:63]
	ds_read_b128 v[62:65], v50 offset:3232
	v_mul_f64 v[46:47], v[46:47], v[48:49]
	v_fma_f64 v[48:49], -v[34:35], v[60:61], v[52:53]
	v_fma_f64 v[48:49], -v[36:37], v[58:59], v[48:49]
	ds_read_b128 v[58:61], v50 offset:3200
	s_waitcnt lgkmcnt(1)
	v_fma_f64 v[48:49], -v[38:39], v[64:65], v[48:49]
	v_fma_f64 v[48:49], -v[40:41], v[62:63], v[48:49]
	v_fma_f64 v[48:49], -v[42:43], v[68:69], v[48:49]
	v_fma_f64 v[48:49], -v[44:45], v[66:67], v[48:49]
	ds_read2_b64 v[62:65], v70 offset0:79 offset1:127
	ds_read_b128 v[66:69], v50 offset:2864
	s_waitcnt lgkmcnt(2)
	v_fma_f64 v[48:49], -v[46:47], v[60:61], v[48:49]
	v_mov_b32_e32 v52, 0xbd8
	v_mul_f64 v[48:49], v[58:59], v[48:49]
	ds_read2_b64 v[58:61], v52 offset1:1
	s_waitcnt lgkmcnt(2)
	v_fma_f64 v[32:33], -v[34:35], v[64:65], v[32:33]
	v_fma_f64 v[32:33], -v[36:37], v[56:57], v[32:33]
	v_mov_b32_e32 v52, 0xbc8
	v_fma_f64 v[32:33], -v[38:39], v[54:55], v[32:33]
	ds_read2_b64 v[52:55], v52 offset1:1
	s_waitcnt lgkmcnt(1)
	v_fma_f64 v[32:33], -v[40:41], v[60:61], v[32:33]
	v_mov_b32_e32 v56, 0xbb8
	v_fma_f64 v[32:33], -v[42:43], v[58:59], v[32:33]
	ds_read2_b64 v[56:59], v56 offset1:1
	s_waitcnt lgkmcnt(1)
	v_fma_f64 v[32:33], -v[44:45], v[54:55], v[32:33]
	v_fma_f64 v[32:33], -v[46:47], v[52:53], v[32:33]
	ds_write2_b64 v78, v[48:49], v[46:47] offset0:128 offset1:152
	v_mov_b32_e32 v52, 0xa68
	s_waitcnt lgkmcnt(1)
	v_fma_f64 v[32:33], -v[48:49], v[58:59], v[32:33]
	ds_read2_b64 v[52:55], v52 offset1:1
	v_mul_f64 v[32:33], v[56:57], v[32:33]
	ds_read_b128 v[56:59], v50 offset:2832
	ds_read_b128 v[70:73], v50 offset:2848
	v_fma_f64 v[30:31], -v[34:35], v[68:69], v[30:31]
	v_fma_f64 v[30:31], -v[36:37], v[66:67], v[30:31]
	ds_read_b128 v[64:67], v50 offset:2800
	ds_read_b128 v[74:77], v50 offset:2816
	v_fma_f64 v[28:29], -v[34:35], v[62:63], v[28:29]
	s_waitcnt lgkmcnt(2)
	v_fma_f64 v[30:31], -v[38:39], v[72:73], v[30:31]
	v_fma_f64 v[30:31], -v[40:41], v[70:71], v[30:31]
	;; [unrolled: 1-line block ×4, first 2 shown]
	v_mov_b32_e32 v56, 0xa58
	ds_read2_b64 v[56:59], v56 offset1:1
	v_fma_f64 v[28:29], -v[36:37], v[54:55], v[28:29]
	v_fma_f64 v[28:29], -v[38:39], v[52:53], v[28:29]
	v_mov_b32_e32 v52, 0xa48
	ds_read2_b64 v[52:55], v52 offset1:1
	s_waitcnt lgkmcnt(1)
	v_fma_f64 v[28:29], -v[40:41], v[58:59], v[28:29]
	v_fma_f64 v[28:29], -v[42:43], v[56:57], v[28:29]
	v_mov_b32_e32 v56, 0xa38
	ds_read2_b64 v[56:59], v56 offset1:1
	s_waitcnt lgkmcnt(1)
	v_fma_f64 v[28:29], -v[44:45], v[54:55], v[28:29]
	v_mov_b32_e32 v54, 0xa28
	ds_read2_b64 v[60:63], v54 offset1:1
	v_fma_f64 v[30:31], -v[46:47], v[76:77], v[30:31]
	v_fma_f64 v[30:31], -v[48:49], v[74:75], v[30:31]
	;; [unrolled: 1-line block ×3, first 2 shown]
	ds_read_b128 v[52:55], v50 offset:2480
	v_fma_f64 v[30:31], -v[32:33], v[66:67], v[30:31]
	s_waitcnt lgkmcnt(2)
	v_fma_f64 v[28:29], -v[48:49], v[58:59], v[28:29]
	v_mul_f64 v[30:31], v[64:65], v[30:31]
	v_fma_f64 v[28:29], -v[32:33], v[56:57], v[28:29]
	ds_read_b128 v[56:59], v50 offset:2464
	s_waitcnt lgkmcnt(2)
	v_fma_f64 v[28:29], -v[30:31], v[62:63], v[28:29]
	v_mul_f64 v[28:29], v[60:61], v[28:29]
	ds_read_b128 v[60:63], v50 offset:2448
	s_waitcnt lgkmcnt(2)
	v_fma_f64 v[26:27], -v[34:35], v[54:55], v[26:27]
	v_fma_f64 v[26:27], -v[36:37], v[52:53], v[26:27]
	ds_read_b128 v[52:55], v50 offset:2432
	s_waitcnt lgkmcnt(2)
	v_fma_f64 v[26:27], -v[38:39], v[58:59], v[26:27]
	v_fma_f64 v[26:27], -v[40:41], v[56:57], v[26:27]
	;; [unrolled: 4-line block ×3, first 2 shown]
	s_waitcnt lgkmcnt(1)
	v_fma_f64 v[26:27], -v[46:47], v[54:55], v[26:27]
	v_fma_f64 v[26:27], -v[48:49], v[52:53], v[26:27]
	v_add_u32_e64 v52, s5, 0
	ds_read_b128 v[60:63], v50 offset:2400
	s_waitcnt lgkmcnt(1)
	v_fma_f64 v[26:27], -v[32:33], v[58:59], v[26:27]
	ds_read2_b64 v[52:55], v52 offset0:111 offset1:159
	v_fma_f64 v[26:27], -v[30:31], v[56:57], v[26:27]
	v_mov_b32_e32 v56, 0x8e8
	ds_read2_b64 v[56:59], v56 offset1:1
	s_waitcnt lgkmcnt(2)
	v_fma_f64 v[26:27], -v[28:29], v[62:63], v[26:27]
	s_waitcnt lgkmcnt(1)
	v_fma_f64 v[24:25], -v[34:35], v[54:55], v[24:25]
	v_mov_b32_e32 v54, 0x8d8
	v_mul_f64 v[26:27], v[60:61], v[26:27]
	ds_read2_b64 v[60:63], v54 offset1:1
	s_waitcnt lgkmcnt(1)
	v_fma_f64 v[24:25], -v[36:37], v[58:59], v[24:25]
	v_mov_b32_e32 v54, 0x8c8
	v_fma_f64 v[24:25], -v[38:39], v[56:57], v[24:25]
	ds_read2_b64 v[54:57], v54 offset1:1
	s_waitcnt lgkmcnt(1)
	v_fma_f64 v[24:25], -v[40:41], v[62:63], v[24:25]
	v_mov_b32_e32 v58, 0x8b8
	v_fma_f64 v[24:25], -v[42:43], v[60:61], v[24:25]
	ds_read2_b64 v[58:61], v58 offset1:1
	s_waitcnt lgkmcnt(1)
	v_fma_f64 v[24:25], -v[44:45], v[56:57], v[24:25]
	v_fma_f64 v[24:25], -v[46:47], v[54:55], v[24:25]
	v_mov_b32_e32 v54, 0x8a8
	ds_read2_b64 v[54:57], v54 offset1:1
	s_waitcnt lgkmcnt(1)
	v_fma_f64 v[24:25], -v[48:49], v[60:61], v[24:25]
	v_mov_b32_e32 v60, 0x898
	ds_read2_b64 v[60:63], v60 offset1:1
	v_fma_f64 v[24:25], -v[32:33], v[58:59], v[24:25]
	s_waitcnt lgkmcnt(1)
	v_fma_f64 v[24:25], -v[30:31], v[56:57], v[24:25]
	ds_read_b128 v[56:59], v50 offset:2096
	v_fma_f64 v[24:25], -v[28:29], v[54:55], v[24:25]
	s_waitcnt lgkmcnt(1)
	v_fma_f64 v[24:25], -v[26:27], v[62:63], v[24:25]
	ds_read_b128 v[62:65], v50 offset:2080
	v_mul_f64 v[24:25], v[60:61], v[24:25]
	s_waitcnt lgkmcnt(1)
	v_fma_f64 v[22:23], -v[34:35], v[58:59], v[22:23]
	ds_read_b128 v[58:61], v50 offset:2064
	v_fma_f64 v[22:23], -v[36:37], v[56:57], v[22:23]
	s_waitcnt lgkmcnt(1)
	v_fma_f64 v[22:23], -v[38:39], v[64:65], v[22:23]
	ds_read_b128 v[54:57], v50 offset:2048
	ds_write2_b64 v78, v[30:31], v[32:33] offset0:80 offset1:104
	ds_write2_b64 v78, v[26:27], v[28:29] offset0:32 offset1:56
	v_fma_f64 v[22:23], -v[40:41], v[62:63], v[22:23]
	s_waitcnt lgkmcnt(3)
	v_fma_f64 v[22:23], -v[42:43], v[60:61], v[22:23]
	ds_read_b128 v[60:63], v50 offset:2016
	ds_read_b128 v[64:67], v50 offset:2032
	v_fma_f64 v[22:23], -v[44:45], v[58:59], v[22:23]
	s_waitcnt lgkmcnt(4)
	v_fma_f64 v[22:23], -v[46:47], v[56:57], v[22:23]
	v_fma_f64 v[22:23], -v[48:49], v[54:55], v[22:23]
	ds_read_b128 v[68:71], v50 offset:2000
	ds_read2_b64 v[54:57], v50 offset0:237 offset1:238
	s_waitcnt lgkmcnt(2)
	v_fma_f64 v[22:23], -v[32:33], v[66:67], v[22:23]
	v_fma_f64 v[22:23], -v[30:31], v[64:65], v[22:23]
	;; [unrolled: 1-line block ×4, first 2 shown]
	ds_read2_b64 v[58:61], v50 offset0:235 offset1:236
	ds_read2_b64 v[62:65], v50 offset0:233 offset1:234
	v_fma_f64 v[20:21], -v[34:35], v[52:53], v[20:21]
	s_waitcnt lgkmcnt(2)
	v_fma_f64 v[20:21], -v[36:37], v[56:57], v[20:21]
	v_fma_f64 v[20:21], -v[38:39], v[54:55], v[20:21]
	ds_read2_b64 v[52:55], v50 offset0:231 offset1:232
	s_waitcnt lgkmcnt(2)
	v_fma_f64 v[20:21], -v[40:41], v[60:61], v[20:21]
	v_fma_f64 v[20:21], -v[42:43], v[58:59], v[20:21]
	ds_read2_b64 v[56:59], v50 offset0:229 offset1:230
	;; [unrolled: 4-line block ×4, first 2 shown]
	s_waitcnt lgkmcnt(2)
	v_fma_f64 v[20:21], -v[30:31], v[58:59], v[20:21]
	v_fma_f64 v[20:21], -v[28:29], v[56:57], v[20:21]
	ds_read_b128 v[56:59], v50 offset:1712
	v_fma_f64 v[22:23], -v[24:25], v[70:71], v[22:23]
	s_waitcnt lgkmcnt(2)
	v_fma_f64 v[20:21], -v[26:27], v[62:63], v[20:21]
	v_mul_f64 v[22:23], v[68:69], v[22:23]
	v_fma_f64 v[20:21], -v[24:25], v[60:61], v[20:21]
	ds_read_b128 v[60:63], v50 offset:1696
	s_waitcnt lgkmcnt(2)
	v_fma_f64 v[20:21], -v[22:23], v[54:55], v[20:21]
	v_mul_f64 v[20:21], v[52:53], v[20:21]
	ds_read_b128 v[52:55], v50 offset:1680
	s_waitcnt lgkmcnt(2)
	v_fma_f64 v[18:19], -v[34:35], v[58:59], v[18:19]
	v_fma_f64 v[18:19], -v[36:37], v[56:57], v[18:19]
	s_waitcnt lgkmcnt(1)
	v_fma_f64 v[18:19], -v[38:39], v[62:63], v[18:19]
	v_fma_f64 v[18:19], -v[40:41], v[60:61], v[18:19]
	ds_read_b128 v[56:59], v50 offset:1664
	ds_write2_b64 v51, v[22:23], v[24:25] offset0:112 offset1:136
	s_waitcnt lgkmcnt(2)
	v_fma_f64 v[18:19], -v[42:43], v[54:55], v[18:19]
	v_fma_f64 v[18:19], -v[44:45], v[52:53], v[18:19]
	ds_read_b128 v[52:55], v50 offset:1632
	ds_read_b128 v[60:63], v50 offset:1648
	s_waitcnt lgkmcnt(3)
	v_fma_f64 v[18:19], -v[46:47], v[58:59], v[18:19]
	v_fma_f64 v[18:19], -v[48:49], v[56:57], v[18:19]
	ds_read_b128 v[56:59], v50 offset:1600
	ds_read_b128 v[64:67], v50 offset:1616
	s_mov_b32 s5, -1
	s_waitcnt lgkmcnt(2)
	v_fma_f64 v[18:19], -v[32:33], v[62:63], v[18:19]
	v_fma_f64 v[18:19], -v[30:31], v[60:61], v[18:19]
	;; [unrolled: 1-line block ×4, first 2 shown]
	s_waitcnt lgkmcnt(0)
	v_fma_f64 v[18:19], -v[24:25], v[66:67], v[18:19]
	v_fma_f64 v[18:19], -v[22:23], v[64:65], v[18:19]
	;; [unrolled: 1-line block ×3, first 2 shown]
	ds_read2_b64 v[52:55], v50 offset0:143 offset1:191
	ds_read2_b64 v[58:61], v50 offset0:189 offset1:190
	;; [unrolled: 1-line block ×3, first 2 shown]
	v_mul_f64 v[18:19], v[56:57], v[18:19]
	ds_write2_b64 v1, v[18:19], v[20:21] offset0:192 offset1:216
	s_waitcnt lgkmcnt(3)
	v_fma_f64 v[16:17], -v[34:35], v[54:55], v[16:17]
	ds_read2_b64 v[54:57], v50 offset0:185 offset1:186
	s_waitcnt lgkmcnt(3)
	v_fma_f64 v[16:17], -v[36:37], v[60:61], v[16:17]
	v_fma_f64 v[16:17], -v[38:39], v[58:59], v[16:17]
	ds_read2_b64 v[58:61], v50 offset0:183 offset1:184
	s_waitcnt lgkmcnt(3)
	v_fma_f64 v[16:17], -v[40:41], v[64:65], v[16:17]
	;; [unrolled: 4-line block ×6, first 2 shown]
	v_fma_f64 v[16:17], -v[24:25], v[54:55], v[16:17]
	ds_read_b128 v[54:57], v50 offset:1328
	s_waitcnt lgkmcnt(2)
	v_fma_f64 v[16:17], -v[22:23], v[60:61], v[16:17]
	v_fma_f64 v[16:17], -v[20:21], v[58:59], v[16:17]
	ds_read_b128 v[58:61], v50 offset:1312
	s_waitcnt lgkmcnt(2)
	v_fma_f64 v[16:17], -v[18:19], v[64:65], v[16:17]
	v_mul_f64 v[16:17], v[62:63], v[16:17]
	ds_read_b128 v[62:65], v50 offset:1296
	s_waitcnt lgkmcnt(2)
	v_fma_f64 v[14:15], -v[34:35], v[56:57], v[14:15]
	v_fma_f64 v[14:15], -v[36:37], v[54:55], v[14:15]
	ds_read_b128 v[54:57], v50 offset:1280
	s_waitcnt lgkmcnt(2)
	v_fma_f64 v[14:15], -v[38:39], v[60:61], v[14:15]
	v_fma_f64 v[14:15], -v[40:41], v[58:59], v[14:15]
	s_waitcnt lgkmcnt(1)
	v_fma_f64 v[14:15], -v[42:43], v[64:65], v[14:15]
	ds_read_b128 v[58:61], v50 offset:1264
	v_fma_f64 v[14:15], -v[44:45], v[62:63], v[14:15]
	s_waitcnt lgkmcnt(1)
	v_fma_f64 v[14:15], -v[46:47], v[56:57], v[14:15]
	v_fma_f64 v[14:15], -v[48:49], v[54:55], v[14:15]
	ds_read_b128 v[54:57], v50 offset:1248
	s_waitcnt lgkmcnt(1)
	v_fma_f64 v[14:15], -v[32:33], v[60:61], v[14:15]
	ds_read_b128 v[60:63], v50 offset:1216
	ds_read_b128 v[64:67], v50 offset:1232
	v_fma_f64 v[14:15], -v[30:31], v[58:59], v[14:15]
	ds_read_b128 v[68:71], v50 offset:1200
	s_waitcnt lgkmcnt(3)
	v_fma_f64 v[14:15], -v[28:29], v[56:57], v[14:15]
	v_fma_f64 v[14:15], -v[26:27], v[54:55], v[14:15]
	s_waitcnt lgkmcnt(1)
	v_fma_f64 v[14:15], -v[24:25], v[66:67], v[14:15]
	v_fma_f64 v[14:15], -v[22:23], v[64:65], v[14:15]
	ds_read2_b64 v[54:57], v50 offset0:141 offset1:142
	v_fma_f64 v[14:15], -v[20:21], v[62:63], v[14:15]
	v_fma_f64 v[14:15], -v[18:19], v[60:61], v[14:15]
	ds_read2_b64 v[58:61], v50 offset0:139 offset1:140
	ds_read2_b64 v[62:65], v50 offset0:137 offset1:138
	v_fma_f64 v[12:13], -v[34:35], v[52:53], v[12:13]
	s_waitcnt lgkmcnt(2)
	v_fma_f64 v[12:13], -v[36:37], v[56:57], v[12:13]
	v_fma_f64 v[12:13], -v[38:39], v[54:55], v[12:13]
	ds_read2_b64 v[52:55], v50 offset0:135 offset1:136
	s_waitcnt lgkmcnt(2)
	v_fma_f64 v[12:13], -v[40:41], v[60:61], v[12:13]
	v_fma_f64 v[12:13], -v[42:43], v[58:59], v[12:13]
	ds_read2_b64 v[56:59], v50 offset0:133 offset1:134
	s_waitcnt lgkmcnt(2)
	v_fma_f64 v[12:13], -v[44:45], v[64:65], v[12:13]
	v_fma_f64 v[12:13], -v[46:47], v[62:63], v[12:13]
	ds_read2_b64 v[60:63], v50 offset0:131 offset1:132
	s_waitcnt lgkmcnt(2)
	v_fma_f64 v[12:13], -v[48:49], v[54:55], v[12:13]
	v_fma_f64 v[12:13], -v[32:33], v[52:53], v[12:13]
	ds_read2_b64 v[52:55], v50 offset0:129 offset1:130
	s_waitcnt lgkmcnt(2)
	v_fma_f64 v[12:13], -v[30:31], v[58:59], v[12:13]
	v_fma_f64 v[12:13], -v[28:29], v[56:57], v[12:13]
	ds_read2_b64 v[56:59], v50 offset0:127 offset1:128
	s_waitcnt lgkmcnt(2)
	v_fma_f64 v[12:13], -v[26:27], v[62:63], v[12:13]
	v_fma_f64 v[12:13], -v[24:25], v[60:61], v[12:13]
	ds_read2_b64 v[60:63], v50 offset0:125 offset1:126
	s_waitcnt lgkmcnt(2)
	v_fma_f64 v[12:13], -v[22:23], v[54:55], v[12:13]
	v_fma_f64 v[12:13], -v[20:21], v[52:53], v[12:13]
	ds_read_b128 v[52:55], v50 offset:944
	v_fma_f64 v[14:15], -v[16:17], v[70:71], v[14:15]
	s_waitcnt lgkmcnt(2)
	v_fma_f64 v[12:13], -v[18:19], v[58:59], v[12:13]
	v_mul_f64 v[14:15], v[68:69], v[14:15]
	v_fma_f64 v[12:13], -v[16:17], v[56:57], v[12:13]
	ds_read_b128 v[56:59], v50 offset:928
	s_waitcnt lgkmcnt(2)
	v_fma_f64 v[12:13], -v[14:15], v[62:63], v[12:13]
	v_mul_f64 v[12:13], v[60:61], v[12:13]
	ds_read_b128 v[60:63], v50 offset:912
	s_waitcnt lgkmcnt(2)
	v_fma_f64 v[10:11], -v[34:35], v[54:55], v[10:11]
	v_fma_f64 v[10:11], -v[36:37], v[52:53], v[10:11]
	ds_read_b128 v[52:55], v50 offset:896
	s_waitcnt lgkmcnt(2)
	v_fma_f64 v[10:11], -v[38:39], v[58:59], v[10:11]
	v_fma_f64 v[10:11], -v[40:41], v[56:57], v[10:11]
	;; [unrolled: 4-line block ×3, first 2 shown]
	s_waitcnt lgkmcnt(1)
	v_fma_f64 v[10:11], -v[46:47], v[54:55], v[10:11]
	v_fma_f64 v[10:11], -v[48:49], v[52:53], v[10:11]
	ds_read_b128 v[52:55], v50 offset:864
	ds_write2_b64 v1, v[14:15], v[16:17] offset0:144 offset1:168
	s_waitcnt lgkmcnt(2)
	v_fma_f64 v[10:11], -v[32:33], v[58:59], v[10:11]
	v_fma_f64 v[10:11], -v[30:31], v[56:57], v[10:11]
	ds_read_b128 v[56:59], v50 offset:832
	ds_read_b128 v[60:63], v50 offset:848
	s_waitcnt lgkmcnt(3)
	v_fma_f64 v[10:11], -v[28:29], v[54:55], v[10:11]
	v_fma_f64 v[10:11], -v[26:27], v[52:53], v[10:11]
	ds_read_b128 v[52:55], v50 offset:800
	ds_read_b128 v[64:67], v50 offset:816
	s_waitcnt lgkmcnt(2)
	v_fma_f64 v[10:11], -v[24:25], v[62:63], v[10:11]
	v_fma_f64 v[10:11], -v[22:23], v[60:61], v[10:11]
	;; [unrolled: 1-line block ×4, first 2 shown]
	s_waitcnt lgkmcnt(0)
	v_fma_f64 v[10:11], -v[16:17], v[66:67], v[10:11]
	v_fma_f64 v[10:11], -v[14:15], v[64:65], v[10:11]
	;; [unrolled: 1-line block ×3, first 2 shown]
	ds_read2_b64 v[54:57], v50 offset0:47 offset1:95
	ds_read2_b64 v[58:61], v50 offset0:93 offset1:94
	;; [unrolled: 1-line block ×4, first 2 shown]
	v_mul_f64 v[10:11], v[52:53], v[10:11]
	s_waitcnt lgkmcnt(3)
	v_fma_f64 v[8:9], -v[34:35], v[56:57], v[8:9]
	s_waitcnt lgkmcnt(2)
	v_fma_f64 v[8:9], -v[36:37], v[60:61], v[8:9]
	v_fma_f64 v[8:9], -v[38:39], v[58:59], v[8:9]
	ds_read2_b64 v[56:59], v50 offset0:87 offset1:88
	s_waitcnt lgkmcnt(2)
	v_fma_f64 v[8:9], -v[40:41], v[64:65], v[8:9]
	v_fma_f64 v[8:9], -v[42:43], v[62:63], v[8:9]
	ds_read2_b64 v[60:63], v50 offset0:85 offset1:86
	;; [unrolled: 4-line block ×7, first 2 shown]
	s_waitcnt lgkmcnt(2)
	v_fma_f64 v[8:9], -v[18:19], v[62:63], v[8:9]
	v_fma_f64 v[8:9], -v[16:17], v[60:61], v[8:9]
	ds_read_b128 v[60:63], v50 offset:560
	s_waitcnt lgkmcnt(2)
	v_fma_f64 v[8:9], -v[14:15], v[66:67], v[8:9]
	v_fma_f64 v[8:9], -v[12:13], v[64:65], v[8:9]
	ds_read_b128 v[64:67], v50 offset:544
	s_waitcnt lgkmcnt(2)
	v_fma_f64 v[8:9], -v[10:11], v[58:59], v[8:9]
	v_mul_f64 v[8:9], v[56:57], v[8:9]
	ds_read_b128 v[56:59], v50 offset:528
	s_waitcnt lgkmcnt(2)
	v_fma_f64 v[6:7], -v[34:35], v[62:63], v[6:7]
	v_fma_f64 v[6:7], -v[36:37], v[60:61], v[6:7]
	ds_read_b128 v[60:63], v50 offset:512
	s_waitcnt lgkmcnt(2)
	v_fma_f64 v[6:7], -v[38:39], v[66:67], v[6:7]
	v_fma_f64 v[6:7], -v[40:41], v[64:65], v[6:7]
	;; [unrolled: 4-line block ×4, first 2 shown]
	s_waitcnt lgkmcnt(1)
	v_fma_f64 v[6:7], -v[32:33], v[66:67], v[6:7]
	ds_read_b128 v[60:63], v50 offset:464
	v_fma_f64 v[6:7], -v[30:31], v[64:65], v[6:7]
	s_waitcnt lgkmcnt(1)
	v_fma_f64 v[6:7], -v[28:29], v[58:59], v[6:7]
	v_fma_f64 v[6:7], -v[26:27], v[56:57], v[6:7]
	ds_read_b128 v[56:59], v50 offset:448
	ds_write2_b64 v1, v[10:11], v[12:13] offset0:96 offset1:120
	s_waitcnt lgkmcnt(2)
	v_fma_f64 v[6:7], -v[24:25], v[62:63], v[6:7]
	ds_read_b128 v[62:65], v50 offset:416
	ds_read_b128 v[66:69], v50 offset:432
	v_fma_f64 v[6:7], -v[22:23], v[60:61], v[6:7]
	s_waitcnt lgkmcnt(3)
	v_fma_f64 v[6:7], -v[20:21], v[58:59], v[6:7]
	ds_read_b128 v[70:73], v50 offset:400
	v_fma_f64 v[6:7], -v[18:19], v[56:57], v[6:7]
	s_waitcnt lgkmcnt(1)
	v_fma_f64 v[6:7], -v[16:17], v[68:69], v[6:7]
	ds_read2_b64 v[56:59], v50 offset0:45 offset1:46
	v_fma_f64 v[6:7], -v[14:15], v[66:67], v[6:7]
	v_fma_f64 v[6:7], -v[12:13], v[64:65], v[6:7]
	;; [unrolled: 1-line block ×3, first 2 shown]
	ds_read2_b64 v[60:63], v50 offset0:43 offset1:44
	s_waitcnt lgkmcnt(2)
	v_fma_f64 v[6:7], -v[8:9], v[72:73], v[6:7]
	v_fma_f64 v[4:5], -v[34:35], v[54:55], v[4:5]
	v_mul_f64 v[64:65], v[70:71], v[6:7]
	s_waitcnt lgkmcnt(1)
	v_fma_f64 v[52:53], -v[36:37], v[58:59], v[4:5]
	ds_read2_b64 v[4:7], v50 offset0:41 offset1:42
	v_fma_f64 v[52:53], -v[38:39], v[56:57], v[52:53]
	s_waitcnt lgkmcnt(1)
	v_fma_f64 v[56:57], -v[40:41], v[62:63], v[52:53]
	ds_read2_b64 v[52:55], v50 offset0:39 offset1:40
	v_fma_f64 v[56:57], -v[42:43], v[60:61], v[56:57]
	;; [unrolled: 4-line block ×9, first 2 shown]
	s_waitcnt lgkmcnt(1)
	v_fma_f64 v[54:55], -v[10:11], v[54:55], v[4:5]
	ds_read_b128 v[4:7], v50 offset:176
	v_fma_f64 v[52:53], -v[8:9], v[52:53], v[54:55]
	s_waitcnt lgkmcnt(1)
	v_fma_f64 v[58:59], -v[64:65], v[58:59], v[52:53]
	ds_read_b128 v[52:55], v50 offset:160
	v_mul_f64 v[60:61], v[56:57], v[58:59]
	s_waitcnt lgkmcnt(1)
	v_fma_f64 v[2:3], -v[34:35], v[6:7], v[2:3]
	ds_read_b128 v[56:59], v50 offset:144
	v_fma_f64 v[2:3], -v[36:37], v[4:5], v[2:3]
	s_waitcnt lgkmcnt(1)
	v_fma_f64 v[6:7], -v[38:39], v[54:55], v[2:3]
	ds_read_b128 v[2:5], v50 offset:128
	v_fma_f64 v[6:7], -v[40:41], v[52:53], v[6:7]
	ds_read_b128 v[34:37], v50 offset:112
	s_waitcnt lgkmcnt(2)
	v_fma_f64 v[6:7], -v[42:43], v[58:59], v[6:7]
	v_fma_f64 v[6:7], -v[44:45], v[56:57], v[6:7]
	s_waitcnt lgkmcnt(1)
	v_fma_f64 v[38:39], -v[46:47], v[4:5], v[6:7]
	ds_read_b128 v[4:7], v50 offset:96
	v_fma_f64 v[2:3], -v[48:49], v[2:3], v[38:39]
	s_waitcnt lgkmcnt(1)
	v_fma_f64 v[2:3], -v[32:33], v[36:37], v[2:3]
	ds_read_b128 v[36:39], v50 offset:80
	v_fma_f64 v[2:3], -v[30:31], v[34:35], v[2:3]
	s_waitcnt lgkmcnt(1)
	v_fma_f64 v[2:3], -v[28:29], v[6:7], v[2:3]
	v_fma_f64 v[6:7], -v[26:27], v[4:5], v[2:3]
	ds_read_b128 v[2:5], v50 offset:64
	ds_write2_b64 v1, v[64:65], v[8:9] offset0:48 offset1:72
	s_waitcnt lgkmcnt(2)
	v_fma_f64 v[6:7], -v[24:25], v[38:39], v[6:7]
	v_fma_f64 v[6:7], -v[22:23], v[36:37], v[6:7]
	ds_read_b128 v[22:25], v50 offset:32
	ds_read_b128 v[26:29], v50 offset:48
	s_waitcnt lgkmcnt(3)
	v_fma_f64 v[4:5], -v[20:21], v[4:5], v[6:7]
	v_fma_f64 v[6:7], -v[18:19], v[2:3], v[4:5]
	ds_read_b128 v[2:5], v50
	ds_read_b128 v[18:21], v50 offset:16
	s_waitcnt lgkmcnt(2)
	v_fma_f64 v[6:7], -v[16:17], v[28:29], v[6:7]
	v_fma_f64 v[6:7], -v[14:15], v[26:27], v[6:7]
	;; [unrolled: 1-line block ×4, first 2 shown]
	s_waitcnt lgkmcnt(0)
	v_fma_f64 v[6:7], -v[8:9], v[20:21], v[6:7]
	v_fma_f64 v[6:7], -v[64:65], v[18:19], v[6:7]
	;; [unrolled: 1-line block ×3, first 2 shown]
	v_mul_f64 v[2:3], v[2:3], v[4:5]
	ds_write2_b64 v1, v[2:3], v[60:61] offset1:24
.LBB94_12:
	s_cmp_gt_i32 s5, -1
	s_cbranch_scc0 .LBB94_31
; %bb.13:
	s_cmp_lt_u32 s5, 19
	s_cbranch_scc1 .LBB94_18
; %bb.14:
	s_mul_i32 s7, s5, 0xc0
	v_add_u32_e32 v42, s7, v1
	v_add_u32_e32 v2, 0xffffff40, v42
	v_add_u32_e32 v3, 0xfffffe80, v42
	v_add_u32_e32 v4, 0xfffffdc0, v42
	ds_read_b64 v[8:9], v42
	ds_read_b64 v[10:11], v2
	ds_read_b64 v[12:13], v3
	ds_read_b64 v[14:15], v4
	v_add_u32_e32 v2, 0xfffffd00, v42
	v_add_u32_e32 v3, 0xfffffc40, v42
	v_add_u32_e32 v4, 0xfffffb80, v42
	v_add_u32_e32 v5, 0xfffffac0, v42
	ds_read_b64 v[16:17], v2
	ds_read_b64 v[20:21], v3
	ds_read_b64 v[22:23], v4
	ds_read_b64 v[26:27], v5
	;; [unrolled: 8-line block ×5, first 2 shown]
	s_cmp_le_i32 s4, s5
	s_cbranch_scc1 .LBB94_17
; %bb.15:
	s_mul_i32 s8, s22, 0xc0
	v_lshl_add_u32 v43, v0, 3, s8
	s_lshl_b32 s8, s22, 3
	s_add_i32 s8, s7, s8
	v_add_u32_e32 v43, 0x1140, v43
	s_addk_i32 s8, 0xf1b8
	s_mov_b32 s9, s4
.LBB94_16:                              ; =>This Inner Loop Header: Depth=1
	v_mov_b32_e32 v60, s8
	v_add_u32_e32 v76, 0x800, v60
	v_add_u32_e32 v80, 0x400, v60
	ds_read_b64 v[84:85], v43
	ds_read2_b64 v[44:47], v60 offset0:192 offset1:216
	ds_read2_b64 v[48:51], v60 offset0:144 offset1:168
	ds_read2_b64 v[52:55], v60 offset0:96 offset1:120
	ds_read2_b64 v[56:59], v60 offset0:48 offset1:72
	ds_read2_b64 v[60:63], v60 offset1:24
	ds_read2_b64 v[64:67], v76 offset0:176 offset1:200
	ds_read2_b64 v[68:71], v76 offset0:128 offset1:152
	;; [unrolled: 1-line block ×5, first 2 shown]
	s_add_i32 s9, s9, -1
	s_add_i32 s8, s8, -8
	v_add_u32_e32 v43, 0xffffff40, v43
	s_cmp_gt_i32 s9, s5
	s_waitcnt lgkmcnt(9)
	v_fma_f64 v[36:37], -v[84:85], v[46:47], v[36:37]
	v_fma_f64 v[40:41], -v[84:85], v[44:45], v[40:41]
	s_waitcnt lgkmcnt(8)
	v_fma_f64 v[38:39], -v[84:85], v[50:51], v[38:39]
	v_fma_f64 v[34:35], -v[84:85], v[48:49], v[34:35]
	;; [unrolled: 3-line block ×10, first 2 shown]
	s_cbranch_scc1 .LBB94_16
.LBB94_17:
	s_mul_i32 s8, s5, 0xc8
	v_mov_b32_e32 v43, s8
	s_add_i32 s8, s7, 0xffffff40
	s_lshl_b32 s7, s5, 3
	s_add_i32 s7, s8, s7
	ds_read_b64 v[48:49], v43
	s_add_i32 s9, s7, -8
	v_mov_b32_e32 v43, s9
	ds_read2_b64 v[44:47], v43 offset1:1
	s_add_i32 s9, s7, 0xffffff40
	s_waitcnt lgkmcnt(1)
	v_mul_f64 v[8:9], v[48:49], v[8:9]
	ds_write_b64 v42, v[8:9]
	v_mov_b32_e32 v42, s9
	s_add_i32 s9, s7, 0xffffff30
	s_waitcnt lgkmcnt(1)
	v_fma_f64 v[10:11], -v[8:9], v[46:47], v[10:11]
	v_mov_b32_e32 v43, s9
	ds_read_b64 v[50:51], v42
	ds_read2_b64 v[46:49], v43 offset1:1
	v_mul_f64 v[10:11], v[44:45], v[10:11]
	v_add_u32_e32 v42, s8, v1
	s_add_i32 s8, s7, 0xfffffe78
	s_waitcnt lgkmcnt(1)
	v_fma_f64 v[12:13], -v[8:9], v[50:51], v[12:13]
	s_waitcnt lgkmcnt(0)
	v_fma_f64 v[12:13], -v[10:11], v[48:49], v[12:13]
	v_mov_b32_e32 v43, s8
	v_mul_f64 v[12:13], v[46:47], v[12:13]
	ds_read2_b64 v[44:47], v43 offset1:1
	s_add_i32 s8, s7, 0xfffffe68
	v_mov_b32_e32 v43, s8
	ds_read2_b64 v[48:51], v43 offset1:1
	v_add_u32_e32 v43, 0xffffff40, v42
	s_add_i32 s8, s7, 0xfffffdc0
	ds_write_b64 v43, v[12:13]
	s_waitcnt lgkmcnt(2)
	v_fma_f64 v[14:15], -v[8:9], v[46:47], v[14:15]
	v_mov_b32_e32 v43, s8
	s_add_i32 s8, s7, 0xfffffdb0
	ds_write_b64 v42, v[10:11]
	v_fma_f64 v[14:15], -v[10:11], v[44:45], v[14:15]
	v_mov_b32_e32 v44, s8
	s_waitcnt lgkmcnt(2)
	v_fma_f64 v[14:15], -v[12:13], v[50:51], v[14:15]
	ds_read_b64 v[50:51], v43
	ds_read2_b64 v[44:47], v44 offset1:1
	v_mul_f64 v[14:15], v[48:49], v[14:15]
	v_add_u32_e32 v43, 0xfffffe80, v42
	s_add_i32 s8, s7, 0xfffffda0
	ds_write_b64 v43, v[14:15]
	s_waitcnt lgkmcnt(2)
	v_fma_f64 v[16:17], -v[8:9], v[50:51], v[16:17]
	v_mov_b32_e32 v43, s8
	s_waitcnt lgkmcnt(1)
	v_fma_f64 v[16:17], -v[10:11], v[46:47], v[16:17]
	ds_read2_b64 v[46:49], v43 offset1:1
	v_fma_f64 v[16:17], -v[12:13], v[44:45], v[16:17]
	s_add_i32 s8, s7, 0xfffffcf8
	v_mov_b32_e32 v43, s8
	ds_read2_b64 v[50:53], v43 offset1:1
	s_waitcnt lgkmcnt(1)
	v_fma_f64 v[16:17], -v[14:15], v[48:49], v[16:17]
	v_mul_f64 v[16:17], v[46:47], v[16:17]
	v_add_u32_e32 v43, 0xfffffdc0, v42
	s_add_i32 s8, s7, 0xfffffce8
	ds_write_b64 v43, v[16:17]
	v_mov_b32_e32 v43, s8
	ds_read2_b64 v[44:47], v43 offset1:1
	s_add_i32 s8, s7, 0xfffffcd8
	v_mov_b32_e32 v43, s8
	ds_read2_b64 v[54:57], v43 offset1:1
	s_waitcnt lgkmcnt(3)
	v_fma_f64 v[20:21], -v[8:9], v[52:53], v[20:21]
	v_fma_f64 v[20:21], -v[10:11], v[50:51], v[20:21]
	s_waitcnt lgkmcnt(1)
	v_fma_f64 v[20:21], -v[12:13], v[46:47], v[20:21]
	s_add_i32 s8, s7, 0xfffffc40
	v_fma_f64 v[20:21], -v[14:15], v[44:45], v[20:21]
	v_mov_b32_e32 v44, s8
	ds_read_b64 v[48:49], v44
	s_waitcnt lgkmcnt(1)
	v_fma_f64 v[20:21], -v[16:17], v[56:57], v[20:21]
	v_mul_f64 v[20:21], v[54:55], v[20:21]
	v_add_u32_e32 v43, 0xfffffd00, v42
	s_add_i32 s8, s7, 0xfffffc30
	ds_write_b64 v43, v[20:21]
	v_mov_b32_e32 v43, s8
	ds_read2_b64 v[44:47], v43 offset1:1
	s_add_i32 s8, s7, 0xfffffc20
	v_mov_b32_e32 v43, s8
	s_waitcnt lgkmcnt(2)
	v_fma_f64 v[22:23], -v[8:9], v[48:49], v[22:23]
	ds_read2_b64 v[48:51], v43 offset1:1
	s_add_i32 s8, s7, 0xfffffc10
	v_mov_b32_e32 v43, s8
	ds_read2_b64 v[52:55], v43 offset1:1
	s_waitcnt lgkmcnt(2)
	v_fma_f64 v[22:23], -v[10:11], v[46:47], v[22:23]
	v_fma_f64 v[22:23], -v[12:13], v[44:45], v[22:23]
	s_add_i32 s8, s7, 0xfffffb78
	s_waitcnt lgkmcnt(1)
	v_fma_f64 v[22:23], -v[14:15], v[50:51], v[22:23]
	v_mov_b32_e32 v44, s8
	v_fma_f64 v[22:23], -v[16:17], v[48:49], v[22:23]
	ds_read2_b64 v[44:47], v44 offset1:1
	s_waitcnt lgkmcnt(1)
	v_fma_f64 v[22:23], -v[20:21], v[54:55], v[22:23]
	v_mul_f64 v[22:23], v[52:53], v[22:23]
	v_add_u32_e32 v43, 0xfffffc40, v42
	s_add_i32 s8, s7, 0xfffffb68
	ds_write_b64 v43, v[22:23]
	v_mov_b32_e32 v43, s8
	ds_read2_b64 v[48:51], v43 offset1:1
	s_add_i32 s8, s7, 0xfffffb58
	s_waitcnt lgkmcnt(2)
	v_fma_f64 v[26:27], -v[8:9], v[46:47], v[26:27]
	v_mov_b32_e32 v43, s8
	v_fma_f64 v[26:27], -v[10:11], v[44:45], v[26:27]
	ds_read2_b64 v[44:47], v43 offset1:1
	s_add_i32 s8, s7, 0xfffffb48
	v_mov_b32_e32 v43, s8
	s_waitcnt lgkmcnt(1)
	v_fma_f64 v[26:27], -v[12:13], v[50:51], v[26:27]
	ds_read2_b64 v[52:55], v43 offset1:1
	v_fma_f64 v[26:27], -v[14:15], v[48:49], v[26:27]
	s_add_i32 s8, s7, 0xfffffac0
	s_waitcnt lgkmcnt(1)
	v_fma_f64 v[26:27], -v[16:17], v[46:47], v[26:27]
	v_mov_b32_e32 v43, s8
	s_add_i32 s8, s7, 0xfffffab0
	v_fma_f64 v[26:27], -v[20:21], v[44:45], v[26:27]
	v_mov_b32_e32 v44, s8
	ds_read_b64 v[48:49], v43
	ds_read2_b64 v[44:47], v44 offset1:1
	s_waitcnt lgkmcnt(2)
	v_fma_f64 v[26:27], -v[22:23], v[54:55], v[26:27]
	v_mul_f64 v[26:27], v[52:53], v[26:27]
	v_add_u32_e32 v43, 0xfffffb80, v42
	s_add_i32 s8, s7, 0xfffffaa0
	ds_write_b64 v43, v[26:27]
	s_waitcnt lgkmcnt(2)
	v_fma_f64 v[28:29], -v[8:9], v[48:49], v[28:29]
	v_mov_b32_e32 v43, s8
	s_add_i32 s8, s7, 0xfffffa90
	s_waitcnt lgkmcnt(1)
	v_fma_f64 v[28:29], -v[10:11], v[46:47], v[28:29]
	v_mov_b32_e32 v48, s8
	v_fma_f64 v[28:29], -v[12:13], v[44:45], v[28:29]
	ds_read2_b64 v[44:47], v43 offset1:1
	ds_read2_b64 v[48:51], v48 offset1:1
	s_add_i32 s8, s7, 0xfffffa80
	v_mov_b32_e32 v43, s8
	s_add_i32 s8, s7, 0xfffff9f8
	ds_read2_b64 v[52:55], v43 offset1:1
	s_waitcnt lgkmcnt(2)
	v_fma_f64 v[28:29], -v[14:15], v[46:47], v[28:29]
	v_mov_b32_e32 v43, s8
	v_fma_f64 v[28:29], -v[16:17], v[44:45], v[28:29]
	ds_read2_b64 v[44:47], v43 offset1:1
	s_add_i32 s8, s7, 0xfffff9e8
	s_waitcnt lgkmcnt(2)
	v_fma_f64 v[28:29], -v[20:21], v[50:51], v[28:29]
	v_mov_b32_e32 v43, s8
	v_fma_f64 v[28:29], -v[22:23], v[48:49], v[28:29]
	ds_read2_b64 v[48:51], v43 offset1:1
	s_waitcnt lgkmcnt(2)
	v_fma_f64 v[28:29], -v[26:27], v[54:55], v[28:29]
	s_waitcnt lgkmcnt(1)
	v_fma_f64 v[32:33], -v[8:9], v[46:47], v[32:33]
	v_mul_f64 v[28:29], v[52:53], v[28:29]
	v_add_u32_e32 v43, 0xfffffac0, v42
	v_fma_f64 v[32:33], -v[10:11], v[44:45], v[32:33]
	s_add_i32 s8, s7, 0xfffff9d8
	ds_write_b64 v43, v[28:29]
	s_waitcnt lgkmcnt(1)
	v_fma_f64 v[32:33], -v[12:13], v[50:51], v[32:33]
	v_mov_b32_e32 v43, s8
	s_add_i32 s8, s7, 0xfffff9c8
	v_fma_f64 v[32:33], -v[14:15], v[48:49], v[32:33]
	v_mov_b32_e32 v48, s8
	ds_read2_b64 v[44:47], v43 offset1:1
	ds_read2_b64 v[48:51], v48 offset1:1
	s_add_i32 s8, s7, 0xfffff9b8
	v_mov_b32_e32 v43, s8
	ds_read2_b64 v[52:55], v43 offset1:1
	s_waitcnt lgkmcnt(2)
	v_fma_f64 v[32:33], -v[16:17], v[46:47], v[32:33]
	v_fma_f64 v[32:33], -v[20:21], v[44:45], v[32:33]
	s_waitcnt lgkmcnt(1)
	v_fma_f64 v[32:33], -v[22:23], v[50:51], v[32:33]
	v_fma_f64 v[32:33], -v[26:27], v[48:49], v[32:33]
	s_add_i32 s8, s7, 0xfffff940
	s_waitcnt lgkmcnt(0)
	v_fma_f64 v[32:33], -v[28:29], v[54:55], v[32:33]
	v_mov_b32_e32 v44, s8
	s_add_i32 s8, s7, 0xfffff930
	v_mul_f64 v[32:33], v[52:53], v[32:33]
	ds_read_b64 v[52:53], v44
	v_mov_b32_e32 v44, s8
	ds_read2_b64 v[44:47], v44 offset1:1
	s_add_i32 s8, s7, 0xfffff920
	v_mov_b32_e32 v48, s8
	ds_read2_b64 v[48:51], v48 offset1:1
	s_waitcnt lgkmcnt(2)
	v_fma_f64 v[36:37], -v[8:9], v[52:53], v[36:37]
	s_waitcnt lgkmcnt(1)
	v_fma_f64 v[36:37], -v[10:11], v[46:47], v[36:37]
	v_add_u32_e32 v43, 0xfffffa00, v42
	v_fma_f64 v[36:37], -v[12:13], v[44:45], v[36:37]
	s_add_i32 s8, s7, 0xfffff910
	ds_write_b64 v43, v[32:33]
	s_waitcnt lgkmcnt(1)
	v_fma_f64 v[36:37], -v[14:15], v[50:51], v[36:37]
	v_mov_b32_e32 v43, s8
	s_add_i32 s8, s7, 0xfffff900
	v_fma_f64 v[36:37], -v[16:17], v[48:49], v[36:37]
	v_mov_b32_e32 v48, s8
	ds_read2_b64 v[44:47], v43 offset1:1
	ds_read2_b64 v[48:51], v48 offset1:1
	s_add_i32 s8, s7, 0xfffff8f0
	v_mov_b32_e32 v43, s8
	ds_read2_b64 v[52:55], v43 offset1:1
	s_add_i32 s8, s7, 0xfffff878
	s_waitcnt lgkmcnt(2)
	v_fma_f64 v[36:37], -v[20:21], v[46:47], v[36:37]
	v_mov_b32_e32 v43, s8
	v_fma_f64 v[36:37], -v[22:23], v[44:45], v[36:37]
	ds_read2_b64 v[44:47], v43 offset1:1
	s_waitcnt lgkmcnt(2)
	v_fma_f64 v[36:37], -v[26:27], v[50:51], v[36:37]
	v_fma_f64 v[36:37], -v[28:29], v[48:49], v[36:37]
	s_add_i32 s8, s7, 0xfffff868
	s_waitcnt lgkmcnt(1)
	v_fma_f64 v[36:37], -v[32:33], v[54:55], v[36:37]
	v_mov_b32_e32 v43, s8
	v_mul_f64 v[36:37], v[52:53], v[36:37]
	ds_read2_b64 v[48:51], v43 offset1:1
	v_add_u32_e32 v43, 0xfffff940, v42
	s_add_i32 s8, s7, 0xfffff858
	ds_write_b64 v43, v[36:37]
	s_waitcnt lgkmcnt(2)
	v_fma_f64 v[40:41], -v[8:9], v[46:47], v[40:41]
	v_mov_b32_e32 v43, s8
	v_fma_f64 v[40:41], -v[10:11], v[44:45], v[40:41]
	ds_read2_b64 v[44:47], v43 offset1:1
	s_add_i32 s8, s7, 0xfffff848
	s_waitcnt lgkmcnt(2)
	v_fma_f64 v[40:41], -v[12:13], v[50:51], v[40:41]
	v_mov_b32_e32 v43, s8
	v_fma_f64 v[40:41], -v[14:15], v[48:49], v[40:41]
	ds_read2_b64 v[48:51], v43 offset1:1
	s_add_i32 s8, s7, 0xfffff838
	;; [unrolled: 6-line block ×3, first 2 shown]
	v_mov_b32_e32 v43, s8
	ds_read2_b64 v[52:55], v43 offset1:1
	s_waitcnt lgkmcnt(2)
	v_fma_f64 v[40:41], -v[22:23], v[50:51], v[40:41]
	v_fma_f64 v[40:41], -v[26:27], v[48:49], v[40:41]
	s_waitcnt lgkmcnt(1)
	v_fma_f64 v[40:41], -v[28:29], v[46:47], v[40:41]
	v_fma_f64 v[40:41], -v[32:33], v[44:45], v[40:41]
	s_add_i32 s8, s7, 0xfffff7c0
	s_waitcnt lgkmcnt(0)
	v_fma_f64 v[40:41], -v[36:37], v[54:55], v[40:41]
	v_mov_b32_e32 v44, s8
	s_add_i32 s8, s7, 0xfffff7b0
	v_mul_f64 v[40:41], v[52:53], v[40:41]
	ds_read_b64 v[52:53], v44
	v_mov_b32_e32 v44, s8
	ds_read2_b64 v[44:47], v44 offset1:1
	s_add_i32 s8, s7, 0xfffff7a0
	v_mov_b32_e32 v48, s8
	v_add_u32_e32 v43, 0xfffff880, v42
	ds_read2_b64 v[48:51], v48 offset1:1
	s_waitcnt lgkmcnt(2)
	v_fma_f64 v[38:39], -v[8:9], v[52:53], v[38:39]
	s_add_i32 s8, s7, 0xfffff790
	ds_write_b64 v43, v[40:41]
	s_waitcnt lgkmcnt(2)
	v_fma_f64 v[38:39], -v[10:11], v[46:47], v[38:39]
	v_mov_b32_e32 v43, s8
	v_fma_f64 v[38:39], -v[12:13], v[44:45], v[38:39]
	ds_read2_b64 v[44:47], v43 offset1:1
	s_add_i32 s8, s7, 0xfffff780
	s_waitcnt lgkmcnt(2)
	v_fma_f64 v[38:39], -v[14:15], v[50:51], v[38:39]
	v_mov_b32_e32 v43, s8
	v_fma_f64 v[38:39], -v[16:17], v[48:49], v[38:39]
	ds_read2_b64 v[48:51], v43 offset1:1
	s_add_i32 s8, s7, 0xfffff770
	;; [unrolled: 6-line block ×3, first 2 shown]
	v_mov_b32_e32 v43, s8
	ds_read2_b64 v[52:55], v43 offset1:1
	s_waitcnt lgkmcnt(2)
	v_fma_f64 v[38:39], -v[26:27], v[50:51], v[38:39]
	v_fma_f64 v[38:39], -v[28:29], v[48:49], v[38:39]
	s_waitcnt lgkmcnt(1)
	v_fma_f64 v[38:39], -v[32:33], v[46:47], v[38:39]
	s_add_i32 s8, s7, 0xfffff6f8
	v_fma_f64 v[38:39], -v[36:37], v[44:45], v[38:39]
	v_mov_b32_e32 v44, s8
	ds_read2_b64 v[44:47], v44 offset1:1
	s_waitcnt lgkmcnt(1)
	v_fma_f64 v[38:39], -v[40:41], v[54:55], v[38:39]
	v_mul_f64 v[38:39], v[52:53], v[38:39]
	v_add_u32_e32 v43, 0xfffff7c0, v42
	s_add_i32 s8, s7, 0xfffff6e8
	ds_write_b64 v43, v[38:39]
	v_mov_b32_e32 v43, s8
	ds_read2_b64 v[48:51], v43 offset1:1
	s_add_i32 s8, s7, 0xfffff6d8
	s_waitcnt lgkmcnt(2)
	v_fma_f64 v[34:35], -v[8:9], v[46:47], v[34:35]
	v_mov_b32_e32 v43, s8
	v_fma_f64 v[34:35], -v[10:11], v[44:45], v[34:35]
	ds_read2_b64 v[44:47], v43 offset1:1
	s_add_i32 s8, s7, 0xfffff6c8
	v_mov_b32_e32 v43, s8
	ds_read2_b64 v[52:55], v43 offset1:1
	s_waitcnt lgkmcnt(2)
	v_fma_f64 v[34:35], -v[12:13], v[50:51], v[34:35]
	s_add_i32 s8, s7, 0xfffff6b8
	v_fma_f64 v[34:35], -v[14:15], v[48:49], v[34:35]
	v_mov_b32_e32 v43, s8
	s_add_i32 s8, s7, 0xfffff6a8
	s_waitcnt lgkmcnt(1)
	v_fma_f64 v[34:35], -v[16:17], v[46:47], v[34:35]
	v_mov_b32_e32 v48, s8
	v_fma_f64 v[34:35], -v[20:21], v[44:45], v[34:35]
	ds_read2_b64 v[44:47], v43 offset1:1
	ds_read2_b64 v[48:51], v48 offset1:1
	s_add_i32 s8, s7, 0xfffff698
	s_waitcnt lgkmcnt(2)
	v_fma_f64 v[34:35], -v[22:23], v[54:55], v[34:35]
	v_mov_b32_e32 v43, s8
	v_fma_f64 v[34:35], -v[26:27], v[52:53], v[34:35]
	ds_read2_b64 v[52:55], v43 offset1:1
	s_waitcnt lgkmcnt(2)
	v_fma_f64 v[34:35], -v[28:29], v[46:47], v[34:35]
	v_fma_f64 v[34:35], -v[32:33], v[44:45], v[34:35]
	s_waitcnt lgkmcnt(1)
	v_fma_f64 v[34:35], -v[36:37], v[50:51], v[34:35]
	v_fma_f64 v[34:35], -v[40:41], v[48:49], v[34:35]
	s_waitcnt lgkmcnt(0)
	v_fma_f64 v[34:35], -v[38:39], v[54:55], v[34:35]
	s_add_i32 s8, s7, 0xfffff640
	v_mul_f64 v[34:35], v[52:53], v[34:35]
	v_add_u32_e32 v43, 0xfffff700, v42
	v_mov_b32_e32 v44, s8
	s_add_i32 s8, s7, 0xfffff630
	ds_read_b64 v[48:49], v44
	ds_write_b64 v43, v[34:35]
	v_mov_b32_e32 v43, s8
	ds_read2_b64 v[44:47], v43 offset1:1
	s_add_i32 s8, s7, 0xfffff620
	v_mov_b32_e32 v43, s8
	s_waitcnt lgkmcnt(2)
	v_fma_f64 v[30:31], -v[8:9], v[48:49], v[30:31]
	ds_read2_b64 v[48:51], v43 offset1:1
	s_add_i32 s8, s7, 0xfffff610
	s_waitcnt lgkmcnt(1)
	v_fma_f64 v[30:31], -v[10:11], v[46:47], v[30:31]
	v_mov_b32_e32 v43, s8
	v_fma_f64 v[30:31], -v[12:13], v[44:45], v[30:31]
	ds_read2_b64 v[44:47], v43 offset1:1
	s_add_i32 s8, s7, 0xfffff600
	v_mov_b32_e32 v43, s8
	ds_read2_b64 v[52:55], v43 offset1:1
	s_waitcnt lgkmcnt(2)
	v_fma_f64 v[30:31], -v[14:15], v[50:51], v[30:31]
	s_add_i32 s8, s7, 0xfffff5f0
	v_fma_f64 v[30:31], -v[16:17], v[48:49], v[30:31]
	v_mov_b32_e32 v43, s8
	s_add_i32 s8, s7, 0xfffff5e0
	s_waitcnt lgkmcnt(1)
	v_fma_f64 v[30:31], -v[20:21], v[46:47], v[30:31]
	v_mov_b32_e32 v48, s8
	v_fma_f64 v[30:31], -v[22:23], v[44:45], v[30:31]
	ds_read2_b64 v[44:47], v43 offset1:1
	ds_read2_b64 v[48:51], v48 offset1:1
	s_add_i32 s8, s7, 0xfffff5d0
	s_waitcnt lgkmcnt(2)
	v_fma_f64 v[30:31], -v[26:27], v[54:55], v[30:31]
	v_mov_b32_e32 v43, s8
	v_fma_f64 v[30:31], -v[28:29], v[52:53], v[30:31]
	ds_read2_b64 v[52:55], v43 offset1:1
	s_waitcnt lgkmcnt(2)
	v_fma_f64 v[30:31], -v[32:33], v[46:47], v[30:31]
	v_fma_f64 v[30:31], -v[36:37], v[44:45], v[30:31]
	s_add_i32 s8, s7, 0xfffff578
	s_waitcnt lgkmcnt(1)
	v_fma_f64 v[30:31], -v[40:41], v[50:51], v[30:31]
	v_mov_b32_e32 v44, s8
	v_fma_f64 v[30:31], -v[38:39], v[48:49], v[30:31]
	ds_read2_b64 v[44:47], v44 offset1:1
	s_waitcnt lgkmcnt(1)
	v_fma_f64 v[30:31], -v[34:35], v[54:55], v[30:31]
	v_mul_f64 v[30:31], v[52:53], v[30:31]
	v_add_u32_e32 v43, 0xfffff640, v42
	s_add_i32 s8, s7, 0xfffff568
	ds_write_b64 v43, v[30:31]
	v_mov_b32_e32 v43, s8
	ds_read2_b64 v[48:51], v43 offset1:1
	s_add_i32 s8, s7, 0xfffff558
	s_waitcnt lgkmcnt(2)
	v_fma_f64 v[24:25], -v[8:9], v[46:47], v[24:25]
	v_mov_b32_e32 v43, s8
	v_fma_f64 v[24:25], -v[10:11], v[44:45], v[24:25]
	ds_read2_b64 v[44:47], v43 offset1:1
	s_add_i32 s8, s7, 0xfffff548
	v_mov_b32_e32 v43, s8
	s_waitcnt lgkmcnt(1)
	v_fma_f64 v[24:25], -v[12:13], v[50:51], v[24:25]
	ds_read2_b64 v[52:55], v43 offset1:1
	v_fma_f64 v[24:25], -v[14:15], v[48:49], v[24:25]
	s_add_i32 s8, s7, 0xfffff538
	s_waitcnt lgkmcnt(1)
	v_fma_f64 v[24:25], -v[16:17], v[46:47], v[24:25]
	v_mov_b32_e32 v43, s8
	v_fma_f64 v[24:25], -v[20:21], v[44:45], v[24:25]
	ds_read2_b64 v[44:47], v43 offset1:1
	s_add_i32 s8, s7, 0xfffff528
	s_waitcnt lgkmcnt(1)
	v_fma_f64 v[24:25], -v[22:23], v[54:55], v[24:25]
	v_mov_b32_e32 v43, s8
	v_fma_f64 v[24:25], -v[26:27], v[52:53], v[24:25]
	ds_read2_b64 v[48:51], v43 offset1:1
	s_add_i32 s8, s7, 0xfffff518
	s_waitcnt lgkmcnt(1)
	v_fma_f64 v[24:25], -v[28:29], v[46:47], v[24:25]
	v_mov_b32_e32 v43, s8
	v_fma_f64 v[24:25], -v[32:33], v[44:45], v[24:25]
	ds_read2_b64 v[44:47], v43 offset1:1
	s_add_i32 s8, s7, 0xfffff508
	v_mov_b32_e32 v43, s8
	ds_read2_b64 v[52:55], v43 offset1:1
	s_waitcnt lgkmcnt(2)
	v_fma_f64 v[24:25], -v[36:37], v[50:51], v[24:25]
	v_fma_f64 v[24:25], -v[40:41], v[48:49], v[24:25]
	s_waitcnt lgkmcnt(1)
	v_fma_f64 v[24:25], -v[38:39], v[46:47], v[24:25]
	v_fma_f64 v[24:25], -v[34:35], v[44:45], v[24:25]
	s_waitcnt lgkmcnt(0)
	v_fma_f64 v[24:25], -v[30:31], v[54:55], v[24:25]
	s_add_i32 s8, s7, 0xfffff4c0
	v_mul_f64 v[24:25], v[52:53], v[24:25]
	v_add_u32_e32 v43, 0xfffff580, v42
	v_mov_b32_e32 v44, s8
	s_add_i32 s8, s7, 0xfffff4b0
	ds_read_b64 v[48:49], v44
	ds_write_b64 v43, v[24:25]
	v_mov_b32_e32 v43, s8
	ds_read2_b64 v[44:47], v43 offset1:1
	s_add_i32 s8, s7, 0xfffff4a0
	v_mov_b32_e32 v43, s8
	s_waitcnt lgkmcnt(2)
	v_fma_f64 v[18:19], -v[8:9], v[48:49], v[18:19]
	ds_read2_b64 v[48:51], v43 offset1:1
	s_add_i32 s8, s7, 0xfffff490
	s_waitcnt lgkmcnt(1)
	v_fma_f64 v[18:19], -v[10:11], v[46:47], v[18:19]
	v_mov_b32_e32 v43, s8
	v_fma_f64 v[18:19], -v[12:13], v[44:45], v[18:19]
	ds_read2_b64 v[44:47], v43 offset1:1
	s_add_i32 s8, s7, 0xfffff480
	v_mov_b32_e32 v43, s8
	s_waitcnt lgkmcnt(1)
	v_fma_f64 v[18:19], -v[14:15], v[50:51], v[18:19]
	ds_read2_b64 v[52:55], v43 offset1:1
	v_fma_f64 v[18:19], -v[16:17], v[48:49], v[18:19]
	s_add_i32 s8, s7, 0xfffff470
	s_waitcnt lgkmcnt(1)
	v_fma_f64 v[18:19], -v[20:21], v[46:47], v[18:19]
	v_mov_b32_e32 v43, s8
	v_fma_f64 v[18:19], -v[22:23], v[44:45], v[18:19]
	ds_read2_b64 v[44:47], v43 offset1:1
	s_add_i32 s8, s7, 0xfffff460
	s_waitcnt lgkmcnt(1)
	v_fma_f64 v[18:19], -v[26:27], v[54:55], v[18:19]
	v_mov_b32_e32 v43, s8
	v_fma_f64 v[18:19], -v[28:29], v[52:53], v[18:19]
	ds_read2_b64 v[48:51], v43 offset1:1
	;; [unrolled: 6-line block ×3, first 2 shown]
	s_add_i32 s8, s7, 0xfffff440
	v_mov_b32_e32 v43, s8
	s_waitcnt lgkmcnt(1)
	v_fma_f64 v[18:19], -v[40:41], v[50:51], v[18:19]
	ds_read2_b64 v[52:55], v43 offset1:1
	v_fma_f64 v[18:19], -v[38:39], v[48:49], v[18:19]
	s_add_i32 s8, s7, 0xfffff3f8
	s_waitcnt lgkmcnt(1)
	v_fma_f64 v[18:19], -v[34:35], v[46:47], v[18:19]
	v_mov_b32_e32 v43, s8
	v_fma_f64 v[18:19], -v[30:31], v[44:45], v[18:19]
	ds_read2_b64 v[44:47], v43 offset1:1
	s_add_i32 s8, s7, 0xfffff3e8
	s_waitcnt lgkmcnt(1)
	v_fma_f64 v[18:19], -v[24:25], v[54:55], v[18:19]
	v_mov_b32_e32 v43, s8
	v_mul_f64 v[18:19], v[52:53], v[18:19]
	ds_read2_b64 v[48:51], v43 offset1:1
	v_add_u32_e32 v43, 0xfffff4c0, v42
	s_add_i32 s8, s7, 0xfffff3d8
	ds_write_b64 v43, v[18:19]
	s_waitcnt lgkmcnt(2)
	v_fma_f64 v[6:7], -v[8:9], v[46:47], v[6:7]
	v_mov_b32_e32 v43, s8
	v_fma_f64 v[6:7], -v[10:11], v[44:45], v[6:7]
	ds_read2_b64 v[44:47], v43 offset1:1
	s_add_i32 s8, s7, 0xfffff3c8
	s_waitcnt lgkmcnt(2)
	v_fma_f64 v[6:7], -v[12:13], v[50:51], v[6:7]
	v_mov_b32_e32 v43, s8
	v_fma_f64 v[6:7], -v[14:15], v[48:49], v[6:7]
	ds_read2_b64 v[48:51], v43 offset1:1
	s_add_i32 s8, s7, 0xfffff3b8
	;; [unrolled: 6-line block ×3, first 2 shown]
	v_mov_b32_e32 v43, s8
	ds_read2_b64 v[52:55], v43 offset1:1
	s_waitcnt lgkmcnt(2)
	v_fma_f64 v[6:7], -v[22:23], v[50:51], v[6:7]
	s_add_i32 s8, s7, 0xfffff398
	v_fma_f64 v[6:7], -v[26:27], v[48:49], v[6:7]
	v_mov_b32_e32 v43, s8
	s_add_i32 s8, s7, 0xfffff388
	s_waitcnt lgkmcnt(1)
	v_fma_f64 v[6:7], -v[28:29], v[46:47], v[6:7]
	v_mov_b32_e32 v48, s8
	v_fma_f64 v[6:7], -v[32:33], v[44:45], v[6:7]
	ds_read2_b64 v[44:47], v43 offset1:1
	ds_read2_b64 v[48:51], v48 offset1:1
	s_add_i32 s8, s7, 0xfffff378
	s_waitcnt lgkmcnt(2)
	v_fma_f64 v[6:7], -v[36:37], v[54:55], v[6:7]
	v_mov_b32_e32 v43, s8
	v_fma_f64 v[6:7], -v[40:41], v[52:53], v[6:7]
	ds_read2_b64 v[52:55], v43 offset1:1
	s_waitcnt lgkmcnt(2)
	v_fma_f64 v[6:7], -v[38:39], v[46:47], v[6:7]
	v_fma_f64 v[6:7], -v[34:35], v[44:45], v[6:7]
	s_waitcnt lgkmcnt(1)
	v_fma_f64 v[6:7], -v[30:31], v[50:51], v[6:7]
	v_fma_f64 v[6:7], -v[24:25], v[48:49], v[6:7]
	s_waitcnt lgkmcnt(0)
	v_fma_f64 v[6:7], -v[18:19], v[54:55], v[6:7]
	s_add_i32 s8, s7, 0xfffff340
	v_mul_f64 v[52:53], v[52:53], v[6:7]
	v_mov_b32_e32 v6, s8
	s_add_i32 s8, s7, 0xfffff330
	ds_read_b64 v[6:7], v6
	v_mov_b32_e32 v44, s8
	ds_read2_b64 v[44:47], v44 offset1:1
	s_add_i32 s8, s7, 0xfffff320
	v_mov_b32_e32 v48, s8
	ds_read2_b64 v[48:51], v48 offset1:1
	s_waitcnt lgkmcnt(2)
	v_fma_f64 v[4:5], -v[8:9], v[6:7], v[4:5]
	s_waitcnt lgkmcnt(1)
	v_fma_f64 v[4:5], -v[10:11], v[46:47], v[4:5]
	v_fma_f64 v[4:5], -v[12:13], v[44:45], v[4:5]
	s_add_i32 s8, s7, 0xfffff310
	s_waitcnt lgkmcnt(0)
	v_fma_f64 v[44:45], -v[14:15], v[50:51], v[4:5]
	v_mov_b32_e32 v4, s8
	ds_read2_b64 v[4:7], v4 offset1:1
	v_add_u32_e32 v43, 0xfffff400, v42
	s_add_i32 s8, s7, 0xfffff300
	ds_write_b64 v43, v[52:53]
	v_fma_f64 v[48:49], -v[16:17], v[48:49], v[44:45]
	v_mov_b32_e32 v43, s8
	ds_read2_b64 v[44:47], v43 offset1:1
	s_waitcnt lgkmcnt(2)
	v_fma_f64 v[6:7], -v[20:21], v[6:7], v[48:49]
	s_add_i32 s8, s7, 0xfffff2f0
	v_fma_f64 v[54:55], -v[22:23], v[4:5], v[6:7]
	v_mov_b32_e32 v4, s8
	ds_read2_b64 v[4:7], v4 offset1:1
	s_add_i32 s8, s7, 0xfffff2e0
	v_mov_b32_e32 v43, s8
	ds_read2_b64 v[48:51], v43 offset1:1
	s_waitcnt lgkmcnt(2)
	v_fma_f64 v[46:47], -v[26:27], v[46:47], v[54:55]
	v_fma_f64 v[44:45], -v[28:29], v[44:45], v[46:47]
	s_waitcnt lgkmcnt(1)
	v_fma_f64 v[6:7], -v[32:33], v[6:7], v[44:45]
	v_fma_f64 v[4:5], -v[36:37], v[4:5], v[6:7]
	s_waitcnt lgkmcnt(0)
	v_fma_f64 v[4:5], -v[40:41], v[50:51], v[4:5]
	s_add_i32 s8, s7, 0xfffff2d0
	v_fma_f64 v[54:55], -v[38:39], v[48:49], v[4:5]
	v_mov_b32_e32 v4, s8
	s_add_i32 s8, s7, 0xfffff2c0
	v_mov_b32_e32 v43, s8
	ds_read2_b64 v[4:7], v4 offset1:1
	ds_read2_b64 v[44:47], v43 offset1:1
	s_add_i32 s8, s7, 0xfffff2b0
	v_mov_b32_e32 v43, s8
	ds_read2_b64 v[48:51], v43 offset1:1
	s_waitcnt lgkmcnt(2)
	v_fma_f64 v[6:7], -v[34:35], v[6:7], v[54:55]
	v_fma_f64 v[4:5], -v[30:31], v[4:5], v[6:7]
	s_waitcnt lgkmcnt(1)
	v_fma_f64 v[4:5], -v[24:25], v[46:47], v[4:5]
	v_fma_f64 v[4:5], -v[18:19], v[44:45], v[4:5]
	s_waitcnt lgkmcnt(0)
	v_fma_f64 v[4:5], -v[52:53], v[50:51], v[4:5]
	s_add_i32 s8, s7, 0xfffff278
	v_mul_f64 v[48:49], v[48:49], v[4:5]
	v_mov_b32_e32 v4, s8
	ds_read2_b64 v[4:7], v4 offset1:1
	s_add_i32 s8, s7, 0xfffff268
	v_mov_b32_e32 v43, s8
	ds_read2_b64 v[44:47], v43 offset1:1
	s_add_i32 s8, s7, 0xfffff258
	s_waitcnt lgkmcnt(1)
	v_fma_f64 v[2:3], -v[8:9], v[6:7], v[2:3]
	v_fma_f64 v[2:3], -v[10:11], v[4:5], v[2:3]
	v_add_u32_e32 v43, 0xfffff340, v42
	s_waitcnt lgkmcnt(0)
	v_fma_f64 v[6:7], -v[12:13], v[46:47], v[2:3]
	v_mov_b32_e32 v2, s8
	ds_read2_b64 v[2:5], v2 offset1:1
	s_add_i32 s8, s7, 0xfffff248
	v_fma_f64 v[10:11], -v[14:15], v[44:45], v[6:7]
	v_mov_b32_e32 v6, s8
	ds_read2_b64 v[6:9], v6 offset1:1
	s_waitcnt lgkmcnt(1)
	v_fma_f64 v[4:5], -v[16:17], v[4:5], v[10:11]
	s_add_i32 s8, s7, 0xfffff238
	v_fma_f64 v[14:15], -v[20:21], v[2:3], v[4:5]
	v_mov_b32_e32 v2, s8
	ds_read2_b64 v[2:5], v2 offset1:1
	s_add_i32 s8, s7, 0xfffff228
	v_mov_b32_e32 v10, s8
	ds_read2_b64 v[10:13], v10 offset1:1
	s_waitcnt lgkmcnt(2)
	v_fma_f64 v[8:9], -v[22:23], v[8:9], v[14:15]
	v_fma_f64 v[6:7], -v[26:27], v[6:7], v[8:9]
	s_waitcnt lgkmcnt(1)
	v_fma_f64 v[4:5], -v[28:29], v[4:5], v[6:7]
	v_fma_f64 v[2:3], -v[32:33], v[2:3], v[4:5]
	s_add_i32 s8, s7, 0xfffff218
	s_waitcnt lgkmcnt(0)
	v_fma_f64 v[6:7], -v[36:37], v[12:13], v[2:3]
	v_mov_b32_e32 v2, s8
	ds_read2_b64 v[2:5], v2 offset1:1
	s_add_i32 s8, s7, 0xfffff208
	v_fma_f64 v[10:11], -v[40:41], v[10:11], v[6:7]
	v_mov_b32_e32 v6, s8
	ds_read2_b64 v[6:9], v6 offset1:1
	s_waitcnt lgkmcnt(1)
	v_fma_f64 v[4:5], -v[38:39], v[4:5], v[10:11]
	s_add_i32 s8, s7, 0xfffff1f8
	v_fma_f64 v[14:15], -v[34:35], v[2:3], v[4:5]
	v_mov_b32_e32 v2, s8
	ds_read2_b64 v[2:5], v2 offset1:1
	s_addk_i32 s7, 0xf1e8
	v_mov_b32_e32 v10, s7
	ds_read2_b64 v[10:13], v10 offset1:1
	s_waitcnt lgkmcnt(2)
	v_fma_f64 v[8:9], -v[30:31], v[8:9], v[14:15]
	v_fma_f64 v[6:7], -v[24:25], v[6:7], v[8:9]
	s_waitcnt lgkmcnt(1)
	v_fma_f64 v[4:5], -v[18:19], v[4:5], v[6:7]
	v_fma_f64 v[2:3], -v[52:53], v[2:3], v[4:5]
	s_waitcnt lgkmcnt(0)
	v_fma_f64 v[2:3], -v[48:49], v[12:13], v[2:3]
	v_mul_f64 v[2:3], v[10:11], v[2:3]
	v_add_u32_e32 v4, 0xfffff280, v42
	s_sub_i32 s5, s5, 20
	ds_write_b64 v43, v[48:49]
	ds_write_b64 v4, v[2:3]
.LBB94_18:
	s_cmp_lt_i32 s5, 0
	s_cbranch_scc1 .LBB94_31
; %bb.19:
	s_bitcmp1_b32 s5, 0
	s_cselect_b64 s[8:9], -1, 0
	s_and_b64 vcc, exec, s[8:9]
	s_mov_b32 s7, s5
	s_cbranch_vccnz .LBB94_24
; %bb.20:
	s_mul_i32 s7, s5, 0xc0
	v_add_u32_e32 v4, s7, v1
	ds_read_b64 v[2:3], v4
	s_cmp_le_i32 s4, s5
	s_cbranch_scc1 .LBB94_23
; %bb.21:
	s_lshl_b32 s8, s22, 3
	s_add_i32 s7, s7, s8
	s_mul_i32 s8, s22, 0xc0
	v_lshl_add_u32 v5, v0, 3, s8
	s_add_i32 s7, s7, -8
	v_add_u32_e32 v5, 0x1140, v5
	s_mov_b32 s8, s4
.LBB94_22:                              ; =>This Inner Loop Header: Depth=1
	v_mov_b32_e32 v8, s7
	ds_read_b64 v[6:7], v5
	ds_read_b64 v[8:9], v8
	s_add_i32 s8, s8, -1
	s_add_i32 s7, s7, -8
	v_add_u32_e32 v5, 0xffffff40, v5
	s_cmp_gt_i32 s8, s5
	s_waitcnt lgkmcnt(0)
	v_fma_f64 v[2:3], -v[6:7], v[8:9], v[2:3]
	s_cbranch_scc1 .LBB94_22
.LBB94_23:
	s_mul_i32 s7, s5, 0xc8
	v_mov_b32_e32 v5, s7
	ds_read_b64 v[6:7], v5
	s_add_i32 s7, s5, -1
	s_waitcnt lgkmcnt(0)
	v_mul_f64 v[2:3], v[6:7], v[2:3]
	ds_write_b64 v4, v[2:3]
.LBB94_24:
	s_cmp_eq_u32 s5, 0
	s_cbranch_scc1 .LBB94_31
; %bb.25:
	s_mul_i32 s5, s7, 0xc0
	s_lshl_b32 s8, s22, 3
	s_mul_i32 s9, s22, 0xc0
	s_add_i32 s8, s5, s8
	v_lshl_add_u32 v2, v0, 3, s9
	s_add_i32 s5, s8, -8
	v_add_u32_e32 v6, 0x1140, v2
	s_addk_i32 s8, 0xff38
	s_branch .LBB94_27
.LBB94_26:                              ;   in Loop: Header=BB94_27 Depth=1
	s_addk_i32 s9, 0xff38
	v_mov_b32_e32 v2, s9
	ds_read_b64 v[2:3], v2
	s_add_i32 s9, s7, -2
	s_addk_i32 s5, 0xfe80
	s_addk_i32 s8, 0xfe80
	s_cmp_lt_i32 s7, 2
	s_waitcnt lgkmcnt(0)
	v_mul_f64 v[2:3], v[2:3], v[4:5]
	s_mov_b32 s7, s9
	ds_write_b64 v7, v[2:3]
	s_cbranch_scc1 .LBB94_31
.LBB94_27:                              ; =>This Loop Header: Depth=1
                                        ;     Child Loop BB94_28 Depth 2
                                        ;     Child Loop BB94_30 Depth 2
	s_mul_i32 s12, s7, 0xc0
	v_add_u32_e32 v8, s12, v1
	ds_read_b64 v[2:3], v8
	s_cmp_le_i32 s4, s7
	v_mov_b32_e32 v4, v6
	s_mov_b32 s9, s5
	s_mov_b32 s13, s4
	s_cbranch_scc1 .LBB94_29
.LBB94_28:                              ;   Parent Loop BB94_27 Depth=1
                                        ; =>  This Inner Loop Header: Depth=2
	v_mov_b32_e32 v5, s9
	ds_read_b64 v[10:11], v4
	ds_read_b64 v[12:13], v5
	s_add_i32 s13, s13, -1
	s_add_i32 s9, s9, -8
	v_add_u32_e32 v4, 0xffffff40, v4
	s_cmp_gt_i32 s13, s7
	s_waitcnt lgkmcnt(0)
	v_fma_f64 v[2:3], -v[10:11], v[12:13], v[2:3]
	s_cbranch_scc1 .LBB94_28
.LBB94_29:                              ;   in Loop: Header=BB94_27 Depth=1
	s_mul_i32 s9, s7, 0xc8
	v_mov_b32_e32 v4, s9
	ds_read_b64 v[10:11], v4
	s_addk_i32 s12, 0xff40
	v_add_u32_e32 v7, s12, v1
	ds_read_b64 v[4:5], v7
	s_cmp_le_i32 s22, s7
	s_waitcnt lgkmcnt(1)
	v_mul_f64 v[2:3], v[10:11], v[2:3]
	ds_write_b64 v8, v[2:3]
	v_mov_b32_e32 v2, v6
	s_mov_b32 s12, s8
	s_mov_b32 s13, s22
	s_cbranch_scc1 .LBB94_26
.LBB94_30:                              ;   Parent Loop BB94_27 Depth=1
                                        ; =>  This Inner Loop Header: Depth=2
	v_mov_b32_e32 v3, s12
	ds_read_b64 v[8:9], v2
	ds_read_b64 v[10:11], v3
	s_add_i32 s13, s13, -1
	s_add_i32 s12, s12, -8
	v_add_u32_e32 v2, 0xffffff40, v2
	s_cmp_gt_i32 s13, s7
	s_waitcnt lgkmcnt(0)
	v_fma_f64 v[4:5], -v[8:9], v[10:11], v[4:5]
	s_cbranch_scc1 .LBB94_30
	s_branch .LBB94_26
.LBB94_31:
	s_mov_b64 s[4:5], 0
.LBB94_32:
	s_and_b64 vcc, exec, s[4:5]
	s_cbranch_vccz .LBB94_46
; %bb.33:
	s_cmp_gt_i32 s6, 23
	s_cselect_b64 s[4:5], -1, 0
	s_mov_b32 s8, 0
	s_and_b64 vcc, exec, s[4:5]
	s_cbranch_vccz .LBB94_35
; %bb.34:
	v_add_u32_e32 v37, 0x400, v1
	v_add_u32_e32 v36, 0x800, v1
	v_mov_b32_e32 v83, 0
	ds_read2_b64 v[14:17], v1 offset1:24
	ds_read2_b64 v[18:21], v1 offset0:48 offset1:72
	ds_read2_b64 v[22:25], v1 offset0:96 offset1:120
	;; [unrolled: 1-line block ×10, first 2 shown]
	ds_read_b128 v[38:41], v83
	v_add_u32_e32 v82, 0x1000, v1
	ds_read2_b64 v[2:5], v82 offset0:16 offset1:40
	s_movk_i32 s8, 0x400
	s_movk_i32 s7, 0x800
	s_waitcnt lgkmcnt(1)
	v_mul_f64 v[74:75], v[38:39], v[14:15]
	v_fma_f64 v[30:31], -v[74:75], v[40:41], v[16:17]
	ds_read2_b64 v[14:17], v83 offset0:25 offset1:26
	s_movk_i32 s6, 0x1000
	s_waitcnt lgkmcnt(0)
	v_mul_f64 v[38:39], v[14:15], v[30:31]
	ds_write2_b64 v1, v[74:75], v[38:39] offset1:24
	ds_read_b128 v[40:43], v83 offset:16
	ds_read_b128 v[46:49], v83 offset:32
	s_waitcnt lgkmcnt(1)
	v_fma_f64 v[14:15], -v[74:75], v[40:41], v[18:19]
	v_fma_f64 v[18:19], -v[38:39], v[16:17], v[14:15]
	ds_read_b128 v[14:17], v83 offset:400
	s_waitcnt lgkmcnt(0)
	v_mul_f64 v[40:41], v[14:15], v[18:19]
	v_fma_f64 v[14:15], -v[74:75], v[42:43], v[20:21]
	ds_read2_b64 v[18:21], v83 offset0:27 offset1:28
	s_waitcnt lgkmcnt(0)
	v_fma_f64 v[14:15], -v[38:39], v[18:19], v[14:15]
	v_fma_f64 v[18:19], -v[40:41], v[16:17], v[14:15]
	ds_read2_b64 v[14:17], v83 offset0:75 offset1:76
	s_waitcnt lgkmcnt(0)
	v_mul_f64 v[44:45], v[14:15], v[18:19]
	v_fma_f64 v[14:15], -v[74:75], v[46:47], v[22:23]
	v_fma_f64 v[14:15], -v[38:39], v[20:21], v[14:15]
	ds_read_b128 v[18:21], v83 offset:416
	ds_write2_b64 v1, v[40:41], v[44:45] offset0:48 offset1:72
	s_waitcnt lgkmcnt(1)
	v_fma_f64 v[14:15], -v[40:41], v[18:19], v[14:15]
	v_fma_f64 v[18:19], -v[44:45], v[16:17], v[14:15]
	ds_read_b128 v[14:17], v83 offset:800
	s_waitcnt lgkmcnt(0)
	v_mul_f64 v[46:47], v[14:15], v[18:19]
	v_fma_f64 v[14:15], -v[74:75], v[48:49], v[24:25]
	ds_read2_b64 v[22:25], v83 offset0:29 offset1:30
	s_waitcnt lgkmcnt(0)
	v_fma_f64 v[14:15], -v[38:39], v[22:23], v[14:15]
	v_fma_f64 v[14:15], -v[40:41], v[20:21], v[14:15]
	ds_read2_b64 v[18:21], v83 offset0:77 offset1:78
	s_waitcnt lgkmcnt(0)
	v_fma_f64 v[14:15], -v[44:45], v[18:19], v[14:15]
	v_fma_f64 v[18:19], -v[46:47], v[16:17], v[14:15]
	ds_read2_b64 v[14:17], v83 offset0:125 offset1:126
	s_waitcnt lgkmcnt(0)
	v_mul_f64 v[42:43], v[14:15], v[18:19]
	ds_write2_b64 v1, v[46:47], v[42:43] offset0:96 offset1:120
	ds_read_b128 v[48:51], v83 offset:48
	ds_read_b128 v[68:71], v83 offset:64
	s_waitcnt lgkmcnt(1)
	v_fma_f64 v[14:15], -v[74:75], v[48:49], v[26:27]
	v_fma_f64 v[14:15], -v[38:39], v[24:25], v[14:15]
	ds_read_b128 v[22:25], v83 offset:432
	s_waitcnt lgkmcnt(0)
	v_fma_f64 v[14:15], -v[40:41], v[22:23], v[14:15]
	v_fma_f64 v[14:15], -v[44:45], v[20:21], v[14:15]
	ds_read_b128 v[18:21], v83 offset:816
	s_waitcnt lgkmcnt(0)
	v_fma_f64 v[14:15], -v[46:47], v[18:19], v[14:15]
	v_fma_f64 v[18:19], -v[42:43], v[16:17], v[14:15]
	ds_read_b128 v[14:17], v83 offset:1200
	s_waitcnt lgkmcnt(0)
	v_mul_f64 v[48:49], v[14:15], v[18:19]
	v_fma_f64 v[14:15], -v[74:75], v[50:51], v[28:29]
	ds_read2_b64 v[26:29], v83 offset0:31 offset1:32
	s_waitcnt lgkmcnt(0)
	v_fma_f64 v[14:15], -v[38:39], v[26:27], v[14:15]
	v_fma_f64 v[14:15], -v[40:41], v[24:25], v[14:15]
	ds_read2_b64 v[22:25], v83 offset0:79 offset1:80
	s_waitcnt lgkmcnt(0)
	v_fma_f64 v[14:15], -v[44:45], v[22:23], v[14:15]
	;; [unrolled: 4-line block ×3, first 2 shown]
	v_fma_f64 v[18:19], -v[48:49], v[16:17], v[14:15]
	ds_read2_b64 v[14:17], v83 offset0:175 offset1:176
	s_waitcnt lgkmcnt(0)
	v_mul_f64 v[50:51], v[14:15], v[18:19]
	v_fma_f64 v[14:15], -v[74:75], v[68:69], v[52:53]
	v_fma_f64 v[14:15], -v[38:39], v[28:29], v[14:15]
	ds_read_b128 v[26:29], v83 offset:448
	ds_write2_b64 v1, v[48:49], v[50:51] offset0:144 offset1:168
	s_waitcnt lgkmcnt(1)
	v_fma_f64 v[14:15], -v[40:41], v[26:27], v[14:15]
	v_fma_f64 v[14:15], -v[44:45], v[24:25], v[14:15]
	ds_read_b128 v[22:25], v83 offset:832
	s_waitcnt lgkmcnt(0)
	v_fma_f64 v[14:15], -v[46:47], v[22:23], v[14:15]
	v_fma_f64 v[14:15], -v[42:43], v[20:21], v[14:15]
	ds_read_b128 v[18:21], v83 offset:1216
	;; [unrolled: 4-line block ×3, first 2 shown]
	s_waitcnt lgkmcnt(0)
	v_mul_f64 v[52:53], v[14:15], v[18:19]
	v_fma_f64 v[14:15], -v[74:75], v[70:71], v[54:55]
	ds_read2_b64 v[68:71], v83 offset0:33 offset1:34
	s_waitcnt lgkmcnt(0)
	v_fma_f64 v[14:15], -v[38:39], v[68:69], v[14:15]
	v_fma_f64 v[14:15], -v[40:41], v[28:29], v[14:15]
	ds_read2_b64 v[26:29], v83 offset0:81 offset1:82
	s_waitcnt lgkmcnt(0)
	v_fma_f64 v[14:15], -v[44:45], v[26:27], v[14:15]
	;; [unrolled: 4-line block ×4, first 2 shown]
	v_fma_f64 v[18:19], -v[52:53], v[16:17], v[14:15]
	ds_read2_b64 v[14:17], v83 offset0:225 offset1:226
	s_waitcnt lgkmcnt(0)
	v_mul_f64 v[54:55], v[14:15], v[18:19]
	ds_write2_b64 v1, v[52:53], v[54:55] offset0:192 offset1:216
	ds_read_b128 v[76:79], v83 offset:80
	ds_read_b128 v[84:87], v83 offset:96
	;; [unrolled: 1-line block ×5, first 2 shown]
	s_waitcnt lgkmcnt(4)
	v_fma_f64 v[14:15], -v[74:75], v[76:77], v[56:57]
	v_fma_f64 v[14:15], -v[38:39], v[70:71], v[14:15]
	ds_read_b128 v[68:71], v83 offset:464
	ds_read_b128 v[112:115], v83 offset:160
	;; [unrolled: 1-line block ×3, first 2 shown]
	s_waitcnt lgkmcnt(2)
	v_fma_f64 v[14:15], -v[40:41], v[68:69], v[14:15]
	v_fma_f64 v[14:15], -v[44:45], v[28:29], v[14:15]
	ds_read_b128 v[26:29], v83 offset:848
	s_waitcnt lgkmcnt(1)
	v_fma_f64 v[2:3], -v[74:75], v[116:117], v[2:3]
	v_fma_f64 v[4:5], -v[74:75], v[118:119], v[4:5]
	s_waitcnt lgkmcnt(0)
	v_fma_f64 v[14:15], -v[46:47], v[26:27], v[14:15]
	v_fma_f64 v[14:15], -v[42:43], v[24:25], v[14:15]
	ds_read_b128 v[22:25], v83 offset:1232
	s_waitcnt lgkmcnt(0)
	v_fma_f64 v[14:15], -v[48:49], v[22:23], v[14:15]
	v_fma_f64 v[14:15], -v[50:51], v[20:21], v[14:15]
	ds_read_b128 v[18:21], v83 offset:1616
	;; [unrolled: 4-line block ×3, first 2 shown]
	s_waitcnt lgkmcnt(0)
	v_mul_f64 v[56:57], v[14:15], v[18:19]
	v_fma_f64 v[14:15], -v[74:75], v[78:79], v[58:59]
	ds_read2_b64 v[76:79], v83 offset0:35 offset1:36
	s_waitcnt lgkmcnt(0)
	v_fma_f64 v[14:15], -v[38:39], v[76:77], v[14:15]
	v_fma_f64 v[14:15], -v[40:41], v[70:71], v[14:15]
	ds_read2_b64 v[68:71], v83 offset0:83 offset1:84
	s_waitcnt lgkmcnt(0)
	v_fma_f64 v[14:15], -v[44:45], v[68:69], v[14:15]
	;; [unrolled: 4-line block ×5, first 2 shown]
	v_fma_f64 v[18:19], -v[56:57], v[16:17], v[14:15]
	v_mov_b32_e32 v14, 0x898
	ds_read2_b64 v[14:17], v14 offset1:1
	s_waitcnt lgkmcnt(0)
	v_mul_f64 v[58:59], v[14:15], v[18:19]
	v_fma_f64 v[14:15], -v[74:75], v[84:85], v[60:61]
	v_fma_f64 v[14:15], -v[38:39], v[78:79], v[14:15]
	ds_read_b128 v[76:79], v83 offset:480
	ds_write2_b64 v37, v[56:57], v[58:59] offset0:112 offset1:136
	s_waitcnt lgkmcnt(1)
	v_fma_f64 v[14:15], -v[40:41], v[76:77], v[14:15]
	v_fma_f64 v[14:15], -v[44:45], v[70:71], v[14:15]
	ds_read_b128 v[68:71], v83 offset:864
	s_waitcnt lgkmcnt(0)
	v_fma_f64 v[14:15], -v[46:47], v[68:69], v[14:15]
	v_fma_f64 v[14:15], -v[42:43], v[28:29], v[14:15]
	ds_read_b128 v[26:29], v83 offset:1248
	s_waitcnt lgkmcnt(0)
	v_fma_f64 v[14:15], -v[48:49], v[26:27], v[14:15]
	v_fma_f64 v[14:15], -v[50:51], v[24:25], v[14:15]
	ds_read_b128 v[22:25], v83 offset:1632
	s_waitcnt lgkmcnt(0)
	v_fma_f64 v[14:15], -v[52:53], v[22:23], v[14:15]
	v_fma_f64 v[14:15], -v[54:55], v[20:21], v[14:15]
	ds_read_b128 v[18:21], v83 offset:2016
	s_waitcnt lgkmcnt(0)
	v_fma_f64 v[14:15], -v[56:57], v[18:19], v[14:15]
	v_fma_f64 v[18:19], -v[58:59], v[16:17], v[14:15]
	ds_read_b128 v[14:17], v83 offset:2400
	s_waitcnt lgkmcnt(0)
	v_mul_f64 v[60:61], v[14:15], v[18:19]
	v_fma_f64 v[14:15], -v[74:75], v[86:87], v[62:63]
	ds_read2_b64 v[84:87], v83 offset0:37 offset1:38
	v_mov_b32_e32 v18, 0x8a8
	s_waitcnt lgkmcnt(0)
	v_fma_f64 v[14:15], -v[38:39], v[84:85], v[14:15]
	v_fma_f64 v[14:15], -v[40:41], v[78:79], v[14:15]
	ds_read2_b64 v[76:79], v83 offset0:85 offset1:86
	s_waitcnt lgkmcnt(0)
	v_fma_f64 v[14:15], -v[44:45], v[76:77], v[14:15]
	v_fma_f64 v[14:15], -v[46:47], v[70:71], v[14:15]
	ds_read2_b64 v[68:71], v83 offset0:133 offset1:134
	;; [unrolled: 4-line block ×4, first 2 shown]
	s_waitcnt lgkmcnt(0)
	v_fma_f64 v[14:15], -v[54:55], v[22:23], v[14:15]
	v_fma_f64 v[14:15], -v[56:57], v[20:21], v[14:15]
	ds_read2_b64 v[18:21], v18 offset1:1
	s_waitcnt lgkmcnt(0)
	v_fma_f64 v[14:15], -v[58:59], v[18:19], v[14:15]
	v_fma_f64 v[18:19], -v[60:61], v[16:17], v[14:15]
	v_mov_b32_e32 v14, 0xa28
	ds_read2_b64 v[14:17], v14 offset1:1
	s_waitcnt lgkmcnt(0)
	v_mul_f64 v[62:63], v[14:15], v[18:19]
	v_fma_f64 v[14:15], -v[74:75], v[88:89], v[64:65]
	v_fma_f64 v[14:15], -v[38:39], v[86:87], v[14:15]
	ds_read_b128 v[84:87], v83 offset:496
	ds_write2_b64 v36, v[60:61], v[62:63] offset0:32 offset1:56
	s_waitcnt lgkmcnt(1)
	v_fma_f64 v[14:15], -v[40:41], v[84:85], v[14:15]
	v_fma_f64 v[14:15], -v[44:45], v[78:79], v[14:15]
	ds_read_b128 v[76:79], v83 offset:880
	s_waitcnt lgkmcnt(0)
	v_fma_f64 v[14:15], -v[46:47], v[76:77], v[14:15]
	v_fma_f64 v[14:15], -v[42:43], v[70:71], v[14:15]
	ds_read_b128 v[68:71], v83 offset:1264
	;; [unrolled: 4-line block ×6, first 2 shown]
	s_waitcnt lgkmcnt(0)
	v_mul_f64 v[64:65], v[14:15], v[18:19]
	v_fma_f64 v[14:15], -v[74:75], v[90:91], v[66:67]
	ds_read2_b64 v[66:69], v83 offset0:39 offset1:40
	v_mov_b32_e32 v18, 0x8b8
	ds_read_b128 v[88:91], v83 offset:128
	s_waitcnt lgkmcnt(1)
	v_fma_f64 v[14:15], -v[38:39], v[66:67], v[14:15]
	v_fma_f64 v[14:15], -v[40:41], v[86:87], v[14:15]
	ds_read2_b64 v[84:87], v83 offset0:87 offset1:88
	s_waitcnt lgkmcnt(1)
	v_fma_f64 v[10:11], -v[74:75], v[88:89], v[10:11]
	v_fma_f64 v[10:11], -v[38:39], v[68:69], v[10:11]
	s_waitcnt lgkmcnt(0)
	v_fma_f64 v[14:15], -v[44:45], v[84:85], v[14:15]
	v_fma_f64 v[14:15], -v[46:47], v[78:79], v[14:15]
	ds_read2_b64 v[76:79], v83 offset0:135 offset1:136
	s_waitcnt lgkmcnt(0)
	v_fma_f64 v[14:15], -v[42:43], v[76:77], v[14:15]
	v_fma_f64 v[14:15], -v[48:49], v[70:71], v[14:15]
	ds_read2_b64 v[70:73], v83 offset0:183 offset1:184
	;; [unrolled: 4-line block ×3, first 2 shown]
	ds_read_b128 v[68:71], v83 offset:512
	s_waitcnt lgkmcnt(1)
	v_fma_f64 v[14:15], -v[54:55], v[26:27], v[14:15]
	v_fma_f64 v[14:15], -v[56:57], v[24:25], v[14:15]
	ds_read2_b64 v[22:25], v18 offset1:1
	v_mov_b32_e32 v18, 0xa38
	s_waitcnt lgkmcnt(1)
	v_fma_f64 v[10:11], -v[40:41], v[68:69], v[10:11]
	v_fma_f64 v[10:11], -v[44:45], v[86:87], v[10:11]
	ds_read_b128 v[84:87], v83 offset:896
	s_waitcnt lgkmcnt(1)
	v_fma_f64 v[14:15], -v[58:59], v[22:23], v[14:15]
	v_fma_f64 v[14:15], -v[60:61], v[20:21], v[14:15]
	ds_read2_b64 v[18:21], v18 offset1:1
	s_waitcnt lgkmcnt(1)
	v_fma_f64 v[10:11], -v[46:47], v[84:85], v[10:11]
	v_fma_f64 v[10:11], -v[42:43], v[78:79], v[10:11]
	ds_read_b128 v[76:79], v83 offset:1280
	s_waitcnt lgkmcnt(1)
	v_fma_f64 v[14:15], -v[62:63], v[18:19], v[14:15]
	v_fma_f64 v[18:19], -v[64:65], v[16:17], v[14:15]
	v_mov_b32_e32 v14, 0xbb8
	ds_read2_b64 v[14:17], v14 offset1:1
	s_waitcnt lgkmcnt(1)
	v_fma_f64 v[10:11], -v[48:49], v[76:77], v[10:11]
	v_fma_f64 v[10:11], -v[50:51], v[72:73], v[10:11]
	;; [unrolled: 1-line block ×4, first 2 shown]
	ds_read_b128 v[26:29], v83 offset:2048
	s_waitcnt lgkmcnt(1)
	v_mul_f64 v[66:67], v[14:15], v[18:19]
	ds_write2_b64 v36, v[64:65], v[66:67] offset0:80 offset1:104
	s_waitcnt lgkmcnt(1)
	v_fma_f64 v[10:11], -v[56:57], v[26:27], v[10:11]
	v_fma_f64 v[10:11], -v[58:59], v[24:25], v[10:11]
	ds_read_b128 v[22:25], v83 offset:2432
	s_waitcnt lgkmcnt(0)
	v_fma_f64 v[10:11], -v[60:61], v[22:23], v[10:11]
	v_fma_f64 v[10:11], -v[62:63], v[20:21], v[10:11]
	ds_read_b128 v[18:21], v83 offset:2816
	;; [unrolled: 4-line block ×3, first 2 shown]
	s_waitcnt lgkmcnt(0)
	v_mul_f64 v[68:69], v[14:15], v[10:11]
	v_fma_f64 v[14:15], -v[74:75], v[90:91], v[12:13]
	ds_read2_b64 v[10:13], v83 offset0:41 offset1:42
	ds_read2_b64 v[88:91], v83 offset0:233 offset1:234
	s_waitcnt lgkmcnt(1)
	v_fma_f64 v[10:11], -v[38:39], v[10:11], v[14:15]
	v_fma_f64 v[10:11], -v[40:41], v[70:71], v[10:11]
	ds_read2_b64 v[70:73], v83 offset0:89 offset1:90
	v_mov_b32_e32 v14, 0x8c8
	s_waitcnt lgkmcnt(0)
	v_fma_f64 v[10:11], -v[44:45], v[70:71], v[10:11]
	v_fma_f64 v[10:11], -v[46:47], v[86:87], v[10:11]
	ds_read2_b64 v[84:87], v83 offset0:137 offset1:138
	s_waitcnt lgkmcnt(0)
	v_fma_f64 v[10:11], -v[42:43], v[84:85], v[10:11]
	v_fma_f64 v[10:11], -v[48:49], v[78:79], v[10:11]
	ds_read2_b64 v[76:79], v83 offset0:185 offset1:186
	s_waitcnt lgkmcnt(0)
	v_fma_f64 v[10:11], -v[50:51], v[76:77], v[10:11]
	v_fma_f64 v[10:11], -v[52:53], v[94:95], v[10:11]
	;; [unrolled: 1-line block ×4, first 2 shown]
	ds_read2_b64 v[26:29], v14 offset1:1
	ds_read_b128 v[92:95], v83 offset:144
	v_mov_b32_e32 v14, 0xa48
	s_waitcnt lgkmcnt(1)
	v_fma_f64 v[10:11], -v[58:59], v[26:27], v[10:11]
	v_fma_f64 v[10:11], -v[60:61], v[24:25], v[10:11]
	ds_read2_b64 v[22:25], v14 offset1:1
	v_mov_b32_e32 v14, 0xbc8
	s_waitcnt lgkmcnt(1)
	v_fma_f64 v[6:7], -v[74:75], v[92:93], v[6:7]
	v_fma_f64 v[6:7], -v[38:39], v[12:13], v[6:7]
	s_waitcnt lgkmcnt(0)
	v_fma_f64 v[10:11], -v[62:63], v[22:23], v[10:11]
	v_fma_f64 v[10:11], -v[64:65], v[20:21], v[10:11]
	ds_read2_b64 v[18:21], v14 offset1:1
	v_mov_b32_e32 v14, 0xd48
	s_waitcnt lgkmcnt(0)
	v_fma_f64 v[10:11], -v[66:67], v[18:19], v[10:11]
	v_fma_f64 v[10:11], -v[68:69], v[16:17], v[10:11]
	ds_read2_b64 v[14:17], v14 offset1:1
	s_waitcnt lgkmcnt(0)
	v_mul_f64 v[70:71], v[14:15], v[10:11]
	ds_read_b128 v[10:13], v83 offset:528
	ds_write2_b64 v36, v[68:69], v[70:71] offset0:128 offset1:152
	s_waitcnt lgkmcnt(1)
	v_fma_f64 v[6:7], -v[40:41], v[10:11], v[6:7]
	v_fma_f64 v[6:7], -v[44:45], v[72:73], v[6:7]
	;; [unrolled: 1-line block ×4, first 2 shown]
	ds_read_b128 v[84:87], v83 offset:1296
	v_fma_f64 v[10:11], -v[74:75], v[94:95], v[8:9]
	ds_read2_b64 v[92:95], v83 offset0:139 offset1:140
	s_waitcnt lgkmcnt(1)
	v_fma_f64 v[6:7], -v[48:49], v[84:85], v[6:7]
	v_fma_f64 v[6:7], -v[50:51], v[78:79], v[6:7]
	ds_read_b128 v[76:79], v83 offset:1680
	s_waitcnt lgkmcnt(0)
	v_fma_f64 v[6:7], -v[52:53], v[76:77], v[6:7]
	v_fma_f64 v[6:7], -v[54:55], v[90:91], v[6:7]
	ds_read_b128 v[88:91], v83 offset:2064
	;; [unrolled: 4-line block ×6, first 2 shown]
	s_waitcnt lgkmcnt(0)
	v_mul_f64 v[72:73], v[14:15], v[6:7]
	ds_read2_b64 v[6:9], v83 offset0:43 offset1:44
	s_waitcnt lgkmcnt(0)
	v_fma_f64 v[6:7], -v[38:39], v[6:7], v[10:11]
	v_fma_f64 v[6:7], -v[40:41], v[12:13], v[6:7]
	ds_read2_b64 v[10:13], v83 offset0:91 offset1:92
	s_waitcnt lgkmcnt(0)
	v_fma_f64 v[6:7], -v[44:45], v[10:11], v[6:7]
	v_fma_f64 v[6:7], -v[46:47], v[98:99], v[6:7]
	;; [unrolled: 1-line block ×4, first 2 shown]
	ds_read2_b64 v[84:87], v83 offset0:187 offset1:188
	v_mov_b32_e32 v10, 0x8d8
	s_waitcnt lgkmcnt(0)
	v_fma_f64 v[6:7], -v[50:51], v[84:85], v[6:7]
	v_fma_f64 v[6:7], -v[52:53], v[78:79], v[6:7]
	ds_read2_b64 v[76:79], v83 offset0:235 offset1:236
	s_waitcnt lgkmcnt(0)
	v_fma_f64 v[6:7], -v[54:55], v[76:77], v[6:7]
	v_fma_f64 v[6:7], -v[56:57], v[90:91], v[6:7]
	ds_read2_b64 v[88:91], v10 offset1:1
	v_mov_b32_e32 v10, 0xa58
	ds_read2_b64 v[96:99], v10 offset1:1
	s_waitcnt lgkmcnt(1)
	v_fma_f64 v[6:7], -v[58:59], v[88:89], v[6:7]
	v_fma_f64 v[6:7], -v[60:61], v[28:29], v[6:7]
	ds_read_b128 v[26:29], v83 offset:544
	v_mov_b32_e32 v10, 0xbd8
	ds_read2_b64 v[100:103], v10 offset1:1
	s_waitcnt lgkmcnt(2)
	v_fma_f64 v[6:7], -v[62:63], v[96:97], v[6:7]
	v_fma_f64 v[6:7], -v[64:65], v[24:25], v[6:7]
	v_mov_b32_e32 v10, 0xd58
	ds_read2_b64 v[104:107], v10 offset1:1
	s_waitcnt lgkmcnt(1)
	v_fma_f64 v[6:7], -v[66:67], v[100:101], v[6:7]
	v_fma_f64 v[6:7], -v[68:69], v[20:21], v[6:7]
	ds_read_b128 v[20:23], v83 offset:1696
	v_mov_b32_e32 v10, 0xed8
	ds_read2_b64 v[108:111], v10 offset1:1
	s_waitcnt lgkmcnt(2)
	v_fma_f64 v[6:7], -v[70:71], v[104:105], v[6:7]
	v_fma_f64 v[6:7], -v[72:73], v[16:17], v[6:7]
	ds_read_b128 v[16:19], v83 offset:1312
	s_waitcnt lgkmcnt(1)
	v_mul_f64 v[76:77], v[108:109], v[6:7]
	v_fma_f64 v[6:7], -v[74:75], v[112:113], v[32:33]
	ds_read_b128 v[30:33], v83 offset:928
	v_fma_f64 v[6:7], -v[38:39], v[8:9], v[6:7]
	v_fma_f64 v[6:7], -v[40:41], v[26:27], v[6:7]
	v_fma_f64 v[6:7], -v[44:45], v[12:13], v[6:7]
	ds_read_b128 v[24:27], v83 offset:2080
	s_waitcnt lgkmcnt(1)
	v_fma_f64 v[6:7], -v[46:47], v[30:31], v[6:7]
	v_fma_f64 v[6:7], -v[42:43], v[94:95], v[6:7]
	;; [unrolled: 1-line block ×4, first 2 shown]
	ds_read_b128 v[14:17], v83 offset:2464
	ds_read2_b64 v[92:95], v83 offset0:141 offset1:142
	v_fma_f64 v[6:7], -v[52:53], v[20:21], v[6:7]
	v_fma_f64 v[6:7], -v[54:55], v[78:79], v[6:7]
	s_waitcnt lgkmcnt(2)
	v_fma_f64 v[6:7], -v[56:57], v[24:25], v[6:7]
	v_fma_f64 v[6:7], -v[58:59], v[90:91], v[6:7]
	s_waitcnt lgkmcnt(1)
	v_fma_f64 v[6:7], -v[60:61], v[14:15], v[6:7]
	ds_read_b128 v[12:15], v83 offset:2848
	v_fma_f64 v[6:7], -v[62:63], v[98:99], v[6:7]
	ds_read2_b64 v[84:87], v83 offset0:45 offset1:46
	ds_read2_b64 v[88:91], v83 offset0:93 offset1:94
	;; [unrolled: 1-line block ×3, first 2 shown]
	s_waitcnt lgkmcnt(3)
	v_fma_f64 v[6:7], -v[64:65], v[12:13], v[6:7]
	ds_read_b128 v[10:13], v83 offset:3232
	v_fma_f64 v[6:7], -v[66:67], v[102:103], v[6:7]
	ds_write2_b64 v36, v[72:73], v[76:77] offset0:176 offset1:200
	s_waitcnt lgkmcnt(4)
	v_fma_f64 v[2:3], -v[38:39], v[86:87], v[2:3]
	s_waitcnt lgkmcnt(1)
	v_fma_f64 v[6:7], -v[68:69], v[10:11], v[6:7]
	ds_read_b128 v[8:11], v83 offset:3616
	v_fma_f64 v[6:7], -v[70:71], v[106:107], v[6:7]
	s_waitcnt lgkmcnt(0)
	v_fma_f64 v[6:7], -v[72:73], v[8:9], v[6:7]
	v_fma_f64 v[20:21], -v[76:77], v[110:111], v[6:7]
	ds_read_b128 v[6:9], v83 offset:4000
	s_waitcnt lgkmcnt(0)
	v_mul_f64 v[78:79], v[6:7], v[20:21]
	v_fma_f64 v[6:7], -v[74:75], v[114:115], v[34:35]
	v_fma_f64 v[6:7], -v[38:39], v[84:85], v[6:7]
	;; [unrolled: 1-line block ×7, first 2 shown]
	ds_read2_b64 v[18:21], v83 offset0:189 offset1:190
	ds_read_b128 v[30:33], v83 offset:560
	ds_read2_b64 v[84:87], v83 offset0:47 offset1:95
	s_waitcnt lgkmcnt(2)
	v_fma_f64 v[6:7], -v[50:51], v[18:19], v[6:7]
	v_mov_b32_e32 v18, 0x8e8
	ds_read2_b64 v[100:103], v18 offset1:1
	v_fma_f64 v[6:7], -v[52:53], v[22:23], v[6:7]
	v_fma_f64 v[6:7], -v[54:55], v[96:97], v[6:7]
	;; [unrolled: 1-line block ×3, first 2 shown]
	ds_read_b128 v[24:27], v83 offset:1328
	s_waitcnt lgkmcnt(1)
	v_fma_f64 v[6:7], -v[58:59], v[100:101], v[6:7]
	v_fma_f64 v[6:7], -v[60:61], v[16:17], v[6:7]
	v_mov_b32_e32 v16, 0xa68
	ds_read2_b64 v[104:107], v16 offset1:1
	v_fma_f64 v[2:3], -v[40:41], v[30:31], v[2:3]
	v_fma_f64 v[2:3], -v[44:45], v[90:91], v[2:3]
	ds_read_b128 v[28:31], v83 offset:1712
	v_fma_f64 v[4:5], -v[38:39], v[84:85], v[4:5]
	s_waitcnt lgkmcnt(1)
	v_fma_f64 v[6:7], -v[62:63], v[104:105], v[6:7]
	v_fma_f64 v[6:7], -v[64:65], v[14:15], v[6:7]
	v_mov_b32_e32 v14, 0xbe8
	ds_read2_b64 v[14:17], v14 offset1:1
	v_fma_f64 v[4:5], -v[40:41], v[32:33], v[4:5]
	v_fma_f64 v[4:5], -v[44:45], v[86:87], v[4:5]
	s_waitcnt lgkmcnt(0)
	v_fma_f64 v[6:7], -v[66:67], v[14:15], v[6:7]
	v_fma_f64 v[6:7], -v[68:69], v[12:13], v[6:7]
	v_mov_b32_e32 v12, 0xd68
	ds_read2_b64 v[12:15], v12 offset1:1
	s_waitcnt lgkmcnt(0)
	v_fma_f64 v[6:7], -v[70:71], v[12:13], v[6:7]
	v_fma_f64 v[6:7], -v[72:73], v[10:11], v[6:7]
	v_mov_b32_e32 v10, 0xee8
	ds_read2_b64 v[108:111], v10 offset1:1
	ds_read_b128 v[10:13], v83 offset:2864
	s_waitcnt lgkmcnt(1)
	v_fma_f64 v[6:7], -v[76:77], v[108:109], v[6:7]
	v_fma_f64 v[6:7], -v[78:79], v[8:9], v[6:7]
	v_mov_b32_e32 v8, 0x1068
	ds_read2_b64 v[112:115], v8 offset1:1
	s_waitcnt lgkmcnt(0)
	v_mul_f64 v[80:81], v[112:113], v[6:7]
	ds_write2_b64 v36, v[78:79], v[80:81] offset0:224 offset1:248
	ds_read_b128 v[34:37], v83 offset:944
	s_waitcnt lgkmcnt(0)
	v_fma_f64 v[2:3], -v[46:47], v[34:35], v[2:3]
	v_fma_f64 v[2:3], -v[42:43], v[94:95], v[2:3]
	;; [unrolled: 1-line block ×4, first 2 shown]
	ds_read_b128 v[18:21], v83 offset:2096
	ds_read_b128 v[22:25], v83 offset:2480
	v_fma_f64 v[2:3], -v[52:53], v[28:29], v[2:3]
	v_fma_f64 v[2:3], -v[54:55], v[98:99], v[2:3]
	s_waitcnt lgkmcnt(1)
	v_fma_f64 v[2:3], -v[56:57], v[18:19], v[2:3]
	v_fma_f64 v[2:3], -v[58:59], v[102:103], v[2:3]
	s_waitcnt lgkmcnt(0)
	v_fma_f64 v[2:3], -v[60:61], v[22:23], v[2:3]
	v_fma_f64 v[2:3], -v[62:63], v[106:107], v[2:3]
	;; [unrolled: 1-line block ×4, first 2 shown]
	ds_read_b128 v[16:19], v83 offset:3248
	ds_read_b128 v[8:11], v83 offset:3632
	s_waitcnt lgkmcnt(1)
	v_fma_f64 v[2:3], -v[68:69], v[16:17], v[2:3]
	v_fma_f64 v[2:3], -v[70:71], v[14:15], v[2:3]
	ds_read_b128 v[14:17], v83 offset:4016
	s_waitcnt lgkmcnt(1)
	v_fma_f64 v[2:3], -v[72:73], v[8:9], v[2:3]
	ds_read_b128 v[6:9], v83 offset:4400
	v_fma_f64 v[2:3], -v[76:77], v[110:111], v[2:3]
	s_waitcnt lgkmcnt(1)
	v_fma_f64 v[2:3], -v[78:79], v[14:15], v[2:3]
	v_fma_f64 v[2:3], -v[80:81], v[114:115], v[2:3]
	s_waitcnt lgkmcnt(0)
	v_mul_f64 v[2:3], v[6:7], v[2:3]
	v_fma_f64 v[14:15], -v[46:47], v[36:37], v[4:5]
	ds_read2_b64 v[4:7], v83 offset0:143 offset1:191
	s_waitcnt lgkmcnt(0)
	v_fma_f64 v[4:5], -v[42:43], v[4:5], v[14:15]
	v_fma_f64 v[4:5], -v[48:49], v[26:27], v[4:5]
	;; [unrolled: 1-line block ×4, first 2 shown]
	v_add_u32_e64 v4, s8, 0
	ds_read2_b64 v[4:7], v4 offset0:111 offset1:159
	s_mov_b32 s8, 24
	s_waitcnt lgkmcnt(0)
	v_fma_f64 v[4:5], -v[54:55], v[4:5], v[14:15]
	v_fma_f64 v[4:5], -v[56:57], v[20:21], v[4:5]
	;; [unrolled: 1-line block ×3, first 2 shown]
	v_add_u32_e64 v20, s7, 0
	v_fma_f64 v[14:15], -v[60:61], v[24:25], v[4:5]
	ds_read2_b64 v[4:7], v20 offset0:79 offset1:127
	s_waitcnt lgkmcnt(0)
	v_fma_f64 v[4:5], -v[62:63], v[4:5], v[14:15]
	v_fma_f64 v[4:5], -v[64:65], v[12:13], v[4:5]
	;; [unrolled: 1-line block ×4, first 2 shown]
	ds_read2_b64 v[4:7], v20 offset0:175 offset1:223
	s_waitcnt lgkmcnt(0)
	v_fma_f64 v[4:5], -v[70:71], v[4:5], v[12:13]
	v_fma_f64 v[4:5], -v[72:73], v[10:11], v[4:5]
	;; [unrolled: 1-line block ×4, first 2 shown]
	v_add_u32_e64 v4, s6, 0
	ds_read2_b64 v[4:7], v4 offset0:15 offset1:63
	s_waitcnt lgkmcnt(0)
	v_fma_f64 v[4:5], -v[80:81], v[4:5], v[10:11]
	v_fma_f64 v[4:5], -v[2:3], v[8:9], v[4:5]
	v_mul_f64 v[4:5], v[6:7], v[4:5]
	ds_write2_b64 v82, v[2:3], v[4:5] offset0:16 offset1:40
.LBB94_35:
	s_cmp_lt_i32 s8, s22
	s_cbranch_scc0 .LBB94_46
; %bb.36:
	s_add_i32 s6, s8, 19
	s_cmp_ge_u32 s6, s22
	s_cbranch_scc1 .LBB94_41
; %bb.37:
	s_mul_i32 s7, s8, 0xc0
	v_add_u32_e32 v74, s7, v1
	ds_read2_b64 v[40:43], v74 offset1:24
	ds_read2_b64 v[36:39], v74 offset0:48 offset1:72
	ds_read2_b64 v[32:35], v74 offset0:96 offset1:120
	;; [unrolled: 1-line block ×4, first 2 shown]
	v_add_u32_e32 v2, 0x400, v74
	v_add_u32_e32 v18, 0x800, v74
	ds_read2_b64 v[14:17], v2 offset0:112 offset1:136
	ds_read2_b64 v[10:13], v18 offset0:32 offset1:56
	;; [unrolled: 1-line block ×5, first 2 shown]
	s_andn2_b64 vcc, exec, s[4:5]
	s_lshl_b32 s5, s8, 3
	s_cbranch_vccnz .LBB94_40
; %bb.38:
	v_mov_b32_e32 v18, 0x1200
	v_lshl_or_b32 v18, v0, 3, v18
	s_mov_b32 s4, s5
	s_mov_b32 s9, s8
.LBB94_39:                              ; =>This Inner Loop Header: Depth=1
	v_mov_b32_e32 v19, s4
	ds_read_b64 v[72:73], v18
	ds_read_b128 v[44:47], v19
	ds_read_b128 v[48:51], v19 offset:16
	ds_read_b128 v[52:55], v19 offset:32
	;; [unrolled: 1-line block ×9, first 2 shown]
	s_add_i32 s9, s9, -1
	s_addk_i32 s4, 0xc0
	v_add_u32_e32 v18, 0xc0, v18
	s_cmp_lg_u32 s9, 0
	s_waitcnt lgkmcnt(9)
	v_fma_f64 v[40:41], -v[72:73], v[44:45], v[40:41]
	v_fma_f64 v[42:43], -v[72:73], v[46:47], v[42:43]
	s_waitcnt lgkmcnt(8)
	v_fma_f64 v[36:37], -v[72:73], v[48:49], v[36:37]
	v_fma_f64 v[38:39], -v[72:73], v[50:51], v[38:39]
	s_waitcnt lgkmcnt(7)
	v_fma_f64 v[32:33], -v[72:73], v[52:53], v[32:33]
	v_fma_f64 v[34:35], -v[72:73], v[54:55], v[34:35]
	s_waitcnt lgkmcnt(6)
	v_fma_f64 v[28:29], -v[72:73], v[56:57], v[28:29]
	v_fma_f64 v[30:31], -v[72:73], v[58:59], v[30:31]
	s_waitcnt lgkmcnt(5)
	v_fma_f64 v[24:25], -v[72:73], v[60:61], v[24:25]
	v_fma_f64 v[26:27], -v[72:73], v[62:63], v[26:27]
	s_waitcnt lgkmcnt(4)
	v_fma_f64 v[14:15], -v[72:73], v[64:65], v[14:15]
	v_fma_f64 v[16:17], -v[72:73], v[66:67], v[16:17]
	s_waitcnt lgkmcnt(3)
	v_fma_f64 v[10:11], -v[72:73], v[68:69], v[10:11]
	v_fma_f64 v[12:13], -v[72:73], v[70:71], v[12:13]
	s_waitcnt lgkmcnt(2)
	v_fma_f64 v[6:7], -v[72:73], v[76:77], v[6:7]
	v_fma_f64 v[8:9], -v[72:73], v[78:79], v[8:9]
	s_waitcnt lgkmcnt(1)
	v_fma_f64 v[2:3], -v[72:73], v[80:81], v[2:3]
	v_fma_f64 v[4:5], -v[72:73], v[82:83], v[4:5]
	s_waitcnt lgkmcnt(0)
	v_fma_f64 v[20:21], -v[72:73], v[84:85], v[20:21]
	v_fma_f64 v[22:23], -v[72:73], v[86:87], v[22:23]
	s_cbranch_scc1 .LBB94_39
.LBB94_40:
	s_add_i32 s9, s5, s7
	v_mov_b32_e32 v75, s9
	ds_read_b128 v[44:47], v75
	ds_read_b128 v[48:51], v75 offset:16
	ds_read_b128 v[52:55], v75 offset:32
	s_add_i32 s12, s7, 0xc0
	s_add_i32 s13, s7, 0x180
	s_waitcnt lgkmcnt(2)
	v_mul_f64 v[64:65], v[44:45], v[40:41]
	v_fma_f64 v[18:19], -v[64:65], v[46:47], v[42:43]
	ds_read2_b64 v[40:43], v75 offset0:25 offset1:26
	ds_write_b64 v74, v[64:65]
	s_add_i32 s4, s8, 20
	s_mulk_i32 s8, 0xc8
	v_mov_b32_e32 v106, s8
	s_waitcnt lgkmcnt(1)
	v_mul_f64 v[40:41], v[40:41], v[18:19]
	v_add_u32_e32 v18, s12, v1
	ds_write_b64 v18, v[40:41]
	v_fma_f64 v[18:19], -v[64:65], v[48:49], v[36:37]
	v_fma_f64 v[18:19], -v[40:41], v[42:43], v[18:19]
	ds_read_b128 v[42:45], v75 offset:400
	s_add_i32 s12, s5, s12
	v_mov_b32_e32 v66, s12
	s_add_i32 s12, s5, s13
	v_mov_b32_e32 v100, s12
	s_waitcnt lgkmcnt(0)
	v_mul_f64 v[42:43], v[42:43], v[18:19]
	v_add_u32_e32 v18, s13, v1
	ds_write_b64 v18, v[42:43]
	v_fma_f64 v[18:19], -v[64:65], v[50:51], v[38:39]
	ds_read2_b64 v[36:39], v66 offset0:3 offset1:4
	ds_read_b128 v[48:51], v100 offset:32
	s_add_i32 s13, s7, 0x240
	s_add_i32 s12, s5, s13
	v_mov_b32_e32 v67, s12
	s_waitcnt lgkmcnt(1)
	v_fma_f64 v[18:19], -v[40:41], v[36:37], v[18:19]
	v_fma_f64 v[18:19], -v[42:43], v[44:45], v[18:19]
	ds_read2_b64 v[44:47], v75 offset0:75 offset1:76
	s_waitcnt lgkmcnt(0)
	v_mul_f64 v[36:37], v[44:45], v[18:19]
	v_add_u32_e32 v18, s13, v1
	ds_write_b64 v18, v[36:37]
	v_fma_f64 v[18:19], -v[64:65], v[52:53], v[32:33]
	v_fma_f64 v[18:19], -v[40:41], v[38:39], v[18:19]
	;; [unrolled: 1-line block ×4, first 2 shown]
	ds_read_b128 v[44:47], v75 offset:800
	s_add_i32 s13, s7, 0x300
	s_add_i32 s12, s5, s13
	v_mov_b32_e32 v101, s12
	s_waitcnt lgkmcnt(0)
	v_mul_f64 v[38:39], v[44:45], v[18:19]
	v_add_u32_e32 v18, s13, v1
	ds_write_b64 v18, v[38:39]
	v_fma_f64 v[18:19], -v[64:65], v[54:55], v[34:35]
	ds_read2_b64 v[52:55], v66 offset0:5 offset1:6
	s_add_i32 s13, s7, 0x3c0
	s_add_i32 s12, s5, s13
	v_mov_b32_e32 v70, s12
	s_waitcnt lgkmcnt(0)
	v_fma_f64 v[18:19], -v[40:41], v[52:53], v[18:19]
	v_fma_f64 v[18:19], -v[42:43], v[50:51], v[18:19]
	ds_read2_b64 v[48:51], v67 offset0:5 offset1:6
	s_waitcnt lgkmcnt(0)
	v_fma_f64 v[18:19], -v[36:37], v[48:49], v[18:19]
	v_fma_f64 v[18:19], -v[38:39], v[46:47], v[18:19]
	ds_read2_b64 v[44:47], v75 offset0:125 offset1:126
	s_waitcnt lgkmcnt(0)
	v_mul_f64 v[34:35], v[44:45], v[18:19]
	v_add_u32_e32 v18, s13, v1
	ds_write_b64 v18, v[34:35]
	ds_read_b128 v[56:59], v75 offset:48
	ds_read_b128 v[60:63], v75 offset:64
	s_add_i32 s13, s7, 0x480
	s_add_i32 s12, s5, s13
	v_mov_b32_e32 v102, s12
	s_waitcnt lgkmcnt(1)
	v_fma_f64 v[18:19], -v[64:65], v[56:57], v[28:29]
	v_fma_f64 v[18:19], -v[40:41], v[54:55], v[18:19]
	ds_read_b128 v[52:55], v100 offset:48
	ds_read_b128 v[76:79], v100 offset:64
	s_waitcnt lgkmcnt(1)
	v_fma_f64 v[18:19], -v[42:43], v[52:53], v[18:19]
	v_fma_f64 v[18:19], -v[36:37], v[50:51], v[18:19]
	ds_read_b128 v[48:51], v101 offset:48
	ds_read_b128 v[80:83], v101 offset:64
	;; [unrolled: 1-line block ×5, first 2 shown]
	s_waitcnt lgkmcnt(4)
	v_fma_f64 v[18:19], -v[38:39], v[48:49], v[18:19]
	v_fma_f64 v[18:19], -v[34:35], v[46:47], v[18:19]
	ds_read_b128 v[44:47], v75 offset:1200
	s_waitcnt lgkmcnt(0)
	v_mul_f64 v[52:53], v[44:45], v[18:19]
	v_add_u32_e32 v18, s13, v1
	ds_write_b64 v18, v[52:53]
	v_fma_f64 v[18:19], -v[64:65], v[58:59], v[30:31]
	ds_read2_b64 v[28:31], v66 offset0:7 offset1:8
	s_add_i32 s13, s7, 0x540
	s_add_i32 s12, s5, s13
	v_mov_b32_e32 v69, s12
	s_waitcnt lgkmcnt(0)
	v_fma_f64 v[18:19], -v[40:41], v[28:29], v[18:19]
	v_fma_f64 v[18:19], -v[42:43], v[54:55], v[18:19]
	ds_read2_b64 v[54:57], v67 offset0:7 offset1:8
	s_waitcnt lgkmcnt(0)
	v_fma_f64 v[18:19], -v[36:37], v[54:55], v[18:19]
	v_fma_f64 v[18:19], -v[38:39], v[50:51], v[18:19]
	ds_read2_b64 v[48:51], v70 offset0:7 offset1:8
	;; [unrolled: 4-line block ×3, first 2 shown]
	s_waitcnt lgkmcnt(0)
	v_mul_f64 v[48:49], v[44:45], v[18:19]
	v_add_u32_e32 v18, s13, v1
	ds_write_b64 v18, v[48:49]
	v_fma_f64 v[18:19], -v[64:65], v[60:61], v[24:25]
	v_fma_f64 v[18:19], -v[40:41], v[30:31], v[18:19]
	ds_read_b128 v[28:31], v102 offset:64
	v_fma_f64 v[18:19], -v[42:43], v[76:77], v[18:19]
	v_fma_f64 v[18:19], -v[36:37], v[56:57], v[18:19]
	;; [unrolled: 1-line block ×4, first 2 shown]
	s_waitcnt lgkmcnt(0)
	v_fma_f64 v[18:19], -v[52:53], v[28:29], v[18:19]
	v_fma_f64 v[18:19], -v[48:49], v[46:47], v[18:19]
	ds_read_b128 v[44:47], v75 offset:1600
	s_add_i32 s13, s7, 0x600
	ds_read2_b64 v[56:59], v67 offset0:9 offset1:10
	s_add_i32 s12, s5, s13
	v_mov_b32_e32 v103, s12
	s_waitcnt lgkmcnt(1)
	v_mul_f64 v[50:51], v[44:45], v[18:19]
	v_add_u32_e32 v18, s13, v1
	ds_write_b64 v18, v[50:51]
	v_fma_f64 v[18:19], -v[64:65], v[62:63], v[26:27]
	ds_read2_b64 v[24:27], v66 offset0:9 offset1:10
	ds_read2_b64 v[60:63], v70 offset0:9 offset1:10
	s_add_i32 s13, s7, 0x6c0
	s_add_i32 s12, s5, s13
	v_mov_b32_e32 v72, s12
	s_waitcnt lgkmcnt(1)
	v_fma_f64 v[18:19], -v[40:41], v[24:25], v[18:19]
	v_fma_f64 v[18:19], -v[42:43], v[78:79], v[18:19]
	;; [unrolled: 1-line block ×4, first 2 shown]
	ds_read_b128 v[80:83], v102 offset:80
	s_waitcnt lgkmcnt(1)
	v_fma_f64 v[18:19], -v[34:35], v[60:61], v[18:19]
	v_fma_f64 v[18:19], -v[52:53], v[30:31], v[18:19]
	ds_read2_b64 v[28:31], v69 offset0:9 offset1:10
	ds_read_b128 v[76:79], v75 offset:80
	s_waitcnt lgkmcnt(1)
	v_fma_f64 v[18:19], -v[48:49], v[28:29], v[18:19]
	s_waitcnt lgkmcnt(0)
	v_fma_f64 v[14:15], -v[64:65], v[76:77], v[14:15]
	v_fma_f64 v[14:15], -v[40:41], v[26:27], v[14:15]
	ds_read_b128 v[24:27], v100 offset:80
	v_fma_f64 v[18:19], -v[50:51], v[46:47], v[18:19]
	ds_read2_b64 v[44:47], v75 offset0:225 offset1:226
	s_waitcnt lgkmcnt(1)
	v_fma_f64 v[14:15], -v[42:43], v[24:25], v[14:15]
	v_fma_f64 v[14:15], -v[36:37], v[58:59], v[14:15]
	ds_read_b128 v[58:61], v101 offset:80
	s_waitcnt lgkmcnt(1)
	v_mul_f64 v[56:57], v[44:45], v[18:19]
	v_add_u32_e32 v18, s13, v1
	s_add_i32 s13, s7, 0x780
	ds_write_b64 v18, v[56:57]
	s_waitcnt lgkmcnt(1)
	v_fma_f64 v[14:15], -v[38:39], v[58:59], v[14:15]
	v_fma_f64 v[14:15], -v[34:35], v[62:63], v[14:15]
	;; [unrolled: 1-line block ×4, first 2 shown]
	ds_read_b128 v[28:31], v103 offset:80
	v_fma_f64 v[18:19], -v[64:65], v[78:79], v[16:17]
	ds_read2_b64 v[76:79], v69 offset0:11 offset1:12
	s_add_i32 s12, s5, s13
	v_mov_b32_e32 v104, s12
	s_waitcnt lgkmcnt(1)
	v_fma_f64 v[14:15], -v[50:51], v[28:29], v[14:15]
	v_fma_f64 v[14:15], -v[56:57], v[46:47], v[14:15]
	ds_read_b128 v[44:47], v75 offset:2000
	s_waitcnt lgkmcnt(0)
	v_mul_f64 v[58:59], v[44:45], v[14:15]
	v_add_u32_e32 v14, s13, v1
	ds_write_b64 v14, v[58:59]
	ds_read2_b64 v[14:17], v66 offset0:11 offset1:12
	s_add_i32 s13, s9, 0x898
	s_addk_i32 s9, 0xa28
	s_waitcnt lgkmcnt(0)
	v_fma_f64 v[14:15], -v[40:41], v[14:15], v[18:19]
	v_fma_f64 v[14:15], -v[42:43], v[26:27], v[14:15]
	ds_read2_b64 v[24:27], v67 offset0:11 offset1:12
	v_mov_b32_e32 v18, s13
	s_add_i32 s13, s7, 0x840
	s_add_i32 s12, s5, s13
	v_mov_b32_e32 v73, s12
	s_waitcnt lgkmcnt(0)
	v_fma_f64 v[14:15], -v[36:37], v[24:25], v[14:15]
	v_fma_f64 v[14:15], -v[38:39], v[60:61], v[14:15]
	ds_read2_b64 v[60:63], v70 offset0:11 offset1:12
	s_waitcnt lgkmcnt(0)
	v_fma_f64 v[14:15], -v[34:35], v[60:61], v[14:15]
	v_fma_f64 v[14:15], -v[52:53], v[82:83], v[14:15]
	;; [unrolled: 1-line block ×4, first 2 shown]
	ds_read2_b64 v[28:31], v72 offset0:11 offset1:12
	ds_read_b128 v[80:83], v75 offset:96
	s_waitcnt lgkmcnt(1)
	v_fma_f64 v[14:15], -v[56:57], v[28:29], v[14:15]
	v_fma_f64 v[14:15], -v[58:59], v[46:47], v[14:15]
	ds_read2_b64 v[44:47], v18 offset1:1
	s_waitcnt lgkmcnt(1)
	v_fma_f64 v[10:11], -v[64:65], v[80:81], v[10:11]
	v_fma_f64 v[10:11], -v[40:41], v[16:17], v[10:11]
	s_waitcnt lgkmcnt(0)
	v_mul_f64 v[60:61], v[44:45], v[14:15]
	v_add_u32_e32 v14, s13, v1
	ds_write_b64 v14, v[60:61]
	ds_read_b128 v[14:17], v100 offset:96
	s_add_i32 s13, s7, 0x900
	s_add_i32 s12, s5, s13
	v_mov_b32_e32 v105, s12
	ds_read_b128 v[88:91], v105 offset:112
	s_waitcnt lgkmcnt(1)
	v_fma_f64 v[10:11], -v[42:43], v[14:15], v[10:11]
	v_fma_f64 v[10:11], -v[36:37], v[26:27], v[10:11]
	ds_read_b128 v[24:27], v101 offset:96
	v_fma_f64 v[14:15], -v[64:65], v[82:83], v[12:13]
	ds_read2_b64 v[80:83], v69 offset0:13 offset1:14
	s_add_i32 s12, s7, 0xa80
	s_waitcnt lgkmcnt(1)
	v_fma_f64 v[10:11], -v[38:39], v[24:25], v[10:11]
	v_fma_f64 v[10:11], -v[34:35], v[62:63], v[10:11]
	v_fma_f64 v[10:11], -v[52:53], v[84:85], v[10:11]
	v_fma_f64 v[10:11], -v[48:49], v[78:79], v[10:11]
	ds_read_b128 v[76:79], v103 offset:96
	s_waitcnt lgkmcnt(0)
	v_fma_f64 v[10:11], -v[50:51], v[76:77], v[10:11]
	v_fma_f64 v[10:11], -v[56:57], v[30:31], v[10:11]
	ds_read_b128 v[28:31], v104 offset:96
	s_waitcnt lgkmcnt(0)
	v_fma_f64 v[10:11], -v[58:59], v[28:29], v[10:11]
	v_fma_f64 v[10:11], -v[60:61], v[46:47], v[10:11]
	ds_read_b128 v[44:47], v75 offset:2400
	s_waitcnt lgkmcnt(0)
	v_mul_f64 v[62:63], v[44:45], v[10:11]
	v_add_u32_e32 v10, s13, v1
	ds_write_b64 v10, v[62:63]
	ds_read2_b64 v[10:13], v66 offset0:13 offset1:14
	s_waitcnt lgkmcnt(0)
	v_fma_f64 v[10:11], -v[40:41], v[10:11], v[14:15]
	v_fma_f64 v[10:11], -v[42:43], v[16:17], v[10:11]
	ds_read2_b64 v[14:17], v67 offset0:13 offset1:14
	s_waitcnt lgkmcnt(0)
	v_fma_f64 v[10:11], -v[36:37], v[14:15], v[10:11]
	v_fma_f64 v[10:11], -v[38:39], v[26:27], v[10:11]
	ds_read2_b64 v[24:27], v70 offset0:13 offset1:14
	v_mov_b32_e32 v14, s9
	s_add_i32 s9, s7, 0x9c0
	s_waitcnt lgkmcnt(0)
	v_fma_f64 v[10:11], -v[34:35], v[24:25], v[10:11]
	v_fma_f64 v[10:11], -v[52:53], v[86:87], v[10:11]
	;; [unrolled: 1-line block ×4, first 2 shown]
	ds_read2_b64 v[76:79], v72 offset0:13 offset1:14
	ds_read_b128 v[84:87], v75 offset:112
	s_waitcnt lgkmcnt(1)
	v_fma_f64 v[10:11], -v[56:57], v[76:77], v[10:11]
	v_fma_f64 v[10:11], -v[58:59], v[30:31], v[10:11]
	ds_read2_b64 v[30:33], v73 offset0:13 offset1:14
	s_waitcnt lgkmcnt(1)
	v_fma_f64 v[6:7], -v[64:65], v[84:85], v[6:7]
	v_fma_f64 v[6:7], -v[40:41], v[12:13], v[6:7]
	s_waitcnt lgkmcnt(0)
	v_fma_f64 v[10:11], -v[60:61], v[30:31], v[10:11]
	v_fma_f64 v[10:11], -v[62:63], v[46:47], v[10:11]
	ds_read2_b64 v[44:47], v14 offset1:1
	s_waitcnt lgkmcnt(0)
	v_mul_f64 v[30:31], v[44:45], v[10:11]
	v_add_u32_e32 v10, s9, v1
	ds_write_b64 v10, v[30:31]
	ds_read_b128 v[10:13], v100 offset:112
	s_add_i32 s9, s5, s9
	v_mov_b32_e32 v68, s9
	s_add_i32 s9, s5, s12
	v_mov_b32_e32 v107, s9
	s_waitcnt lgkmcnt(0)
	v_fma_f64 v[6:7], -v[42:43], v[10:11], v[6:7]
	v_fma_f64 v[6:7], -v[36:37], v[16:17], v[6:7]
	ds_read_b128 v[14:17], v101 offset:112
	v_fma_f64 v[10:11], -v[64:65], v[86:87], v[8:9]
	ds_read2_b64 v[84:87], v68 offset0:15 offset1:16
	s_waitcnt lgkmcnt(1)
	v_fma_f64 v[6:7], -v[38:39], v[14:15], v[6:7]
	v_fma_f64 v[6:7], -v[34:35], v[26:27], v[6:7]
	ds_read_b128 v[24:27], v102 offset:112
	s_waitcnt lgkmcnt(0)
	v_fma_f64 v[6:7], -v[52:53], v[24:25], v[6:7]
	v_fma_f64 v[6:7], -v[48:49], v[82:83], v[6:7]
	ds_read_b128 v[80:83], v103 offset:112
	;; [unrolled: 4-line block ×3, first 2 shown]
	s_waitcnt lgkmcnt(0)
	v_fma_f64 v[6:7], -v[58:59], v[76:77], v[6:7]
	v_fma_f64 v[6:7], -v[60:61], v[32:33], v[6:7]
	;; [unrolled: 1-line block ×4, first 2 shown]
	v_mul_f64 v[46:47], v[92:93], v[6:7]
	v_add_u32_e32 v6, s12, v1
	ds_write_b64 v6, v[46:47]
	ds_read2_b64 v[6:9], v66 offset0:15 offset1:16
	s_add_i32 s12, s8, 0xbb8
	s_addk_i32 s8, 0xd48
	s_waitcnt lgkmcnt(0)
	v_fma_f64 v[6:7], -v[40:41], v[6:7], v[10:11]
	v_fma_f64 v[6:7], -v[42:43], v[12:13], v[6:7]
	ds_read2_b64 v[10:13], v67 offset0:15 offset1:16
	s_waitcnt lgkmcnt(0)
	v_fma_f64 v[6:7], -v[36:37], v[10:11], v[6:7]
	v_fma_f64 v[6:7], -v[38:39], v[16:17], v[6:7]
	ds_read2_b64 v[14:17], v70 offset0:15 offset1:16
	v_mov_b32_e32 v10, s12
	s_add_i32 s12, s7, 0xb40
	s_add_i32 s9, s5, s12
	v_mov_b32_e32 v71, s9
	s_waitcnt lgkmcnt(0)
	v_fma_f64 v[6:7], -v[34:35], v[14:15], v[6:7]
	v_fma_f64 v[6:7], -v[52:53], v[26:27], v[6:7]
	ds_read2_b64 v[24:27], v69 offset0:15 offset1:16
	s_waitcnt lgkmcnt(0)
	v_fma_f64 v[6:7], -v[48:49], v[24:25], v[6:7]
	v_fma_f64 v[6:7], -v[50:51], v[82:83], v[6:7]
	ds_read2_b64 v[80:83], v72 offset0:15 offset1:16
	;; [unrolled: 4-line block ×3, first 2 shown]
	s_waitcnt lgkmcnt(0)
	v_fma_f64 v[6:7], -v[60:61], v[76:77], v[6:7]
	v_fma_f64 v[6:7], -v[62:63], v[90:91], v[6:7]
	ds_read2_b64 v[88:91], v10 offset1:1
	v_fma_f64 v[6:7], -v[30:31], v[84:85], v[6:7]
	v_fma_f64 v[6:7], -v[46:47], v[94:95], v[6:7]
	ds_read_b128 v[92:95], v75 offset:128
	s_waitcnt lgkmcnt(1)
	v_mul_f64 v[44:45], v[88:89], v[6:7]
	v_add_u32_e32 v6, s12, v1
	ds_write_b64 v6, v[44:45]
	s_waitcnt lgkmcnt(1)
	v_fma_f64 v[2:3], -v[64:65], v[92:93], v[2:3]
	v_fma_f64 v[2:3], -v[40:41], v[8:9], v[2:3]
	ds_read_b128 v[6:9], v100 offset:128
	s_add_i32 s12, s7, 0xc00
	s_addk_i32 s7, 0xcc0
	s_add_i32 s9, s5, s12
	s_add_i32 s5, s5, s7
	s_waitcnt lgkmcnt(0)
	v_fma_f64 v[2:3], -v[42:43], v[6:7], v[2:3]
	v_fma_f64 v[2:3], -v[36:37], v[12:13], v[2:3]
	ds_read_b128 v[10:13], v101 offset:128
	v_fma_f64 v[6:7], -v[64:65], v[94:95], v[4:5]
	ds_read2_b64 v[92:95], v72 offset0:17 offset1:18
	s_waitcnt lgkmcnt(1)
	v_fma_f64 v[2:3], -v[38:39], v[10:11], v[2:3]
	v_fma_f64 v[2:3], -v[34:35], v[16:17], v[2:3]
	ds_read_b128 v[14:17], v102 offset:128
	s_waitcnt lgkmcnt(0)
	v_fma_f64 v[2:3], -v[52:53], v[14:15], v[2:3]
	v_fma_f64 v[2:3], -v[48:49], v[26:27], v[2:3]
	ds_read_b128 v[24:27], v103 offset:128
	;; [unrolled: 4-line block ×6, first 2 shown]
	s_waitcnt lgkmcnt(0)
	v_mul_f64 v[54:55], v[88:89], v[2:3]
	v_add_u32_e32 v2, s12, v1
	ds_write_b64 v2, v[54:55]
	ds_read2_b64 v[2:5], v66 offset0:17 offset1:18
	s_waitcnt lgkmcnt(0)
	v_fma_f64 v[2:3], -v[40:41], v[2:3], v[6:7]
	v_fma_f64 v[2:3], -v[42:43], v[8:9], v[2:3]
	ds_read2_b64 v[6:9], v67 offset0:17 offset1:18
	s_waitcnt lgkmcnt(0)
	v_fma_f64 v[2:3], -v[36:37], v[6:7], v[2:3]
	v_fma_f64 v[2:3], -v[38:39], v[12:13], v[2:3]
	ds_read2_b64 v[10:13], v70 offset0:17 offset1:18
	v_mov_b32_e32 v6, s8
	s_mov_b32 s8, s4
	s_waitcnt lgkmcnt(0)
	v_fma_f64 v[2:3], -v[34:35], v[10:11], v[2:3]
	v_fma_f64 v[2:3], -v[52:53], v[16:17], v[2:3]
	ds_read2_b64 v[14:17], v69 offset0:17 offset1:18
	s_waitcnt lgkmcnt(0)
	v_fma_f64 v[2:3], -v[48:49], v[14:15], v[2:3]
	v_fma_f64 v[2:3], -v[50:51], v[26:27], v[2:3]
	;; [unrolled: 1-line block ×4, first 2 shown]
	ds_read2_b64 v[80:83], v73 offset0:17 offset1:18
	ds_read_b128 v[26:29], v100 offset:144
	s_waitcnt lgkmcnt(1)
	v_fma_f64 v[2:3], -v[60:61], v[80:81], v[2:3]
	v_fma_f64 v[2:3], -v[62:63], v[78:79], v[2:3]
	ds_read2_b64 v[76:79], v68 offset0:17 offset1:18
	s_waitcnt lgkmcnt(0)
	v_fma_f64 v[2:3], -v[30:31], v[76:77], v[2:3]
	v_fma_f64 v[2:3], -v[46:47], v[86:87], v[2:3]
	ds_read2_b64 v[84:87], v71 offset0:17 offset1:18
	s_waitcnt lgkmcnt(0)
	v_fma_f64 v[2:3], -v[44:45], v[84:85], v[2:3]
	v_fma_f64 v[2:3], -v[54:55], v[90:91], v[2:3]
	ds_read2_b64 v[88:91], v6 offset1:1
	s_waitcnt lgkmcnt(0)
	v_mul_f64 v[32:33], v[88:89], v[2:3]
	v_add_u32_e32 v2, s7, v1
	ds_write_b64 v2, v[32:33]
	v_fma_f64 v[2:3], -v[64:65], v[96:97], v[20:21]
	v_fma_f64 v[2:3], -v[40:41], v[4:5], v[2:3]
	;; [unrolled: 1-line block ×3, first 2 shown]
	ds_read_b128 v[24:27], v101 offset:144
	ds_read_b128 v[18:21], v102 offset:144
	v_fma_f64 v[2:3], -v[36:37], v[8:9], v[2:3]
	ds_read_b128 v[8:11], v103 offset:144
	v_mov_b32_e32 v4, s9
	s_waitcnt lgkmcnt(2)
	v_fma_f64 v[2:3], -v[38:39], v[24:25], v[2:3]
	v_fma_f64 v[2:3], -v[34:35], v[12:13], v[2:3]
	ds_read_b128 v[12:15], v104 offset:144
	s_waitcnt lgkmcnt(2)
	v_fma_f64 v[2:3], -v[52:53], v[18:19], v[2:3]
	v_fma_f64 v[2:3], -v[48:49], v[16:17], v[2:3]
	ds_read_b128 v[16:19], v105 offset:144
	;; [unrolled: 4-line block ×3, first 2 shown]
	s_waitcnt lgkmcnt(2)
	v_fma_f64 v[2:3], -v[58:59], v[12:13], v[2:3]
	v_fma_f64 v[2:3], -v[60:61], v[82:83], v[2:3]
	s_waitcnt lgkmcnt(1)
	v_fma_f64 v[2:3], -v[62:63], v[16:17], v[2:3]
	v_fma_f64 v[2:3], -v[30:31], v[78:79], v[2:3]
	s_waitcnt lgkmcnt(0)
	v_fma_f64 v[2:3], -v[46:47], v[6:7], v[2:3]
	ds_read_b128 v[4:7], v4 offset:144
	ds_read_b64 v[16:17], v66 offset:152
	v_fma_f64 v[2:3], -v[44:45], v[86:87], v[2:3]
	s_waitcnt lgkmcnt(1)
	v_fma_f64 v[2:3], -v[54:55], v[4:5], v[2:3]
	v_fma_f64 v[12:13], -v[32:33], v[90:91], v[2:3]
	ds_read_b128 v[2:5], v106 offset:3600
	s_waitcnt lgkmcnt(0)
	v_mul_f64 v[2:3], v[2:3], v[12:13]
	v_fma_f64 v[12:13], -v[64:65], v[98:99], v[22:23]
	v_fma_f64 v[12:13], -v[40:41], v[16:17], v[12:13]
	ds_read_b64 v[16:17], v67 offset:152
	v_fma_f64 v[12:13], -v[42:43], v[28:29], v[12:13]
	ds_write_b64 v74, v[2:3] offset:3456
	s_waitcnt lgkmcnt(1)
	v_fma_f64 v[12:13], -v[36:37], v[16:17], v[12:13]
	ds_read_b64 v[16:17], v70 offset:152
	v_fma_f64 v[12:13], -v[38:39], v[26:27], v[12:13]
	s_waitcnt lgkmcnt(0)
	v_fma_f64 v[12:13], -v[34:35], v[16:17], v[12:13]
	ds_read_b64 v[16:17], v69 offset:152
	v_fma_f64 v[12:13], -v[52:53], v[20:21], v[12:13]
	s_waitcnt lgkmcnt(0)
	v_fma_f64 v[12:13], -v[48:49], v[16:17], v[12:13]
	v_fma_f64 v[10:11], -v[50:51], v[10:11], v[12:13]
	ds_read_b64 v[12:13], v72 offset:152
	s_waitcnt lgkmcnt(0)
	v_fma_f64 v[10:11], -v[56:57], v[12:13], v[10:11]
	ds_read_b64 v[12:13], v73 offset:152
	v_fma_f64 v[10:11], -v[58:59], v[14:15], v[10:11]
	s_waitcnt lgkmcnt(0)
	v_fma_f64 v[10:11], -v[60:61], v[12:13], v[10:11]
	ds_read_b64 v[12:13], v68 offset:152
	v_fma_f64 v[10:11], -v[62:63], v[18:19], v[10:11]
	s_waitcnt lgkmcnt(0)
	v_fma_f64 v[10:11], -v[30:31], v[12:13], v[10:11]
	v_fma_f64 v[8:9], -v[46:47], v[8:9], v[10:11]
	ds_read_b64 v[10:11], v71 offset:152
	s_waitcnt lgkmcnt(0)
	v_fma_f64 v[8:9], -v[44:45], v[10:11], v[8:9]
	v_fma_f64 v[6:7], -v[54:55], v[6:7], v[8:9]
	v_mov_b32_e32 v8, s5
	ds_read_b64 v[8:9], v8 offset:152
	s_mul_i32 s5, s6, 0xc8
	s_mulk_i32 s6, 0xc0
	s_waitcnt lgkmcnt(0)
	v_fma_f64 v[6:7], -v[32:33], v[8:9], v[6:7]
	v_fma_f64 v[2:3], -v[2:3], v[4:5], v[6:7]
	v_mov_b32_e32 v4, s5
	ds_read_b64 v[4:5], v4
	s_waitcnt lgkmcnt(0)
	v_mul_f64 v[2:3], v[4:5], v[2:3]
	v_add_u32_e32 v4, s6, v1
	ds_write_b64 v4, v[2:3]
.LBB94_41:
	s_cmp_ge_i32 s8, s22
	s_cbranch_scc1 .LBB94_46
; %bb.42:
	v_mov_b32_e32 v2, 0x1200
	s_lshl_b32 s4, s8, 3
	v_lshl_or_b32 v4, v0, 3, v2
	s_branch .LBB94_44
.LBB94_43:                              ;   in Loop: Header=BB94_44 Depth=1
	s_lshl_b32 s6, s8, 3
	s_add_i32 s5, s6, s5
	v_mov_b32_e32 v6, s5
	ds_read_b64 v[6:7], v6
	s_add_i32 s8, s8, 1
	s_add_i32 s4, s4, 8
	s_cmp_ge_i32 s8, s22
	s_waitcnt lgkmcnt(0)
	v_mul_f64 v[2:3], v[6:7], v[2:3]
	ds_write_b64 v5, v[2:3]
	s_cbranch_scc1 .LBB94_46
.LBB94_44:                              ; =>This Loop Header: Depth=1
                                        ;     Child Loop BB94_45 Depth 2
	s_mul_i32 s5, s8, 0xc0
	v_add_u32_e32 v5, s5, v1
	ds_read_b64 v[2:3], v5
	s_cmp_eq_u32 s8, 0
	v_mov_b32_e32 v6, v4
	s_mov_b32 s6, s4
	s_mov_b32 s7, s8
	s_cbranch_scc1 .LBB94_43
.LBB94_45:                              ;   Parent Loop BB94_44 Depth=1
                                        ; =>  This Inner Loop Header: Depth=2
	v_mov_b32_e32 v7, s6
	ds_read_b64 v[8:9], v6
	ds_read_b64 v[10:11], v7
	s_add_i32 s7, s7, -1
	s_addk_i32 s6, 0xc0
	v_add_u32_e32 v6, 0xc0, v6
	s_cmp_lg_u32 s7, 0
	s_waitcnt lgkmcnt(0)
	v_fma_f64 v[2:3], -v[8:9], v[10:11], v[2:3]
	s_cbranch_scc1 .LBB94_45
	s_branch .LBB94_43
.LBB94_46:
	s_waitcnt lgkmcnt(0)
	; wave barrier
	s_and_saveexec_b64 s[4:5], s[0:1]
	s_cbranch_execz .LBB94_50
; %bb.47:
	s_andn2_b64 vcc, exec, s[10:11]
	s_cbranch_vccnz .LBB94_50
; %bb.48:
	v_mad_i64_i32 v[2:3], s[0:1], s16, v0, 0
	v_mov_b32_e32 v1, 0x1200
	v_lshl_add_u64 v[2:3], v[2:3], 3, s[2:3]
	v_lshl_or_b32 v0, v0, 3, v1
.LBB94_49:                              ; =>This Inner Loop Header: Depth=1
	ds_read_b64 v[4:5], v0
	s_add_i32 s22, s22, -1
	v_add_u32_e32 v0, 0xc0, v0
	s_cmp_lg_u32 s22, 0
	s_waitcnt lgkmcnt(0)
	flat_store_dwordx2 v[2:3], v[4:5]
	v_lshl_add_u64 v[2:3], v[2:3], 0, 8
	s_cbranch_scc1 .LBB94_49
.LBB94_50:
	s_endpgm
	.section	.rodata,"a",@progbits
	.p2align	6, 0x0
	.amdhsa_kernel _ZL38rocblas_trsm_small_left_device_sharedBILi24ELi24ELb1EddPKPKdPKPdEv13rocblas_fill_18rocblas_operation_17rocblas_diagonal_iiT3_T4_lilT5_lili
		.amdhsa_group_segment_fixed_size 9216
		.amdhsa_private_segment_fixed_size 0
		.amdhsa_kernarg_size 360
		.amdhsa_user_sgpr_count 2
		.amdhsa_user_sgpr_dispatch_ptr 0
		.amdhsa_user_sgpr_queue_ptr 0
		.amdhsa_user_sgpr_kernarg_segment_ptr 1
		.amdhsa_user_sgpr_dispatch_id 0
		.amdhsa_user_sgpr_kernarg_preload_length 0
		.amdhsa_user_sgpr_kernarg_preload_offset 0
		.amdhsa_user_sgpr_private_segment_size 0
		.amdhsa_uses_dynamic_stack 0
		.amdhsa_enable_private_segment 0
		.amdhsa_system_sgpr_workgroup_id_x 1
		.amdhsa_system_sgpr_workgroup_id_y 0
		.amdhsa_system_sgpr_workgroup_id_z 1
		.amdhsa_system_sgpr_workgroup_info 0
		.amdhsa_system_vgpr_workitem_id 0
		.amdhsa_next_free_vgpr 120
		.amdhsa_next_free_sgpr 96
		.amdhsa_accum_offset 120
		.amdhsa_reserve_vcc 1
		.amdhsa_float_round_mode_32 0
		.amdhsa_float_round_mode_16_64 0
		.amdhsa_float_denorm_mode_32 3
		.amdhsa_float_denorm_mode_16_64 3
		.amdhsa_dx10_clamp 1
		.amdhsa_ieee_mode 1
		.amdhsa_fp16_overflow 0
		.amdhsa_tg_split 0
		.amdhsa_exception_fp_ieee_invalid_op 0
		.amdhsa_exception_fp_denorm_src 0
		.amdhsa_exception_fp_ieee_div_zero 0
		.amdhsa_exception_fp_ieee_overflow 0
		.amdhsa_exception_fp_ieee_underflow 0
		.amdhsa_exception_fp_ieee_inexact 0
		.amdhsa_exception_int_div_zero 0
	.end_amdhsa_kernel
	.section	.text._ZL38rocblas_trsm_small_left_device_sharedBILi24ELi24ELb1EddPKPKdPKPdEv13rocblas_fill_18rocblas_operation_17rocblas_diagonal_iiT3_T4_lilT5_lili,"axG",@progbits,_ZL38rocblas_trsm_small_left_device_sharedBILi24ELi24ELb1EddPKPKdPKPdEv13rocblas_fill_18rocblas_operation_17rocblas_diagonal_iiT3_T4_lilT5_lili,comdat
.Lfunc_end94:
	.size	_ZL38rocblas_trsm_small_left_device_sharedBILi24ELi24ELb1EddPKPKdPKPdEv13rocblas_fill_18rocblas_operation_17rocblas_diagonal_iiT3_T4_lilT5_lili, .Lfunc_end94-_ZL38rocblas_trsm_small_left_device_sharedBILi24ELi24ELb1EddPKPKdPKPdEv13rocblas_fill_18rocblas_operation_17rocblas_diagonal_iiT3_T4_lilT5_lili
                                        ; -- End function
	.set _ZL38rocblas_trsm_small_left_device_sharedBILi24ELi24ELb1EddPKPKdPKPdEv13rocblas_fill_18rocblas_operation_17rocblas_diagonal_iiT3_T4_lilT5_lili.num_vgpr, 120
	.set _ZL38rocblas_trsm_small_left_device_sharedBILi24ELi24ELb1EddPKPKdPKPdEv13rocblas_fill_18rocblas_operation_17rocblas_diagonal_iiT3_T4_lilT5_lili.num_agpr, 0
	.set _ZL38rocblas_trsm_small_left_device_sharedBILi24ELi24ELb1EddPKPKdPKPdEv13rocblas_fill_18rocblas_operation_17rocblas_diagonal_iiT3_T4_lilT5_lili.numbered_sgpr, 26
	.set _ZL38rocblas_trsm_small_left_device_sharedBILi24ELi24ELb1EddPKPKdPKPdEv13rocblas_fill_18rocblas_operation_17rocblas_diagonal_iiT3_T4_lilT5_lili.num_named_barrier, 0
	.set _ZL38rocblas_trsm_small_left_device_sharedBILi24ELi24ELb1EddPKPKdPKPdEv13rocblas_fill_18rocblas_operation_17rocblas_diagonal_iiT3_T4_lilT5_lili.private_seg_size, 0
	.set _ZL38rocblas_trsm_small_left_device_sharedBILi24ELi24ELb1EddPKPKdPKPdEv13rocblas_fill_18rocblas_operation_17rocblas_diagonal_iiT3_T4_lilT5_lili.uses_vcc, 1
	.set _ZL38rocblas_trsm_small_left_device_sharedBILi24ELi24ELb1EddPKPKdPKPdEv13rocblas_fill_18rocblas_operation_17rocblas_diagonal_iiT3_T4_lilT5_lili.uses_flat_scratch, 0
	.set _ZL38rocblas_trsm_small_left_device_sharedBILi24ELi24ELb1EddPKPKdPKPdEv13rocblas_fill_18rocblas_operation_17rocblas_diagonal_iiT3_T4_lilT5_lili.has_dyn_sized_stack, 0
	.set _ZL38rocblas_trsm_small_left_device_sharedBILi24ELi24ELb1EddPKPKdPKPdEv13rocblas_fill_18rocblas_operation_17rocblas_diagonal_iiT3_T4_lilT5_lili.has_recursion, 0
	.set _ZL38rocblas_trsm_small_left_device_sharedBILi24ELi24ELb1EddPKPKdPKPdEv13rocblas_fill_18rocblas_operation_17rocblas_diagonal_iiT3_T4_lilT5_lili.has_indirect_call, 0
	.section	.AMDGPU.csdata,"",@progbits
; Kernel info:
; codeLenInByte = 19888
; TotalNumSgprs: 32
; NumVgprs: 120
; NumAgprs: 0
; TotalNumVgprs: 120
; ScratchSize: 0
; MemoryBound: 0
; FloatMode: 240
; IeeeMode: 1
; LDSByteSize: 9216 bytes/workgroup (compile time only)
; SGPRBlocks: 12
; VGPRBlocks: 14
; NumSGPRsForWavesPerEU: 102
; NumVGPRsForWavesPerEU: 120
; AccumOffset: 120
; Occupancy: 4
; WaveLimiterHint : 0
; COMPUTE_PGM_RSRC2:SCRATCH_EN: 0
; COMPUTE_PGM_RSRC2:USER_SGPR: 2
; COMPUTE_PGM_RSRC2:TRAP_HANDLER: 0
; COMPUTE_PGM_RSRC2:TGID_X_EN: 1
; COMPUTE_PGM_RSRC2:TGID_Y_EN: 0
; COMPUTE_PGM_RSRC2:TGID_Z_EN: 1
; COMPUTE_PGM_RSRC2:TIDIG_COMP_CNT: 0
; COMPUTE_PGM_RSRC3_GFX90A:ACCUM_OFFSET: 29
; COMPUTE_PGM_RSRC3_GFX90A:TG_SPLIT: 0
	.section	.text._ZL30rocblas_trsm_small_left_deviceILi24ELi24ELb1EddPKPKdPKPdEv13rocblas_fill_18rocblas_operation_17rocblas_diagonal_iiT3_T4_lilT5_lili,"axG",@progbits,_ZL30rocblas_trsm_small_left_deviceILi24ELi24ELb1EddPKPKdPKPdEv13rocblas_fill_18rocblas_operation_17rocblas_diagonal_iiT3_T4_lilT5_lili,comdat
	.globl	_ZL30rocblas_trsm_small_left_deviceILi24ELi24ELb1EddPKPKdPKPdEv13rocblas_fill_18rocblas_operation_17rocblas_diagonal_iiT3_T4_lilT5_lili ; -- Begin function _ZL30rocblas_trsm_small_left_deviceILi24ELi24ELb1EddPKPKdPKPdEv13rocblas_fill_18rocblas_operation_17rocblas_diagonal_iiT3_T4_lilT5_lili
	.p2align	8
	.type	_ZL30rocblas_trsm_small_left_deviceILi24ELi24ELb1EddPKPKdPKPdEv13rocblas_fill_18rocblas_operation_17rocblas_diagonal_iiT3_T4_lilT5_lili,@function
_ZL30rocblas_trsm_small_left_deviceILi24ELi24ELb1EddPKPKdPKPdEv13rocblas_fill_18rocblas_operation_17rocblas_diagonal_iiT3_T4_lilT5_lili: ; @_ZL30rocblas_trsm_small_left_deviceILi24ELi24ELb1EddPKPKdPKPdEv13rocblas_fill_18rocblas_operation_17rocblas_diagonal_iiT3_T4_lilT5_lili
; %bb.0:
	s_load_dwordx2 s[18:19], s[0:1], 0x28
	s_load_dwordx4 s[12:15], s[0:1], 0x40
	s_load_dwordx4 s[8:11], s[0:1], 0x4
	;; [unrolled: 1-line block ×3, first 2 shown]
	s_mov_b32 s16, s3
	s_mov_b32 s17, 0
	s_lshl_b64 s[20:21], s[16:17], 3
	s_waitcnt lgkmcnt(0)
	s_add_u32 s12, s12, s20
	s_addc_u32 s13, s13, s21
	s_load_dwordx2 s[12:13], s[12:13], 0x0
	s_min_i32 s22, s10, 24
	v_cmp_gt_i32_e32 vcc, s22, v0
	s_and_saveexec_b64 s[16:17], vcc
	s_cbranch_execz .LBB95_6
; %bb.1:
	s_load_dword s24, s[0:1], 0x30
	v_lshlrev_b32_e32 v2, 3, v0
	v_mov_b32_e32 v3, 0
	v_mov_b32_e32 v1, v2
	s_mov_b32 s3, s22
	s_waitcnt lgkmcnt(0)
	s_ashr_i32 s25, s24, 31
	s_add_u32 s6, s6, s20
	s_addc_u32 s7, s7, s21
	s_load_dwordx2 s[6:7], s[6:7], 0x0
	s_lshl_b64 s[18:19], s[18:19], 3
	s_waitcnt lgkmcnt(0)
	s_add_u32 s18, s6, s18
	s_addc_u32 s19, s7, s19
	s_lshl_b64 s[6:7], s[24:25], 3
	v_lshl_add_u64 v[4:5], s[18:19], 0, v[2:3]
.LBB95_2:                               ; =>This Inner Loop Header: Depth=1
	flat_load_dwordx2 v[6:7], v[4:5]
	s_add_i32 s3, s3, -1
	v_lshl_add_u64 v[4:5], v[4:5], 0, s[6:7]
	s_cmp_eq_u32 s3, 0
	s_waitcnt vmcnt(0) lgkmcnt(0)
	ds_write_b64 v1, v[6:7]
	v_add_u32_e32 v1, 0xc0, v1
	s_cbranch_scc0 .LBB95_2
; %bb.3:
	v_mul_u32_u24_e32 v1, 0xc0, v0
	s_cmpk_lg_i32 s9, 0x84
	v_mov_b64_e32 v[4:5], 1.0
	v_add_u32_e32 v1, v2, v1
	s_cbranch_scc0 .LBB95_5
; %bb.4:
	ds_read_b64 v[2:3], v1
	s_waitcnt lgkmcnt(0)
	v_div_scale_f64 v[4:5], s[6:7], v[2:3], v[2:3], 1.0
	v_rcp_f64_e32 v[6:7], v[4:5]
	v_div_scale_f64 v[8:9], vcc, 1.0, v[2:3], 1.0
	v_fma_f64 v[10:11], -v[4:5], v[6:7], 1.0
	v_fmac_f64_e32 v[6:7], v[6:7], v[10:11]
	v_fma_f64 v[10:11], -v[4:5], v[6:7], 1.0
	v_fmac_f64_e32 v[6:7], v[6:7], v[10:11]
	v_mul_f64 v[10:11], v[8:9], v[6:7]
	v_fma_f64 v[4:5], -v[4:5], v[10:11], v[8:9]
	v_div_fmas_f64 v[4:5], v[4:5], v[6:7], v[10:11]
	v_div_fixup_f64 v[4:5], v[4:5], v[2:3], 1.0
.LBB95_5:
	ds_write_b64 v1, v[4:5]
.LBB95_6:
	s_or_b64 exec, exec, s[16:17]
	s_load_dword s3, s[0:1], 0x68
	s_mul_i32 s6, s2, 0xffffffe8
	s_add_i32 s6, s11, s6
	s_waitcnt lgkmcnt(0)
	; wave barrier
	s_add_i32 s3, s3, -1
	s_cmp_ge_u32 s2, s3
	s_cselect_b32 s3, s6, 24
	v_cmp_gt_i32_e32 vcc, s3, v0
	s_and_saveexec_b64 s[6:7], vcc
	s_cbranch_execz .LBB95_48
; %bb.7:
	s_load_dword s6, s[0:1], 0x50
	s_lshl_b64 s[0:1], s[14:15], 3
	s_add_u32 s0, s12, s0
	v_mad_u64_u32 v[0:1], s[2:3], s2, 24, v[0:1]
	s_addc_u32 s1, s13, s1
	s_waitcnt lgkmcnt(0)
	v_mad_i64_i32 v[0:1], s[2:3], s6, v0, 0
	v_lshl_add_u64 v[28:29], v[0:1], 3, s[0:1]
	s_cmpk_eq_i32 s8, 0x6f
	s_mov_b64 s[0:1], -1
	s_cbranch_scc1 .LBB95_34
; %bb.8:
	s_add_i32 s8, s22, -1
	s_cmp_gt_i32 s10, 23
	s_mov_b32 s0, s8
	s_cbranch_scc0 .LBB95_10
; %bb.9:
	flat_load_dwordx4 v[32:35], v[28:29] offset:176
	flat_load_dwordx4 v[36:39], v[28:29] offset:160
	;; [unrolled: 1-line block ×4, first 2 shown]
	v_mov_b32_e32 v50, 0
	ds_read_b64 v[0:1], v50 offset:4600
	flat_load_dwordx4 v[16:19], v[28:29] offset:112
	flat_load_dwordx4 v[12:15], v[28:29] offset:96
	v_mov_b32_e32 v44, 0x1068
	v_mov_b32_e32 v48, 0xee8
	v_mov_b32_e32 v49, 0xed8
	v_mov_b32_e32 v51, 0xd68
	v_mov_b32_e32 v54, 0xd58
	v_mov_b32_e32 v55, 0xd48
	v_mov_b32_e32 v58, 0xbe8
	v_mov_b32_e32 v59, 0xbd8
	v_mov_b32_e32 v60, 0xbc8
	v_mov_b32_e32 v61, 0xbb8
	v_mov_b32_e32 v62, 0xa68
	v_mov_b32_e32 v63, 0xa58
	v_mov_b32_e32 v64, 0xa48
	v_mov_b32_e32 v65, 0xa28
	v_mov_b32_e32 v66, 0x8e8
	v_mov_b32_e32 v67, 0x8d8
	v_mov_b32_e32 v68, 0x8c8
	v_mov_b32_e32 v69, 0x8b8
	v_mov_b32_e32 v70, 0x8a8
	s_mov_b32 s0, -1
	s_waitcnt vmcnt(0) lgkmcnt(0)
	v_mul_f64 v[2:3], s[4:5], v[34:35]
	v_mul_f64 v[30:31], v[0:1], v[2:3]
	flat_store_dwordx2 v[28:29], v[30:31] offset:184
	ds_read_b128 v[40:43], v50 offset:4400
	flat_load_dwordx4 v[8:11], v[28:29] offset:80
	flat_load_dwordx4 v[4:7], v[28:29] offset:64
	;; [unrolled: 1-line block ×3, first 2 shown]
	s_waitcnt lgkmcnt(0)
	v_mul_f64 v[34:35], v[30:31], v[42:43]
	v_fma_f64 v[32:33], s[4:5], v[32:33], -v[34:35]
	v_mul_f64 v[32:33], v[40:41], v[32:33]
	flat_store_dwordx2 v[28:29], v[32:33] offset:176
	ds_read_b64 v[34:35], v50 offset:4216
	ds_read2_b64 v[40:43], v44 offset1:1
	s_waitcnt lgkmcnt(0)
	v_mul_f64 v[34:35], v[30:31], v[34:35]
	v_fma_f64 v[34:35], s[4:5], v[38:39], -v[34:35]
	v_fma_f64 v[34:35], -v[32:33], v[42:43], v[34:35]
	v_mul_f64 v[34:35], v[40:41], v[34:35]
	flat_store_dwordx2 v[28:29], v[34:35] offset:168
	ds_read_b128 v[38:41], v50 offset:4000
	ds_read_b128 v[42:45], v50 offset:4016
	s_waitcnt lgkmcnt(0)
	v_mul_f64 v[44:45], v[30:31], v[44:45]
	v_fma_f64 v[36:37], s[4:5], v[36:37], -v[44:45]
	v_fma_f64 v[36:37], -v[32:33], v[42:43], v[36:37]
	v_fma_f64 v[36:37], -v[34:35], v[40:41], v[36:37]
	v_mul_f64 v[36:37], v[38:39], v[36:37]
	flat_store_dwordx2 v[28:29], v[36:37] offset:160
	ds_read_b64 v[46:47], v50 offset:3832
	ds_read2_b64 v[38:41], v48 offset1:1
	ds_read2_b64 v[42:45], v49 offset1:1
	s_waitcnt lgkmcnt(0)
	v_mul_f64 v[46:47], v[30:31], v[46:47]
	v_fma_f64 v[26:27], s[4:5], v[26:27], -v[46:47]
	v_fma_f64 v[26:27], -v[32:33], v[40:41], v[26:27]
	v_fma_f64 v[26:27], -v[34:35], v[38:39], v[26:27]
	;; [unrolled: 1-line block ×3, first 2 shown]
	v_mul_f64 v[26:27], v[42:43], v[26:27]
	flat_store_dwordx2 v[28:29], v[26:27] offset:152
	ds_read_b128 v[38:41], v50 offset:3632
	ds_read_b128 v[42:45], v50 offset:3600
	;; [unrolled: 1-line block ×3, first 2 shown]
	s_waitcnt lgkmcnt(0)
	v_mul_f64 v[40:41], v[30:31], v[40:41]
	v_fma_f64 v[24:25], s[4:5], v[24:25], -v[40:41]
	v_fma_f64 v[24:25], -v[32:33], v[38:39], v[24:25]
	v_fma_f64 v[24:25], -v[34:35], v[48:49], v[24:25]
	;; [unrolled: 1-line block ×4, first 2 shown]
	v_mul_f64 v[24:25], v[42:43], v[24:25]
	flat_store_dwordx2 v[28:29], v[24:25] offset:144
	ds_read_b64 v[52:53], v50 offset:3448
	ds_read2_b64 v[38:41], v51 offset1:1
	ds_read2_b64 v[42:45], v54 offset1:1
	;; [unrolled: 1-line block ×3, first 2 shown]
	v_mov_b32_e32 v51, 0xa38
	s_waitcnt lgkmcnt(0)
	v_mul_f64 v[52:53], v[30:31], v[52:53]
	v_fma_f64 v[22:23], s[4:5], v[22:23], -v[52:53]
	v_fma_f64 v[22:23], -v[32:33], v[40:41], v[22:23]
	v_fma_f64 v[22:23], -v[34:35], v[38:39], v[22:23]
	;; [unrolled: 1-line block ×5, first 2 shown]
	v_mul_f64 v[22:23], v[46:47], v[22:23]
	flat_store_dwordx2 v[28:29], v[22:23] offset:136
	ds_read_b128 v[38:41], v50 offset:3232
	ds_read_b128 v[42:45], v50 offset:3248
	s_waitcnt lgkmcnt(0)
	v_mul_f64 v[44:45], v[30:31], v[44:45]
	v_fma_f64 v[20:21], s[4:5], v[20:21], -v[44:45]
	ds_read_b128 v[44:47], v50 offset:3200
	ds_read_b128 v[52:55], v50 offset:3216
	v_fma_f64 v[20:21], -v[32:33], v[42:43], v[20:21]
	v_fma_f64 v[20:21], -v[34:35], v[40:41], v[20:21]
	;; [unrolled: 1-line block ×3, first 2 shown]
	s_waitcnt lgkmcnt(0)
	v_fma_f64 v[20:21], -v[26:27], v[54:55], v[20:21]
	v_fma_f64 v[20:21], -v[24:25], v[52:53], v[20:21]
	;; [unrolled: 1-line block ×3, first 2 shown]
	v_mul_f64 v[20:21], v[44:45], v[20:21]
	flat_store_dwordx2 v[28:29], v[20:21] offset:128
	ds_read_b64 v[56:57], v50 offset:3064
	ds_read2_b64 v[38:41], v58 offset1:1
	ds_read2_b64 v[42:45], v59 offset1:1
	;; [unrolled: 1-line block ×4, first 2 shown]
	s_waitcnt lgkmcnt(0)
	v_mul_f64 v[56:57], v[30:31], v[56:57]
	v_fma_f64 v[18:19], s[4:5], v[18:19], -v[56:57]
	v_fma_f64 v[18:19], -v[32:33], v[40:41], v[18:19]
	v_fma_f64 v[18:19], -v[34:35], v[38:39], v[18:19]
	;; [unrolled: 1-line block ×7, first 2 shown]
	v_mul_f64 v[18:19], v[52:53], v[18:19]
	flat_store_dwordx2 v[28:29], v[18:19] offset:120
	ds_read_b128 v[38:41], v50 offset:2864
	ds_read_b128 v[42:45], v50 offset:2832
	;; [unrolled: 1-line block ×3, first 2 shown]
	s_waitcnt lgkmcnt(0)
	v_mul_f64 v[40:41], v[30:31], v[40:41]
	v_fma_f64 v[16:17], s[4:5], v[16:17], -v[40:41]
	v_fma_f64 v[16:17], -v[32:33], v[38:39], v[16:17]
	ds_read_b128 v[38:41], v50 offset:2800
	ds_read_b128 v[52:55], v50 offset:2816
	v_fma_f64 v[16:17], -v[34:35], v[48:49], v[16:17]
	v_fma_f64 v[16:17], -v[36:37], v[46:47], v[16:17]
	;; [unrolled: 1-line block ×4, first 2 shown]
	s_waitcnt lgkmcnt(0)
	v_fma_f64 v[16:17], -v[22:23], v[54:55], v[16:17]
	v_fma_f64 v[16:17], -v[20:21], v[52:53], v[16:17]
	;; [unrolled: 1-line block ×3, first 2 shown]
	v_mul_f64 v[16:17], v[38:39], v[16:17]
	flat_store_dwordx2 v[28:29], v[16:17] offset:112
	ds_read_b64 v[60:61], v50 offset:2680
	ds_read2_b64 v[38:41], v62 offset1:1
	ds_read2_b64 v[42:45], v63 offset1:1
	;; [unrolled: 1-line block ×5, first 2 shown]
	s_waitcnt lgkmcnt(0)
	v_mul_f64 v[60:61], v[30:31], v[60:61]
	v_fma_f64 v[14:15], s[4:5], v[14:15], -v[60:61]
	v_fma_f64 v[14:15], -v[32:33], v[40:41], v[14:15]
	v_fma_f64 v[14:15], -v[34:35], v[38:39], v[14:15]
	;; [unrolled: 1-line block ×9, first 2 shown]
	v_mul_f64 v[14:15], v[56:57], v[14:15]
	flat_store_dwordx2 v[28:29], v[14:15] offset:104
	ds_read_b128 v[38:41], v50 offset:2480
	ds_read_b128 v[42:45], v50 offset:2464
	;; [unrolled: 1-line block ×4, first 2 shown]
	v_mov_b32_e32 v51, 0x898
	s_waitcnt lgkmcnt(0)
	v_mul_f64 v[40:41], v[30:31], v[40:41]
	v_fma_f64 v[12:13], s[4:5], v[12:13], -v[40:41]
	v_fma_f64 v[12:13], -v[32:33], v[38:39], v[12:13]
	v_fma_f64 v[12:13], -v[34:35], v[44:45], v[12:13]
	ds_read_b128 v[38:41], v50 offset:2400
	ds_read_b128 v[56:59], v50 offset:2416
	v_fma_f64 v[12:13], -v[36:37], v[42:43], v[12:13]
	v_fma_f64 v[12:13], -v[26:27], v[54:55], v[12:13]
	;; [unrolled: 1-line block ×5, first 2 shown]
	s_waitcnt lgkmcnt(0)
	v_fma_f64 v[12:13], -v[18:19], v[58:59], v[12:13]
	v_fma_f64 v[12:13], -v[16:17], v[56:57], v[12:13]
	;; [unrolled: 1-line block ×3, first 2 shown]
	v_mul_f64 v[12:13], v[38:39], v[12:13]
	flat_store_dwordx2 v[28:29], v[12:13] offset:96
	ds_read_b64 v[64:65], v50 offset:2296
	ds_read2_b64 v[38:41], v66 offset1:1
	ds_read2_b64 v[42:45], v67 offset1:1
	;; [unrolled: 1-line block ×6, first 2 shown]
	s_waitcnt lgkmcnt(0)
	v_mul_f64 v[64:65], v[30:31], v[64:65]
	s_waitcnt vmcnt(0)
	v_fma_f64 v[10:11], s[4:5], v[10:11], -v[64:65]
	v_fma_f64 v[10:11], -v[32:33], v[40:41], v[10:11]
	v_fma_f64 v[10:11], -v[34:35], v[38:39], v[10:11]
	;; [unrolled: 1-line block ×11, first 2 shown]
	v_mul_f64 v[38:39], v[60:61], v[10:11]
	flat_store_dwordx2 v[28:29], v[38:39] offset:88
	ds_read_b128 v[40:43], v50 offset:2096
	ds_read_b128 v[44:47], v50 offset:2080
	;; [unrolled: 1-line block ×5, first 2 shown]
	s_waitcnt lgkmcnt(0)
	v_mul_f64 v[10:11], v[30:31], v[42:43]
	v_fma_f64 v[42:43], s[4:5], v[8:9], -v[10:11]
	ds_read_b128 v[8:11], v50 offset:2032
	ds_read_b128 v[64:67], v50 offset:2048
	v_fma_f64 v[40:41], -v[32:33], v[40:41], v[42:43]
	v_fma_f64 v[40:41], -v[34:35], v[46:47], v[40:41]
	;; [unrolled: 1-line block ×5, first 2 shown]
	s_waitcnt lgkmcnt(0)
	v_fma_f64 v[40:41], -v[22:23], v[66:67], v[40:41]
	v_fma_f64 v[40:41], -v[20:21], v[64:65], v[40:41]
	;; [unrolled: 1-line block ×7, first 2 shown]
	v_mul_f64 v[40:41], v[56:57], v[8:9]
	flat_store_dwordx2 v[28:29], v[40:41] offset:80
	ds_read_b64 v[60:61], v50 offset:1912
	ds_read2_b64 v[8:11], v50 offset0:237 offset1:238
	ds_read2_b64 v[42:45], v50 offset0:235 offset1:236
	;; [unrolled: 1-line block ×5, first 2 shown]
	s_waitcnt lgkmcnt(0)
	v_mul_f64 v[60:61], v[30:31], v[60:61]
	v_fma_f64 v[6:7], s[4:5], v[6:7], -v[60:61]
	v_fma_f64 v[6:7], -v[32:33], v[10:11], v[6:7]
	v_fma_f64 v[10:11], -v[34:35], v[8:9], v[6:7]
	;; [unrolled: 1-line block ×6, first 2 shown]
	ds_read2_b64 v[6:9], v50 offset0:227 offset1:228
	ds_read2_b64 v[60:63], v50 offset0:225 offset1:226
	v_fma_f64 v[10:11], -v[20:21], v[54:55], v[10:11]
	v_fma_f64 v[10:11], -v[18:19], v[52:53], v[10:11]
	;; [unrolled: 1-line block ×4, first 2 shown]
	s_waitcnt lgkmcnt(0)
	v_fma_f64 v[8:9], -v[12:13], v[8:9], v[10:11]
	v_fma_f64 v[6:7], -v[38:39], v[6:7], v[8:9]
	flat_load_dwordx4 v[8:11], v[28:29] offset:32
	v_fma_f64 v[6:7], -v[40:41], v[62:63], v[6:7]
	v_mul_f64 v[42:43], v[60:61], v[6:7]
	flat_store_dwordx2 v[28:29], v[42:43] offset:72
	ds_read_b128 v[44:47], v50 offset:1712
	ds_read_b128 v[52:55], v50 offset:1696
	;; [unrolled: 1-line block ×4, first 2 shown]
	s_waitcnt lgkmcnt(0)
	v_mul_f64 v[6:7], v[30:31], v[46:47]
	v_fma_f64 v[64:65], s[4:5], v[4:5], -v[6:7]
	v_fma_f64 v[44:45], -v[32:33], v[44:45], v[64:65]
	v_fma_f64 v[44:45], -v[34:35], v[54:55], v[44:45]
	ds_read_b128 v[4:7], v50 offset:1600
	ds_read_b128 v[46:49], v50 offset:1616
	v_fma_f64 v[44:45], -v[36:37], v[52:53], v[44:45]
	ds_read_b128 v[52:55], v50 offset:1632
	ds_read_b128 v[64:67], v50 offset:1648
	v_fma_f64 v[44:45], -v[26:27], v[58:59], v[44:45]
	v_fma_f64 v[44:45], -v[24:25], v[56:57], v[44:45]
	;; [unrolled: 1-line block ×4, first 2 shown]
	s_waitcnt lgkmcnt(0)
	v_fma_f64 v[44:45], -v[18:19], v[66:67], v[44:45]
	v_fma_f64 v[44:45], -v[16:17], v[64:65], v[44:45]
	;; [unrolled: 1-line block ×7, first 2 shown]
	v_mul_f64 v[44:45], v[4:5], v[6:7]
	flat_store_dwordx2 v[28:29], v[44:45] offset:64
	ds_read_b64 v[60:61], v50 offset:1528
	ds_read2_b64 v[4:7], v50 offset0:189 offset1:190
	ds_read2_b64 v[46:49], v50 offset0:187 offset1:188
	ds_read2_b64 v[52:55], v50 offset0:185 offset1:186
	ds_read2_b64 v[56:59], v50 offset0:183 offset1:184
	s_waitcnt lgkmcnt(0)
	v_mul_f64 v[60:61], v[30:31], v[60:61]
	v_fma_f64 v[2:3], s[4:5], v[2:3], -v[60:61]
	v_fma_f64 v[2:3], -v[32:33], v[6:7], v[2:3]
	v_fma_f64 v[6:7], -v[34:35], v[4:5], v[2:3]
	;; [unrolled: 1-line block ×4, first 2 shown]
	ds_read2_b64 v[2:5], v50 offset0:181 offset1:182
	ds_read2_b64 v[60:63], v50 offset0:179 offset1:180
	v_fma_f64 v[6:7], -v[24:25], v[54:55], v[6:7]
	v_fma_f64 v[6:7], -v[22:23], v[52:53], v[6:7]
	;; [unrolled: 1-line block ×4, first 2 shown]
	ds_read2_b64 v[46:49], v50 offset0:177 offset1:178
	ds_read2_b64 v[52:55], v50 offset0:175 offset1:176
	s_waitcnt lgkmcnt(0)
	v_fma_f64 v[4:5], -v[16:17], v[4:5], v[6:7]
	v_fma_f64 v[2:3], -v[14:15], v[2:3], v[4:5]
	;; [unrolled: 1-line block ×7, first 2 shown]
	v_mul_f64 v[46:47], v[52:53], v[2:3]
	flat_store_dwordx2 v[28:29], v[46:47] offset:56
	flat_load_dwordx4 v[4:7], v[28:29] offset:16
	ds_read_b128 v[52:55], v50 offset:1328
	ds_read_b128 v[56:59], v50 offset:1312
	;; [unrolled: 1-line block ×3, first 2 shown]
	s_waitcnt lgkmcnt(0)
	v_mul_f64 v[2:3], v[30:31], v[54:55]
	v_fma_f64 v[48:49], s[4:5], v[0:1], -v[2:3]
	v_fma_f64 v[48:49], -v[32:33], v[52:53], v[48:49]
	ds_read_b128 v[0:3], v50 offset:1280
	ds_read_b128 v[64:67], v50 offset:1264
	v_fma_f64 v[48:49], -v[34:35], v[58:59], v[48:49]
	v_fma_f64 v[48:49], -v[36:37], v[56:57], v[48:49]
	;; [unrolled: 1-line block ×3, first 2 shown]
	ds_read_b128 v[52:55], v50 offset:1232
	ds_read_b128 v[56:59], v50 offset:1248
	v_fma_f64 v[48:49], -v[24:25], v[60:61], v[48:49]
	s_waitcnt lgkmcnt(0)
	v_fma_f64 v[2:3], -v[22:23], v[2:3], v[48:49]
	v_fma_f64 v[48:49], -v[20:21], v[0:1], v[2:3]
	v_fma_f64 v[48:49], -v[18:19], v[66:67], v[48:49]
	ds_read_b128 v[0:3], v50 offset:1200
	ds_read_b128 v[60:63], v50 offset:1216
	v_fma_f64 v[48:49], -v[16:17], v[64:65], v[48:49]
	v_fma_f64 v[48:49], -v[14:15], v[58:59], v[48:49]
	;; [unrolled: 1-line block ×5, first 2 shown]
	s_waitcnt lgkmcnt(0)
	v_fma_f64 v[48:49], -v[42:43], v[62:63], v[48:49]
	v_fma_f64 v[48:49], -v[44:45], v[60:61], v[48:49]
	;; [unrolled: 1-line block ×3, first 2 shown]
	v_mul_f64 v[48:49], v[0:1], v[2:3]
	flat_store_dwordx2 v[28:29], v[48:49] offset:48
	ds_read_b64 v[60:61], v50 offset:1144
	ds_read2_b64 v[0:3], v50 offset0:141 offset1:142
	ds_read2_b64 v[52:55], v50 offset0:139 offset1:140
	;; [unrolled: 1-line block ×3, first 2 shown]
	s_waitcnt lgkmcnt(0)
	v_mul_f64 v[60:61], v[30:31], v[60:61]
	s_waitcnt vmcnt(0)
	v_fma_f64 v[10:11], s[4:5], v[10:11], -v[60:61]
	v_fma_f64 v[2:3], -v[32:33], v[2:3], v[10:11]
	v_fma_f64 v[10:11], -v[34:35], v[0:1], v[2:3]
	ds_read2_b64 v[0:3], v50 offset0:135 offset1:136
	ds_read2_b64 v[60:63], v50 offset0:133 offset1:134
	v_fma_f64 v[10:11], -v[36:37], v[54:55], v[10:11]
	v_fma_f64 v[10:11], -v[26:27], v[52:53], v[10:11]
	;; [unrolled: 1-line block ×4, first 2 shown]
	ds_read2_b64 v[52:55], v50 offset0:131 offset1:132
	ds_read2_b64 v[56:59], v50 offset0:129 offset1:130
	s_waitcnt lgkmcnt(3)
	v_fma_f64 v[2:3], -v[20:21], v[2:3], v[10:11]
	v_fma_f64 v[0:1], -v[18:19], v[0:1], v[2:3]
	s_waitcnt lgkmcnt(2)
	v_fma_f64 v[0:1], -v[16:17], v[62:63], v[0:1]
	v_fma_f64 v[10:11], -v[14:15], v[60:61], v[0:1]
	ds_read2_b64 v[0:3], v50 offset0:127 offset1:128
	ds_read2_b64 v[60:63], v50 offset0:125 offset1:126
	s_waitcnt lgkmcnt(3)
	v_fma_f64 v[10:11], -v[12:13], v[54:55], v[10:11]
	v_fma_f64 v[10:11], -v[38:39], v[52:53], v[10:11]
	s_waitcnt lgkmcnt(2)
	v_fma_f64 v[10:11], -v[40:41], v[58:59], v[10:11]
	v_fma_f64 v[10:11], -v[42:43], v[56:57], v[10:11]
	;; [unrolled: 3-line block ×3, first 2 shown]
	s_waitcnt lgkmcnt(0)
	v_fma_f64 v[0:1], -v[48:49], v[62:63], v[0:1]
	v_mul_f64 v[10:11], v[60:61], v[0:1]
	flat_store_dwordx2 v[28:29], v[10:11] offset:40
	ds_read_b128 v[52:55], v50 offset:944
	ds_read_b128 v[56:59], v50 offset:928
	flat_load_dwordx4 v[0:3], v[28:29]
	ds_read_b128 v[60:63], v50 offset:912
	ds_read_b128 v[64:67], v50 offset:896
	s_waitcnt lgkmcnt(0)
	v_mul_f64 v[54:55], v[30:31], v[54:55]
	v_fma_f64 v[8:9], s[4:5], v[8:9], -v[54:55]
	v_fma_f64 v[8:9], -v[32:33], v[52:53], v[8:9]
	v_fma_f64 v[8:9], -v[34:35], v[58:59], v[8:9]
	;; [unrolled: 1-line block ×3, first 2 shown]
	ds_read_b128 v[52:55], v50 offset:880
	ds_read_b128 v[56:59], v50 offset:864
	v_fma_f64 v[8:9], -v[26:27], v[62:63], v[8:9]
	v_fma_f64 v[8:9], -v[24:25], v[60:61], v[8:9]
	;; [unrolled: 1-line block ×4, first 2 shown]
	ds_read_b128 v[60:63], v50 offset:832
	ds_read_b128 v[64:67], v50 offset:848
	s_waitcnt lgkmcnt(0)
	v_fma_f64 v[8:9], -v[18:19], v[54:55], v[8:9]
	v_fma_f64 v[8:9], -v[16:17], v[52:53], v[8:9]
	;; [unrolled: 1-line block ×4, first 2 shown]
	ds_read_b128 v[52:55], v50 offset:800
	ds_read_b128 v[56:59], v50 offset:816
	v_fma_f64 v[8:9], -v[38:39], v[66:67], v[8:9]
	v_fma_f64 v[8:9], -v[40:41], v[64:65], v[8:9]
	;; [unrolled: 1-line block ×4, first 2 shown]
	s_waitcnt lgkmcnt(0)
	v_fma_f64 v[8:9], -v[46:47], v[58:59], v[8:9]
	v_fma_f64 v[8:9], -v[48:49], v[56:57], v[8:9]
	;; [unrolled: 1-line block ×3, first 2 shown]
	v_mul_f64 v[8:9], v[52:53], v[8:9]
	flat_store_dwordx2 v[28:29], v[8:9] offset:32
	ds_read_b64 v[60:61], v50 offset:760
	ds_read2_b64 v[52:55], v50 offset0:93 offset1:94
	ds_read2_b64 v[56:59], v50 offset0:91 offset1:92
	s_waitcnt lgkmcnt(0)
	v_mul_f64 v[60:61], v[30:31], v[60:61]
	v_fma_f64 v[6:7], s[4:5], v[6:7], -v[60:61]
	v_fma_f64 v[6:7], -v[32:33], v[54:55], v[6:7]
	v_fma_f64 v[6:7], -v[34:35], v[52:53], v[6:7]
	ds_read2_b64 v[52:55], v50 offset0:89 offset1:90
	ds_read2_b64 v[60:63], v50 offset0:87 offset1:88
	v_fma_f64 v[6:7], -v[36:37], v[58:59], v[6:7]
	v_fma_f64 v[6:7], -v[26:27], v[56:57], v[6:7]
	ds_read2_b64 v[56:59], v50 offset0:85 offset1:86
	s_waitcnt lgkmcnt(0)
	v_fma_f64 v[6:7], -v[24:25], v[54:55], v[6:7]
	v_fma_f64 v[6:7], -v[22:23], v[52:53], v[6:7]
	ds_read2_b64 v[52:55], v50 offset0:83 offset1:84
	v_fma_f64 v[6:7], -v[20:21], v[62:63], v[6:7]
	v_fma_f64 v[6:7], -v[18:19], v[60:61], v[6:7]
	v_fma_f64 v[6:7], -v[16:17], v[58:59], v[6:7]
	v_fma_f64 v[6:7], -v[14:15], v[56:57], v[6:7]
	ds_read2_b64 v[56:59], v50 offset0:81 offset1:82
	ds_read2_b64 v[60:63], v50 offset0:79 offset1:80
	s_waitcnt lgkmcnt(0)
	v_fma_f64 v[6:7], -v[12:13], v[54:55], v[6:7]
	v_fma_f64 v[6:7], -v[38:39], v[52:53], v[6:7]
	ds_read2_b64 v[52:55], v50 offset0:77 offset1:78
	v_fma_f64 v[6:7], -v[40:41], v[58:59], v[6:7]
	v_fma_f64 v[6:7], -v[42:43], v[56:57], v[6:7]
	ds_read2_b64 v[56:59], v50 offset0:75 offset1:76
	v_fma_f64 v[6:7], -v[44:45], v[62:63], v[6:7]
	v_fma_f64 v[6:7], -v[46:47], v[60:61], v[6:7]
	s_waitcnt lgkmcnt(0)
	v_fma_f64 v[6:7], -v[48:49], v[54:55], v[6:7]
	v_fma_f64 v[6:7], -v[10:11], v[52:53], v[6:7]
	;; [unrolled: 1-line block ×3, first 2 shown]
	v_mul_f64 v[6:7], v[56:57], v[6:7]
	flat_store_dwordx2 v[28:29], v[6:7] offset:24
	ds_read_b128 v[52:55], v50 offset:560
	ds_read_b128 v[56:59], v50 offset:544
	;; [unrolled: 1-line block ×3, first 2 shown]
	s_waitcnt lgkmcnt(0)
	v_mul_f64 v[54:55], v[30:31], v[54:55]
	v_fma_f64 v[4:5], s[4:5], v[4:5], -v[54:55]
	v_fma_f64 v[4:5], -v[32:33], v[52:53], v[4:5]
	ds_read_b128 v[52:55], v50 offset:512
	ds_read_b128 v[64:67], v50 offset:496
	v_fma_f64 v[4:5], -v[34:35], v[58:59], v[4:5]
	v_fma_f64 v[4:5], -v[36:37], v[56:57], v[4:5]
	;; [unrolled: 1-line block ×4, first 2 shown]
	ds_read_b128 v[56:59], v50 offset:480
	ds_read_b128 v[60:63], v50 offset:464
	s_waitcnt lgkmcnt(0)
	v_fma_f64 v[4:5], -v[22:23], v[54:55], v[4:5]
	v_fma_f64 v[4:5], -v[20:21], v[52:53], v[4:5]
	;; [unrolled: 1-line block ×4, first 2 shown]
	ds_read_b128 v[52:55], v50 offset:432
	ds_read_b128 v[64:67], v50 offset:448
	v_fma_f64 v[4:5], -v[14:15], v[58:59], v[4:5]
	v_fma_f64 v[4:5], -v[12:13], v[56:57], v[4:5]
	;; [unrolled: 1-line block ×4, first 2 shown]
	ds_read_b128 v[56:59], v50 offset:400
	ds_read_b128 v[60:63], v50 offset:416
	s_waitcnt lgkmcnt(0)
	v_fma_f64 v[4:5], -v[42:43], v[66:67], v[4:5]
	v_fma_f64 v[4:5], -v[44:45], v[64:65], v[4:5]
	;; [unrolled: 1-line block ×7, first 2 shown]
	v_mul_f64 v[64:65], v[56:57], v[4:5]
	flat_store_dwordx2 v[28:29], v[64:65] offset:16
	ds_read_b64 v[4:5], v50 offset:376
	ds_read2_b64 v[52:55], v50 offset0:45 offset1:46
	ds_read2_b64 v[56:59], v50 offset0:43 offset1:44
	;; [unrolled: 1-line block ×3, first 2 shown]
	s_waitcnt lgkmcnt(0)
	v_mul_f64 v[4:5], v[30:31], v[4:5]
	s_waitcnt vmcnt(0)
	v_fma_f64 v[2:3], s[4:5], v[2:3], -v[4:5]
	v_fma_f64 v[2:3], -v[32:33], v[54:55], v[2:3]
	v_fma_f64 v[2:3], -v[34:35], v[52:53], v[2:3]
	;; [unrolled: 1-line block ×4, first 2 shown]
	ds_read2_b64 v[2:5], v50 offset0:39 offset1:40
	ds_read2_b64 v[52:55], v50 offset0:37 offset1:38
	v_fma_f64 v[56:57], -v[24:25], v[62:63], v[56:57]
	v_fma_f64 v[60:61], -v[22:23], v[60:61], v[56:57]
	ds_read2_b64 v[56:59], v50 offset0:35 offset1:36
	s_waitcnt lgkmcnt(2)
	v_fma_f64 v[4:5], -v[20:21], v[4:5], v[60:61]
	v_fma_f64 v[60:61], -v[18:19], v[2:3], v[4:5]
	ds_read2_b64 v[2:5], v50 offset0:33 offset1:34
	s_waitcnt lgkmcnt(2)
	v_fma_f64 v[54:55], -v[16:17], v[54:55], v[60:61]
	v_fma_f64 v[52:53], -v[14:15], v[52:53], v[54:55]
	s_waitcnt lgkmcnt(1)
	v_fma_f64 v[52:53], -v[12:13], v[58:59], v[52:53]
	v_fma_f64 v[60:61], -v[38:39], v[56:57], v[52:53]
	ds_read2_b64 v[52:55], v50 offset0:31 offset1:32
	ds_read2_b64 v[56:59], v50 offset0:29 offset1:30
	s_waitcnt lgkmcnt(2)
	v_fma_f64 v[4:5], -v[40:41], v[4:5], v[60:61]
	v_fma_f64 v[60:61], -v[42:43], v[2:3], v[4:5]
	ds_read2_b64 v[2:5], v50 offset0:27 offset1:28
	s_waitcnt lgkmcnt(2)
	v_fma_f64 v[54:55], -v[44:45], v[54:55], v[60:61]
	v_fma_f64 v[60:61], -v[46:47], v[52:53], v[54:55]
	;; [unrolled: 4-line block ×3, first 2 shown]
	s_waitcnt lgkmcnt(1)
	v_fma_f64 v[4:5], -v[8:9], v[4:5], v[56:57]
	v_fma_f64 v[2:3], -v[6:7], v[2:3], v[4:5]
	s_waitcnt lgkmcnt(0)
	v_fma_f64 v[2:3], -v[64:65], v[54:55], v[2:3]
	v_mul_f64 v[66:67], v[52:53], v[2:3]
	flat_store_dwordx2 v[28:29], v[66:67] offset:8
	ds_read_b128 v[2:5], v50 offset:176
	ds_read_b128 v[52:55], v50 offset:160
	;; [unrolled: 1-line block ×4, first 2 shown]
	s_waitcnt lgkmcnt(0)
	v_mul_f64 v[4:5], v[30:31], v[4:5]
	v_fma_f64 v[0:1], s[4:5], v[0:1], -v[4:5]
	v_fma_f64 v[4:5], -v[32:33], v[2:3], v[0:1]
	v_fma_f64 v[4:5], -v[34:35], v[54:55], v[4:5]
	;; [unrolled: 1-line block ×3, first 2 shown]
	ds_read_b128 v[0:3], v50 offset:112
	ds_read_b128 v[30:33], v50 offset:96
	v_fma_f64 v[4:5], -v[26:27], v[58:59], v[4:5]
	v_fma_f64 v[4:5], -v[24:25], v[56:57], v[4:5]
	;; [unrolled: 1-line block ×4, first 2 shown]
	ds_read_b128 v[34:37], v50 offset:80
	ds_read_b128 v[52:55], v50 offset:64
	s_waitcnt lgkmcnt(0)
	v_fma_f64 v[2:3], -v[18:19], v[2:3], v[4:5]
	v_fma_f64 v[0:1], -v[16:17], v[0:1], v[2:3]
	;; [unrolled: 1-line block ×3, first 2 shown]
	ds_read_b128 v[24:27], v50
	ds_read_b128 v[56:59], v50 offset:16
	ds_read_b128 v[20:23], v50 offset:32
	;; [unrolled: 1-line block ×3, first 2 shown]
	v_fma_f64 v[0:1], -v[12:13], v[30:31], v[0:1]
	v_fma_f64 v[0:1], -v[38:39], v[36:37], v[0:1]
	;; [unrolled: 1-line block ×5, first 2 shown]
	s_waitcnt lgkmcnt(0)
	v_fma_f64 v[0:1], -v[46:47], v[62:63], v[0:1]
	v_fma_f64 v[0:1], -v[48:49], v[60:61], v[0:1]
	;; [unrolled: 1-line block ×7, first 2 shown]
	v_mul_f64 v[0:1], v[24:25], v[0:1]
	flat_store_dwordx2 v[28:29], v[0:1]
.LBB95_10:
	s_cmp_gt_i32 s0, -1
	s_cbranch_scc0 .LBB95_33
; %bb.11:
	s_cmp_lt_u32 s0, 19
	s_cbranch_scc1 .LBB95_16
; %bb.12:
	s_mov_b32 s3, 0
	s_mov_b32 s1, s3
	v_lshl_add_u64 v[8:9], s[0:1], 3, v[28:29]
	v_add_co_u32_e32 v4, vcc, -8, v8
	s_cmp_le_i32 s8, s0
	s_nop 0
	v_addc_co_u32_e32 v5, vcc, -1, v9, vcc
	v_add_co_u32_e32 v6, vcc, 0xffffffe8, v8
	s_nop 1
	v_addc_co_u32_e32 v7, vcc, -1, v9, vcc
	flat_load_dwordx4 v[0:3], v[4:5]
	flat_load_dwordx4 v[12:15], v[6:7]
	v_add_co_u32_e32 v4, vcc, 0xffffffd8, v8
	s_waitcnt vmcnt(0) lgkmcnt(0)
	v_mul_f64 v[42:43], s[4:5], v[0:1]
	v_addc_co_u32_e32 v5, vcc, -1, v9, vcc
	v_add_co_u32_e32 v6, vcc, 0xffffffc8, v8
	v_mul_f64 v[10:11], s[4:5], v[14:15]
	s_nop 0
	v_addc_co_u32_e32 v7, vcc, -1, v9, vcc
	flat_load_dwordx4 v[16:19], v[4:5]
	flat_load_dwordx4 v[22:25], v[6:7]
	v_add_co_u32_e32 v4, vcc, 0xffffffb8, v8
	v_mul_f64 v[12:13], s[4:5], v[12:13]
	s_nop 0
	v_addc_co_u32_e32 v5, vcc, -1, v9, vcc
	v_add_co_u32_e32 v6, vcc, 0xffffffa8, v8
	s_waitcnt vmcnt(0) lgkmcnt(0)
	v_mul_f64 v[14:15], s[4:5], v[18:19]
	v_addc_co_u32_e32 v7, vcc, -1, v9, vcc
	flat_load_dwordx4 v[30:33], v[4:5]
	flat_load_dwordx4 v[34:37], v[6:7]
	v_add_co_u32_e32 v4, vcc, 0xffffff98, v8
	v_mul_f64 v[18:19], s[4:5], v[16:17]
	s_nop 0
	v_addc_co_u32_e32 v5, vcc, -1, v9, vcc
	v_add_co_u32_e32 v6, vcc, 0xffffff88, v8
	v_mul_f64 v[20:21], s[4:5], v[24:25]
	s_nop 0
	v_addc_co_u32_e32 v7, vcc, -1, v9, vcc
	flat_load_dwordx4 v[44:47], v[4:5]
	flat_load_dwordx4 v[48:51], v[6:7]
	v_add_co_u32_e32 v4, vcc, 0xffffff78, v8
	v_mul_f64 v[6:7], s[4:5], v[2:3]
	s_nop 0
	v_addc_co_u32_e32 v5, vcc, -1, v9, vcc
	flat_load_dwordx4 v[52:55], v[4:5]
	v_add_co_u32_e32 v4, vcc, 0xffffff68, v8
	v_mul_f64 v[24:25], s[4:5], v[22:23]
	s_nop 0
	v_addc_co_u32_e32 v5, vcc, -1, v9, vcc
	flat_load_dwordx4 v[56:59], v[4:5]
	s_waitcnt vmcnt(0) lgkmcnt(0)
	v_mul_f64 v[26:27], s[4:5], v[32:33]
	v_mul_f64 v[32:33], s[4:5], v[30:31]
	;; [unrolled: 1-line block ×12, first 2 shown]
	s_cbranch_scc1 .LBB95_15
; %bb.13:
	s_mul_i32 s1, s0, 0xc0
	s_lshl_b32 s2, s22, 3
	s_add_i32 s1, s1, s2
	s_addk_i32 s1, 0xf1b8
	s_mov_b32 s2, s8
.LBB95_14:                              ; =>This Inner Loop Header: Depth=1
	v_lshl_add_u64 v[44:45], s[2:3], 3, v[28:29]
	flat_load_dwordx2 v[52:53], v[44:45]
	v_mov_b32_e32 v54, s1
	v_add_u32_e32 v48, 0x800, v54
	ds_read2_b64 v[44:47], v48 offset0:176 offset1:200
	v_add_u32_e32 v49, 0x400, v54
	s_add_i32 s2, s2, -1
	s_add_i32 s1, s1, -8
	s_cmp_gt_i32 s2, s0
	s_waitcnt vmcnt(0) lgkmcnt(0)
	v_fma_f64 v[6:7], -v[52:53], v[46:47], v[6:7]
	v_fma_f64 v[42:43], -v[52:53], v[44:45], v[42:43]
	ds_read2_b64 v[44:47], v48 offset0:128 offset1:152
	s_waitcnt lgkmcnt(0)
	v_fma_f64 v[10:11], -v[52:53], v[46:47], v[10:11]
	v_fma_f64 v[12:13], -v[52:53], v[44:45], v[12:13]
	ds_read2_b64 v[44:47], v48 offset0:80 offset1:104
	s_waitcnt lgkmcnt(0)
	;; [unrolled: 4-line block ×3, first 2 shown]
	v_fma_f64 v[20:21], -v[52:53], v[46:47], v[20:21]
	v_fma_f64 v[24:25], -v[52:53], v[44:45], v[24:25]
	ds_read2_b64 v[44:47], v54 offset0:192 offset1:216
	ds_read2_b64 v[48:51], v49 offset0:112 offset1:136
	s_waitcnt lgkmcnt(1)
	v_fma_f64 v[36:37], -v[52:53], v[46:47], v[36:37]
	s_waitcnt lgkmcnt(0)
	v_fma_f64 v[26:27], -v[52:53], v[50:51], v[26:27]
	v_fma_f64 v[32:33], -v[52:53], v[48:49], v[32:33]
	ds_read2_b64 v[48:51], v54 offset0:144 offset1:168
	v_fma_f64 v[40:41], -v[52:53], v[44:45], v[40:41]
	ds_read2_b64 v[44:47], v54 offset0:96 offset1:120
	s_waitcnt lgkmcnt(1)
	v_fma_f64 v[38:39], -v[52:53], v[50:51], v[38:39]
	v_fma_f64 v[34:35], -v[52:53], v[48:49], v[34:35]
	ds_read2_b64 v[48:51], v54 offset0:48 offset1:72
	s_waitcnt lgkmcnt(1)
	v_fma_f64 v[30:31], -v[52:53], v[46:47], v[30:31]
	v_fma_f64 v[22:23], -v[52:53], v[44:45], v[22:23]
	ds_read2_b64 v[44:47], v54 offset1:24
	s_waitcnt lgkmcnt(1)
	v_fma_f64 v[16:17], -v[52:53], v[50:51], v[16:17]
	v_fma_f64 v[4:5], -v[52:53], v[48:49], v[4:5]
	s_waitcnt lgkmcnt(0)
	v_fma_f64 v[2:3], -v[52:53], v[46:47], v[2:3]
	v_fma_f64 v[0:1], -v[52:53], v[44:45], v[0:1]
	s_cbranch_scc1 .LBB95_14
.LBB95_15:
	s_mul_i32 s1, s0, 0xc8
	v_mov_b32_e32 v44, s1
	ds_read_b64 v[44:45], v44
	s_add_i32 s2, s0, -1
	s_mul_i32 s1, s2, 0xc0
	s_lshl_b32 s3, s2, 3
	s_add_i32 s3, s1, s3
	s_waitcnt lgkmcnt(0)
	v_mul_f64 v[6:7], v[44:45], v[6:7]
	flat_store_dwordx2 v[8:9], v[6:7]
	v_mov_b32_e32 v8, s3
	ds_read2_b64 v[44:47], v8 offset1:1
	s_mov_b32 s3, 0
	s_add_i32 s7, s1, 0xffffff40
	s_lshl_b32 s6, s0, 3
	v_lshl_add_u64 v[48:49], s[2:3], 3, v[28:29]
	s_add_i32 s2, s0, -2
	s_add_i32 s9, s7, s6
	s_waitcnt lgkmcnt(0)
	v_fma_f64 v[8:9], -v[6:7], v[46:47], v[42:43]
	v_mov_b32_e32 v42, s9
	s_lshl_b32 s9, s2, 3
	v_mul_f64 v[8:9], v[44:45], v[8:9]
	s_add_i32 s7, s7, s9
	flat_store_dwordx2 v[48:49], v[8:9]
	v_mov_b32_e32 v43, s7
	ds_read_b64 v[46:47], v42
	ds_read2_b64 v[42:45], v43 offset1:1
	s_add_i32 s7, s1, 0xfffffe80
	s_add_i32 s9, s7, s6
	s_add_i32 s9, s9, -8
	s_waitcnt lgkmcnt(0)
	v_fma_f64 v[10:11], -v[6:7], v[46:47], v[10:11]
	v_fma_f64 v[10:11], -v[8:9], v[44:45], v[10:11]
	v_mul_f64 v[10:11], v[42:43], v[10:11]
	v_lshl_add_u64 v[42:43], s[2:3], 3, v[28:29]
	s_add_i32 s2, s0, -3
	flat_store_dwordx2 v[42:43], v[10:11]
	v_mov_b32_e32 v42, s9
	s_lshl_b32 s9, s2, 3
	ds_read2_b64 v[42:45], v42 offset1:1
	s_add_i32 s7, s7, s9
	v_mov_b32_e32 v46, s7
	ds_read2_b64 v[46:49], v46 offset1:1
	s_add_i32 s7, s1, 0xfffffdc0
	s_waitcnt lgkmcnt(0)
	v_fma_f64 v[12:13], -v[6:7], v[44:45], v[12:13]
	v_fma_f64 v[12:13], -v[8:9], v[42:43], v[12:13]
	v_lshl_add_u64 v[42:43], s[2:3], 3, v[28:29]
	v_fma_f64 v[12:13], -v[10:11], v[48:49], v[12:13]
	v_mul_f64 v[12:13], v[46:47], v[12:13]
	s_add_i32 s9, s7, s6
	flat_store_dwordx2 v[42:43], v[12:13]
	s_add_i32 s2, s0, -4
	v_mov_b32_e32 v42, s9
	s_add_i32 s9, s9, -16
	v_mov_b32_e32 v43, s9
	s_lshl_b32 s9, s2, 3
	ds_read_b64 v[50:51], v42
	ds_read2_b64 v[42:45], v43 offset1:1
	s_add_i32 s7, s7, s9
	v_mov_b32_e32 v46, s7
	ds_read2_b64 v[46:49], v46 offset1:1
	s_waitcnt lgkmcnt(0)
	v_fma_f64 v[14:15], -v[6:7], v[50:51], v[14:15]
	v_fma_f64 v[14:15], -v[8:9], v[44:45], v[14:15]
	;; [unrolled: 1-line block ×3, first 2 shown]
	s_add_i32 s7, s1, 0xfffffd00
	v_fma_f64 v[14:15], -v[12:13], v[48:49], v[14:15]
	s_add_i32 s9, s7, s6
	v_mul_f64 v[14:15], v[46:47], v[14:15]
	v_lshl_add_u64 v[42:43], s[2:3], 3, v[28:29]
	s_add_i32 s11, s9, -8
	s_sub_i32 s9, s9, 24
	flat_store_dwordx2 v[42:43], v[14:15]
	s_add_i32 s2, s0, -5
	v_mov_b32_e32 v42, s11
	v_mov_b32_e32 v46, s9
	ds_read2_b64 v[42:45], v42 offset1:1
	ds_read2_b64 v[46:49], v46 offset1:1
	s_lshl_b32 s9, s2, 3
	s_add_i32 s7, s7, s9
	v_mov_b32_e32 v50, s7
	ds_read2_b64 v[50:53], v50 offset1:1
	s_waitcnt lgkmcnt(0)
	v_fma_f64 v[18:19], -v[6:7], v[44:45], v[18:19]
	v_fma_f64 v[18:19], -v[8:9], v[42:43], v[18:19]
	v_fma_f64 v[18:19], -v[10:11], v[48:49], v[18:19]
	v_fma_f64 v[18:19], -v[12:13], v[46:47], v[18:19]
	v_fma_f64 v[18:19], -v[14:15], v[52:53], v[18:19]
	s_add_i32 s7, s1, 0xfffffc40
	v_mul_f64 v[18:19], v[50:51], v[18:19]
	v_lshl_add_u64 v[42:43], s[2:3], 3, v[28:29]
	s_add_i32 s9, s7, s6
	flat_store_dwordx2 v[42:43], v[18:19]
	v_mov_b32_e32 v42, s9
	ds_read_b64 v[46:47], v42
	s_add_i32 s11, s9, -16
	v_mov_b32_e32 v42, s11
	s_add_i32 s2, s0, -6
	ds_read2_b64 v[42:45], v42 offset1:1
	s_sub_i32 s9, s9, 32
	s_waitcnt lgkmcnt(0)
	v_fma_f64 v[20:21], -v[6:7], v[46:47], v[20:21]
	v_mov_b32_e32 v46, s9
	s_lshl_b32 s9, s2, 3
	ds_read2_b64 v[46:49], v46 offset1:1
	s_add_i32 s7, s7, s9
	v_mov_b32_e32 v50, s7
	ds_read2_b64 v[50:53], v50 offset1:1
	v_fma_f64 v[20:21], -v[8:9], v[44:45], v[20:21]
	v_fma_f64 v[20:21], -v[10:11], v[42:43], v[20:21]
	s_waitcnt lgkmcnt(0)
	v_fma_f64 v[20:21], -v[12:13], v[48:49], v[20:21]
	v_fma_f64 v[20:21], -v[14:15], v[46:47], v[20:21]
	s_add_i32 s7, s1, 0xfffffb80
	v_fma_f64 v[20:21], -v[18:19], v[52:53], v[20:21]
	s_add_i32 s9, s7, s6
	v_mul_f64 v[20:21], v[50:51], v[20:21]
	v_lshl_add_u64 v[42:43], s[2:3], 3, v[28:29]
	s_add_i32 s2, s9, -8
	flat_store_dwordx2 v[42:43], v[20:21]
	v_mov_b32_e32 v42, s2
	ds_read2_b64 v[42:45], v42 offset1:1
	s_sub_i32 s11, s9, 24
	v_mov_b32_e32 v46, s11
	s_add_i32 s2, s0, -7
	ds_read2_b64 v[46:49], v46 offset1:1
	s_waitcnt lgkmcnt(0)
	v_fma_f64 v[24:25], -v[6:7], v[44:45], v[24:25]
	s_sub_i32 s9, s9, 40
	v_fma_f64 v[24:25], -v[8:9], v[42:43], v[24:25]
	v_mov_b32_e32 v42, s9
	s_lshl_b32 s9, s2, 3
	ds_read2_b64 v[42:45], v42 offset1:1
	s_add_i32 s7, s7, s9
	v_mov_b32_e32 v50, s7
	ds_read2_b64 v[50:53], v50 offset1:1
	v_fma_f64 v[24:25], -v[10:11], v[48:49], v[24:25]
	v_fma_f64 v[24:25], -v[12:13], v[46:47], v[24:25]
	s_waitcnt lgkmcnt(0)
	v_fma_f64 v[24:25], -v[14:15], v[44:45], v[24:25]
	v_fma_f64 v[24:25], -v[18:19], v[42:43], v[24:25]
	s_add_i32 s7, s1, 0xfffffac0
	v_fma_f64 v[24:25], -v[20:21], v[52:53], v[24:25]
	s_add_i32 s9, s7, s6
	v_mul_f64 v[24:25], v[50:51], v[24:25]
	v_lshl_add_u64 v[42:43], s[2:3], 3, v[28:29]
	s_add_i32 s2, s9, -16
	flat_store_dwordx2 v[42:43], v[24:25]
	v_mov_b32_e32 v42, s9
	v_mov_b32_e32 v43, s2
	ds_read_b64 v[46:47], v42
	ds_read2_b64 v[42:45], v43 offset1:1
	s_sub_i32 s11, s9, 32
	s_sub_i32 s9, s9, 48
	s_add_i32 s2, s0, -8
	s_waitcnt lgkmcnt(0)
	v_fma_f64 v[26:27], -v[6:7], v[46:47], v[26:27]
	v_fma_f64 v[26:27], -v[8:9], v[44:45], v[26:27]
	;; [unrolled: 1-line block ×3, first 2 shown]
	v_mov_b32_e32 v42, s11
	v_mov_b32_e32 v46, s9
	ds_read2_b64 v[42:45], v42 offset1:1
	ds_read2_b64 v[46:49], v46 offset1:1
	s_lshl_b32 s9, s2, 3
	s_add_i32 s7, s7, s9
	v_mov_b32_e32 v50, s7
	ds_read2_b64 v[50:53], v50 offset1:1
	s_waitcnt lgkmcnt(0)
	v_fma_f64 v[26:27], -v[12:13], v[44:45], v[26:27]
	v_fma_f64 v[26:27], -v[14:15], v[42:43], v[26:27]
	;; [unrolled: 1-line block ×4, first 2 shown]
	s_add_i32 s7, s1, 0xfffffa00
	v_fma_f64 v[26:27], -v[24:25], v[52:53], v[26:27]
	s_add_i32 s9, s7, s6
	v_mul_f64 v[26:27], v[50:51], v[26:27]
	v_lshl_add_u64 v[42:43], s[2:3], 3, v[28:29]
	s_add_i32 s2, s9, -8
	flat_store_dwordx2 v[42:43], v[26:27]
	v_mov_b32_e32 v42, s2
	ds_read2_b64 v[42:45], v42 offset1:1
	s_sub_i32 s2, s9, 24
	v_mov_b32_e32 v46, s2
	ds_read2_b64 v[46:49], v46 offset1:1
	s_sub_i32 s11, s9, 40
	s_waitcnt lgkmcnt(0)
	v_fma_f64 v[32:33], -v[6:7], v[44:45], v[32:33]
	v_fma_f64 v[32:33], -v[8:9], v[42:43], v[32:33]
	s_sub_i32 s9, s9, 56
	v_fma_f64 v[32:33], -v[10:11], v[48:49], v[32:33]
	s_add_i32 s2, s0, -9
	v_fma_f64 v[32:33], -v[12:13], v[46:47], v[32:33]
	v_mov_b32_e32 v42, s11
	v_mov_b32_e32 v46, s9
	ds_read2_b64 v[42:45], v42 offset1:1
	ds_read2_b64 v[46:49], v46 offset1:1
	s_lshl_b32 s9, s2, 3
	s_add_i32 s7, s7, s9
	v_mov_b32_e32 v50, s7
	ds_read2_b64 v[50:53], v50 offset1:1
	s_waitcnt lgkmcnt(0)
	v_fma_f64 v[32:33], -v[14:15], v[44:45], v[32:33]
	v_fma_f64 v[32:33], -v[18:19], v[42:43], v[32:33]
	;; [unrolled: 1-line block ×5, first 2 shown]
	s_add_i32 s7, s1, 0xfffff940
	v_mul_f64 v[32:33], v[50:51], v[32:33]
	v_lshl_add_u64 v[42:43], s[2:3], 3, v[28:29]
	s_add_i32 s9, s7, s6
	flat_store_dwordx2 v[42:43], v[32:33]
	v_mov_b32_e32 v42, s9
	s_add_i32 s2, s9, -16
	ds_read_b64 v[50:51], v42
	v_mov_b32_e32 v42, s2
	ds_read2_b64 v[42:45], v42 offset1:1
	s_sub_i32 s2, s9, 32
	v_mov_b32_e32 v46, s2
	ds_read2_b64 v[46:49], v46 offset1:1
	s_waitcnt lgkmcnt(0)
	v_fma_f64 v[36:37], -v[6:7], v[50:51], v[36:37]
	v_fma_f64 v[36:37], -v[8:9], v[44:45], v[36:37]
	;; [unrolled: 1-line block ×3, first 2 shown]
	s_sub_i32 s11, s9, 48
	v_fma_f64 v[36:37], -v[12:13], v[48:49], v[36:37]
	s_sub_i32 s9, s9, 64
	s_add_i32 s2, s0, -10
	v_fma_f64 v[36:37], -v[14:15], v[46:47], v[36:37]
	v_mov_b32_e32 v42, s11
	v_mov_b32_e32 v46, s9
	ds_read2_b64 v[42:45], v42 offset1:1
	ds_read2_b64 v[46:49], v46 offset1:1
	s_lshl_b32 s9, s2, 3
	s_add_i32 s7, s7, s9
	v_mov_b32_e32 v50, s7
	ds_read2_b64 v[50:53], v50 offset1:1
	s_waitcnt lgkmcnt(0)
	v_fma_f64 v[36:37], -v[18:19], v[44:45], v[36:37]
	v_fma_f64 v[36:37], -v[20:21], v[42:43], v[36:37]
	;; [unrolled: 1-line block ×4, first 2 shown]
	s_add_i32 s7, s1, 0xfffff880
	v_fma_f64 v[36:37], -v[32:33], v[52:53], v[36:37]
	s_add_i32 s9, s7, s6
	v_mul_f64 v[36:37], v[50:51], v[36:37]
	v_lshl_add_u64 v[42:43], s[2:3], 3, v[28:29]
	s_add_i32 s2, s9, -8
	flat_store_dwordx2 v[42:43], v[36:37]
	v_mov_b32_e32 v42, s2
	ds_read2_b64 v[42:45], v42 offset1:1
	s_sub_i32 s2, s9, 24
	v_mov_b32_e32 v46, s2
	ds_read2_b64 v[46:49], v46 offset1:1
	s_sub_i32 s11, s9, 40
	s_waitcnt lgkmcnt(0)
	v_fma_f64 v[40:41], -v[6:7], v[44:45], v[40:41]
	v_fma_f64 v[40:41], -v[8:9], v[42:43], v[40:41]
	s_add_i32 s2, s0, -11
	v_fma_f64 v[44:45], -v[10:11], v[48:49], v[40:41]
	v_mov_b32_e32 v40, s11
	ds_read2_b64 v[40:43], v40 offset1:1
	s_sub_i32 s11, s9, 56
	v_fma_f64 v[48:49], -v[12:13], v[46:47], v[44:45]
	v_mov_b32_e32 v44, s11
	ds_read2_b64 v[44:47], v44 offset1:1
	s_waitcnt lgkmcnt(0)
	v_fma_f64 v[42:43], -v[14:15], v[42:43], v[48:49]
	s_addk_i32 s9, 0xffb8
	v_fma_f64 v[52:53], -v[18:19], v[40:41], v[42:43]
	v_mov_b32_e32 v40, s9
	s_lshl_b32 s9, s2, 3
	ds_read2_b64 v[40:43], v40 offset1:1
	s_add_i32 s7, s7, s9
	v_mov_b32_e32 v48, s7
	ds_read2_b64 v[48:51], v48 offset1:1
	v_fma_f64 v[46:47], -v[20:21], v[46:47], v[52:53]
	v_fma_f64 v[44:45], -v[24:25], v[44:45], v[46:47]
	s_waitcnt lgkmcnt(0)
	v_fma_f64 v[42:43], -v[26:27], v[42:43], v[44:45]
	v_fma_f64 v[40:41], -v[32:33], v[40:41], v[42:43]
	;; [unrolled: 1-line block ×3, first 2 shown]
	s_add_i32 s7, s1, 0xfffff7c0
	v_mul_f64 v[40:41], v[48:49], v[40:41]
	v_lshl_add_u64 v[42:43], s[2:3], 3, v[28:29]
	s_add_i32 s9, s7, s6
	flat_store_dwordx2 v[42:43], v[40:41]
	v_mov_b32_e32 v42, s9
	s_add_i32 s2, s9, -16
	ds_read_b64 v[50:51], v42
	v_mov_b32_e32 v42, s2
	ds_read2_b64 v[42:45], v42 offset1:1
	s_sub_i32 s2, s9, 32
	v_mov_b32_e32 v46, s2
	s_waitcnt lgkmcnt(0)
	v_fma_f64 v[38:39], -v[6:7], v[50:51], v[38:39]
	ds_read2_b64 v[46:49], v46 offset1:1
	v_fma_f64 v[38:39], -v[8:9], v[44:45], v[38:39]
	s_sub_i32 s11, s9, 48
	v_fma_f64 v[38:39], -v[10:11], v[42:43], v[38:39]
	v_mov_b32_e32 v42, s11
	ds_read2_b64 v[42:45], v42 offset1:1
	s_waitcnt lgkmcnt(0)
	v_fma_f64 v[38:39], -v[12:13], v[48:49], v[38:39]
	s_sub_i32 s11, s9, 64
	v_fma_f64 v[38:39], -v[14:15], v[46:47], v[38:39]
	v_mov_b32_e32 v46, s11
	s_add_i32 s2, s0, -12
	ds_read2_b64 v[46:49], v46 offset1:1
	v_fma_f64 v[38:39], -v[18:19], v[44:45], v[38:39]
	s_addk_i32 s9, 0xffb0
	v_fma_f64 v[38:39], -v[20:21], v[42:43], v[38:39]
	v_mov_b32_e32 v42, s9
	s_lshl_b32 s9, s2, 3
	ds_read2_b64 v[42:45], v42 offset1:1
	s_add_i32 s7, s7, s9
	v_mov_b32_e32 v50, s7
	ds_read2_b64 v[50:53], v50 offset1:1
	s_waitcnt lgkmcnt(0)
	v_fma_f64 v[38:39], -v[24:25], v[48:49], v[38:39]
	v_fma_f64 v[38:39], -v[26:27], v[46:47], v[38:39]
	;; [unrolled: 1-line block ×4, first 2 shown]
	s_add_i32 s7, s1, 0xfffff700
	v_fma_f64 v[38:39], -v[40:41], v[52:53], v[38:39]
	s_add_i32 s9, s7, s6
	v_mul_f64 v[38:39], v[50:51], v[38:39]
	v_lshl_add_u64 v[42:43], s[2:3], 3, v[28:29]
	s_add_i32 s2, s9, -8
	flat_store_dwordx2 v[42:43], v[38:39]
	v_mov_b32_e32 v42, s2
	ds_read2_b64 v[42:45], v42 offset1:1
	s_sub_i32 s11, s9, 24
	v_mov_b32_e32 v46, s11
	ds_read2_b64 v[46:49], v46 offset1:1
	s_sub_i32 s11, s9, 40
	s_waitcnt lgkmcnt(0)
	v_fma_f64 v[34:35], -v[6:7], v[44:45], v[34:35]
	v_fma_f64 v[34:35], -v[8:9], v[42:43], v[34:35]
	v_mov_b32_e32 v42, s11
	ds_read2_b64 v[42:45], v42 offset1:1
	s_sub_i32 s11, s9, 56
	v_mov_b32_e32 v50, s11
	ds_read2_b64 v[50:53], v50 offset1:1
	v_fma_f64 v[34:35], -v[10:11], v[48:49], v[34:35]
	v_fma_f64 v[34:35], -v[12:13], v[46:47], v[34:35]
	s_waitcnt lgkmcnt(0)
	v_fma_f64 v[34:35], -v[14:15], v[44:45], v[34:35]
	s_add_i32 s11, s9, 0xffffffb8
	s_addk_i32 s9, 0xffa8
	s_add_i32 s2, s0, -13
	v_fma_f64 v[34:35], -v[18:19], v[42:43], v[34:35]
	v_mov_b32_e32 v42, s11
	v_mov_b32_e32 v46, s9
	ds_read2_b64 v[42:45], v42 offset1:1
	ds_read2_b64 v[46:49], v46 offset1:1
	s_lshl_b32 s9, s2, 3
	v_fma_f64 v[34:35], -v[20:21], v[52:53], v[34:35]
	s_add_i32 s7, s7, s9
	v_fma_f64 v[34:35], -v[24:25], v[50:51], v[34:35]
	v_mov_b32_e32 v50, s7
	ds_read2_b64 v[50:53], v50 offset1:1
	s_waitcnt lgkmcnt(0)
	v_fma_f64 v[34:35], -v[26:27], v[44:45], v[34:35]
	v_fma_f64 v[34:35], -v[32:33], v[42:43], v[34:35]
	v_fma_f64 v[34:35], -v[36:37], v[48:49], v[34:35]
	v_fma_f64 v[34:35], -v[40:41], v[46:47], v[34:35]
	v_fma_f64 v[34:35], -v[38:39], v[52:53], v[34:35]
	s_add_i32 s7, s1, 0xfffff640
	v_mul_f64 v[34:35], v[50:51], v[34:35]
	v_lshl_add_u64 v[42:43], s[2:3], 3, v[28:29]
	s_add_i32 s9, s7, s6
	flat_store_dwordx2 v[42:43], v[34:35]
	v_mov_b32_e32 v42, s9
	s_add_i32 s11, s9, -16
	ds_read_b64 v[46:47], v42
	v_mov_b32_e32 v42, s11
	ds_read2_b64 v[42:45], v42 offset1:1
	s_sub_i32 s11, s9, 32
	s_add_i32 s2, s0, -14
	s_waitcnt lgkmcnt(0)
	v_fma_f64 v[30:31], -v[6:7], v[46:47], v[30:31]
	v_mov_b32_e32 v46, s11
	ds_read2_b64 v[46:49], v46 offset1:1
	v_fma_f64 v[30:31], -v[8:9], v[44:45], v[30:31]
	s_sub_i32 s11, s9, 48
	v_fma_f64 v[30:31], -v[10:11], v[42:43], v[30:31]
	v_mov_b32_e32 v42, s11
	ds_read2_b64 v[42:45], v42 offset1:1
	s_sub_i32 s11, s9, 64
	v_mov_b32_e32 v50, s11
	ds_read2_b64 v[50:53], v50 offset1:1
	s_waitcnt lgkmcnt(0)
	v_fma_f64 v[30:31], -v[12:13], v[48:49], v[30:31]
	v_fma_f64 v[30:31], -v[14:15], v[46:47], v[30:31]
	;; [unrolled: 1-line block ×3, first 2 shown]
	s_add_i32 s11, s9, 0xffffffb0
	s_addk_i32 s9, 0xffa0
	v_fma_f64 v[30:31], -v[20:21], v[42:43], v[30:31]
	v_mov_b32_e32 v42, s11
	v_mov_b32_e32 v46, s9
	ds_read2_b64 v[42:45], v42 offset1:1
	ds_read2_b64 v[46:49], v46 offset1:1
	s_lshl_b32 s9, s2, 3
	v_fma_f64 v[30:31], -v[24:25], v[52:53], v[30:31]
	s_add_i32 s7, s7, s9
	v_fma_f64 v[30:31], -v[26:27], v[50:51], v[30:31]
	v_mov_b32_e32 v50, s7
	ds_read2_b64 v[50:53], v50 offset1:1
	s_waitcnt lgkmcnt(0)
	v_fma_f64 v[30:31], -v[32:33], v[44:45], v[30:31]
	v_fma_f64 v[30:31], -v[36:37], v[42:43], v[30:31]
	;; [unrolled: 1-line block ×4, first 2 shown]
	s_add_i32 s7, s1, 0xfffff580
	v_fma_f64 v[30:31], -v[34:35], v[52:53], v[30:31]
	s_add_i32 s9, s7, s6
	v_mul_f64 v[30:31], v[50:51], v[30:31]
	v_lshl_add_u64 v[42:43], s[2:3], 3, v[28:29]
	s_add_i32 s2, s9, -8
	flat_store_dwordx2 v[42:43], v[30:31]
	v_mov_b32_e32 v42, s2
	ds_read2_b64 v[42:45], v42 offset1:1
	s_sub_i32 s11, s9, 24
	v_mov_b32_e32 v46, s11
	ds_read2_b64 v[46:49], v46 offset1:1
	s_sub_i32 s11, s9, 40
	s_waitcnt lgkmcnt(0)
	v_fma_f64 v[22:23], -v[6:7], v[44:45], v[22:23]
	v_fma_f64 v[22:23], -v[8:9], v[42:43], v[22:23]
	v_mov_b32_e32 v42, s11
	ds_read2_b64 v[42:45], v42 offset1:1
	s_sub_i32 s11, s9, 56
	v_fma_f64 v[22:23], -v[10:11], v[48:49], v[22:23]
	v_mov_b32_e32 v50, s11
	v_fma_f64 v[22:23], -v[12:13], v[46:47], v[22:23]
	ds_read2_b64 v[50:53], v50 offset1:1
	s_waitcnt lgkmcnt(0)
	v_fma_f64 v[22:23], -v[14:15], v[44:45], v[22:23]
	s_add_i32 s11, s9, 0xffffffb8
	v_fma_f64 v[22:23], -v[18:19], v[42:43], v[22:23]
	v_mov_b32_e32 v42, s11
	ds_read2_b64 v[42:45], v42 offset1:1
	v_fma_f64 v[22:23], -v[20:21], v[52:53], v[22:23]
	s_add_i32 s11, s9, 0xffffffa8
	v_fma_f64 v[22:23], -v[24:25], v[50:51], v[22:23]
	v_mov_b32_e32 v46, s11
	s_add_i32 s2, s0, -15
	ds_read2_b64 v[46:49], v46 offset1:1
	s_waitcnt lgkmcnt(0)
	v_fma_f64 v[22:23], -v[26:27], v[44:45], v[22:23]
	s_addk_i32 s9, 0xff98
	v_fma_f64 v[22:23], -v[32:33], v[42:43], v[22:23]
	v_mov_b32_e32 v42, s9
	s_lshl_b32 s9, s2, 3
	ds_read2_b64 v[42:45], v42 offset1:1
	s_add_i32 s7, s7, s9
	v_mov_b32_e32 v50, s7
	ds_read2_b64 v[50:53], v50 offset1:1
	v_fma_f64 v[22:23], -v[36:37], v[48:49], v[22:23]
	v_fma_f64 v[22:23], -v[40:41], v[46:47], v[22:23]
	s_waitcnt lgkmcnt(0)
	v_fma_f64 v[22:23], -v[38:39], v[44:45], v[22:23]
	v_fma_f64 v[22:23], -v[34:35], v[42:43], v[22:23]
	;; [unrolled: 1-line block ×3, first 2 shown]
	s_add_i32 s7, s1, 0xfffff4c0
	v_mul_f64 v[22:23], v[50:51], v[22:23]
	v_lshl_add_u64 v[42:43], s[2:3], 3, v[28:29]
	s_add_i32 s9, s7, s6
	flat_store_dwordx2 v[42:43], v[22:23]
	v_mov_b32_e32 v42, s9
	s_add_i32 s11, s9, -16
	ds_read_b64 v[46:47], v42
	v_mov_b32_e32 v42, s11
	ds_read2_b64 v[42:45], v42 offset1:1
	s_sub_i32 s11, s9, 32
	s_add_i32 s2, s0, -16
	s_waitcnt lgkmcnt(0)
	v_fma_f64 v[16:17], -v[6:7], v[46:47], v[16:17]
	v_mov_b32_e32 v46, s11
	ds_read2_b64 v[46:49], v46 offset1:1
	v_fma_f64 v[16:17], -v[8:9], v[44:45], v[16:17]
	s_sub_i32 s11, s9, 48
	v_fma_f64 v[16:17], -v[10:11], v[42:43], v[16:17]
	v_mov_b32_e32 v42, s11
	ds_read2_b64 v[42:45], v42 offset1:1
	s_sub_i32 s11, s9, 64
	s_waitcnt lgkmcnt(0)
	v_fma_f64 v[16:17], -v[12:13], v[48:49], v[16:17]
	v_mov_b32_e32 v50, s11
	v_fma_f64 v[16:17], -v[14:15], v[46:47], v[16:17]
	ds_read2_b64 v[50:53], v50 offset1:1
	v_fma_f64 v[16:17], -v[18:19], v[44:45], v[16:17]
	s_add_i32 s11, s9, 0xffffffb0
	v_fma_f64 v[16:17], -v[20:21], v[42:43], v[16:17]
	v_mov_b32_e32 v42, s11
	ds_read2_b64 v[42:45], v42 offset1:1
	s_waitcnt lgkmcnt(0)
	v_fma_f64 v[16:17], -v[24:25], v[52:53], v[16:17]
	s_add_i32 s11, s9, 0xffffffa0
	v_fma_f64 v[16:17], -v[26:27], v[50:51], v[16:17]
	v_mov_b32_e32 v46, s11
	ds_read2_b64 v[46:49], v46 offset1:1
	v_fma_f64 v[16:17], -v[32:33], v[44:45], v[16:17]
	s_addk_i32 s9, 0xff90
	v_fma_f64 v[16:17], -v[36:37], v[42:43], v[16:17]
	v_mov_b32_e32 v42, s9
	s_lshl_b32 s9, s2, 3
	ds_read2_b64 v[42:45], v42 offset1:1
	s_add_i32 s7, s7, s9
	v_mov_b32_e32 v50, s7
	ds_read2_b64 v[50:53], v50 offset1:1
	s_waitcnt lgkmcnt(0)
	v_fma_f64 v[16:17], -v[40:41], v[48:49], v[16:17]
	v_fma_f64 v[16:17], -v[38:39], v[46:47], v[16:17]
	;; [unrolled: 1-line block ×4, first 2 shown]
	s_add_i32 s7, s1, 0xfffff400
	v_fma_f64 v[16:17], -v[22:23], v[52:53], v[16:17]
	s_add_i32 s9, s7, s6
	v_mul_f64 v[16:17], v[50:51], v[16:17]
	v_lshl_add_u64 v[42:43], s[2:3], 3, v[28:29]
	s_add_i32 s2, s9, -8
	flat_store_dwordx2 v[42:43], v[16:17]
	v_mov_b32_e32 v42, s2
	ds_read2_b64 v[42:45], v42 offset1:1
	s_sub_i32 s2, s9, 24
	v_mov_b32_e32 v46, s2
	ds_read2_b64 v[46:49], v46 offset1:1
	s_sub_i32 s11, s9, 40
	s_waitcnt lgkmcnt(0)
	v_fma_f64 v[4:5], -v[6:7], v[44:45], v[4:5]
	v_fma_f64 v[4:5], -v[8:9], v[42:43], v[4:5]
	v_mov_b32_e32 v42, s11
	ds_read2_b64 v[42:45], v42 offset1:1
	v_fma_f64 v[4:5], -v[10:11], v[48:49], v[4:5]
	s_sub_i32 s11, s9, 56
	v_fma_f64 v[4:5], -v[12:13], v[46:47], v[4:5]
	v_mov_b32_e32 v46, s11
	ds_read2_b64 v[46:49], v46 offset1:1
	s_waitcnt lgkmcnt(0)
	v_fma_f64 v[4:5], -v[14:15], v[44:45], v[4:5]
	s_add_i32 s11, s9, 0xffffffb8
	v_fma_f64 v[4:5], -v[18:19], v[42:43], v[4:5]
	v_mov_b32_e32 v42, s11
	ds_read2_b64 v[42:45], v42 offset1:1
	s_add_i32 s11, s9, 0xffffffa8
	v_mov_b32_e32 v50, s11
	ds_read2_b64 v[50:53], v50 offset1:1
	v_fma_f64 v[4:5], -v[20:21], v[48:49], v[4:5]
	v_fma_f64 v[4:5], -v[24:25], v[46:47], v[4:5]
	s_waitcnt lgkmcnt(0)
	v_fma_f64 v[4:5], -v[26:27], v[44:45], v[4:5]
	s_add_i32 s11, s9, 0xffffff98
	s_addk_i32 s9, 0xff88
	s_sub_i32 s2, s0, 17
	v_fma_f64 v[4:5], -v[32:33], v[42:43], v[4:5]
	v_mov_b32_e32 v42, s11
	v_mov_b32_e32 v46, s9
	ds_read2_b64 v[42:45], v42 offset1:1
	ds_read2_b64 v[46:49], v46 offset1:1
	s_lshl_b32 s9, s2, 3
	v_fma_f64 v[4:5], -v[36:37], v[52:53], v[4:5]
	s_add_i32 s7, s7, s9
	v_fma_f64 v[4:5], -v[40:41], v[50:51], v[4:5]
	v_mov_b32_e32 v50, s7
	ds_read2_b64 v[50:53], v50 offset1:1
	s_waitcnt lgkmcnt(0)
	v_fma_f64 v[4:5], -v[38:39], v[44:45], v[4:5]
	v_fma_f64 v[4:5], -v[34:35], v[42:43], v[4:5]
	;; [unrolled: 1-line block ×5, first 2 shown]
	s_add_i32 s7, s1, 0xfffff340
	v_mul_f64 v[50:51], v[50:51], v[4:5]
	v_lshl_add_u64 v[4:5], s[2:3], 3, v[28:29]
	s_add_i32 s9, s7, s6
	flat_store_dwordx2 v[4:5], v[50:51]
	v_mov_b32_e32 v4, s9
	s_add_i32 s2, s9, -16
	ds_read_b64 v[4:5], v4
	v_mov_b32_e32 v42, s2
	ds_read2_b64 v[42:45], v42 offset1:1
	s_sub_i32 s2, s9, 32
	v_mov_b32_e32 v46, s2
	ds_read2_b64 v[46:49], v46 offset1:1
	s_waitcnt lgkmcnt(0)
	v_fma_f64 v[2:3], -v[6:7], v[4:5], v[2:3]
	v_fma_f64 v[2:3], -v[8:9], v[44:45], v[2:3]
	;; [unrolled: 1-line block ×3, first 2 shown]
	s_sub_i32 s11, s9, 48
	v_fma_f64 v[42:43], -v[12:13], v[48:49], v[2:3]
	v_mov_b32_e32 v2, s11
	ds_read2_b64 v[2:5], v2 offset1:1
	s_sub_i32 s11, s9, 64
	v_fma_f64 v[46:47], -v[14:15], v[46:47], v[42:43]
	v_mov_b32_e32 v42, s11
	ds_read2_b64 v[42:45], v42 offset1:1
	s_waitcnt lgkmcnt(0)
	v_fma_f64 v[4:5], -v[18:19], v[4:5], v[46:47]
	s_add_i32 s11, s9, 0xffffffb0
	v_fma_f64 v[52:53], -v[20:21], v[2:3], v[4:5]
	v_mov_b32_e32 v2, s11
	ds_read2_b64 v[2:5], v2 offset1:1
	s_add_i32 s11, s9, 0xffffffa0
	v_mov_b32_e32 v46, s11
	ds_read2_b64 v[46:49], v46 offset1:1
	v_fma_f64 v[44:45], -v[24:25], v[44:45], v[52:53]
	v_fma_f64 v[42:43], -v[26:27], v[42:43], v[44:45]
	s_waitcnt lgkmcnt(0)
	v_fma_f64 v[4:5], -v[32:33], v[4:5], v[42:43]
	v_fma_f64 v[2:3], -v[36:37], v[2:3], v[4:5]
	;; [unrolled: 1-line block ×3, first 2 shown]
	s_add_i32 s11, s9, 0xffffff90
	s_addk_i32 s9, 0xff80
	s_sub_i32 s2, s0, 18
	v_fma_f64 v[52:53], -v[38:39], v[46:47], v[2:3]
	v_mov_b32_e32 v2, s11
	v_mov_b32_e32 v42, s9
	ds_read2_b64 v[2:5], v2 offset1:1
	ds_read2_b64 v[42:45], v42 offset1:1
	s_lshl_b32 s9, s2, 3
	s_add_i32 s7, s7, s9
	v_mov_b32_e32 v46, s7
	ds_read2_b64 v[46:49], v46 offset1:1
	s_waitcnt lgkmcnt(0)
	v_fma_f64 v[4:5], -v[34:35], v[4:5], v[52:53]
	v_fma_f64 v[2:3], -v[30:31], v[2:3], v[4:5]
	;; [unrolled: 1-line block ×4, first 2 shown]
	s_addk_i32 s1, 0xf280
	v_fma_f64 v[2:3], -v[50:51], v[48:49], v[2:3]
	s_add_i32 s6, s1, s6
	v_mul_f64 v[46:47], v[46:47], v[2:3]
	v_lshl_add_u64 v[2:3], s[2:3], 3, v[28:29]
	s_add_i32 s2, s6, -8
	flat_store_dwordx2 v[2:3], v[46:47]
	v_mov_b32_e32 v2, s2
	ds_read2_b64 v[2:5], v2 offset1:1
	s_sub_i32 s2, s6, 24
	v_mov_b32_e32 v42, s2
	ds_read2_b64 v[42:45], v42 offset1:1
	s_sub_i32 s7, s6, 40
	s_waitcnt lgkmcnt(0)
	v_fma_f64 v[0:1], -v[6:7], v[4:5], v[0:1]
	v_fma_f64 v[0:1], -v[8:9], v[2:3], v[0:1]
	s_sub_i32 s2, s0, 19
	v_fma_f64 v[4:5], -v[10:11], v[44:45], v[0:1]
	v_mov_b32_e32 v0, s7
	ds_read2_b64 v[0:3], v0 offset1:1
	s_sub_i32 s7, s6, 56
	v_fma_f64 v[8:9], -v[12:13], v[42:43], v[4:5]
	v_mov_b32_e32 v4, s7
	ds_read2_b64 v[4:7], v4 offset1:1
	s_waitcnt lgkmcnt(0)
	v_fma_f64 v[2:3], -v[14:15], v[2:3], v[8:9]
	s_add_i32 s7, s6, 0xffffffb8
	v_fma_f64 v[12:13], -v[18:19], v[0:1], v[2:3]
	v_mov_b32_e32 v0, s7
	ds_read2_b64 v[0:3], v0 offset1:1
	s_add_i32 s7, s6, 0xffffffa8
	v_mov_b32_e32 v8, s7
	ds_read2_b64 v[8:11], v8 offset1:1
	v_fma_f64 v[6:7], -v[20:21], v[6:7], v[12:13]
	v_fma_f64 v[4:5], -v[24:25], v[4:5], v[6:7]
	s_waitcnt lgkmcnt(0)
	v_fma_f64 v[2:3], -v[26:27], v[2:3], v[4:5]
	v_fma_f64 v[0:1], -v[32:33], v[0:1], v[2:3]
	s_add_i32 s7, s6, 0xffffff98
	v_fma_f64 v[4:5], -v[36:37], v[10:11], v[0:1]
	v_mov_b32_e32 v0, s7
	ds_read2_b64 v[0:3], v0 offset1:1
	s_add_i32 s7, s6, 0xffffff88
	v_fma_f64 v[8:9], -v[40:41], v[8:9], v[4:5]
	v_mov_b32_e32 v4, s7
	ds_read2_b64 v[4:7], v4 offset1:1
	s_waitcnt lgkmcnt(0)
	v_fma_f64 v[2:3], -v[38:39], v[2:3], v[8:9]
	s_addk_i32 s6, 0xff78
	v_fma_f64 v[12:13], -v[34:35], v[0:1], v[2:3]
	v_mov_b32_e32 v0, s6
	s_lshl_b32 s6, s2, 3
	ds_read2_b64 v[0:3], v0 offset1:1
	s_add_i32 s1, s1, s6
	v_mov_b32_e32 v8, s1
	ds_read2_b64 v[8:11], v8 offset1:1
	v_fma_f64 v[6:7], -v[30:31], v[6:7], v[12:13]
	v_fma_f64 v[4:5], -v[22:23], v[4:5], v[6:7]
	s_waitcnt lgkmcnt(0)
	v_fma_f64 v[2:3], -v[16:17], v[2:3], v[4:5]
	v_fma_f64 v[0:1], -v[50:51], v[0:1], v[2:3]
	;; [unrolled: 1-line block ×3, first 2 shown]
	v_mul_f64 v[0:1], v[8:9], v[0:1]
	v_lshl_add_u64 v[2:3], s[2:3], 3, v[28:29]
	s_sub_i32 s0, s0, 20
	flat_store_dwordx2 v[2:3], v[0:1]
.LBB95_16:
	s_cmp_lt_i32 s0, 0
	s_cbranch_scc1 .LBB95_33
; %bb.17:
	s_and_b32 s1, s0, 3
	s_cmp_eq_u32 s1, 3
	s_mov_b32 s2, s0
	s_cbranch_scc1 .LBB95_22
; %bb.18:
	s_mul_i32 s2, s0, 0xc0
	s_lshl_b32 s3, s22, 3
	s_add_i32 s1, s0, 1
	s_add_i32 s2, s2, s3
	s_and_b32 s1, s1, 3
	s_add_i32 s9, s2, -8
	s_mov_b32 s7, 0
	s_mov_b32 s2, s0
	;; [unrolled: 1-line block ×3, first 2 shown]
	s_branch .LBB95_20
.LBB95_19:                              ;   in Loop: Header=BB95_20 Depth=1
	s_mul_i32 s3, s2, 0xc8
	v_mov_b32_e32 v4, s3
	ds_read_b64 v[4:5], v4
	s_add_i32 s2, s2, -1
	s_add_i32 s11, s11, 1
	s_addk_i32 s9, 0xff40
	s_cmp_lg_u32 s11, s1
	s_waitcnt lgkmcnt(0)
	v_mul_f64 v[2:3], v[4:5], v[2:3]
	flat_store_dwordx2 v[0:1], v[2:3]
	s_cbranch_scc0 .LBB95_22
.LBB95_20:                              ; =>This Loop Header: Depth=1
                                        ;     Child Loop BB95_21 Depth 2
	s_mov_b32 s3, s7
	v_lshl_add_u64 v[0:1], s[2:3], 3, v[28:29]
	flat_load_dwordx2 v[2:3], v[0:1]
	s_cmp_le_i32 s8, s2
	s_mov_b32 s3, s9
	s_mov_b32 s6, s8
	s_waitcnt vmcnt(0) lgkmcnt(0)
	v_mul_f64 v[2:3], s[4:5], v[2:3]
	s_cbranch_scc1 .LBB95_19
.LBB95_21:                              ;   Parent Loop BB95_20 Depth=1
                                        ; =>  This Inner Loop Header: Depth=2
	v_lshl_add_u64 v[4:5], s[6:7], 3, v[28:29]
	flat_load_dwordx2 v[4:5], v[4:5]
	v_mov_b32_e32 v6, s3
	ds_read_b64 v[6:7], v6
	s_add_i32 s6, s6, -1
	s_add_i32 s3, s3, -8
	s_cmp_gt_i32 s6, s2
	s_waitcnt vmcnt(0) lgkmcnt(0)
	v_fma_f64 v[2:3], -v[4:5], v[6:7], v[2:3]
	s_cbranch_scc1 .LBB95_21
	s_branch .LBB95_19
.LBB95_22:
	s_cmp_lt_u32 s0, 3
	s_cbranch_scc1 .LBB95_33
; %bb.23:
	s_mul_i32 s0, s2, 0xc0
	s_lshl_b32 s1, s22, 3
	s_add_i32 s0, s0, s1
	s_add_i32 s9, s0, -8
	s_add_i32 s11, s0, 0xffffff38
	s_add_i32 s12, s0, 0xfffffe78
	;; [unrolled: 1-line block ×3, first 2 shown]
	s_mov_b32 s1, 0
	s_branch .LBB95_25
.LBB95_24:                              ;   in Loop: Header=BB95_25 Depth=1
	s_add_i32 s0, s3, 0xffffff38
	v_mov_b32_e32 v4, s0
	ds_read_b64 v[4:5], v4
	s_add_i32 s0, s2, -4
	s_addk_i32 s9, 0xfd00
	s_addk_i32 s11, 0xfd00
	;; [unrolled: 1-line block ×4, first 2 shown]
	s_waitcnt lgkmcnt(0)
	v_mul_f64 v[2:3], v[4:5], v[2:3]
	s_cmp_lt_i32 s2, 4
	s_mov_b32 s2, s0
	flat_store_dwordx2 v[0:1], v[2:3]
	s_cbranch_scc1 .LBB95_33
.LBB95_25:                              ; =>This Loop Header: Depth=1
                                        ;     Child Loop BB95_26 Depth 2
                                        ;     Child Loop BB95_28 Depth 2
	;; [unrolled: 1-line block ×4, first 2 shown]
	s_mov_b32 s3, s1
	v_lshl_add_u64 v[2:3], s[2:3], 3, v[28:29]
	flat_load_dwordx2 v[0:1], v[2:3]
	s_cmp_le_i32 s8, s2
	s_mov_b32 s3, s9
	s_mov_b32 s0, s8
	s_waitcnt vmcnt(0) lgkmcnt(0)
	v_mul_f64 v[4:5], s[4:5], v[0:1]
	s_cbranch_scc1 .LBB95_27
.LBB95_26:                              ;   Parent Loop BB95_25 Depth=1
                                        ; =>  This Inner Loop Header: Depth=2
	v_lshl_add_u64 v[0:1], s[0:1], 3, v[28:29]
	flat_load_dwordx2 v[0:1], v[0:1]
	v_mov_b32_e32 v6, s3
	ds_read_b64 v[6:7], v6
	s_add_i32 s0, s0, -1
	s_add_i32 s3, s3, -8
	s_cmp_gt_i32 s0, s2
	s_waitcnt vmcnt(0) lgkmcnt(0)
	v_fma_f64 v[4:5], -v[0:1], v[6:7], v[4:5]
	s_cbranch_scc1 .LBB95_26
.LBB95_27:                              ;   in Loop: Header=BB95_25 Depth=1
	s_add_i32 s0, s2, -1
	v_lshl_add_u64 v[0:1], s[0:1], 3, v[28:29]
	flat_load_dwordx2 v[6:7], v[0:1]
	s_mul_i32 s3, s2, 0xc8
	v_mov_b32_e32 v8, s3
	ds_read_b64 v[8:9], v8
	s_mov_b32 s6, s11
	s_cmp_le_i32 s22, s2
	s_mov_b32 s0, s22
	s_waitcnt lgkmcnt(0)
	v_mul_f64 v[4:5], v[8:9], v[4:5]
	flat_store_dwordx2 v[2:3], v[4:5]
	s_waitcnt vmcnt(0)
	v_mul_f64 v[4:5], s[4:5], v[6:7]
	s_cbranch_scc1 .LBB95_29
.LBB95_28:                              ;   Parent Loop BB95_25 Depth=1
                                        ; =>  This Inner Loop Header: Depth=2
	s_add_i32 s0, s0, -1
	v_lshl_add_u64 v[2:3], s[0:1], 3, v[28:29]
	flat_load_dwordx2 v[2:3], v[2:3]
	v_mov_b32_e32 v6, s6
	ds_read_b64 v[6:7], v6
	s_add_i32 s6, s6, -8
	s_cmp_gt_i32 s0, s2
	s_waitcnt vmcnt(0) lgkmcnt(0)
	v_fma_f64 v[4:5], -v[2:3], v[6:7], v[4:5]
	s_cbranch_scc1 .LBB95_28
.LBB95_29:                              ;   in Loop: Header=BB95_25 Depth=1
	s_add_i32 s6, s2, -2
	s_mov_b32 s7, s1
	v_lshl_add_u64 v[2:3], s[6:7], 3, v[28:29]
	flat_load_dwordx2 v[6:7], v[2:3]
	s_addk_i32 s3, 0xff38
	v_mov_b32_e32 v8, s3
	ds_read_b64 v[8:9], v8
	s_mov_b32 s7, s12
	s_cmp_le_i32 s8, s6
	s_mov_b32 s0, s8
	s_waitcnt lgkmcnt(0)
	v_mul_f64 v[4:5], v[8:9], v[4:5]
	flat_store_dwordx2 v[0:1], v[4:5]
	s_waitcnt vmcnt(0)
	v_mul_f64 v[4:5], s[4:5], v[6:7]
	s_cbranch_scc1 .LBB95_31
.LBB95_30:                              ;   Parent Loop BB95_25 Depth=1
                                        ; =>  This Inner Loop Header: Depth=2
	v_lshl_add_u64 v[0:1], s[0:1], 3, v[28:29]
	flat_load_dwordx2 v[0:1], v[0:1]
	v_mov_b32_e32 v6, s7
	ds_read_b64 v[6:7], v6
	s_add_i32 s0, s0, -1
	s_add_i32 s7, s7, -8
	s_cmp_gt_i32 s0, s6
	s_waitcnt vmcnt(0) lgkmcnt(0)
	v_fma_f64 v[4:5], -v[0:1], v[6:7], v[4:5]
	s_cbranch_scc1 .LBB95_30
.LBB95_31:                              ;   in Loop: Header=BB95_25 Depth=1
	s_add_i32 s6, s2, -3
	s_mov_b32 s7, s1
	v_lshl_add_u64 v[0:1], s[6:7], 3, v[28:29]
	flat_load_dwordx2 v[6:7], v[0:1]
	s_addk_i32 s3, 0xff38
	v_mov_b32_e32 v8, s3
	ds_read_b64 v[8:9], v8
	s_mov_b32 s7, s13
	s_cmp_le_i32 s8, s6
	s_mov_b32 s0, s8
	s_waitcnt lgkmcnt(0)
	v_mul_f64 v[4:5], v[8:9], v[4:5]
	flat_store_dwordx2 v[2:3], v[4:5]
	s_waitcnt vmcnt(0)
	v_mul_f64 v[2:3], s[4:5], v[6:7]
	s_cbranch_scc1 .LBB95_24
.LBB95_32:                              ;   Parent Loop BB95_25 Depth=1
                                        ; =>  This Inner Loop Header: Depth=2
	v_lshl_add_u64 v[4:5], s[0:1], 3, v[28:29]
	flat_load_dwordx2 v[4:5], v[4:5]
	v_mov_b32_e32 v6, s7
	ds_read_b64 v[6:7], v6
	s_add_i32 s0, s0, -1
	s_add_i32 s7, s7, -8
	s_cmp_gt_i32 s0, s6
	s_waitcnt vmcnt(0) lgkmcnt(0)
	v_fma_f64 v[2:3], -v[4:5], v[6:7], v[2:3]
	s_cbranch_scc1 .LBB95_32
	s_branch .LBB95_24
.LBB95_33:
	s_mov_b64 s[0:1], 0
.LBB95_34:
	s_and_b64 vcc, exec, s[0:1]
	s_cbranch_vccz .LBB95_48
; %bb.35:
	s_cmp_gt_i32 s10, 23
	s_cselect_b64 s[0:1], -1, 0
	s_mov_b32 s2, 0
	s_and_b64 vcc, exec, s[0:1]
	s_cbranch_vccz .LBB95_37
; %bb.36:
	flat_load_dwordx4 v[0:3], v[28:29]
	flat_load_dwordx4 v[24:27], v[28:29] offset:16
	flat_load_dwordx4 v[30:33], v[28:29] offset:32
	;; [unrolled: 1-line block ×3, first 2 shown]
	v_mov_b32_e32 v50, 0
	ds_read_b64 v[4:5], v50
	s_movk_i32 s2, 0x1000
	s_waitcnt vmcnt(0) lgkmcnt(0)
	v_mul_f64 v[0:1], s[4:5], v[0:1]
	v_mul_f64 v[20:21], v[4:5], v[0:1]
	flat_store_dwordx2 v[28:29], v[20:21]
	ds_read_b64 v[0:1], v50 offset:8
	ds_read_b64 v[4:5], v50 offset:200
	flat_load_dwordx4 v[38:41], v[28:29] offset:64
	flat_load_dwordx4 v[16:19], v[28:29] offset:80
	s_waitcnt lgkmcnt(0)
	v_mul_f64 v[0:1], v[20:21], v[0:1]
	v_fma_f64 v[0:1], s[4:5], v[2:3], -v[0:1]
	v_mul_f64 v[22:23], v[4:5], v[0:1]
	flat_store_dwordx2 v[28:29], v[22:23] offset:8
	ds_read_b64 v[0:1], v50 offset:16
	ds_read_b64 v[2:3], v50 offset:208
	;; [unrolled: 1-line block ×3, first 2 shown]
	flat_load_dwordx4 v[12:15], v[28:29] offset:96
	flat_load_dwordx4 v[8:11], v[28:29] offset:112
	s_waitcnt lgkmcnt(0)
	v_mul_f64 v[0:1], v[20:21], v[0:1]
	v_fma_f64 v[0:1], s[4:5], v[24:25], -v[0:1]
	v_fma_f64 v[0:1], -v[22:23], v[2:3], v[0:1]
	v_mul_f64 v[24:25], v[4:5], v[0:1]
	flat_store_dwordx2 v[28:29], v[24:25] offset:16
	ds_read_b64 v[42:43], v50 offset:24
	flat_load_dwordx4 v[4:7], v[28:29] offset:128
	flat_load_dwordx4 v[0:3], v[28:29] offset:144
	ds_read_b64 v[44:45], v50 offset:216
	ds_read_b64 v[46:47], v50 offset:408
	;; [unrolled: 1-line block ×3, first 2 shown]
	s_waitcnt lgkmcnt(0)
	v_mul_f64 v[42:43], v[20:21], v[42:43]
	v_fma_f64 v[26:27], s[4:5], v[26:27], -v[42:43]
	v_fma_f64 v[26:27], -v[22:23], v[44:45], v[26:27]
	v_fma_f64 v[26:27], -v[24:25], v[46:47], v[26:27]
	v_mul_f64 v[26:27], v[48:49], v[26:27]
	flat_store_dwordx2 v[28:29], v[26:27] offset:24
	ds_read_b64 v[42:43], v50 offset:32
	ds_read_b64 v[44:45], v50 offset:224
	;; [unrolled: 1-line block ×5, first 2 shown]
	s_waitcnt lgkmcnt(0)
	v_mul_f64 v[42:43], v[20:21], v[42:43]
	v_fma_f64 v[30:31], s[4:5], v[30:31], -v[42:43]
	v_fma_f64 v[30:31], -v[22:23], v[44:45], v[30:31]
	v_fma_f64 v[30:31], -v[24:25], v[46:47], v[30:31]
	;; [unrolled: 1-line block ×3, first 2 shown]
	v_mul_f64 v[30:31], v[52:53], v[30:31]
	flat_store_dwordx2 v[28:29], v[30:31] offset:32
	ds_read_b64 v[42:43], v50 offset:40
	ds_read_b64 v[44:45], v50 offset:232
	;; [unrolled: 1-line block ×6, first 2 shown]
	s_waitcnt lgkmcnt(0)
	v_mul_f64 v[42:43], v[20:21], v[42:43]
	v_fma_f64 v[32:33], s[4:5], v[32:33], -v[42:43]
	v_fma_f64 v[32:33], -v[22:23], v[44:45], v[32:33]
	v_fma_f64 v[32:33], -v[24:25], v[46:47], v[32:33]
	;; [unrolled: 1-line block ×4, first 2 shown]
	v_mul_f64 v[32:33], v[54:55], v[32:33]
	flat_store_dwordx2 v[28:29], v[32:33] offset:40
	ds_read_b64 v[42:43], v50 offset:48
	ds_read_b64 v[44:45], v50 offset:240
	ds_read_b64 v[46:47], v50 offset:432
	ds_read_b64 v[48:49], v50 offset:624
	ds_read_b64 v[52:53], v50 offset:816
	ds_read_b64 v[54:55], v50 offset:1008
	ds_read_b64 v[56:57], v50 offset:1200
	s_waitcnt lgkmcnt(0)
	v_mul_f64 v[42:43], v[20:21], v[42:43]
	v_fma_f64 v[34:35], s[4:5], v[34:35], -v[42:43]
	v_fma_f64 v[34:35], -v[22:23], v[44:45], v[34:35]
	v_fma_f64 v[34:35], -v[24:25], v[46:47], v[34:35]
	;; [unrolled: 1-line block ×5, first 2 shown]
	v_mul_f64 v[34:35], v[56:57], v[34:35]
	flat_store_dwordx2 v[28:29], v[34:35] offset:48
	ds_read_b64 v[42:43], v50 offset:56
	ds_read_b64 v[44:45], v50 offset:248
	;; [unrolled: 1-line block ×8, first 2 shown]
	s_waitcnt lgkmcnt(0)
	v_mul_f64 v[42:43], v[20:21], v[42:43]
	v_fma_f64 v[36:37], s[4:5], v[36:37], -v[42:43]
	v_fma_f64 v[36:37], -v[22:23], v[44:45], v[36:37]
	v_fma_f64 v[36:37], -v[24:25], v[46:47], v[36:37]
	;; [unrolled: 1-line block ×6, first 2 shown]
	v_mul_f64 v[36:37], v[58:59], v[36:37]
	flat_store_dwordx2 v[28:29], v[36:37] offset:56
	ds_read_b64 v[42:43], v50 offset:64
	ds_read_b64 v[44:45], v50 offset:256
	;; [unrolled: 1-line block ×9, first 2 shown]
	s_waitcnt lgkmcnt(0)
	v_mul_f64 v[42:43], v[20:21], v[42:43]
	s_waitcnt vmcnt(0)
	v_fma_f64 v[38:39], s[4:5], v[38:39], -v[42:43]
	v_fma_f64 v[38:39], -v[22:23], v[44:45], v[38:39]
	v_fma_f64 v[38:39], -v[24:25], v[46:47], v[38:39]
	;; [unrolled: 1-line block ×7, first 2 shown]
	v_mul_f64 v[38:39], v[60:61], v[38:39]
	flat_store_dwordx2 v[28:29], v[38:39] offset:64
	ds_read_b64 v[42:43], v50 offset:72
	ds_read_b64 v[44:45], v50 offset:264
	;; [unrolled: 1-line block ×10, first 2 shown]
	s_waitcnt lgkmcnt(0)
	v_mul_f64 v[42:43], v[20:21], v[42:43]
	v_fma_f64 v[40:41], s[4:5], v[40:41], -v[42:43]
	v_fma_f64 v[40:41], -v[22:23], v[44:45], v[40:41]
	v_fma_f64 v[40:41], -v[24:25], v[46:47], v[40:41]
	;; [unrolled: 1-line block ×8, first 2 shown]
	v_mul_f64 v[40:41], v[62:63], v[40:41]
	flat_store_dwordx2 v[28:29], v[40:41] offset:72
	ds_read_b64 v[42:43], v50 offset:80
	ds_read_b64 v[44:45], v50 offset:272
	;; [unrolled: 1-line block ×11, first 2 shown]
	s_waitcnt lgkmcnt(0)
	v_mul_f64 v[42:43], v[20:21], v[42:43]
	v_fma_f64 v[16:17], s[4:5], v[16:17], -v[42:43]
	v_fma_f64 v[16:17], -v[22:23], v[44:45], v[16:17]
	v_fma_f64 v[16:17], -v[24:25], v[46:47], v[16:17]
	;; [unrolled: 1-line block ×9, first 2 shown]
	v_mul_f64 v[16:17], v[64:65], v[16:17]
	flat_store_dwordx2 v[28:29], v[16:17] offset:80
	ds_read_b64 v[42:43], v50 offset:88
	ds_read_b64 v[44:45], v50 offset:280
	;; [unrolled: 1-line block ×8, first 2 shown]
	s_waitcnt lgkmcnt(0)
	v_mul_f64 v[42:43], v[20:21], v[42:43]
	v_fma_f64 v[18:19], s[4:5], v[18:19], -v[42:43]
	v_fma_f64 v[18:19], -v[22:23], v[44:45], v[18:19]
	v_fma_f64 v[18:19], -v[24:25], v[46:47], v[18:19]
	v_fma_f64 v[18:19], -v[26:27], v[48:49], v[18:19]
	v_fma_f64 v[18:19], -v[30:31], v[52:53], v[18:19]
	v_fma_f64 v[18:19], -v[32:33], v[54:55], v[18:19]
	ds_read_b64 v[42:43], v50 offset:1624
	ds_read_b64 v[60:61], v50 offset:1816
	;; [unrolled: 1-line block ×4, first 2 shown]
	v_fma_f64 v[18:19], -v[34:35], v[56:57], v[18:19]
	v_fma_f64 v[18:19], -v[36:37], v[58:59], v[18:19]
	s_waitcnt lgkmcnt(0)
	v_fma_f64 v[18:19], -v[38:39], v[42:43], v[18:19]
	v_fma_f64 v[18:19], -v[40:41], v[60:61], v[18:19]
	;; [unrolled: 1-line block ×3, first 2 shown]
	v_mul_f64 v[18:19], v[64:65], v[18:19]
	flat_store_dwordx2 v[28:29], v[18:19] offset:88
	ds_read_b64 v[42:43], v50 offset:96
	ds_read_b64 v[44:45], v50 offset:288
	;; [unrolled: 1-line block ×12, first 2 shown]
	s_waitcnt lgkmcnt(0)
	v_mul_f64 v[42:43], v[20:21], v[42:43]
	v_fma_f64 v[12:13], s[4:5], v[12:13], -v[42:43]
	v_fma_f64 v[12:13], -v[22:23], v[44:45], v[12:13]
	v_fma_f64 v[12:13], -v[24:25], v[46:47], v[12:13]
	;; [unrolled: 1-line block ×6, first 2 shown]
	ds_read_b64 v[42:43], v50 offset:2400
	v_fma_f64 v[12:13], -v[36:37], v[58:59], v[12:13]
	v_fma_f64 v[12:13], -v[38:39], v[60:61], v[12:13]
	;; [unrolled: 1-line block ×5, first 2 shown]
	s_waitcnt lgkmcnt(0)
	v_mul_f64 v[12:13], v[42:43], v[12:13]
	flat_store_dwordx2 v[28:29], v[12:13] offset:96
	ds_read_b64 v[42:43], v50 offset:104
	ds_read_b64 v[44:45], v50 offset:296
	;; [unrolled: 1-line block ×8, first 2 shown]
	s_waitcnt lgkmcnt(0)
	v_mul_f64 v[42:43], v[20:21], v[42:43]
	v_fma_f64 v[14:15], s[4:5], v[14:15], -v[42:43]
	v_fma_f64 v[14:15], -v[22:23], v[44:45], v[14:15]
	v_fma_f64 v[14:15], -v[24:25], v[46:47], v[14:15]
	;; [unrolled: 1-line block ×5, first 2 shown]
	ds_read_b64 v[42:43], v50 offset:1640
	ds_read_b64 v[60:61], v50 offset:1832
	ds_read_b64 v[62:63], v50 offset:2024
	ds_read_b64 v[64:65], v50 offset:2216
	v_fma_f64 v[14:15], -v[34:35], v[56:57], v[14:15]
	v_fma_f64 v[14:15], -v[36:37], v[58:59], v[14:15]
	ds_read_b64 v[44:45], v50 offset:2408
	ds_read_b64 v[66:67], v50 offset:2600
	s_waitcnt lgkmcnt(0)
	v_fma_f64 v[14:15], -v[38:39], v[42:43], v[14:15]
	v_fma_f64 v[14:15], -v[40:41], v[60:61], v[14:15]
	;; [unrolled: 1-line block ×5, first 2 shown]
	v_mul_f64 v[14:15], v[66:67], v[14:15]
	flat_store_dwordx2 v[28:29], v[14:15] offset:104
	ds_read_b64 v[42:43], v50 offset:112
	ds_read_b64 v[44:45], v50 offset:304
	;; [unrolled: 1-line block ×12, first 2 shown]
	s_waitcnt lgkmcnt(0)
	v_mul_f64 v[42:43], v[20:21], v[42:43]
	v_fma_f64 v[8:9], s[4:5], v[8:9], -v[42:43]
	v_fma_f64 v[8:9], -v[22:23], v[44:45], v[8:9]
	v_fma_f64 v[8:9], -v[24:25], v[46:47], v[8:9]
	;; [unrolled: 1-line block ×8, first 2 shown]
	ds_read_b64 v[42:43], v50 offset:2416
	ds_read_b64 v[44:45], v50 offset:2608
	;; [unrolled: 1-line block ×3, first 2 shown]
	v_fma_f64 v[8:9], -v[40:41], v[62:63], v[8:9]
	v_fma_f64 v[8:9], -v[16:17], v[64:65], v[8:9]
	v_fma_f64 v[8:9], -v[18:19], v[66:67], v[8:9]
	s_waitcnt lgkmcnt(0)
	v_fma_f64 v[8:9], -v[12:13], v[42:43], v[8:9]
	v_fma_f64 v[8:9], -v[14:15], v[44:45], v[8:9]
	v_mul_f64 v[8:9], v[46:47], v[8:9]
	flat_store_dwordx2 v[28:29], v[8:9] offset:112
	ds_read_b64 v[42:43], v50 offset:120
	ds_read_b64 v[44:45], v50 offset:312
	;; [unrolled: 1-line block ×8, first 2 shown]
	s_waitcnt lgkmcnt(0)
	v_mul_f64 v[42:43], v[20:21], v[42:43]
	v_fma_f64 v[10:11], s[4:5], v[10:11], -v[42:43]
	v_fma_f64 v[10:11], -v[22:23], v[44:45], v[10:11]
	v_fma_f64 v[10:11], -v[24:25], v[46:47], v[10:11]
	;; [unrolled: 1-line block ×5, first 2 shown]
	ds_read_b64 v[42:43], v50 offset:1656
	ds_read_b64 v[60:61], v50 offset:1848
	;; [unrolled: 1-line block ×4, first 2 shown]
	v_fma_f64 v[10:11], -v[34:35], v[56:57], v[10:11]
	v_fma_f64 v[10:11], -v[36:37], v[58:59], v[10:11]
	s_waitcnt lgkmcnt(0)
	v_fma_f64 v[10:11], -v[38:39], v[42:43], v[10:11]
	v_fma_f64 v[10:11], -v[40:41], v[60:61], v[10:11]
	ds_read_b64 v[44:45], v50 offset:2424
	ds_read_b64 v[46:47], v50 offset:2616
	ds_read_b64 v[48:49], v50 offset:2808
	ds_read_b64 v[66:67], v50 offset:3000
	v_fma_f64 v[10:11], -v[16:17], v[62:63], v[10:11]
	v_fma_f64 v[10:11], -v[18:19], v[64:65], v[10:11]
	s_waitcnt lgkmcnt(0)
	v_fma_f64 v[10:11], -v[12:13], v[44:45], v[10:11]
	v_fma_f64 v[10:11], -v[14:15], v[46:47], v[10:11]
	;; [unrolled: 1-line block ×3, first 2 shown]
	v_mul_f64 v[10:11], v[66:67], v[10:11]
	flat_store_dwordx2 v[28:29], v[10:11] offset:120
	ds_read_b64 v[42:43], v50 offset:128
	ds_read_b64 v[44:45], v50 offset:320
	;; [unrolled: 1-line block ×12, first 2 shown]
	s_waitcnt lgkmcnt(0)
	v_mul_f64 v[42:43], v[20:21], v[42:43]
	v_fma_f64 v[4:5], s[4:5], v[4:5], -v[42:43]
	v_fma_f64 v[4:5], -v[22:23], v[44:45], v[4:5]
	v_fma_f64 v[4:5], -v[24:25], v[46:47], v[4:5]
	;; [unrolled: 1-line block ×11, first 2 shown]
	ds_read_b64 v[42:43], v50 offset:2432
	ds_read_b64 v[44:45], v50 offset:2624
	;; [unrolled: 1-line block ×5, first 2 shown]
	s_waitcnt lgkmcnt(0)
	v_fma_f64 v[4:5], -v[12:13], v[42:43], v[4:5]
	v_fma_f64 v[4:5], -v[14:15], v[44:45], v[4:5]
	;; [unrolled: 1-line block ×4, first 2 shown]
	v_mul_f64 v[42:43], v[52:53], v[4:5]
	flat_store_dwordx2 v[28:29], v[42:43] offset:128
	ds_read_b64 v[4:5], v50 offset:136
	ds_read_b64 v[44:45], v50 offset:328
	;; [unrolled: 1-line block ×4, first 2 shown]
	s_waitcnt lgkmcnt(0)
	v_mul_f64 v[4:5], v[20:21], v[4:5]
	v_fma_f64 v[4:5], s[4:5], v[6:7], -v[4:5]
	v_fma_f64 v[4:5], -v[22:23], v[44:45], v[4:5]
	v_fma_f64 v[4:5], -v[24:25], v[46:47], v[4:5]
	ds_read_b64 v[6:7], v50 offset:904
	ds_read_b64 v[44:45], v50 offset:1096
	;; [unrolled: 1-line block ×3, first 2 shown]
	v_fma_f64 v[4:5], -v[26:27], v[48:49], v[4:5]
	ds_read_b64 v[48:49], v50 offset:1480
	s_waitcnt lgkmcnt(0)
	v_fma_f64 v[4:5], -v[30:31], v[6:7], v[4:5]
	v_fma_f64 v[4:5], -v[32:33], v[44:45], v[4:5]
	;; [unrolled: 1-line block ×3, first 2 shown]
	ds_read_b64 v[6:7], v50 offset:1672
	ds_read_b64 v[44:45], v50 offset:1864
	;; [unrolled: 1-line block ×3, first 2 shown]
	v_fma_f64 v[4:5], -v[36:37], v[48:49], v[4:5]
	ds_read_b64 v[48:49], v50 offset:2248
	s_waitcnt lgkmcnt(0)
	v_fma_f64 v[4:5], -v[38:39], v[6:7], v[4:5]
	ds_read_b64 v[6:7], v50 offset:2440
	v_fma_f64 v[4:5], -v[40:41], v[44:45], v[4:5]
	v_fma_f64 v[4:5], -v[16:17], v[46:47], v[4:5]
	;; [unrolled: 1-line block ×3, first 2 shown]
	ds_read_b64 v[44:45], v50 offset:2632
	ds_read_b64 v[46:47], v50 offset:2824
	ds_read_b64 v[48:49], v50 offset:3016
	s_waitcnt lgkmcnt(0)
	v_fma_f64 v[4:5], -v[12:13], v[6:7], v[4:5]
	ds_read_b64 v[6:7], v50 offset:3208
	ds_read_b64 v[52:53], v50 offset:3400
	v_fma_f64 v[4:5], -v[14:15], v[44:45], v[4:5]
	v_fma_f64 v[4:5], -v[8:9], v[46:47], v[4:5]
	;; [unrolled: 1-line block ×3, first 2 shown]
	s_waitcnt lgkmcnt(0)
	v_fma_f64 v[4:5], -v[42:43], v[6:7], v[4:5]
	v_mul_f64 v[44:45], v[52:53], v[4:5]
	flat_load_dwordx4 v[4:7], v[28:29] offset:160
	s_nop 0
	flat_store_dwordx2 v[28:29], v[44:45] offset:136
	ds_read_b64 v[46:47], v50 offset:144
	ds_read_b64 v[48:49], v50 offset:336
	ds_read_b64 v[52:53], v50 offset:528
	ds_read_b64 v[54:55], v50 offset:720
	s_waitcnt lgkmcnt(0)
	v_mul_f64 v[46:47], v[20:21], v[46:47]
	v_fma_f64 v[0:1], s[4:5], v[0:1], -v[46:47]
	v_fma_f64 v[0:1], -v[22:23], v[48:49], v[0:1]
	v_fma_f64 v[0:1], -v[24:25], v[52:53], v[0:1]
	ds_read_b64 v[46:47], v50 offset:912
	ds_read_b64 v[48:49], v50 offset:1104
	;; [unrolled: 1-line block ×3, first 2 shown]
	v_fma_f64 v[0:1], -v[26:27], v[54:55], v[0:1]
	ds_read_b64 v[54:55], v50 offset:1488
	s_waitcnt lgkmcnt(0)
	v_fma_f64 v[0:1], -v[30:31], v[46:47], v[0:1]
	v_fma_f64 v[0:1], -v[32:33], v[48:49], v[0:1]
	;; [unrolled: 1-line block ×3, first 2 shown]
	ds_read_b64 v[46:47], v50 offset:1680
	ds_read_b64 v[48:49], v50 offset:1872
	;; [unrolled: 1-line block ×3, first 2 shown]
	v_fma_f64 v[0:1], -v[36:37], v[54:55], v[0:1]
	ds_read_b64 v[54:55], v50 offset:2256
	s_waitcnt lgkmcnt(0)
	v_fma_f64 v[0:1], -v[38:39], v[46:47], v[0:1]
	v_fma_f64 v[0:1], -v[40:41], v[48:49], v[0:1]
	ds_read_b64 v[46:47], v50 offset:2448
	ds_read_b64 v[48:49], v50 offset:2640
	v_fma_f64 v[0:1], -v[16:17], v[52:53], v[0:1]
	v_fma_f64 v[0:1], -v[18:19], v[54:55], v[0:1]
	ds_read_b64 v[52:53], v50 offset:2832
	ds_read_b64 v[54:55], v50 offset:3024
	s_waitcnt lgkmcnt(0)
	v_fma_f64 v[0:1], -v[12:13], v[46:47], v[0:1]
	v_fma_f64 v[0:1], -v[14:15], v[48:49], v[0:1]
	ds_read_b64 v[46:47], v50 offset:3216
	ds_read_b64 v[48:49], v50 offset:3408
	ds_read_b64 v[56:57], v50 offset:3600
	v_fma_f64 v[0:1], -v[8:9], v[52:53], v[0:1]
	v_fma_f64 v[0:1], -v[10:11], v[54:55], v[0:1]
	s_waitcnt lgkmcnt(0)
	v_fma_f64 v[0:1], -v[42:43], v[46:47], v[0:1]
	v_fma_f64 v[0:1], -v[44:45], v[48:49], v[0:1]
	v_mul_f64 v[46:47], v[56:57], v[0:1]
	flat_store_dwordx2 v[28:29], v[46:47] offset:144
	ds_read_b64 v[0:1], v50 offset:152
	ds_read_b64 v[48:49], v50 offset:344
	;; [unrolled: 1-line block ×4, first 2 shown]
	s_waitcnt lgkmcnt(0)
	v_mul_f64 v[0:1], v[20:21], v[0:1]
	v_fma_f64 v[0:1], s[4:5], v[2:3], -v[0:1]
	v_fma_f64 v[0:1], -v[22:23], v[48:49], v[0:1]
	v_fma_f64 v[0:1], -v[24:25], v[52:53], v[0:1]
	ds_read_b64 v[2:3], v50 offset:920
	ds_read_b64 v[48:49], v50 offset:1112
	ds_read_b64 v[52:53], v50 offset:1304
	v_fma_f64 v[0:1], -v[26:27], v[54:55], v[0:1]
	ds_read_b64 v[54:55], v50 offset:1496
	s_waitcnt lgkmcnt(0)
	v_fma_f64 v[0:1], -v[30:31], v[2:3], v[0:1]
	v_fma_f64 v[0:1], -v[32:33], v[48:49], v[0:1]
	v_fma_f64 v[0:1], -v[34:35], v[52:53], v[0:1]
	ds_read_b64 v[2:3], v50 offset:1688
	ds_read_b64 v[48:49], v50 offset:1880
	ds_read_b64 v[52:53], v50 offset:2072
	v_fma_f64 v[0:1], -v[36:37], v[54:55], v[0:1]
	ds_read_b64 v[54:55], v50 offset:2264
	s_waitcnt lgkmcnt(0)
	v_fma_f64 v[0:1], -v[38:39], v[2:3], v[0:1]
	;; [unrolled: 9-line block ×3, first 2 shown]
	v_fma_f64 v[0:1], -v[14:15], v[48:49], v[0:1]
	v_fma_f64 v[0:1], -v[8:9], v[52:53], v[0:1]
	ds_read_b64 v[2:3], v50 offset:3224
	ds_read_b64 v[48:49], v50 offset:3416
	;; [unrolled: 1-line block ×4, first 2 shown]
	v_fma_f64 v[0:1], -v[10:11], v[54:55], v[0:1]
	s_waitcnt lgkmcnt(0)
	v_fma_f64 v[0:1], -v[42:43], v[2:3], v[0:1]
	v_fma_f64 v[0:1], -v[44:45], v[48:49], v[0:1]
	;; [unrolled: 1-line block ×3, first 2 shown]
	v_mul_f64 v[48:49], v[56:57], v[0:1]
	flat_load_dwordx4 v[0:3], v[28:29] offset:176
	s_nop 0
	flat_store_dwordx2 v[28:29], v[48:49] offset:152
	ds_read_b64 v[52:53], v50 offset:160
	ds_read_b64 v[54:55], v50 offset:352
	;; [unrolled: 1-line block ×4, first 2 shown]
	s_waitcnt lgkmcnt(0)
	v_mul_f64 v[52:53], v[20:21], v[52:53]
	s_waitcnt vmcnt(0)
	v_fma_f64 v[4:5], s[4:5], v[4:5], -v[52:53]
	v_fma_f64 v[4:5], -v[22:23], v[54:55], v[4:5]
	v_fma_f64 v[4:5], -v[24:25], v[56:57], v[4:5]
	ds_read_b64 v[52:53], v50 offset:928
	ds_read_b64 v[54:55], v50 offset:1120
	;; [unrolled: 1-line block ×3, first 2 shown]
	v_fma_f64 v[4:5], -v[26:27], v[58:59], v[4:5]
	ds_read_b64 v[58:59], v50 offset:1504
	s_waitcnt lgkmcnt(3)
	v_fma_f64 v[4:5], -v[30:31], v[52:53], v[4:5]
	s_waitcnt lgkmcnt(2)
	v_fma_f64 v[4:5], -v[32:33], v[54:55], v[4:5]
	;; [unrolled: 2-line block ×3, first 2 shown]
	ds_read_b64 v[52:53], v50 offset:1696
	ds_read_b64 v[54:55], v50 offset:1888
	;; [unrolled: 1-line block ×3, first 2 shown]
	s_waitcnt lgkmcnt(3)
	v_fma_f64 v[4:5], -v[36:37], v[58:59], v[4:5]
	ds_read_b64 v[58:59], v50 offset:2272
	s_waitcnt lgkmcnt(3)
	v_fma_f64 v[4:5], -v[38:39], v[52:53], v[4:5]
	s_waitcnt lgkmcnt(2)
	v_fma_f64 v[4:5], -v[40:41], v[54:55], v[4:5]
	;; [unrolled: 2-line block ×3, first 2 shown]
	ds_read_b64 v[52:53], v50 offset:2464
	ds_read_b64 v[54:55], v50 offset:2656
	;; [unrolled: 1-line block ×4, first 2 shown]
	s_waitcnt lgkmcnt(4)
	v_fma_f64 v[4:5], -v[18:19], v[58:59], v[4:5]
	s_waitcnt lgkmcnt(3)
	v_fma_f64 v[4:5], -v[12:13], v[52:53], v[4:5]
	;; [unrolled: 2-line block ×5, first 2 shown]
	ds_read_b64 v[52:53], v50 offset:3232
	ds_read_b64 v[54:55], v50 offset:3424
	ds_read_b64 v[56:57], v50 offset:3616
	ds_read_b64 v[58:59], v50 offset:3808
	ds_read_b64 v[60:61], v50 offset:4000
	s_waitcnt lgkmcnt(4)
	v_fma_f64 v[4:5], -v[42:43], v[52:53], v[4:5]
	s_waitcnt lgkmcnt(3)
	v_fma_f64 v[4:5], -v[44:45], v[54:55], v[4:5]
	;; [unrolled: 2-line block ×4, first 2 shown]
	s_waitcnt lgkmcnt(0)
	v_mul_f64 v[4:5], v[60:61], v[4:5]
	flat_store_dwordx2 v[28:29], v[4:5] offset:160
	ds_read_b64 v[52:53], v50 offset:168
	ds_read_b64 v[54:55], v50 offset:360
	;; [unrolled: 1-line block ×4, first 2 shown]
	s_waitcnt lgkmcnt(0)
	v_mul_f64 v[52:53], v[20:21], v[52:53]
	v_fma_f64 v[6:7], s[4:5], v[6:7], -v[52:53]
	v_fma_f64 v[6:7], -v[22:23], v[54:55], v[6:7]
	v_fma_f64 v[6:7], -v[24:25], v[56:57], v[6:7]
	ds_read_b64 v[52:53], v50 offset:936
	ds_read_b64 v[54:55], v50 offset:1128
	ds_read_b64 v[56:57], v50 offset:1320
	v_fma_f64 v[6:7], -v[26:27], v[58:59], v[6:7]
	ds_read_b64 v[58:59], v50 offset:1512
	s_waitcnt lgkmcnt(0)
	v_fma_f64 v[6:7], -v[30:31], v[52:53], v[6:7]
	v_fma_f64 v[6:7], -v[32:33], v[54:55], v[6:7]
	v_fma_f64 v[6:7], -v[34:35], v[56:57], v[6:7]
	ds_read_b64 v[52:53], v50 offset:1704
	ds_read_b64 v[54:55], v50 offset:1896
	ds_read_b64 v[56:57], v50 offset:2088
	v_fma_f64 v[6:7], -v[36:37], v[58:59], v[6:7]
	ds_read_b64 v[58:59], v50 offset:2280
	s_waitcnt lgkmcnt(0)
	v_fma_f64 v[6:7], -v[38:39], v[52:53], v[6:7]
	;; [unrolled: 9-line block ×3, first 2 shown]
	ds_read_b64 v[52:53], v50 offset:3240
	v_fma_f64 v[6:7], -v[14:15], v[54:55], v[6:7]
	v_fma_f64 v[6:7], -v[8:9], v[56:57], v[6:7]
	;; [unrolled: 1-line block ×3, first 2 shown]
	ds_read_b64 v[54:55], v50 offset:3432
	ds_read_b64 v[56:57], v50 offset:3624
	;; [unrolled: 1-line block ×3, first 2 shown]
	s_waitcnt lgkmcnt(0)
	v_fma_f64 v[6:7], -v[42:43], v[52:53], v[6:7]
	ds_read_b64 v[52:53], v50 offset:4008
	ds_read_b64 v[60:61], v50 offset:4200
	v_fma_f64 v[6:7], -v[44:45], v[54:55], v[6:7]
	v_fma_f64 v[6:7], -v[46:47], v[56:57], v[6:7]
	;; [unrolled: 1-line block ×3, first 2 shown]
	s_waitcnt lgkmcnt(0)
	v_fma_f64 v[6:7], -v[4:5], v[52:53], v[6:7]
	v_mul_f64 v[6:7], v[60:61], v[6:7]
	flat_store_dwordx2 v[28:29], v[6:7] offset:168
	ds_read_b64 v[52:53], v50 offset:176
	ds_read_b64 v[54:55], v50 offset:368
	ds_read_b64 v[56:57], v50 offset:560
	ds_read_b64 v[58:59], v50 offset:752
	s_waitcnt lgkmcnt(0)
	v_mul_f64 v[52:53], v[20:21], v[52:53]
	v_fma_f64 v[0:1], s[4:5], v[0:1], -v[52:53]
	v_fma_f64 v[0:1], -v[22:23], v[54:55], v[0:1]
	v_fma_f64 v[0:1], -v[24:25], v[56:57], v[0:1]
	ds_read_b64 v[52:53], v50 offset:944
	ds_read_b64 v[54:55], v50 offset:1136
	ds_read_b64 v[56:57], v50 offset:1328
	v_fma_f64 v[0:1], -v[26:27], v[58:59], v[0:1]
	ds_read_b64 v[58:59], v50 offset:1520
	s_waitcnt lgkmcnt(0)
	v_fma_f64 v[0:1], -v[30:31], v[52:53], v[0:1]
	v_fma_f64 v[0:1], -v[32:33], v[54:55], v[0:1]
	v_fma_f64 v[0:1], -v[34:35], v[56:57], v[0:1]
	ds_read_b64 v[52:53], v50 offset:1712
	ds_read_b64 v[54:55], v50 offset:1904
	ds_read_b64 v[56:57], v50 offset:2096
	v_fma_f64 v[0:1], -v[36:37], v[58:59], v[0:1]
	ds_read_b64 v[58:59], v50 offset:2288
	s_waitcnt lgkmcnt(0)
	v_fma_f64 v[0:1], -v[38:39], v[52:53], v[0:1]
	;; [unrolled: 9-line block ×3, first 2 shown]
	v_fma_f64 v[0:1], -v[14:15], v[54:55], v[0:1]
	ds_read_b64 v[52:53], v50 offset:3248
	ds_read_b64 v[54:55], v50 offset:3440
	v_fma_f64 v[0:1], -v[8:9], v[56:57], v[0:1]
	v_fma_f64 v[0:1], -v[10:11], v[58:59], v[0:1]
	ds_read_b64 v[56:57], v50 offset:3632
	ds_read_b64 v[58:59], v50 offset:3824
	s_waitcnt lgkmcnt(0)
	v_fma_f64 v[0:1], -v[42:43], v[52:53], v[0:1]
	v_fma_f64 v[0:1], -v[44:45], v[54:55], v[0:1]
	ds_read_b64 v[52:53], v50 offset:4016
	ds_read_b64 v[54:55], v50 offset:4208
	ds_read_b64 v[60:61], v50 offset:4400
	v_fma_f64 v[0:1], -v[46:47], v[56:57], v[0:1]
	v_fma_f64 v[0:1], -v[48:49], v[58:59], v[0:1]
	s_waitcnt lgkmcnt(0)
	v_fma_f64 v[0:1], -v[4:5], v[52:53], v[0:1]
	v_fma_f64 v[0:1], -v[6:7], v[54:55], v[0:1]
	v_mul_f64 v[52:53], v[60:61], v[0:1]
	flat_store_dwordx2 v[28:29], v[52:53] offset:176
	ds_read_b64 v[0:1], v50 offset:184
	ds_read_b64 v[54:55], v50 offset:376
	ds_read_b64 v[56:57], v50 offset:568
	ds_read_b64 v[58:59], v50 offset:760
	s_waitcnt lgkmcnt(0)
	v_mul_f64 v[0:1], v[20:21], v[0:1]
	v_fma_f64 v[0:1], s[4:5], v[2:3], -v[0:1]
	v_fma_f64 v[0:1], -v[22:23], v[54:55], v[0:1]
	ds_read_b64 v[2:3], v50 offset:952
	ds_read_b64 v[20:21], v50 offset:1144
	;; [unrolled: 1-line block ×3, first 2 shown]
	v_fma_f64 v[0:1], -v[24:25], v[56:57], v[0:1]
	v_fma_f64 v[0:1], -v[26:27], v[58:59], v[0:1]
	ds_read_b64 v[24:25], v50 offset:1528
	s_waitcnt lgkmcnt(0)
	v_fma_f64 v[0:1], -v[30:31], v[2:3], v[0:1]
	v_fma_f64 v[0:1], -v[32:33], v[20:21], v[0:1]
	;; [unrolled: 1-line block ×3, first 2 shown]
	ds_read_b64 v[2:3], v50 offset:1720
	ds_read_b64 v[20:21], v50 offset:1912
	;; [unrolled: 1-line block ×3, first 2 shown]
	v_fma_f64 v[0:1], -v[36:37], v[24:25], v[0:1]
	ds_read_b64 v[24:25], v50 offset:2296
	s_waitcnt lgkmcnt(0)
	v_fma_f64 v[0:1], -v[38:39], v[2:3], v[0:1]
	v_fma_f64 v[0:1], -v[40:41], v[20:21], v[0:1]
	;; [unrolled: 1-line block ×3, first 2 shown]
	ds_read_b64 v[2:3], v50 offset:2488
	ds_read_b64 v[16:17], v50 offset:2680
	;; [unrolled: 1-line block ×3, first 2 shown]
	v_fma_f64 v[0:1], -v[18:19], v[24:25], v[0:1]
	ds_read_b64 v[18:19], v50 offset:3064
	s_waitcnt lgkmcnt(0)
	v_fma_f64 v[0:1], -v[12:13], v[2:3], v[0:1]
	v_fma_f64 v[0:1], -v[14:15], v[16:17], v[0:1]
	;; [unrolled: 1-line block ×3, first 2 shown]
	ds_read_b64 v[2:3], v50 offset:3256
	ds_read_b64 v[8:9], v50 offset:3448
	v_fma_f64 v[0:1], -v[10:11], v[18:19], v[0:1]
	ds_read_b64 v[10:11], v50 offset:3640
	ds_read_b64 v[12:13], v50 offset:3832
	;; [unrolled: 1-line block ×4, first 2 shown]
	s_waitcnt lgkmcnt(0)
	v_fma_f64 v[0:1], -v[42:43], v[2:3], v[0:1]
	v_fma_f64 v[8:9], -v[44:45], v[8:9], v[0:1]
	v_add_u32_e64 v0, s2, 0
	ds_read2_b64 v[0:3], v0 offset0:39 offset1:63
	v_fma_f64 v[8:9], -v[46:47], v[10:11], v[8:9]
	v_fma_f64 v[8:9], -v[48:49], v[12:13], v[8:9]
	;; [unrolled: 1-line block ×4, first 2 shown]
	s_waitcnt lgkmcnt(0)
	v_fma_f64 v[0:1], -v[52:53], v[0:1], v[4:5]
	v_mul_f64 v[0:1], v[2:3], v[0:1]
	s_mov_b32 s2, 24
	flat_store_dwordx2 v[28:29], v[0:1] offset:184
.LBB95_37:
	s_cmp_lt_i32 s2, s22
	s_cbranch_scc0 .LBB95_48
; %bb.38:
	s_add_i32 s3, s2, 19
	s_cmp_ge_u32 s3, s22
	s_cbranch_scc1 .LBB95_43
; %bb.39:
	s_lshl_b32 s6, s2, 3
	s_mov_b32 s7, 0
	v_lshl_add_u64 v[0:1], v[28:29], 0, s[6:7]
	flat_load_dwordx4 v[2:5], v[0:1]
	flat_load_dwordx4 v[6:9], v[0:1] offset:16
	flat_load_dwordx4 v[10:13], v[0:1] offset:32
	;; [unrolled: 1-line block ×9, first 2 shown]
	s_andn2_b64 vcc, exec, s[0:1]
	s_waitcnt vmcnt(0) lgkmcnt(0)
	v_mul_f64 v[14:15], s[4:5], v[2:3]
	v_mul_f64 v[16:17], s[4:5], v[4:5]
	;; [unrolled: 1-line block ×20, first 2 shown]
	s_cbranch_vccnz .LBB95_42
; %bb.40:
	v_mov_b64_e32 v[44:45], v[28:29]
	s_mov_b32 s0, s2
.LBB95_41:                              ; =>This Inner Loop Header: Depth=1
	flat_load_dwordx2 v[54:55], v[44:45]
	v_mov_b32_e32 v56, s6
	ds_read_b128 v[46:49], v56
	ds_read_b128 v[50:53], v56 offset:16
	s_add_i32 s0, s0, -1
	s_addk_i32 s6, 0xc0
	v_lshl_add_u64 v[44:45], v[44:45], 0, 8
	s_cmp_lg_u32 s0, 0
	s_waitcnt vmcnt(0) lgkmcnt(0)
	v_fma_f64 v[14:15], -v[54:55], v[46:47], v[14:15]
	v_fma_f64 v[16:17], -v[54:55], v[48:49], v[16:17]
	ds_read_b128 v[46:49], v56 offset:32
	v_fma_f64 v[18:19], -v[54:55], v[50:51], v[18:19]
	v_fma_f64 v[20:21], -v[54:55], v[52:53], v[20:21]
	ds_read_b128 v[50:53], v56 offset:48
	s_waitcnt lgkmcnt(1)
	v_fma_f64 v[24:25], -v[54:55], v[46:47], v[24:25]
	v_fma_f64 v[26:27], -v[54:55], v[48:49], v[26:27]
	ds_read_b128 v[46:49], v56 offset:64
	s_waitcnt lgkmcnt(1)
	;; [unrolled: 4-line block ×7, first 2 shown]
	v_fma_f64 v[8:9], -v[54:55], v[46:47], v[8:9]
	v_fma_f64 v[6:7], -v[54:55], v[48:49], v[6:7]
	s_waitcnt lgkmcnt(0)
	v_fma_f64 v[4:5], -v[54:55], v[50:51], v[4:5]
	v_fma_f64 v[2:3], -v[54:55], v[52:53], v[2:3]
	s_cbranch_scc1 .LBB95_41
.LBB95_42:
	s_lshl_b32 s0, s2, 3
	s_mul_i32 s1, s2, 0xc0
	s_add_i32 s0, s0, s1
	v_mov_b32_e32 v44, s0
	ds_read_b64 v[46:47], v44
	s_mul_i32 s0, s2, 0xc8
	v_mov_b32_e32 v45, s0
	s_mul_i32 s1, s3, 0xc8
	s_add_i32 s2, s2, 20
	s_waitcnt lgkmcnt(0)
	v_mul_f64 v[14:15], v[46:47], v[14:15]
	flat_store_dwordx2 v[0:1], v[14:15]
	ds_read_b64 v[46:47], v44 offset:8
	ds_read_b64 v[48:49], v44 offset:200
	s_waitcnt lgkmcnt(0)
	v_fma_f64 v[16:17], -v[14:15], v[46:47], v[16:17]
	v_mul_f64 v[16:17], v[48:49], v[16:17]
	flat_store_dwordx2 v[0:1], v[16:17] offset:8
	ds_read_b64 v[46:47], v44 offset:16
	ds_read_b64 v[48:49], v44 offset:208
	;; [unrolled: 1-line block ×3, first 2 shown]
	s_waitcnt lgkmcnt(0)
	v_fma_f64 v[18:19], -v[14:15], v[46:47], v[18:19]
	v_fma_f64 v[18:19], -v[16:17], v[48:49], v[18:19]
	v_mul_f64 v[18:19], v[50:51], v[18:19]
	flat_store_dwordx2 v[0:1], v[18:19] offset:16
	ds_read_b64 v[46:47], v44 offset:24
	ds_read_b64 v[48:49], v44 offset:216
	;; [unrolled: 1-line block ×4, first 2 shown]
	s_waitcnt lgkmcnt(0)
	v_fma_f64 v[20:21], -v[14:15], v[46:47], v[20:21]
	v_fma_f64 v[20:21], -v[16:17], v[48:49], v[20:21]
	;; [unrolled: 1-line block ×3, first 2 shown]
	v_mul_f64 v[20:21], v[52:53], v[20:21]
	flat_store_dwordx2 v[0:1], v[20:21] offset:24
	ds_read_b64 v[46:47], v44 offset:32
	ds_read_b64 v[48:49], v44 offset:224
	;; [unrolled: 1-line block ×5, first 2 shown]
	s_waitcnt lgkmcnt(0)
	v_fma_f64 v[24:25], -v[14:15], v[46:47], v[24:25]
	v_fma_f64 v[24:25], -v[16:17], v[48:49], v[24:25]
	;; [unrolled: 1-line block ×4, first 2 shown]
	v_mul_f64 v[24:25], v[54:55], v[24:25]
	flat_store_dwordx2 v[0:1], v[24:25] offset:32
	ds_read_b64 v[46:47], v44 offset:40
	ds_read_b64 v[48:49], v44 offset:232
	;; [unrolled: 1-line block ×6, first 2 shown]
	s_waitcnt lgkmcnt(0)
	v_fma_f64 v[26:27], -v[14:15], v[46:47], v[26:27]
	v_fma_f64 v[26:27], -v[16:17], v[48:49], v[26:27]
	;; [unrolled: 1-line block ×5, first 2 shown]
	v_mul_f64 v[26:27], v[56:57], v[26:27]
	flat_store_dwordx2 v[0:1], v[26:27] offset:40
	ds_read_b64 v[46:47], v44 offset:48
	ds_read_b64 v[48:49], v44 offset:240
	;; [unrolled: 1-line block ×7, first 2 shown]
	s_waitcnt lgkmcnt(0)
	v_fma_f64 v[32:33], -v[14:15], v[46:47], v[32:33]
	v_fma_f64 v[32:33], -v[16:17], v[48:49], v[32:33]
	;; [unrolled: 1-line block ×6, first 2 shown]
	v_mul_f64 v[32:33], v[58:59], v[32:33]
	flat_store_dwordx2 v[0:1], v[32:33] offset:48
	ds_read_b64 v[46:47], v44 offset:56
	ds_read_b64 v[48:49], v44 offset:248
	;; [unrolled: 1-line block ×8, first 2 shown]
	s_waitcnt lgkmcnt(0)
	v_fma_f64 v[34:35], -v[14:15], v[46:47], v[34:35]
	v_fma_f64 v[34:35], -v[16:17], v[48:49], v[34:35]
	;; [unrolled: 1-line block ×7, first 2 shown]
	v_mul_f64 v[34:35], v[60:61], v[34:35]
	flat_store_dwordx2 v[0:1], v[34:35] offset:56
	ds_read_b64 v[46:47], v44 offset:64
	ds_read_b64 v[48:49], v44 offset:256
	;; [unrolled: 1-line block ×8, first 2 shown]
	s_waitcnt lgkmcnt(0)
	v_fma_f64 v[38:39], -v[14:15], v[46:47], v[38:39]
	v_fma_f64 v[38:39], -v[16:17], v[48:49], v[38:39]
	;; [unrolled: 1-line block ×4, first 2 shown]
	ds_read_b64 v[46:47], v44 offset:1600
	v_fma_f64 v[38:39], -v[24:25], v[54:55], v[38:39]
	v_fma_f64 v[38:39], -v[26:27], v[56:57], v[38:39]
	;; [unrolled: 1-line block ×4, first 2 shown]
	s_waitcnt lgkmcnt(0)
	v_mul_f64 v[38:39], v[46:47], v[38:39]
	flat_store_dwordx2 v[0:1], v[38:39] offset:64
	ds_read_b64 v[46:47], v44 offset:72
	ds_read_b64 v[48:49], v44 offset:264
	;; [unrolled: 1-line block ×4, first 2 shown]
	s_waitcnt lgkmcnt(0)
	v_fma_f64 v[42:43], -v[14:15], v[46:47], v[42:43]
	ds_read_b64 v[46:47], v44 offset:840
	v_fma_f64 v[42:43], -v[16:17], v[48:49], v[42:43]
	v_fma_f64 v[42:43], -v[18:19], v[50:51], v[42:43]
	v_fma_f64 v[42:43], -v[20:21], v[52:53], v[42:43]
	ds_read_b64 v[48:49], v44 offset:1032
	ds_read_b64 v[50:51], v44 offset:1224
	;; [unrolled: 1-line block ×3, first 2 shown]
	s_waitcnt lgkmcnt(0)
	v_fma_f64 v[42:43], -v[24:25], v[46:47], v[42:43]
	ds_read_b64 v[46:47], v44 offset:1608
	ds_read_b64 v[54:55], v45 offset:1800
	v_fma_f64 v[42:43], -v[26:27], v[48:49], v[42:43]
	v_fma_f64 v[42:43], -v[32:33], v[50:51], v[42:43]
	;; [unrolled: 1-line block ×3, first 2 shown]
	s_waitcnt lgkmcnt(0)
	v_fma_f64 v[42:43], -v[38:39], v[46:47], v[42:43]
	v_mul_f64 v[42:43], v[54:55], v[42:43]
	flat_store_dwordx2 v[0:1], v[42:43] offset:72
	ds_read_b64 v[46:47], v44 offset:80
	ds_read_b64 v[48:49], v44 offset:272
	ds_read_b64 v[50:51], v44 offset:464
	ds_read_b64 v[52:53], v44 offset:656
	s_waitcnt lgkmcnt(0)
	v_fma_f64 v[40:41], -v[14:15], v[46:47], v[40:41]
	v_fma_f64 v[40:41], -v[16:17], v[48:49], v[40:41]
	ds_read_b64 v[46:47], v44 offset:848
	ds_read_b64 v[48:49], v44 offset:1040
	v_fma_f64 v[40:41], -v[18:19], v[50:51], v[40:41]
	v_fma_f64 v[40:41], -v[20:21], v[52:53], v[40:41]
	ds_read_b64 v[50:51], v44 offset:1232
	ds_read_b64 v[52:53], v44 offset:1424
	s_waitcnt lgkmcnt(0)
	v_fma_f64 v[40:41], -v[24:25], v[46:47], v[40:41]
	v_fma_f64 v[40:41], -v[26:27], v[48:49], v[40:41]
	ds_read_b64 v[46:47], v44 offset:1616
	ds_read_b64 v[48:49], v44 offset:1808
	;; [unrolled: 1-line block ×3, first 2 shown]
	v_fma_f64 v[40:41], -v[32:33], v[50:51], v[40:41]
	v_fma_f64 v[40:41], -v[34:35], v[52:53], v[40:41]
	s_waitcnt lgkmcnt(0)
	v_fma_f64 v[40:41], -v[38:39], v[46:47], v[40:41]
	v_fma_f64 v[40:41], -v[42:43], v[48:49], v[40:41]
	v_mul_f64 v[40:41], v[54:55], v[40:41]
	flat_store_dwordx2 v[0:1], v[40:41] offset:80
	ds_read_b64 v[46:47], v44 offset:88
	ds_read_b64 v[48:49], v44 offset:280
	;; [unrolled: 1-line block ×4, first 2 shown]
	s_waitcnt lgkmcnt(0)
	v_fma_f64 v[36:37], -v[14:15], v[46:47], v[36:37]
	v_fma_f64 v[36:37], -v[16:17], v[48:49], v[36:37]
	;; [unrolled: 1-line block ×3, first 2 shown]
	ds_read_b64 v[46:47], v44 offset:856
	ds_read_b64 v[48:49], v44 offset:1048
	;; [unrolled: 1-line block ×3, first 2 shown]
	v_fma_f64 v[36:37], -v[20:21], v[52:53], v[36:37]
	ds_read_b64 v[52:53], v44 offset:1432
	s_waitcnt lgkmcnt(0)
	v_fma_f64 v[36:37], -v[24:25], v[46:47], v[36:37]
	v_fma_f64 v[36:37], -v[26:27], v[48:49], v[36:37]
	;; [unrolled: 1-line block ×3, first 2 shown]
	ds_read_b64 v[46:47], v44 offset:1624
	ds_read_b64 v[48:49], v44 offset:1816
	;; [unrolled: 1-line block ×4, first 2 shown]
	v_fma_f64 v[36:37], -v[34:35], v[52:53], v[36:37]
	s_waitcnt lgkmcnt(0)
	v_fma_f64 v[36:37], -v[38:39], v[46:47], v[36:37]
	v_fma_f64 v[36:37], -v[42:43], v[48:49], v[36:37]
	;; [unrolled: 1-line block ×3, first 2 shown]
	v_mul_f64 v[36:37], v[54:55], v[36:37]
	flat_store_dwordx2 v[0:1], v[36:37] offset:88
	ds_read_b64 v[46:47], v44 offset:96
	ds_read_b64 v[48:49], v44 offset:288
	;; [unrolled: 1-line block ×4, first 2 shown]
	s_waitcnt lgkmcnt(0)
	v_fma_f64 v[30:31], -v[14:15], v[46:47], v[30:31]
	v_fma_f64 v[30:31], -v[16:17], v[48:49], v[30:31]
	;; [unrolled: 1-line block ×3, first 2 shown]
	ds_read_b64 v[46:47], v44 offset:864
	ds_read_b64 v[48:49], v44 offset:1056
	;; [unrolled: 1-line block ×4, first 2 shown]
	v_fma_f64 v[30:31], -v[20:21], v[52:53], v[30:31]
	s_waitcnt lgkmcnt(0)
	v_fma_f64 v[30:31], -v[24:25], v[46:47], v[30:31]
	v_fma_f64 v[30:31], -v[26:27], v[48:49], v[30:31]
	v_fma_f64 v[30:31], -v[32:33], v[50:51], v[30:31]
	v_fma_f64 v[30:31], -v[34:35], v[54:55], v[30:31]
	ds_read_b64 v[46:47], v44 offset:1632
	ds_read_b64 v[48:49], v44 offset:1824
	;; [unrolled: 1-line block ×5, first 2 shown]
	s_waitcnt lgkmcnt(0)
	v_fma_f64 v[30:31], -v[38:39], v[46:47], v[30:31]
	v_fma_f64 v[30:31], -v[42:43], v[48:49], v[30:31]
	;; [unrolled: 1-line block ×4, first 2 shown]
	v_mul_f64 v[30:31], v[54:55], v[30:31]
	flat_store_dwordx2 v[0:1], v[30:31] offset:96
	ds_read_b64 v[46:47], v44 offset:104
	ds_read_b64 v[48:49], v44 offset:296
	;; [unrolled: 1-line block ×4, first 2 shown]
	s_waitcnt lgkmcnt(0)
	v_fma_f64 v[22:23], -v[14:15], v[46:47], v[22:23]
	v_fma_f64 v[22:23], -v[16:17], v[48:49], v[22:23]
	;; [unrolled: 1-line block ×3, first 2 shown]
	ds_read_b64 v[46:47], v44 offset:872
	ds_read_b64 v[48:49], v44 offset:1064
	;; [unrolled: 1-line block ×3, first 2 shown]
	v_fma_f64 v[22:23], -v[20:21], v[52:53], v[22:23]
	ds_read_b64 v[52:53], v44 offset:1448
	s_waitcnt lgkmcnt(0)
	v_fma_f64 v[22:23], -v[24:25], v[46:47], v[22:23]
	ds_read_b64 v[46:47], v44 offset:1640
	v_fma_f64 v[22:23], -v[26:27], v[48:49], v[22:23]
	v_fma_f64 v[22:23], -v[32:33], v[50:51], v[22:23]
	;; [unrolled: 1-line block ×3, first 2 shown]
	ds_read_b64 v[48:49], v44 offset:1832
	ds_read_b64 v[50:51], v44 offset:2024
	;; [unrolled: 1-line block ×3, first 2 shown]
	s_waitcnt lgkmcnt(0)
	v_fma_f64 v[22:23], -v[38:39], v[46:47], v[22:23]
	ds_read_b64 v[46:47], v44 offset:2408
	ds_read_b64 v[54:55], v45 offset:2600
	v_fma_f64 v[22:23], -v[42:43], v[48:49], v[22:23]
	v_fma_f64 v[22:23], -v[40:41], v[50:51], v[22:23]
	;; [unrolled: 1-line block ×3, first 2 shown]
	s_waitcnt lgkmcnt(0)
	v_fma_f64 v[22:23], -v[30:31], v[46:47], v[22:23]
	v_mul_f64 v[22:23], v[54:55], v[22:23]
	flat_store_dwordx2 v[0:1], v[22:23] offset:104
	ds_read_b64 v[46:47], v44 offset:112
	ds_read_b64 v[48:49], v44 offset:304
	ds_read_b64 v[50:51], v44 offset:496
	ds_read_b64 v[52:53], v44 offset:688
	s_waitcnt lgkmcnt(0)
	v_fma_f64 v[12:13], -v[14:15], v[46:47], v[12:13]
	v_fma_f64 v[12:13], -v[16:17], v[48:49], v[12:13]
	;; [unrolled: 1-line block ×3, first 2 shown]
	ds_read_b64 v[46:47], v44 offset:880
	ds_read_b64 v[48:49], v44 offset:1072
	;; [unrolled: 1-line block ×3, first 2 shown]
	v_fma_f64 v[12:13], -v[20:21], v[52:53], v[12:13]
	ds_read_b64 v[52:53], v44 offset:1456
	s_waitcnt lgkmcnt(0)
	v_fma_f64 v[12:13], -v[24:25], v[46:47], v[12:13]
	v_fma_f64 v[12:13], -v[26:27], v[48:49], v[12:13]
	ds_read_b64 v[46:47], v44 offset:1648
	ds_read_b64 v[48:49], v44 offset:1840
	v_fma_f64 v[12:13], -v[32:33], v[50:51], v[12:13]
	v_fma_f64 v[12:13], -v[34:35], v[52:53], v[12:13]
	ds_read_b64 v[50:51], v44 offset:2032
	ds_read_b64 v[52:53], v44 offset:2224
	s_waitcnt lgkmcnt(0)
	v_fma_f64 v[12:13], -v[38:39], v[46:47], v[12:13]
	v_fma_f64 v[12:13], -v[42:43], v[48:49], v[12:13]
	ds_read_b64 v[46:47], v44 offset:2416
	ds_read_b64 v[48:49], v44 offset:2608
	;; [unrolled: 1-line block ×3, first 2 shown]
	v_fma_f64 v[12:13], -v[40:41], v[50:51], v[12:13]
	v_fma_f64 v[12:13], -v[36:37], v[52:53], v[12:13]
	s_waitcnt lgkmcnt(0)
	v_fma_f64 v[12:13], -v[30:31], v[46:47], v[12:13]
	v_fma_f64 v[12:13], -v[22:23], v[48:49], v[12:13]
	v_mul_f64 v[12:13], v[54:55], v[12:13]
	flat_store_dwordx2 v[0:1], v[12:13] offset:112
	ds_read_b64 v[46:47], v44 offset:120
	ds_read_b64 v[48:49], v44 offset:312
	;; [unrolled: 1-line block ×4, first 2 shown]
	s_waitcnt lgkmcnt(0)
	v_fma_f64 v[10:11], -v[14:15], v[46:47], v[10:11]
	v_fma_f64 v[10:11], -v[16:17], v[48:49], v[10:11]
	;; [unrolled: 1-line block ×3, first 2 shown]
	ds_read_b64 v[46:47], v44 offset:888
	ds_read_b64 v[48:49], v44 offset:1080
	;; [unrolled: 1-line block ×3, first 2 shown]
	v_fma_f64 v[10:11], -v[20:21], v[52:53], v[10:11]
	ds_read_b64 v[52:53], v44 offset:1464
	s_waitcnt lgkmcnt(0)
	v_fma_f64 v[10:11], -v[24:25], v[46:47], v[10:11]
	v_fma_f64 v[10:11], -v[26:27], v[48:49], v[10:11]
	;; [unrolled: 1-line block ×3, first 2 shown]
	ds_read_b64 v[46:47], v44 offset:1656
	ds_read_b64 v[48:49], v44 offset:1848
	;; [unrolled: 1-line block ×3, first 2 shown]
	v_fma_f64 v[10:11], -v[34:35], v[52:53], v[10:11]
	ds_read_b64 v[52:53], v44 offset:2232
	s_waitcnt lgkmcnt(0)
	v_fma_f64 v[10:11], -v[38:39], v[46:47], v[10:11]
	v_fma_f64 v[10:11], -v[42:43], v[48:49], v[10:11]
	;; [unrolled: 1-line block ×3, first 2 shown]
	ds_read_b64 v[46:47], v44 offset:2424
	ds_read_b64 v[48:49], v44 offset:2616
	;; [unrolled: 1-line block ×4, first 2 shown]
	v_fma_f64 v[10:11], -v[36:37], v[52:53], v[10:11]
	s_waitcnt lgkmcnt(0)
	v_fma_f64 v[10:11], -v[30:31], v[46:47], v[10:11]
	v_fma_f64 v[10:11], -v[22:23], v[48:49], v[10:11]
	;; [unrolled: 1-line block ×3, first 2 shown]
	v_mul_f64 v[10:11], v[54:55], v[10:11]
	flat_store_dwordx2 v[0:1], v[10:11] offset:120
	ds_read_b64 v[46:47], v44 offset:128
	ds_read_b64 v[48:49], v44 offset:320
	;; [unrolled: 1-line block ×4, first 2 shown]
	s_waitcnt lgkmcnt(0)
	v_fma_f64 v[8:9], -v[14:15], v[46:47], v[8:9]
	v_fma_f64 v[8:9], -v[16:17], v[48:49], v[8:9]
	v_fma_f64 v[8:9], -v[18:19], v[50:51], v[8:9]
	ds_read_b64 v[46:47], v44 offset:896
	ds_read_b64 v[48:49], v44 offset:1088
	;; [unrolled: 1-line block ×3, first 2 shown]
	v_fma_f64 v[8:9], -v[20:21], v[52:53], v[8:9]
	ds_read_b64 v[52:53], v44 offset:1472
	s_waitcnt lgkmcnt(0)
	v_fma_f64 v[8:9], -v[24:25], v[46:47], v[8:9]
	v_fma_f64 v[8:9], -v[26:27], v[48:49], v[8:9]
	;; [unrolled: 1-line block ×3, first 2 shown]
	ds_read_b64 v[46:47], v44 offset:1664
	ds_read_b64 v[48:49], v44 offset:1856
	;; [unrolled: 1-line block ×4, first 2 shown]
	v_fma_f64 v[8:9], -v[34:35], v[52:53], v[8:9]
	s_waitcnt lgkmcnt(0)
	v_fma_f64 v[8:9], -v[38:39], v[46:47], v[8:9]
	v_fma_f64 v[8:9], -v[42:43], v[48:49], v[8:9]
	;; [unrolled: 1-line block ×4, first 2 shown]
	ds_read_b64 v[46:47], v44 offset:2432
	ds_read_b64 v[48:49], v44 offset:2624
	;; [unrolled: 1-line block ×5, first 2 shown]
	s_waitcnt lgkmcnt(0)
	v_fma_f64 v[8:9], -v[30:31], v[46:47], v[8:9]
	v_fma_f64 v[8:9], -v[22:23], v[48:49], v[8:9]
	;; [unrolled: 1-line block ×4, first 2 shown]
	v_mul_f64 v[8:9], v[54:55], v[8:9]
	flat_store_dwordx2 v[0:1], v[8:9] offset:128
	ds_read_b64 v[46:47], v44 offset:136
	ds_read_b64 v[48:49], v44 offset:328
	;; [unrolled: 1-line block ×4, first 2 shown]
	s_waitcnt lgkmcnt(0)
	v_fma_f64 v[6:7], -v[14:15], v[46:47], v[6:7]
	v_fma_f64 v[6:7], -v[16:17], v[48:49], v[6:7]
	;; [unrolled: 1-line block ×3, first 2 shown]
	ds_read_b64 v[46:47], v44 offset:904
	ds_read_b64 v[48:49], v44 offset:1096
	;; [unrolled: 1-line block ×3, first 2 shown]
	v_fma_f64 v[6:7], -v[20:21], v[52:53], v[6:7]
	ds_read_b64 v[52:53], v44 offset:1480
	s_waitcnt lgkmcnt(0)
	v_fma_f64 v[6:7], -v[24:25], v[46:47], v[6:7]
	v_fma_f64 v[6:7], -v[26:27], v[48:49], v[6:7]
	;; [unrolled: 1-line block ×3, first 2 shown]
	ds_read_b64 v[46:47], v44 offset:1672
	ds_read_b64 v[48:49], v44 offset:1864
	;; [unrolled: 1-line block ×3, first 2 shown]
	v_fma_f64 v[6:7], -v[34:35], v[52:53], v[6:7]
	ds_read_b64 v[52:53], v44 offset:2248
	s_waitcnt lgkmcnt(0)
	v_fma_f64 v[6:7], -v[38:39], v[46:47], v[6:7]
	ds_read_b64 v[46:47], v44 offset:2440
	v_fma_f64 v[6:7], -v[42:43], v[48:49], v[6:7]
	v_fma_f64 v[6:7], -v[40:41], v[50:51], v[6:7]
	;; [unrolled: 1-line block ×3, first 2 shown]
	ds_read_b64 v[48:49], v44 offset:2632
	ds_read_b64 v[50:51], v44 offset:2824
	;; [unrolled: 1-line block ×3, first 2 shown]
	s_waitcnt lgkmcnt(0)
	v_fma_f64 v[6:7], -v[30:31], v[46:47], v[6:7]
	ds_read_b64 v[46:47], v44 offset:3208
	ds_read_b64 v[54:55], v45 offset:3400
	v_fma_f64 v[6:7], -v[22:23], v[48:49], v[6:7]
	v_fma_f64 v[6:7], -v[12:13], v[50:51], v[6:7]
	;; [unrolled: 1-line block ×3, first 2 shown]
	s_waitcnt lgkmcnt(0)
	v_fma_f64 v[6:7], -v[8:9], v[46:47], v[6:7]
	v_mul_f64 v[6:7], v[54:55], v[6:7]
	flat_store_dwordx2 v[0:1], v[6:7] offset:136
	ds_read_b64 v[46:47], v44 offset:144
	ds_read_b64 v[48:49], v44 offset:336
	ds_read_b64 v[50:51], v44 offset:528
	ds_read_b64 v[52:53], v44 offset:720
	s_waitcnt lgkmcnt(0)
	v_fma_f64 v[4:5], -v[14:15], v[46:47], v[4:5]
	v_fma_f64 v[4:5], -v[16:17], v[48:49], v[4:5]
	;; [unrolled: 1-line block ×3, first 2 shown]
	ds_read_b64 v[46:47], v44 offset:912
	ds_read_b64 v[48:49], v44 offset:1104
	;; [unrolled: 1-line block ×3, first 2 shown]
	v_fma_f64 v[4:5], -v[20:21], v[52:53], v[4:5]
	ds_read_b64 v[52:53], v44 offset:1488
	s_waitcnt lgkmcnt(0)
	v_fma_f64 v[4:5], -v[24:25], v[46:47], v[4:5]
	v_fma_f64 v[4:5], -v[26:27], v[48:49], v[4:5]
	;; [unrolled: 1-line block ×3, first 2 shown]
	ds_read_b64 v[46:47], v44 offset:1680
	ds_read_b64 v[48:49], v44 offset:1872
	;; [unrolled: 1-line block ×3, first 2 shown]
	v_fma_f64 v[4:5], -v[34:35], v[52:53], v[4:5]
	ds_read_b64 v[52:53], v44 offset:2256
	s_waitcnt lgkmcnt(0)
	v_fma_f64 v[4:5], -v[38:39], v[46:47], v[4:5]
	v_fma_f64 v[4:5], -v[42:43], v[48:49], v[4:5]
	ds_read_b64 v[46:47], v44 offset:2448
	ds_read_b64 v[48:49], v44 offset:2640
	v_fma_f64 v[4:5], -v[40:41], v[50:51], v[4:5]
	v_fma_f64 v[4:5], -v[36:37], v[52:53], v[4:5]
	ds_read_b64 v[50:51], v44 offset:2832
	ds_read_b64 v[52:53], v44 offset:3024
	s_waitcnt lgkmcnt(0)
	v_fma_f64 v[4:5], -v[30:31], v[46:47], v[4:5]
	v_fma_f64 v[4:5], -v[22:23], v[48:49], v[4:5]
	ds_read_b64 v[46:47], v44 offset:3216
	ds_read_b64 v[48:49], v44 offset:3408
	;; [unrolled: 1-line block ×3, first 2 shown]
	v_fma_f64 v[4:5], -v[12:13], v[50:51], v[4:5]
	v_fma_f64 v[4:5], -v[10:11], v[52:53], v[4:5]
	s_waitcnt lgkmcnt(0)
	v_fma_f64 v[4:5], -v[8:9], v[46:47], v[4:5]
	v_fma_f64 v[4:5], -v[6:7], v[48:49], v[4:5]
	v_mul_f64 v[46:47], v[54:55], v[4:5]
	flat_store_dwordx2 v[0:1], v[46:47] offset:144
	ds_read_b64 v[4:5], v44 offset:152
	ds_read_b64 v[48:49], v44 offset:344
	;; [unrolled: 1-line block ×4, first 2 shown]
	s_waitcnt lgkmcnt(0)
	v_fma_f64 v[2:3], -v[14:15], v[4:5], v[2:3]
	v_fma_f64 v[2:3], -v[16:17], v[48:49], v[2:3]
	ds_read_b64 v[4:5], v44 offset:920
	ds_read_b64 v[14:15], v44 offset:1112
	;; [unrolled: 1-line block ×3, first 2 shown]
	v_fma_f64 v[2:3], -v[18:19], v[50:51], v[2:3]
	v_fma_f64 v[2:3], -v[20:21], v[52:53], v[2:3]
	ds_read_b64 v[18:19], v44 offset:1496
	s_waitcnt lgkmcnt(0)
	v_fma_f64 v[2:3], -v[24:25], v[4:5], v[2:3]
	v_fma_f64 v[2:3], -v[26:27], v[14:15], v[2:3]
	v_fma_f64 v[2:3], -v[32:33], v[16:17], v[2:3]
	ds_read_b64 v[4:5], v44 offset:1688
	ds_read_b64 v[14:15], v44 offset:1880
	;; [unrolled: 1-line block ×3, first 2 shown]
	v_fma_f64 v[2:3], -v[34:35], v[18:19], v[2:3]
	ds_read_b64 v[18:19], v44 offset:2264
	s_waitcnt lgkmcnt(0)
	v_fma_f64 v[2:3], -v[38:39], v[4:5], v[2:3]
	v_fma_f64 v[2:3], -v[42:43], v[14:15], v[2:3]
	;; [unrolled: 1-line block ×3, first 2 shown]
	ds_read_b64 v[4:5], v44 offset:2456
	ds_read_b64 v[14:15], v44 offset:2648
	ds_read_b64 v[16:17], v44 offset:2840
	v_fma_f64 v[2:3], -v[36:37], v[18:19], v[2:3]
	ds_read_b64 v[18:19], v44 offset:3032
	s_waitcnt lgkmcnt(0)
	v_fma_f64 v[2:3], -v[30:31], v[4:5], v[2:3]
	v_fma_f64 v[2:3], -v[22:23], v[14:15], v[2:3]
	;; [unrolled: 1-line block ×3, first 2 shown]
	ds_read_b64 v[14:15], v44 offset:3224
	v_add_u32_e32 v2, 0x800, v44
	ds_read2_b64 v[2:5], v2 offset0:171 offset1:195
	v_mov_b32_e32 v16, s1
	ds_read_b64 v[16:17], v16
	v_fma_f64 v[10:11], -v[10:11], v[18:19], v[12:13]
	s_waitcnt lgkmcnt(0)
	v_fma_f64 v[8:9], -v[8:9], v[14:15], v[10:11]
	v_fma_f64 v[2:3], -v[6:7], v[2:3], v[8:9]
	;; [unrolled: 1-line block ×3, first 2 shown]
	v_mul_f64 v[2:3], v[16:17], v[2:3]
	flat_store_dwordx2 v[0:1], v[2:3] offset:152
.LBB95_43:
	s_cmp_ge_i32 s2, s22
	s_cbranch_scc1 .LBB95_48
; %bb.44:
	s_lshl_b32 s0, s2, 3
	s_mov_b32 s3, 0
	s_branch .LBB95_46
.LBB95_45:                              ;   in Loop: Header=BB95_46 Depth=1
	s_mul_i32 s1, s2, 0xc8
	v_mov_b32_e32 v4, s1
	ds_read_b64 v[4:5], v4
	s_add_i32 s2, s2, 1
	s_add_i32 s0, s0, 8
	s_cmp_ge_i32 s2, s22
	s_waitcnt lgkmcnt(0)
	v_mul_f64 v[2:3], v[4:5], v[2:3]
	flat_store_dwordx2 v[0:1], v[2:3]
	s_cbranch_scc1 .LBB95_48
.LBB95_46:                              ; =>This Loop Header: Depth=1
                                        ;     Child Loop BB95_47 Depth 2
	v_lshl_add_u64 v[0:1], s[2:3], 3, v[28:29]
	flat_load_dwordx2 v[2:3], v[0:1]
	s_cmp_eq_u32 s2, 0
	v_mov_b64_e32 v[4:5], v[28:29]
	s_mov_b32 s1, s0
	s_mov_b32 s6, s2
	s_waitcnt vmcnt(0) lgkmcnt(0)
	v_mul_f64 v[2:3], s[4:5], v[2:3]
	s_cbranch_scc1 .LBB95_45
.LBB95_47:                              ;   Parent Loop BB95_46 Depth=1
                                        ; =>  This Inner Loop Header: Depth=2
	flat_load_dwordx2 v[6:7], v[4:5]
	v_mov_b32_e32 v8, s1
	ds_read_b64 v[8:9], v8
	s_add_i32 s6, s6, -1
	s_addk_i32 s1, 0xc0
	v_lshl_add_u64 v[4:5], v[4:5], 0, 8
	s_cmp_lg_u32 s6, 0
	s_waitcnt vmcnt(0) lgkmcnt(0)
	v_fma_f64 v[2:3], -v[6:7], v[8:9], v[2:3]
	s_cbranch_scc1 .LBB95_47
	s_branch .LBB95_45
.LBB95_48:
	s_endpgm
	.section	.rodata,"a",@progbits
	.p2align	6, 0x0
	.amdhsa_kernel _ZL30rocblas_trsm_small_left_deviceILi24ELi24ELb1EddPKPKdPKPdEv13rocblas_fill_18rocblas_operation_17rocblas_diagonal_iiT3_T4_lilT5_lili
		.amdhsa_group_segment_fixed_size 4608
		.amdhsa_private_segment_fixed_size 0
		.amdhsa_kernarg_size 360
		.amdhsa_user_sgpr_count 2
		.amdhsa_user_sgpr_dispatch_ptr 0
		.amdhsa_user_sgpr_queue_ptr 0
		.amdhsa_user_sgpr_kernarg_segment_ptr 1
		.amdhsa_user_sgpr_dispatch_id 0
		.amdhsa_user_sgpr_kernarg_preload_length 0
		.amdhsa_user_sgpr_kernarg_preload_offset 0
		.amdhsa_user_sgpr_private_segment_size 0
		.amdhsa_uses_dynamic_stack 0
		.amdhsa_enable_private_segment 0
		.amdhsa_system_sgpr_workgroup_id_x 1
		.amdhsa_system_sgpr_workgroup_id_y 0
		.amdhsa_system_sgpr_workgroup_id_z 1
		.amdhsa_system_sgpr_workgroup_info 0
		.amdhsa_system_vgpr_workitem_id 0
		.amdhsa_next_free_vgpr 71
		.amdhsa_next_free_sgpr 26
		.amdhsa_accum_offset 72
		.amdhsa_reserve_vcc 1
		.amdhsa_float_round_mode_32 0
		.amdhsa_float_round_mode_16_64 0
		.amdhsa_float_denorm_mode_32 3
		.amdhsa_float_denorm_mode_16_64 3
		.amdhsa_dx10_clamp 1
		.amdhsa_ieee_mode 1
		.amdhsa_fp16_overflow 0
		.amdhsa_tg_split 0
		.amdhsa_exception_fp_ieee_invalid_op 0
		.amdhsa_exception_fp_denorm_src 0
		.amdhsa_exception_fp_ieee_div_zero 0
		.amdhsa_exception_fp_ieee_overflow 0
		.amdhsa_exception_fp_ieee_underflow 0
		.amdhsa_exception_fp_ieee_inexact 0
		.amdhsa_exception_int_div_zero 0
	.end_amdhsa_kernel
	.section	.text._ZL30rocblas_trsm_small_left_deviceILi24ELi24ELb1EddPKPKdPKPdEv13rocblas_fill_18rocblas_operation_17rocblas_diagonal_iiT3_T4_lilT5_lili,"axG",@progbits,_ZL30rocblas_trsm_small_left_deviceILi24ELi24ELb1EddPKPKdPKPdEv13rocblas_fill_18rocblas_operation_17rocblas_diagonal_iiT3_T4_lilT5_lili,comdat
.Lfunc_end95:
	.size	_ZL30rocblas_trsm_small_left_deviceILi24ELi24ELb1EddPKPKdPKPdEv13rocblas_fill_18rocblas_operation_17rocblas_diagonal_iiT3_T4_lilT5_lili, .Lfunc_end95-_ZL30rocblas_trsm_small_left_deviceILi24ELi24ELb1EddPKPKdPKPdEv13rocblas_fill_18rocblas_operation_17rocblas_diagonal_iiT3_T4_lilT5_lili
                                        ; -- End function
	.set _ZL30rocblas_trsm_small_left_deviceILi24ELi24ELb1EddPKPKdPKPdEv13rocblas_fill_18rocblas_operation_17rocblas_diagonal_iiT3_T4_lilT5_lili.num_vgpr, 71
	.set _ZL30rocblas_trsm_small_left_deviceILi24ELi24ELb1EddPKPKdPKPdEv13rocblas_fill_18rocblas_operation_17rocblas_diagonal_iiT3_T4_lilT5_lili.num_agpr, 0
	.set _ZL30rocblas_trsm_small_left_deviceILi24ELi24ELb1EddPKPKdPKPdEv13rocblas_fill_18rocblas_operation_17rocblas_diagonal_iiT3_T4_lilT5_lili.numbered_sgpr, 26
	.set _ZL30rocblas_trsm_small_left_deviceILi24ELi24ELb1EddPKPKdPKPdEv13rocblas_fill_18rocblas_operation_17rocblas_diagonal_iiT3_T4_lilT5_lili.num_named_barrier, 0
	.set _ZL30rocblas_trsm_small_left_deviceILi24ELi24ELb1EddPKPKdPKPdEv13rocblas_fill_18rocblas_operation_17rocblas_diagonal_iiT3_T4_lilT5_lili.private_seg_size, 0
	.set _ZL30rocblas_trsm_small_left_deviceILi24ELi24ELb1EddPKPKdPKPdEv13rocblas_fill_18rocblas_operation_17rocblas_diagonal_iiT3_T4_lilT5_lili.uses_vcc, 1
	.set _ZL30rocblas_trsm_small_left_deviceILi24ELi24ELb1EddPKPKdPKPdEv13rocblas_fill_18rocblas_operation_17rocblas_diagonal_iiT3_T4_lilT5_lili.uses_flat_scratch, 0
	.set _ZL30rocblas_trsm_small_left_deviceILi24ELi24ELb1EddPKPKdPKPdEv13rocblas_fill_18rocblas_operation_17rocblas_diagonal_iiT3_T4_lilT5_lili.has_dyn_sized_stack, 0
	.set _ZL30rocblas_trsm_small_left_deviceILi24ELi24ELb1EddPKPKdPKPdEv13rocblas_fill_18rocblas_operation_17rocblas_diagonal_iiT3_T4_lilT5_lili.has_recursion, 0
	.set _ZL30rocblas_trsm_small_left_deviceILi24ELi24ELb1EddPKPKdPKPdEv13rocblas_fill_18rocblas_operation_17rocblas_diagonal_iiT3_T4_lilT5_lili.has_indirect_call, 0
	.section	.AMDGPU.csdata,"",@progbits
; Kernel info:
; codeLenInByte = 21276
; TotalNumSgprs: 32
; NumVgprs: 71
; NumAgprs: 0
; TotalNumVgprs: 71
; ScratchSize: 0
; MemoryBound: 1
; FloatMode: 240
; IeeeMode: 1
; LDSByteSize: 4608 bytes/workgroup (compile time only)
; SGPRBlocks: 3
; VGPRBlocks: 8
; NumSGPRsForWavesPerEU: 32
; NumVGPRsForWavesPerEU: 71
; AccumOffset: 72
; Occupancy: 7
; WaveLimiterHint : 1
; COMPUTE_PGM_RSRC2:SCRATCH_EN: 0
; COMPUTE_PGM_RSRC2:USER_SGPR: 2
; COMPUTE_PGM_RSRC2:TRAP_HANDLER: 0
; COMPUTE_PGM_RSRC2:TGID_X_EN: 1
; COMPUTE_PGM_RSRC2:TGID_Y_EN: 0
; COMPUTE_PGM_RSRC2:TGID_Z_EN: 1
; COMPUTE_PGM_RSRC2:TIDIG_COMP_CNT: 0
; COMPUTE_PGM_RSRC3_GFX90A:ACCUM_OFFSET: 17
; COMPUTE_PGM_RSRC3_GFX90A:TG_SPLIT: 0
	.section	.text._ZL31rocblas_trsm_small_right_deviceIddPKPKdPKPdLi24EEv13rocblas_fill_18rocblas_operation_17rocblas_diagonal_iiT0_T1_lilT2_lili,"axG",@progbits,_ZL31rocblas_trsm_small_right_deviceIddPKPKdPKPdLi24EEv13rocblas_fill_18rocblas_operation_17rocblas_diagonal_iiT0_T1_lilT2_lili,comdat
	.globl	_ZL31rocblas_trsm_small_right_deviceIddPKPKdPKPdLi24EEv13rocblas_fill_18rocblas_operation_17rocblas_diagonal_iiT0_T1_lilT2_lili ; -- Begin function _ZL31rocblas_trsm_small_right_deviceIddPKPKdPKPdLi24EEv13rocblas_fill_18rocblas_operation_17rocblas_diagonal_iiT0_T1_lilT2_lili
	.p2align	8
	.type	_ZL31rocblas_trsm_small_right_deviceIddPKPKdPKPdLi24EEv13rocblas_fill_18rocblas_operation_17rocblas_diagonal_iiT0_T1_lilT2_lili,@function
_ZL31rocblas_trsm_small_right_deviceIddPKPKdPKPdLi24EEv13rocblas_fill_18rocblas_operation_17rocblas_diagonal_iiT0_T1_lilT2_lili: ; @_ZL31rocblas_trsm_small_right_deviceIddPKPKdPKPdLi24EEv13rocblas_fill_18rocblas_operation_17rocblas_diagonal_iiT0_T1_lilT2_lili
; %bb.0:
	s_load_dwordx4 s[4:7], s[0:1], 0x0
	s_load_dword s22, s[0:1], 0x10
	s_load_dwordx4 s[12:15], s[0:1], 0x40
	s_load_dwordx4 s[8:11], s[0:1], 0x18
	s_load_dwordx2 s[18:19], s[0:1], 0x28
	s_mov_b32 s16, s3
	s_mov_b32 s17, 0
	s_lshl_b64 s[20:21], s[16:17], 3
	s_waitcnt lgkmcnt(0)
	s_add_u32 s12, s12, s20
	s_addc_u32 s13, s13, s21
	s_load_dwordx2 s[12:13], s[12:13], 0x0
	s_min_i32 s23, s22, 24
	v_cmp_gt_i32_e32 vcc, s23, v0
	s_and_saveexec_b64 s[16:17], vcc
	s_cbranch_execz .LBB96_5
; %bb.1:
	s_load_dword s24, s[0:1], 0x30
	v_lshlrev_b32_e32 v2, 3, v0
	v_mov_b32_e32 v3, 0
	v_mov_b32_e32 v1, v2
	s_mov_b32 s3, s23
	s_waitcnt lgkmcnt(0)
	s_ashr_i32 s25, s24, 31
	s_add_u32 s10, s10, s20
	s_addc_u32 s11, s11, s21
	s_load_dwordx2 s[10:11], s[10:11], 0x0
	s_lshl_b64 s[18:19], s[18:19], 3
	s_waitcnt lgkmcnt(0)
	s_add_u32 s18, s10, s18
	s_addc_u32 s19, s11, s19
	s_lshl_b64 s[10:11], s[24:25], 3
	v_lshl_add_u64 v[4:5], s[18:19], 0, v[2:3]
.LBB96_2:                               ; =>This Inner Loop Header: Depth=1
	flat_load_dwordx2 v[6:7], v[4:5]
	s_add_i32 s3, s3, -1
	v_lshl_add_u64 v[4:5], v[4:5], 0, s[10:11]
	s_cmp_eq_u32 s3, 0
	s_waitcnt vmcnt(0) lgkmcnt(0)
	ds_write_b64 v1, v[6:7]
	v_add_u32_e32 v1, 0xc0, v1
	s_cbranch_scc0 .LBB96_2
; %bb.3:
	s_cmpk_eq_i32 s6, 0x84
	s_cbranch_scc0 .LBB96_5
; %bb.4:
	s_movk_i32 s3, 0xc0
	v_mad_u32_u24 v1, v0, s3, v2
	v_mov_b32_e32 v2, 0
	v_mov_b32_e32 v3, 0x3ff00000
	ds_write_b64 v1, v[2:3]
.LBB96_5:
	s_or_b64 exec, exec, s[16:17]
	s_load_dword s3, s[0:1], 0x68
	s_load_dword s6, s[0:1], 0x50
	s_lshl_b64 s[0:1], s[14:15], 3
	s_waitcnt lgkmcnt(0)
	s_add_u32 s0, s12, s0
	s_mul_i32 s10, s2, 0xffffffe8
	s_addc_u32 s1, s13, s1
	s_add_i32 s3, s3, -1
	s_add_i32 s7, s7, s10
	s_cmp_ge_u32 s2, s3
	s_mul_hi_i32 s3, s2, 0xc0
	s_mulk_i32 s2, 0xc0
	s_cselect_b32 s7, s7, 24
	s_add_u32 s2, s0, s2
	s_addc_u32 s3, s1, s3
	v_cmp_gt_i32_e64 s[0:1], s7, v0
	s_and_saveexec_b64 s[10:11], s[0:1]
	s_cbranch_execz .LBB96_9
; %bb.6:
	s_cmp_lt_i32 s22, 1
	s_cbranch_scc1 .LBB96_9
; %bb.7:
	s_ashr_i32 s7, s6, 31
	v_lshlrev_b32_e32 v4, 3, v0
	v_mov_b32_e32 v5, 0
	v_lshl_add_u64 v[2:3], s[2:3], 0, v[4:5]
	s_lshl_b64 s[12:13], s[6:7], 3
	v_or_b32_e32 v1, 0x1200, v4
	s_mov_b32 s7, s22
.LBB96_8:                               ; =>This Inner Loop Header: Depth=1
	flat_load_dwordx2 v[4:5], v[2:3]
	s_add_i32 s7, s7, -1
	v_lshl_add_u64 v[2:3], v[2:3], 0, s[12:13]
	s_cmp_lg_u32 s7, 0
	s_waitcnt vmcnt(0) lgkmcnt(0)
	v_mul_f64 v[4:5], s[8:9], v[4:5]
	ds_write_b64 v1, v[4:5]
	v_add_u32_e32 v1, 0xc0, v1
	s_cbranch_scc1 .LBB96_8
.LBB96_9:
	s_or_b64 exec, exec, s[10:11]
	s_cmpk_eq_i32 s5, 0x6f
	s_cselect_b64 s[10:11], -1, 0
	s_cmpk_lg_i32 s4, 0x79
	s_cselect_b64 s[8:9], -1, 0
	s_cmpk_eq_i32 s4, 0x79
	s_cselect_b64 s[12:13], -1, 0
	s_and_b64 s[12:13], s[12:13], s[10:11]
	s_andn2_b64 vcc, exec, s[12:13]
	s_mov_b64 s[12:13], -1
	s_waitcnt lgkmcnt(0)
	; wave barrier
	s_cbranch_vccz .LBB96_66
; %bb.10:
	s_cmpk_lg_i32 s4, 0x7a
	s_cselect_b64 s[4:5], -1, 0
	s_xor_b64 s[10:11], s[10:11], -1
	s_add_i32 s7, s23, -1
	s_or_b64 s[10:11], s[4:5], s[10:11]
	v_mov_b32_e32 v1, 0x1200
	s_cmp_gt_i32 s22, 3
	v_lshl_or_b32 v1, v0, 3, v1
	s_cselect_b64 s[4:5], -1, 0
	s_and_b64 vcc, exec, s[10:11]
	s_cbranch_vccz .LBB96_45
; %bb.11:
	s_andn2_b64 vcc, exec, s[8:9]
	s_mov_b64 s[8:9], -1
	s_cbranch_vccnz .LBB96_24
; %bb.12:
	s_andn2_b64 vcc, exec, s[4:5]
	s_mov_b32 s10, 0
	s_cbranch_vccnz .LBB96_18
; %bb.13:
	v_mov_b32_e32 v2, 0x1200
	v_lshl_or_b32 v10, v0, 3, v2
	s_mov_b32 s8, 0
	s_mov_b32 s9, 0
.LBB96_14:                              ; =>This Loop Header: Depth=1
                                        ;     Child Loop BB96_15 Depth 2
	s_or_b32 s11, s9, 3
	s_mul_i32 s10, s9, 0xc0
	v_add_u32_e32 v12, s10, v1
	s_mulk_i32 s11, 0xc0
	ds_read2_b64 v[2:5], v12 offset1:24
	v_add_u32_e32 v11, s11, v1
	ds_read_b64 v[8:9], v12 offset:384
	ds_read_b64 v[6:7], v11
	s_cmp_eq_u32 s9, 0
	v_mov_b32_e32 v13, v10
	s_mov_b32 s11, s8
	s_mov_b32 s12, s9
	s_cbranch_scc1 .LBB96_16
.LBB96_15:                              ;   Parent Loop BB96_14 Depth=1
                                        ; =>  This Inner Loop Header: Depth=2
	v_mov_b32_e32 v18, s11
	ds_read_b64 v[22:23], v13
	ds_read_b128 v[14:17], v18
	ds_read_b128 v[18:21], v18 offset:16
	s_add_i32 s12, s12, -1
	s_addk_i32 s11, 0xc0
	v_add_u32_e32 v13, 0xc0, v13
	s_cmp_eq_u32 s12, 0
	s_waitcnt lgkmcnt(1)
	v_fma_f64 v[2:3], -v[22:23], v[14:15], v[2:3]
	v_fma_f64 v[4:5], -v[22:23], v[16:17], v[4:5]
	s_waitcnt lgkmcnt(0)
	v_fma_f64 v[8:9], -v[22:23], v[18:19], v[8:9]
	v_fma_f64 v[6:7], -v[22:23], v[20:21], v[6:7]
	s_cbranch_scc0 .LBB96_15
.LBB96_16:                              ;   in Loop: Header=BB96_14 Depth=1
	s_lshl_b32 s12, s9, 3
	s_add_i32 s13, s12, s10
	v_mov_b32_e32 v13, s13
	ds_read_b128 v[14:17], v13
	ds_read_b128 v[18:21], v13 offset:16
	ds_read2_b64 v[22:25], v13 offset0:25 offset1:26
	ds_read_b128 v[26:29], v13 offset:400
	s_addk_i32 s13, 0xc8
	s_add_i32 s8, s8, 32
	s_waitcnt lgkmcnt(3)
	v_div_scale_f64 v[30:31], s[10:11], v[14:15], v[14:15], v[2:3]
	v_rcp_f64_e32 v[32:33], v[30:31]
	v_div_scale_f64 v[34:35], vcc, v[2:3], v[14:15], v[2:3]
	v_fma_f64 v[36:37], -v[30:31], v[32:33], 1.0
	v_fmac_f64_e32 v[32:33], v[32:33], v[36:37]
	v_fma_f64 v[36:37], -v[30:31], v[32:33], 1.0
	v_fmac_f64_e32 v[32:33], v[32:33], v[36:37]
	v_mul_f64 v[36:37], v[34:35], v[32:33]
	v_fma_f64 v[30:31], -v[30:31], v[36:37], v[34:35]
	v_div_fmas_f64 v[30:31], v[30:31], v[32:33], v[36:37]
	v_div_fixup_f64 v[2:3], v[30:31], v[14:15], v[2:3]
	v_fma_f64 v[4:5], -v[2:3], v[16:17], v[4:5]
	s_waitcnt lgkmcnt(1)
	v_div_scale_f64 v[14:15], s[10:11], v[22:23], v[22:23], v[4:5]
	v_rcp_f64_e32 v[16:17], v[14:15]
	v_fma_f64 v[8:9], -v[2:3], v[18:19], v[8:9]
	v_fma_f64 v[6:7], -v[2:3], v[20:21], v[6:7]
	v_fma_f64 v[30:31], -v[14:15], v[16:17], 1.0
	v_fmac_f64_e32 v[16:17], v[16:17], v[30:31]
	v_fma_f64 v[30:31], -v[14:15], v[16:17], 1.0
	v_fmac_f64_e32 v[16:17], v[16:17], v[30:31]
	v_div_scale_f64 v[30:31], vcc, v[4:5], v[22:23], v[4:5]
	v_mul_f64 v[32:33], v[30:31], v[16:17]
	v_fma_f64 v[14:15], -v[14:15], v[32:33], v[30:31]
	s_nop 1
	v_div_fmas_f64 v[14:15], v[14:15], v[16:17], v[32:33]
	v_div_fixup_f64 v[4:5], v[14:15], v[22:23], v[4:5]
	v_fma_f64 v[8:9], -v[4:5], v[24:25], v[8:9]
	s_waitcnt lgkmcnt(0)
	v_div_scale_f64 v[14:15], s[10:11], v[26:27], v[26:27], v[8:9]
	v_rcp_f64_e32 v[16:17], v[14:15]
	s_or_b32 s10, s12, 8
	s_sub_i32 s10, s13, s10
	s_add_i32 s10, s10, s12
	v_fma_f64 v[18:19], -v[14:15], v[16:17], 1.0
	v_fmac_f64_e32 v[16:17], v[16:17], v[18:19]
	v_fma_f64 v[18:19], -v[14:15], v[16:17], 1.0
	v_fmac_f64_e32 v[16:17], v[16:17], v[18:19]
	v_div_scale_f64 v[18:19], vcc, v[8:9], v[26:27], v[8:9]
	v_mul_f64 v[22:23], v[18:19], v[16:17]
	v_fma_f64 v[14:15], -v[14:15], v[22:23], v[18:19]
	v_mov_b32_e32 v18, s10
	ds_read_b64 v[18:19], v18 offset:24
	v_div_fmas_f64 v[14:15], v[14:15], v[16:17], v[22:23]
	v_div_fixup_f64 v[8:9], v[14:15], v[26:27], v[8:9]
	ds_read_b64 v[14:15], v13 offset:600
	ds_write2_b64 v12, v[2:3], v[4:5] offset1:24
	ds_write_b64 v12, v[8:9] offset:384
	s_waitcnt lgkmcnt(3)
	v_fma_f64 v[6:7], -v[4:5], v[18:19], v[6:7]
	v_fma_f64 v[6:7], -v[8:9], v[28:29], v[6:7]
	s_waitcnt lgkmcnt(2)
	v_div_scale_f64 v[16:17], s[10:11], v[14:15], v[14:15], v[6:7]
	v_rcp_f64_e32 v[18:19], v[16:17]
	s_add_i32 s10, s9, 4
	s_add_i32 s9, s9, 7
	s_cmp_ge_i32 s9, s23
	v_fma_f64 v[2:3], -v[16:17], v[18:19], 1.0
	v_fmac_f64_e32 v[18:19], v[18:19], v[2:3]
	v_fma_f64 v[2:3], -v[16:17], v[18:19], 1.0
	v_fmac_f64_e32 v[18:19], v[18:19], v[2:3]
	v_div_scale_f64 v[2:3], vcc, v[6:7], v[14:15], v[6:7]
	v_mul_f64 v[4:5], v[2:3], v[18:19]
	v_fma_f64 v[2:3], -v[16:17], v[4:5], v[2:3]
	s_nop 1
	v_div_fmas_f64 v[2:3], v[2:3], v[18:19], v[4:5]
	v_div_fixup_f64 v[2:3], v[2:3], v[14:15], v[6:7]
	ds_write_b64 v11, v[2:3]
	s_cbranch_scc1 .LBB96_18
; %bb.17:                               ;   in Loop: Header=BB96_14 Depth=1
	s_mov_b32 s9, s10
	s_branch .LBB96_14
.LBB96_18:
	s_cmp_ge_i32 s10, s23
	s_cbranch_scc1 .LBB96_23
; %bb.19:
	v_mov_b32_e32 v2, 0x1200
	s_lshl_b32 s8, s10, 3
	v_lshl_or_b32 v4, v0, 3, v2
	s_branch .LBB96_21
.LBB96_20:                              ;   in Loop: Header=BB96_21 Depth=1
	s_lshl_b32 s11, s10, 3
	s_add_i32 s9, s11, s9
	v_mov_b32_e32 v6, s9
	ds_read_b64 v[6:7], v6
	s_add_i32 s10, s10, 1
	s_add_i32 s8, s8, 8
	s_cmp_ge_i32 s10, s23
	s_waitcnt lgkmcnt(0)
	v_div_scale_f64 v[8:9], s[12:13], v[6:7], v[6:7], v[2:3]
	v_rcp_f64_e32 v[10:11], v[8:9]
	v_div_scale_f64 v[12:13], vcc, v[2:3], v[6:7], v[2:3]
	v_fma_f64 v[14:15], -v[8:9], v[10:11], 1.0
	v_fmac_f64_e32 v[10:11], v[10:11], v[14:15]
	v_fma_f64 v[14:15], -v[8:9], v[10:11], 1.0
	v_fmac_f64_e32 v[10:11], v[10:11], v[14:15]
	v_mul_f64 v[14:15], v[12:13], v[10:11]
	v_fma_f64 v[8:9], -v[8:9], v[14:15], v[12:13]
	v_div_fmas_f64 v[8:9], v[8:9], v[10:11], v[14:15]
	v_div_fixup_f64 v[2:3], v[8:9], v[6:7], v[2:3]
	ds_write_b64 v5, v[2:3]
	s_cbranch_scc1 .LBB96_23
.LBB96_21:                              ; =>This Loop Header: Depth=1
                                        ;     Child Loop BB96_22 Depth 2
	s_mul_i32 s9, s10, 0xc0
	v_add_u32_e32 v5, s9, v1
	ds_read_b64 v[2:3], v5
	s_cmp_eq_u32 s10, 0
	v_mov_b32_e32 v6, v4
	s_mov_b32 s11, s8
	s_mov_b32 s12, s10
	s_cbranch_scc1 .LBB96_20
.LBB96_22:                              ;   Parent Loop BB96_21 Depth=1
                                        ; =>  This Inner Loop Header: Depth=2
	v_mov_b32_e32 v7, s11
	ds_read_b64 v[8:9], v6
	ds_read_b64 v[10:11], v7
	s_add_i32 s12, s12, -1
	s_addk_i32 s11, 0xc0
	v_add_u32_e32 v6, 0xc0, v6
	s_cmp_eq_u32 s12, 0
	s_waitcnt lgkmcnt(0)
	v_fma_f64 v[2:3], -v[8:9], v[10:11], v[2:3]
	s_cbranch_scc0 .LBB96_22
	s_branch .LBB96_20
.LBB96_23:
	s_mov_b64 s[8:9], 0
.LBB96_24:
	s_and_b64 vcc, exec, s[8:9]
	s_cbranch_vccz .LBB96_44
; %bb.25:
	s_andn2_b64 vcc, exec, s[4:5]
	s_mov_b32 s10, s7
	s_cbranch_vccnz .LBB96_31
; %bb.26:
	s_mul_i32 s9, s23, 0xc0
	s_mul_i32 s8, s23, 0xc8
	v_lshl_add_u32 v2, v0, 3, s9
	s_addk_i32 s8, 0xff20
	v_add_u32_e32 v10, 0x1140, v2
	s_mov_b32 s9, s7
.LBB96_27:                              ; =>This Loop Header: Depth=1
                                        ;     Child Loop BB96_28 Depth 2
	s_mul_i32 s10, s9, 0xc0
	v_add_u32_e32 v12, s10, v1
	s_add_i32 s11, s10, 0xfffffdc0
	v_add_u32_e32 v13, 0xffffff40, v12
	v_add_u32_e32 v14, 0xfffffe80, v12
	;; [unrolled: 1-line block ×3, first 2 shown]
	ds_read_b64 v[8:9], v12
	ds_read_b64 v[6:7], v13
	;; [unrolled: 1-line block ×4, first 2 shown]
	s_cmp_le_i32 s7, s9
	v_mov_b32_e32 v15, v10
	s_mov_b32 s12, s8
	s_mov_b32 s13, s7
	s_cbranch_scc1 .LBB96_29
.LBB96_28:                              ;   Parent Loop BB96_27 Depth=1
                                        ; =>  This Inner Loop Header: Depth=2
	v_mov_b32_e32 v20, s12
	ds_read_b64 v[24:25], v15
	ds_read2_b64 v[16:19], v20 offset0:2 offset1:3
	ds_read2_b64 v[20:23], v20 offset1:1
	s_add_i32 s13, s13, -1
	s_addk_i32 s12, 0xff40
	v_add_u32_e32 v15, 0xffffff40, v15
	s_cmp_le_i32 s13, s9
	s_waitcnt lgkmcnt(1)
	v_fma_f64 v[8:9], -v[24:25], v[18:19], v[8:9]
	v_fma_f64 v[6:7], -v[24:25], v[16:17], v[6:7]
	s_waitcnt lgkmcnt(0)
	v_fma_f64 v[4:5], -v[24:25], v[22:23], v[4:5]
	v_fma_f64 v[2:3], -v[24:25], v[20:21], v[2:3]
	s_cbranch_scc0 .LBB96_28
.LBB96_29:                              ;   in Loop: Header=BB96_27 Depth=1
	s_lshl_b32 s13, s9, 3
	s_add_i32 s16, s13, s10
	s_add_i32 s14, s16, -8
	v_mov_b32_e32 v15, s14
	ds_read2_b64 v[16:19], v15 offset1:1
	s_add_i32 s14, s16, 0xffffff38
	v_mov_b32_e32 v15, s14
	ds_read_b64 v[20:21], v15
	s_add_i32 s12, s9, -3
	s_waitcnt lgkmcnt(1)
	v_div_scale_f64 v[22:23], s[14:15], v[18:19], v[18:19], v[8:9]
	v_rcp_f64_e32 v[24:25], v[22:23]
	v_div_scale_f64 v[26:27], vcc, v[8:9], v[18:19], v[8:9]
	s_add_i32 s13, s13, s11
	v_fma_f64 v[28:29], -v[22:23], v[24:25], 1.0
	v_fmac_f64_e32 v[24:25], v[24:25], v[28:29]
	v_fma_f64 v[28:29], -v[22:23], v[24:25], 1.0
	v_fmac_f64_e32 v[24:25], v[24:25], v[28:29]
	v_mul_f64 v[28:29], v[26:27], v[24:25]
	v_fma_f64 v[22:23], -v[22:23], v[28:29], v[26:27]
	v_div_fmas_f64 v[22:23], v[22:23], v[24:25], v[28:29]
	v_div_fixup_f64 v[22:23], v[22:23], v[18:19], v[8:9]
	v_fma_f64 v[24:25], -v[22:23], v[16:17], v[6:7]
	s_waitcnt lgkmcnt(0)
	v_div_scale_f64 v[6:7], s[14:15], v[20:21], v[20:21], v[24:25]
	v_rcp_f64_e32 v[26:27], v[6:7]
	s_sub_i32 s11, s16, 24
	s_sub_i32 s8, s8, 32
	v_fma_f64 v[8:9], -v[6:7], v[26:27], 1.0
	v_fmac_f64_e32 v[26:27], v[26:27], v[8:9]
	v_fma_f64 v[8:9], -v[6:7], v[26:27], 1.0
	v_fmac_f64_e32 v[26:27], v[26:27], v[8:9]
	v_div_scale_f64 v[8:9], vcc, v[24:25], v[20:21], v[24:25]
	v_mul_f64 v[28:29], v[8:9], v[26:27]
	v_fma_f64 v[30:31], -v[6:7], v[28:29], v[8:9]
	v_mov_b32_e32 v6, s11
	s_lshl_b32 s11, s12, 3
	s_add_i32 s10, s10, s11
	s_add_i32 s11, s10, 0xffffff40
	v_mov_b32_e32 v15, s11
	ds_read2_b64 v[6:9], v6 offset1:1
	ds_read2_b64 v[16:19], v15 offset1:1
	v_div_fmas_f64 v[26:27], v[30:31], v[26:27], v[28:29]
	s_addk_i32 s10, 0xfe80
	v_div_fixup_f64 v[24:25], v[26:27], v[20:21], v[24:25]
	s_waitcnt lgkmcnt(1)
	v_fma_f64 v[4:5], -v[22:23], v[8:9], v[4:5]
	v_mov_b32_e32 v8, s10
	s_waitcnt lgkmcnt(0)
	v_fma_f64 v[4:5], -v[24:25], v[18:19], v[4:5]
	ds_read2_b64 v[18:21], v8 offset1:1
	s_sub_i32 s10, s13, 24
	v_mov_b32_e32 v8, s10
	ds_read_b64 v[8:9], v8
	v_fma_f64 v[2:3], -v[22:23], v[6:7], v[2:3]
	s_waitcnt lgkmcnt(1)
	v_div_scale_f64 v[26:27], s[10:11], v[20:21], v[20:21], v[4:5]
	v_rcp_f64_e32 v[28:29], v[26:27]
	v_fma_f64 v[2:3], -v[24:25], v[16:17], v[2:3]
	v_fma_f64 v[30:31], -v[26:27], v[28:29], 1.0
	v_fmac_f64_e32 v[28:29], v[28:29], v[30:31]
	v_fma_f64 v[30:31], -v[26:27], v[28:29], 1.0
	v_fmac_f64_e32 v[28:29], v[28:29], v[30:31]
	v_div_scale_f64 v[30:31], vcc, v[4:5], v[20:21], v[4:5]
	v_mul_f64 v[32:33], v[30:31], v[28:29]
	v_fma_f64 v[26:27], -v[26:27], v[32:33], v[30:31]
	s_nop 1
	v_div_fmas_f64 v[26:27], v[26:27], v[28:29], v[32:33]
	v_div_fixup_f64 v[4:5], v[26:27], v[20:21], v[4:5]
	v_fma_f64 v[2:3], -v[4:5], v[18:19], v[2:3]
	s_waitcnt lgkmcnt(0)
	v_div_scale_f64 v[6:7], s[10:11], v[8:9], v[8:9], v[2:3]
	v_rcp_f64_e32 v[16:17], v[6:7]
	ds_write_b64 v12, v[22:23]
	ds_write_b64 v13, v[24:25]
	;; [unrolled: 1-line block ×3, first 2 shown]
	s_add_i32 s10, s9, -4
	s_cmp_lt_i32 s9, 7
	v_fma_f64 v[4:5], -v[6:7], v[16:17], 1.0
	v_fmac_f64_e32 v[16:17], v[16:17], v[4:5]
	v_fma_f64 v[4:5], -v[6:7], v[16:17], 1.0
	v_fmac_f64_e32 v[16:17], v[16:17], v[4:5]
	v_div_scale_f64 v[4:5], vcc, v[2:3], v[8:9], v[2:3]
	v_mul_f64 v[12:13], v[4:5], v[16:17]
	v_fma_f64 v[4:5], -v[6:7], v[12:13], v[4:5]
	s_nop 1
	v_div_fmas_f64 v[4:5], v[4:5], v[16:17], v[12:13]
	v_div_fixup_f64 v[2:3], v[4:5], v[8:9], v[2:3]
	ds_write_b64 v11, v[2:3]
	s_cbranch_scc1 .LBB96_31
; %bb.30:                               ;   in Loop: Header=BB96_27 Depth=1
	s_mov_b32 s9, s10
	s_branch .LBB96_27
.LBB96_31:
	s_cmp_lt_i32 s10, 0
	s_cbranch_scc1 .LBB96_44
; %bb.32:
	s_bitcmp1_b32 s10, 0
	s_cselect_b64 s[8:9], -1, 0
	s_and_b64 vcc, exec, s[8:9]
	s_mov_b32 s8, s10
	s_cbranch_vccnz .LBB96_37
; %bb.33:
	s_mul_i32 s8, s10, 0xc0
	v_add_u32_e32 v4, s8, v1
	ds_read_b64 v[2:3], v4
	s_cmp_le_i32 s7, s10
	s_cbranch_scc1 .LBB96_36
; %bb.34:
	s_mul_i32 s11, s23, 0xc0
	s_lshl_b32 s9, s10, 3
	s_add_i32 s9, s11, s9
	v_lshl_add_u32 v5, v0, 3, s11
	s_addk_i32 s9, 0xff40
	v_add_u32_e32 v5, 0x1140, v5
	s_mov_b32 s11, s7
.LBB96_35:                              ; =>This Inner Loop Header: Depth=1
	v_mov_b32_e32 v8, s9
	ds_read_b64 v[6:7], v5
	ds_read_b64 v[8:9], v8
	s_add_i32 s11, s11, -1
	s_addk_i32 s9, 0xff40
	v_add_u32_e32 v5, 0xffffff40, v5
	s_cmp_gt_u32 s11, s10
	s_waitcnt lgkmcnt(0)
	v_fma_f64 v[2:3], -v[6:7], v[8:9], v[2:3]
	s_cbranch_scc1 .LBB96_35
.LBB96_36:
	s_lshl_b32 s9, s10, 3
	s_add_i32 s8, s9, s8
	v_mov_b32_e32 v5, s8
	ds_read_b64 v[6:7], v5
	s_waitcnt lgkmcnt(0)
	v_div_scale_f64 v[8:9], s[8:9], v[6:7], v[6:7], v[2:3]
	v_rcp_f64_e32 v[10:11], v[8:9]
	v_div_scale_f64 v[12:13], vcc, v[2:3], v[6:7], v[2:3]
	s_add_i32 s8, s10, -1
	v_fma_f64 v[14:15], -v[8:9], v[10:11], 1.0
	v_fmac_f64_e32 v[10:11], v[10:11], v[14:15]
	v_fma_f64 v[14:15], -v[8:9], v[10:11], 1.0
	v_fmac_f64_e32 v[10:11], v[10:11], v[14:15]
	v_mul_f64 v[14:15], v[12:13], v[10:11]
	v_fma_f64 v[8:9], -v[8:9], v[14:15], v[12:13]
	v_div_fmas_f64 v[8:9], v[8:9], v[10:11], v[14:15]
	v_div_fixup_f64 v[2:3], v[8:9], v[6:7], v[2:3]
	ds_write_b64 v4, v[2:3]
.LBB96_37:
	s_cmp_eq_u32 s10, 0
	s_cbranch_scc1 .LBB96_44
; %bb.38:
	s_mul_i32 s10, s23, 0xc0
	s_lshl_b32 s9, s8, 3
	s_add_i32 s11, s10, s9
	v_lshl_add_u32 v2, v0, 3, s10
	s_add_i32 s9, s11, 0xffffff40
	v_add_u32_e32 v6, 0x1140, v2
	s_add_i32 s10, s11, 0xffffff38
	s_branch .LBB96_40
.LBB96_39:                              ;   in Loop: Header=BB96_40 Depth=1
	s_mul_i32 s13, s12, 0xc0
	s_add_i32 s11, s11, s13
	s_add_i32 s11, s11, -8
	v_mov_b32_e32 v4, s11
	ds_read_b64 v[4:5], v4
	s_add_i32 s8, s8, -2
	s_add_i32 s9, s9, -16
	;; [unrolled: 1-line block ×3, first 2 shown]
	s_cmp_eq_u32 s12, 0
	s_waitcnt lgkmcnt(0)
	v_div_scale_f64 v[8:9], s[14:15], v[4:5], v[4:5], v[2:3]
	v_rcp_f64_e32 v[10:11], v[8:9]
	v_div_scale_f64 v[12:13], vcc, v[2:3], v[4:5], v[2:3]
	v_fma_f64 v[14:15], -v[8:9], v[10:11], 1.0
	v_fmac_f64_e32 v[10:11], v[10:11], v[14:15]
	v_fma_f64 v[14:15], -v[8:9], v[10:11], 1.0
	v_fmac_f64_e32 v[10:11], v[10:11], v[14:15]
	v_mul_f64 v[14:15], v[12:13], v[10:11]
	v_fma_f64 v[8:9], -v[8:9], v[14:15], v[12:13]
	v_div_fmas_f64 v[8:9], v[8:9], v[10:11], v[14:15]
	v_div_fixup_f64 v[2:3], v[8:9], v[4:5], v[2:3]
	ds_write_b64 v7, v[2:3]
	s_cbranch_scc1 .LBB96_44
.LBB96_40:                              ; =>This Loop Header: Depth=1
                                        ;     Child Loop BB96_41 Depth 2
                                        ;     Child Loop BB96_43 Depth 2
	s_mul_i32 s12, s8, 0xc0
	v_add_u32_e32 v8, s12, v1
	ds_read_b64 v[4:5], v8
	s_cmp_le_i32 s7, s8
	v_mov_b32_e32 v2, v6
	s_mov_b32 s11, s9
	s_mov_b32 s13, s7
	s_cbranch_scc1 .LBB96_42
.LBB96_41:                              ;   Parent Loop BB96_40 Depth=1
                                        ; =>  This Inner Loop Header: Depth=2
	v_mov_b32_e32 v3, s11
	ds_read_b64 v[10:11], v2
	ds_read_b64 v[12:13], v3
	s_add_i32 s13, s13, -1
	s_addk_i32 s11, 0xff40
	v_add_u32_e32 v2, 0xffffff40, v2
	s_cmp_le_u32 s13, s8
	s_waitcnt lgkmcnt(0)
	v_fma_f64 v[4:5], -v[10:11], v[12:13], v[4:5]
	s_cbranch_scc0 .LBB96_41
.LBB96_42:                              ;   in Loop: Header=BB96_40 Depth=1
	s_lshl_b32 s11, s8, 3
	s_add_i32 s13, s11, s12
	v_mov_b32_e32 v2, s13
	ds_read_b64 v[10:11], v2
	s_addk_i32 s12, 0xff40
	v_add_u32_e32 v7, s12, v1
	ds_read_b64 v[2:3], v7
	s_mov_b32 s14, s7
	s_waitcnt lgkmcnt(1)
	v_div_scale_f64 v[12:13], s[12:13], v[10:11], v[10:11], v[4:5]
	v_rcp_f64_e32 v[14:15], v[12:13]
	v_div_scale_f64 v[16:17], vcc, v[4:5], v[10:11], v[4:5]
	s_add_i32 s12, s8, -1
	v_fma_f64 v[18:19], -v[12:13], v[14:15], 1.0
	v_fmac_f64_e32 v[14:15], v[14:15], v[18:19]
	v_fma_f64 v[18:19], -v[12:13], v[14:15], 1.0
	v_fmac_f64_e32 v[14:15], v[14:15], v[18:19]
	v_mul_f64 v[18:19], v[16:17], v[14:15]
	v_fma_f64 v[12:13], -v[12:13], v[18:19], v[16:17]
	v_div_fmas_f64 v[12:13], v[12:13], v[14:15], v[18:19]
	v_div_fixup_f64 v[4:5], v[12:13], v[10:11], v[4:5]
	ds_write_b64 v8, v[4:5]
	s_cmp_le_i32 s23, s8
	v_mov_b32_e32 v4, v6
	s_mov_b32 s13, s10
	s_cbranch_scc1 .LBB96_39
.LBB96_43:                              ;   Parent Loop BB96_40 Depth=1
                                        ; =>  This Inner Loop Header: Depth=2
	v_mov_b32_e32 v5, s13
	ds_read_b64 v[8:9], v4
	ds_read_b64 v[10:11], v5
	s_add_i32 s14, s14, -1
	s_addk_i32 s13, 0xff40
	v_add_u32_e32 v4, 0xffffff40, v4
	s_cmp_gt_u32 s14, s12
	s_waitcnt lgkmcnt(0)
	v_fma_f64 v[2:3], -v[8:9], v[10:11], v[2:3]
	s_cbranch_scc1 .LBB96_43
	s_branch .LBB96_39
.LBB96_44:
	s_mov_b64 s[12:13], 0
.LBB96_45:
	s_andn2_b64 vcc, exec, s[12:13]
	s_cbranch_vccnz .LBB96_65
; %bb.46:
	s_andn2_b64 vcc, exec, s[4:5]
	s_mov_b32 s8, s7
	s_cbranch_vccnz .LBB96_52
; %bb.47:
	s_mul_i32 s4, s23, 0xc0
	v_lshl_add_u32 v2, v0, 3, s4
	s_mul_i32 s4, s23, 0xc8
	v_add_u32_e32 v10, 0x1140, v2
	s_addk_i32 s4, 0xfcf8
	s_mov_b32 s5, s7
.LBB96_48:                              ; =>This Loop Header: Depth=1
                                        ;     Child Loop BB96_49 Depth 2
	s_mul_i32 s8, s5, 24
	v_lshl_add_u32 v12, s8, 3, v1
	v_add_u32_e32 v13, 0xffffff40, v12
	v_add_u32_e32 v14, 0xfffffe80, v12
	;; [unrolled: 1-line block ×3, first 2 shown]
	ds_read_b64 v[8:9], v12
	ds_read_b64 v[6:7], v13
	;; [unrolled: 1-line block ×4, first 2 shown]
	s_cmp_le_i32 s7, s5
	s_mov_b32 s9, s4
	v_mov_b32_e32 v15, v10
	s_mov_b32 s10, s7
	s_cbranch_scc1 .LBB96_50
.LBB96_49:                              ;   Parent Loop BB96_48 Depth=1
                                        ; =>  This Inner Loop Header: Depth=2
	v_mov_b32_e32 v20, s9
	ds_read_b64 v[24:25], v15
	ds_read2_b64 v[16:19], v20 offset0:48 offset1:72
	ds_read2_b64 v[20:23], v20 offset1:24
	s_add_i32 s10, s10, -1
	s_add_i32 s9, s9, -8
	v_add_u32_e32 v15, 0xffffff40, v15
	s_cmp_le_i32 s10, s5
	s_waitcnt lgkmcnt(1)
	v_fma_f64 v[8:9], -v[24:25], v[18:19], v[8:9]
	v_fma_f64 v[6:7], -v[24:25], v[16:17], v[6:7]
	s_waitcnt lgkmcnt(0)
	v_fma_f64 v[4:5], -v[24:25], v[22:23], v[4:5]
	v_fma_f64 v[2:3], -v[24:25], v[20:21], v[2:3]
	s_cbranch_scc0 .LBB96_49
.LBB96_50:                              ;   in Loop: Header=BB96_48 Depth=1
	s_mul_i32 s9, s5, 0xc8
	v_mov_b32_e32 v15, s9
	ds_read_b64 v[20:21], v15
	s_lshl_b32 s8, s8, 3
	s_lshl_b32 s9, s5, 3
	s_add_i32 s10, s8, s9
	s_add_i32 s8, s10, 0xffffff38
	v_mov_b32_e32 v15, s8
	s_waitcnt lgkmcnt(0)
	v_div_scale_f64 v[22:23], s[8:9], v[20:21], v[20:21], v[8:9]
	v_rcp_f64_e32 v[24:25], v[22:23]
	ds_read2_b64 v[16:19], v15 offset1:1
	s_addk_i32 s4, 0xfd00
	v_fma_f64 v[26:27], -v[22:23], v[24:25], 1.0
	v_fmac_f64_e32 v[24:25], v[24:25], v[26:27]
	v_fma_f64 v[26:27], -v[22:23], v[24:25], 1.0
	v_fmac_f64_e32 v[24:25], v[24:25], v[26:27]
	v_div_scale_f64 v[26:27], vcc, v[8:9], v[20:21], v[8:9]
	v_mul_f64 v[28:29], v[26:27], v[24:25]
	v_fma_f64 v[22:23], -v[22:23], v[28:29], v[26:27]
	s_nop 1
	v_div_fmas_f64 v[22:23], v[22:23], v[24:25], v[28:29]
	v_div_fixup_f64 v[24:25], v[22:23], v[20:21], v[8:9]
	s_waitcnt lgkmcnt(0)
	v_fma_f64 v[18:19], -v[24:25], v[18:19], v[6:7]
	v_div_scale_f64 v[6:7], s[8:9], v[16:17], v[16:17], v[18:19]
	v_rcp_f64_e32 v[20:21], v[6:7]
	s_add_i32 s8, s10, 0xfffffe80
	v_fma_f64 v[8:9], -v[6:7], v[20:21], 1.0
	v_fmac_f64_e32 v[20:21], v[20:21], v[8:9]
	v_fma_f64 v[8:9], -v[6:7], v[20:21], 1.0
	v_fmac_f64_e32 v[20:21], v[20:21], v[8:9]
	v_div_scale_f64 v[8:9], vcc, v[18:19], v[16:17], v[18:19]
	v_mul_f64 v[22:23], v[8:9], v[20:21]
	v_fma_f64 v[26:27], -v[6:7], v[22:23], v[8:9]
	v_mov_b32_e32 v6, s8
	s_add_i32 s8, s10, 0xfffffe70
	v_mov_b32_e32 v7, s8
	ds_read_b64 v[28:29], v6
	ds_read2_b64 v[6:9], v7 offset1:1
	v_div_fmas_f64 v[20:21], v[26:27], v[20:21], v[22:23]
	v_div_fixup_f64 v[26:27], v[20:21], v[16:17], v[18:19]
	s_waitcnt lgkmcnt(1)
	v_fma_f64 v[4:5], -v[24:25], v[28:29], v[4:5]
	s_waitcnt lgkmcnt(0)
	v_fma_f64 v[4:5], -v[26:27], v[8:9], v[4:5]
	v_div_scale_f64 v[8:9], s[8:9], v[6:7], v[6:7], v[4:5]
	v_rcp_f64_e32 v[28:29], v[8:9]
	s_add_i32 s8, s10, 0xfffffdb8
	v_mov_b32_e32 v15, s8
	s_add_i32 s8, s10, 0xfffffda8
	v_fma_f64 v[16:17], -v[8:9], v[28:29], 1.0
	v_fmac_f64_e32 v[28:29], v[28:29], v[16:17]
	v_fma_f64 v[16:17], -v[8:9], v[28:29], 1.0
	v_fmac_f64_e32 v[28:29], v[28:29], v[16:17]
	v_div_scale_f64 v[16:17], vcc, v[4:5], v[6:7], v[4:5]
	v_mul_f64 v[30:31], v[16:17], v[28:29]
	v_mov_b32_e32 v20, s8
	v_fma_f64 v[8:9], -v[8:9], v[30:31], v[16:17]
	ds_read2_b64 v[16:19], v15 offset1:1
	ds_read2_b64 v[20:23], v20 offset1:1
	v_div_fmas_f64 v[8:9], v[8:9], v[28:29], v[30:31]
	v_div_fixup_f64 v[4:5], v[8:9], v[6:7], v[4:5]
	ds_write_b64 v12, v[24:25]
	ds_write_b64 v13, v[26:27]
	;; [unrolled: 1-line block ×3, first 2 shown]
	s_waitcnt lgkmcnt(4)
	v_fma_f64 v[2:3], -v[24:25], v[18:19], v[2:3]
	v_fma_f64 v[2:3], -v[26:27], v[16:17], v[2:3]
	s_waitcnt lgkmcnt(3)
	v_fma_f64 v[2:3], -v[4:5], v[22:23], v[2:3]
	v_div_scale_f64 v[6:7], s[8:9], v[20:21], v[20:21], v[2:3]
	v_rcp_f64_e32 v[8:9], v[6:7]
	s_add_i32 s8, s5, -4
	s_cmp_lt_i32 s5, 7
	v_fma_f64 v[4:5], -v[6:7], v[8:9], 1.0
	v_fmac_f64_e32 v[8:9], v[8:9], v[4:5]
	v_fma_f64 v[4:5], -v[6:7], v[8:9], 1.0
	v_fmac_f64_e32 v[8:9], v[8:9], v[4:5]
	v_div_scale_f64 v[4:5], vcc, v[2:3], v[20:21], v[2:3]
	v_mul_f64 v[12:13], v[4:5], v[8:9]
	v_fma_f64 v[4:5], -v[6:7], v[12:13], v[4:5]
	s_nop 1
	v_div_fmas_f64 v[4:5], v[4:5], v[8:9], v[12:13]
	v_div_fixup_f64 v[2:3], v[4:5], v[20:21], v[2:3]
	ds_write_b64 v11, v[2:3]
	s_cbranch_scc1 .LBB96_52
; %bb.51:                               ;   in Loop: Header=BB96_48 Depth=1
	s_mov_b32 s5, s8
	s_branch .LBB96_48
.LBB96_52:
	s_cmp_lt_i32 s8, 0
	s_cbranch_scc1 .LBB96_65
; %bb.53:
	s_bitcmp1_b32 s8, 0
	s_cselect_b64 s[4:5], -1, 0
	s_and_b64 vcc, exec, s[4:5]
	s_mov_b32 s4, s8
	s_cbranch_vccnz .LBB96_58
; %bb.54:
	s_mul_i32 s4, s8, 0xc0
	v_add_u32_e32 v4, s4, v1
	ds_read_b64 v[2:3], v4
	s_cmp_le_i32 s7, s8
	s_cbranch_scc1 .LBB96_57
; %bb.55:
	s_lshl_b32 s5, s23, 3
	s_add_i32 s4, s4, s5
	s_mul_i32 s5, s23, 0xc0
	v_lshl_add_u32 v5, v0, 3, s5
	s_add_i32 s4, s4, -8
	v_add_u32_e32 v5, 0x1140, v5
	s_mov_b32 s5, s7
.LBB96_56:                              ; =>This Inner Loop Header: Depth=1
	v_mov_b32_e32 v8, s4
	ds_read_b64 v[6:7], v5
	ds_read_b64 v[8:9], v8
	s_add_i32 s5, s5, -1
	s_add_i32 s4, s4, -8
	v_add_u32_e32 v5, 0xffffff40, v5
	s_cmp_gt_u32 s5, s8
	s_waitcnt lgkmcnt(0)
	v_fma_f64 v[2:3], -v[6:7], v[8:9], v[2:3]
	s_cbranch_scc1 .LBB96_56
.LBB96_57:
	s_mul_i32 s4, s8, 0xc8
	v_mov_b32_e32 v5, s4
	ds_read_b64 v[6:7], v5
	s_waitcnt lgkmcnt(0)
	v_div_scale_f64 v[8:9], s[4:5], v[6:7], v[6:7], v[2:3]
	v_rcp_f64_e32 v[10:11], v[8:9]
	v_div_scale_f64 v[12:13], vcc, v[2:3], v[6:7], v[2:3]
	s_add_i32 s4, s8, -1
	v_fma_f64 v[14:15], -v[8:9], v[10:11], 1.0
	v_fmac_f64_e32 v[10:11], v[10:11], v[14:15]
	v_fma_f64 v[14:15], -v[8:9], v[10:11], 1.0
	v_fmac_f64_e32 v[10:11], v[10:11], v[14:15]
	v_mul_f64 v[14:15], v[12:13], v[10:11]
	v_fma_f64 v[8:9], -v[8:9], v[14:15], v[12:13]
	v_div_fmas_f64 v[8:9], v[8:9], v[10:11], v[14:15]
	v_div_fixup_f64 v[2:3], v[8:9], v[6:7], v[2:3]
	ds_write_b64 v4, v[2:3]
.LBB96_58:
	s_cmp_eq_u32 s8, 0
	s_cbranch_scc1 .LBB96_65
; %bb.59:
	s_mul_i32 s5, s23, 0xc0
	v_lshl_add_u32 v2, v0, 3, s5
	s_mul_i32 s5, s4, 0xc0
	s_lshl_b32 s8, s23, 3
	s_add_i32 s8, s5, s8
	v_add_u32_e32 v6, 0x1140, v2
	s_add_i32 s5, s8, -8
	s_addk_i32 s8, 0xff38
	s_branch .LBB96_61
.LBB96_60:                              ;   in Loop: Header=BB96_61 Depth=1
	s_addk_i32 s10, 0xff38
	v_mov_b32_e32 v4, s10
	ds_read_b64 v[4:5], v4
	s_add_i32 s4, s4, -2
	s_addk_i32 s5, 0xfe80
	s_addk_i32 s8, 0xfe80
	s_cmp_eq_u32 s9, 0
	s_waitcnt lgkmcnt(0)
	v_div_scale_f64 v[8:9], s[10:11], v[4:5], v[4:5], v[2:3]
	v_rcp_f64_e32 v[10:11], v[8:9]
	v_div_scale_f64 v[12:13], vcc, v[2:3], v[4:5], v[2:3]
	v_fma_f64 v[14:15], -v[8:9], v[10:11], 1.0
	v_fmac_f64_e32 v[10:11], v[10:11], v[14:15]
	v_fma_f64 v[14:15], -v[8:9], v[10:11], 1.0
	v_fmac_f64_e32 v[10:11], v[10:11], v[14:15]
	v_mul_f64 v[14:15], v[12:13], v[10:11]
	v_fma_f64 v[8:9], -v[8:9], v[14:15], v[12:13]
	v_div_fmas_f64 v[8:9], v[8:9], v[10:11], v[14:15]
	v_div_fixup_f64 v[2:3], v[8:9], v[4:5], v[2:3]
	ds_write_b64 v7, v[2:3]
	s_cbranch_scc1 .LBB96_65
.LBB96_61:                              ; =>This Loop Header: Depth=1
                                        ;     Child Loop BB96_62 Depth 2
                                        ;     Child Loop BB96_64 Depth 2
	s_mul_i32 s9, s4, 0xc0
	v_add_u32_e32 v8, s9, v1
	ds_read_b64 v[4:5], v8
	s_cmp_le_i32 s7, s4
	s_mov_b32 s9, s5
	v_mov_b32_e32 v2, v6
	s_mov_b32 s10, s7
	s_cbranch_scc1 .LBB96_63
.LBB96_62:                              ;   Parent Loop BB96_61 Depth=1
                                        ; =>  This Inner Loop Header: Depth=2
	v_mov_b32_e32 v3, s9
	ds_read_b64 v[10:11], v2
	ds_read_b64 v[12:13], v3
	s_add_i32 s10, s10, -1
	s_add_i32 s9, s9, -8
	v_add_u32_e32 v2, 0xffffff40, v2
	s_cmp_le_u32 s10, s4
	s_waitcnt lgkmcnt(0)
	v_fma_f64 v[4:5], -v[10:11], v[12:13], v[4:5]
	s_cbranch_scc0 .LBB96_62
.LBB96_63:                              ;   in Loop: Header=BB96_61 Depth=1
	s_mul_i32 s10, s4, 0xc8
	v_mov_b32_e32 v2, s10
	ds_read_b64 v[10:11], v2
	v_add_u32_e32 v7, 0xffffff40, v8
	ds_read_b64 v[2:3], v7
	s_add_i32 s9, s4, -1
	s_cmp_le_i32 s23, s4
	s_waitcnt lgkmcnt(1)
	v_div_scale_f64 v[12:13], s[12:13], v[10:11], v[10:11], v[4:5]
	v_rcp_f64_e32 v[14:15], v[12:13]
	v_div_scale_f64 v[16:17], vcc, v[4:5], v[10:11], v[4:5]
	s_mov_b32 s11, s8
	v_fma_f64 v[18:19], -v[12:13], v[14:15], 1.0
	v_fmac_f64_e32 v[14:15], v[14:15], v[18:19]
	v_fma_f64 v[18:19], -v[12:13], v[14:15], 1.0
	v_fmac_f64_e32 v[14:15], v[14:15], v[18:19]
	v_mul_f64 v[18:19], v[16:17], v[14:15]
	v_fma_f64 v[12:13], -v[12:13], v[18:19], v[16:17]
	v_div_fmas_f64 v[12:13], v[12:13], v[14:15], v[18:19]
	v_div_fixup_f64 v[4:5], v[12:13], v[10:11], v[4:5]
	ds_write_b64 v8, v[4:5]
	v_mov_b32_e32 v4, v6
	s_mov_b32 s12, s7
	s_cbranch_scc1 .LBB96_60
.LBB96_64:                              ;   Parent Loop BB96_61 Depth=1
                                        ; =>  This Inner Loop Header: Depth=2
	v_mov_b32_e32 v5, s11
	ds_read_b64 v[8:9], v4
	ds_read_b64 v[10:11], v5
	s_add_i32 s12, s12, -1
	s_add_i32 s11, s11, -8
	v_add_u32_e32 v4, 0xffffff40, v4
	s_cmp_gt_u32 s12, s9
	s_waitcnt lgkmcnt(0)
	v_fma_f64 v[2:3], -v[8:9], v[10:11], v[2:3]
	s_cbranch_scc1 .LBB96_64
	s_branch .LBB96_60
.LBB96_65:
	s_mov_b64 s[12:13], 0
.LBB96_66:
	s_andn2_b64 vcc, exec, s[12:13]
	s_cbranch_vccnz .LBB96_78
; %bb.67:
	v_mov_b32_e32 v1, 0x1200
	v_lshl_or_b32 v1, v0, 3, v1
	s_cmp_lt_i32 s22, 4
	s_mov_b32 s7, 0
	s_cbranch_scc1 .LBB96_73
; %bb.68:
	s_mov_b32 s4, 0
	s_mov_b32 s5, 0
.LBB96_69:                              ; =>This Loop Header: Depth=1
                                        ;     Child Loop BB96_70 Depth 2
	s_mul_i32 s7, s5, 24
	v_lshl_add_u32 v10, s7, 3, v1
	ds_read2_b64 v[6:9], v10 offset1:24
	ds_read2_b64 v[2:5], v10 offset0:48 offset1:72
	s_cmp_eq_u32 s5, 0
	s_mov_b32 s8, s4
	v_mov_b32_e32 v11, v1
	s_mov_b32 s9, s5
	s_cbranch_scc1 .LBB96_71
.LBB96_70:                              ;   Parent Loop BB96_69 Depth=1
                                        ; =>  This Inner Loop Header: Depth=2
	v_mov_b32_e32 v16, s8
	ds_read_b64 v[20:21], v11
	ds_read2_b64 v[12:15], v16 offset1:24
	ds_read2_b64 v[16:19], v16 offset0:48 offset1:72
	s_add_i32 s9, s9, -1
	s_add_i32 s8, s8, 8
	v_add_u32_e32 v11, 0xc0, v11
	s_cmp_eq_u32 s9, 0
	s_waitcnt lgkmcnt(1)
	v_fma_f64 v[6:7], -v[20:21], v[12:13], v[6:7]
	v_fma_f64 v[8:9], -v[20:21], v[14:15], v[8:9]
	s_waitcnt lgkmcnt(0)
	v_fma_f64 v[2:3], -v[20:21], v[16:17], v[2:3]
	v_fma_f64 v[4:5], -v[20:21], v[18:19], v[4:5]
	s_cbranch_scc0 .LBB96_70
.LBB96_71:                              ;   in Loop: Header=BB96_69 Depth=1
	s_mul_i32 s8, s5, 0xc8
	v_mov_b32_e32 v11, s8
	ds_read_b64 v[16:17], v11
	s_lshl_b32 s7, s7, 3
	s_lshl_b32 s8, s5, 3
	s_add_i32 s7, s7, s8
	v_mov_b32_e32 v11, s7
	s_waitcnt lgkmcnt(0)
	v_div_scale_f64 v[18:19], s[8:9], v[16:17], v[16:17], v[6:7]
	v_rcp_f64_e32 v[20:21], v[18:19]
	ds_read_b128 v[12:15], v11 offset:192
	s_add_i32 s7, s5, 4
	s_add_i32 s5, s5, 7
	v_fma_f64 v[22:23], -v[18:19], v[20:21], 1.0
	v_fmac_f64_e32 v[20:21], v[20:21], v[22:23]
	v_fma_f64 v[22:23], -v[18:19], v[20:21], 1.0
	v_fmac_f64_e32 v[20:21], v[20:21], v[22:23]
	v_div_scale_f64 v[22:23], vcc, v[6:7], v[16:17], v[6:7]
	v_mul_f64 v[24:25], v[22:23], v[20:21]
	v_fma_f64 v[18:19], -v[18:19], v[24:25], v[22:23]
	s_addk_i32 s4, 0x300
	s_nop 0
	v_div_fmas_f64 v[18:19], v[18:19], v[20:21], v[24:25]
	v_div_fixup_f64 v[16:17], v[18:19], v[16:17], v[6:7]
	s_waitcnt lgkmcnt(0)
	v_fma_f64 v[12:13], -v[16:17], v[12:13], v[8:9]
	v_div_scale_f64 v[6:7], s[8:9], v[14:15], v[14:15], v[12:13]
	v_rcp_f64_e32 v[18:19], v[6:7]
	s_cmp_ge_i32 s5, s23
	v_fma_f64 v[8:9], -v[6:7], v[18:19], 1.0
	v_fmac_f64_e32 v[18:19], v[18:19], v[8:9]
	v_fma_f64 v[8:9], -v[6:7], v[18:19], 1.0
	v_fmac_f64_e32 v[18:19], v[18:19], v[8:9]
	v_div_scale_f64 v[8:9], vcc, v[12:13], v[14:15], v[12:13]
	v_mul_f64 v[20:21], v[8:9], v[18:19]
	v_fma_f64 v[22:23], -v[6:7], v[20:21], v[8:9]
	ds_read_b128 v[6:9], v11 offset:384
	s_nop 0
	v_div_fmas_f64 v[18:19], v[22:23], v[18:19], v[20:21]
	ds_read_b64 v[20:21], v11 offset:400
	v_div_fixup_f64 v[18:19], v[18:19], v[14:15], v[12:13]
	s_waitcnt lgkmcnt(1)
	v_fma_f64 v[2:3], -v[16:17], v[6:7], v[2:3]
	v_fma_f64 v[2:3], -v[18:19], v[8:9], v[2:3]
	s_waitcnt lgkmcnt(0)
	v_div_scale_f64 v[6:7], s[8:9], v[20:21], v[20:21], v[2:3]
	v_rcp_f64_e32 v[22:23], v[6:7]
	s_nop 0
	v_fma_f64 v[8:9], -v[6:7], v[22:23], 1.0
	v_fmac_f64_e32 v[22:23], v[22:23], v[8:9]
	v_fma_f64 v[8:9], -v[6:7], v[22:23], 1.0
	v_fmac_f64_e32 v[22:23], v[22:23], v[8:9]
	v_div_scale_f64 v[8:9], vcc, v[2:3], v[20:21], v[2:3]
	v_mul_f64 v[24:25], v[8:9], v[22:23]
	v_fma_f64 v[26:27], -v[6:7], v[24:25], v[8:9]
	ds_read_b128 v[6:9], v11 offset:576
	ds_read_b128 v[12:15], v11 offset:592
	v_div_fmas_f64 v[22:23], v[26:27], v[22:23], v[24:25]
	v_div_fixup_f64 v[2:3], v[22:23], v[20:21], v[2:3]
	ds_write2_b64 v10, v[16:17], v[18:19] offset1:24
	s_waitcnt lgkmcnt(2)
	v_fma_f64 v[4:5], -v[16:17], v[6:7], v[4:5]
	v_fma_f64 v[4:5], -v[18:19], v[8:9], v[4:5]
	s_waitcnt lgkmcnt(1)
	v_fma_f64 v[4:5], -v[2:3], v[12:13], v[4:5]
	v_div_scale_f64 v[6:7], s[8:9], v[14:15], v[14:15], v[4:5]
	v_rcp_f64_e32 v[8:9], v[6:7]
	s_nop 0
	v_fma_f64 v[12:13], -v[6:7], v[8:9], 1.0
	v_fmac_f64_e32 v[8:9], v[8:9], v[12:13]
	v_fma_f64 v[12:13], -v[6:7], v[8:9], 1.0
	v_fmac_f64_e32 v[8:9], v[8:9], v[12:13]
	v_div_scale_f64 v[12:13], vcc, v[4:5], v[14:15], v[4:5]
	v_mul_f64 v[16:17], v[12:13], v[8:9]
	v_fma_f64 v[6:7], -v[6:7], v[16:17], v[12:13]
	s_nop 1
	v_div_fmas_f64 v[6:7], v[6:7], v[8:9], v[16:17]
	v_div_fixup_f64 v[4:5], v[6:7], v[14:15], v[4:5]
	ds_write2_b64 v10, v[2:3], v[4:5] offset0:48 offset1:72
	s_cbranch_scc1 .LBB96_73
; %bb.72:                               ;   in Loop: Header=BB96_69 Depth=1
	s_mov_b32 s5, s7
	s_branch .LBB96_69
.LBB96_73:
	s_cmp_ge_i32 s7, s23
	s_cbranch_scc1 .LBB96_78
; %bb.74:
	v_mov_b32_e32 v2, 0x1200
	v_lshl_or_b32 v4, v0, 3, v2
	s_mul_i32 s4, s7, 0xc0
	s_branch .LBB96_76
.LBB96_75:                              ;   in Loop: Header=BB96_76 Depth=1
	s_mul_i32 s5, s7, 0xc8
	v_mov_b32_e32 v6, s5
	ds_read_b64 v[6:7], v6
	s_add_i32 s7, s7, 1
	s_addk_i32 s4, 0xc0
	s_cmp_ge_i32 s7, s23
	s_waitcnt lgkmcnt(0)
	v_div_scale_f64 v[8:9], s[8:9], v[6:7], v[6:7], v[2:3]
	v_rcp_f64_e32 v[10:11], v[8:9]
	v_div_scale_f64 v[12:13], vcc, v[2:3], v[6:7], v[2:3]
	v_fma_f64 v[14:15], -v[8:9], v[10:11], 1.0
	v_fmac_f64_e32 v[10:11], v[10:11], v[14:15]
	v_fma_f64 v[14:15], -v[8:9], v[10:11], 1.0
	v_fmac_f64_e32 v[10:11], v[10:11], v[14:15]
	v_mul_f64 v[14:15], v[12:13], v[10:11]
	v_fma_f64 v[8:9], -v[8:9], v[14:15], v[12:13]
	v_div_fmas_f64 v[8:9], v[8:9], v[10:11], v[14:15]
	v_div_fixup_f64 v[2:3], v[8:9], v[6:7], v[2:3]
	ds_write_b64 v5, v[2:3]
	s_cbranch_scc1 .LBB96_78
.LBB96_76:                              ; =>This Loop Header: Depth=1
                                        ;     Child Loop BB96_77 Depth 2
	s_mul_i32 s5, s7, 0xc0
	v_add_u32_e32 v5, s5, v1
	ds_read_b64 v[2:3], v5
	s_cmp_eq_u32 s7, 0
	s_mov_b32 s5, s4
	v_mov_b32_e32 v6, v4
	s_mov_b32 s8, s7
	s_cbranch_scc1 .LBB96_75
.LBB96_77:                              ;   Parent Loop BB96_76 Depth=1
                                        ; =>  This Inner Loop Header: Depth=2
	v_mov_b32_e32 v7, s5
	ds_read_b64 v[8:9], v6
	ds_read_b64 v[10:11], v7
	s_add_i32 s8, s8, -1
	s_add_i32 s5, s5, 8
	v_add_u32_e32 v6, 0xc0, v6
	s_cmp_eq_u32 s8, 0
	s_waitcnt lgkmcnt(0)
	v_fma_f64 v[2:3], -v[8:9], v[10:11], v[2:3]
	s_cbranch_scc0 .LBB96_77
	s_branch .LBB96_75
.LBB96_78:
	s_and_saveexec_b64 s[4:5], s[0:1]
	s_cbranch_execz .LBB96_82
; %bb.79:
	s_cmp_lt_i32 s22, 1
	s_cbranch_scc1 .LBB96_82
; %bb.80:
	s_ashr_i32 s7, s6, 31
	v_lshlrev_b32_e32 v2, 3, v0
	v_mov_b32_e32 v3, 0
	v_lshl_add_u64 v[0:1], s[2:3], 0, v[2:3]
	s_lshl_b64 s[0:1], s[6:7], 3
	v_or_b32_e32 v2, 0x1200, v2
.LBB96_81:                              ; =>This Inner Loop Header: Depth=1
	ds_read_b64 v[4:5], v2
	s_add_i32 s22, s22, -1
	v_add_u32_e32 v2, 0xc0, v2
	s_cmp_lg_u32 s22, 0
	s_waitcnt lgkmcnt(0)
	flat_store_dwordx2 v[0:1], v[4:5]
	v_lshl_add_u64 v[0:1], v[0:1], 0, s[0:1]
	s_cbranch_scc1 .LBB96_81
.LBB96_82:
	s_endpgm
	.section	.rodata,"a",@progbits
	.p2align	6, 0x0
	.amdhsa_kernel _ZL31rocblas_trsm_small_right_deviceIddPKPKdPKPdLi24EEv13rocblas_fill_18rocblas_operation_17rocblas_diagonal_iiT0_T1_lilT2_lili
		.amdhsa_group_segment_fixed_size 9216
		.amdhsa_private_segment_fixed_size 0
		.amdhsa_kernarg_size 360
		.amdhsa_user_sgpr_count 2
		.amdhsa_user_sgpr_dispatch_ptr 0
		.amdhsa_user_sgpr_queue_ptr 0
		.amdhsa_user_sgpr_kernarg_segment_ptr 1
		.amdhsa_user_sgpr_dispatch_id 0
		.amdhsa_user_sgpr_kernarg_preload_length 0
		.amdhsa_user_sgpr_kernarg_preload_offset 0
		.amdhsa_user_sgpr_private_segment_size 0
		.amdhsa_uses_dynamic_stack 0
		.amdhsa_enable_private_segment 0
		.amdhsa_system_sgpr_workgroup_id_x 1
		.amdhsa_system_sgpr_workgroup_id_y 0
		.amdhsa_system_sgpr_workgroup_id_z 1
		.amdhsa_system_sgpr_workgroup_info 0
		.amdhsa_system_vgpr_workitem_id 0
		.amdhsa_next_free_vgpr 81
		.amdhsa_next_free_sgpr 96
		.amdhsa_accum_offset 40
		.amdhsa_reserve_vcc 1
		.amdhsa_float_round_mode_32 0
		.amdhsa_float_round_mode_16_64 0
		.amdhsa_float_denorm_mode_32 3
		.amdhsa_float_denorm_mode_16_64 3
		.amdhsa_dx10_clamp 1
		.amdhsa_ieee_mode 1
		.amdhsa_fp16_overflow 0
		.amdhsa_tg_split 0
		.amdhsa_exception_fp_ieee_invalid_op 0
		.amdhsa_exception_fp_denorm_src 0
		.amdhsa_exception_fp_ieee_div_zero 0
		.amdhsa_exception_fp_ieee_overflow 0
		.amdhsa_exception_fp_ieee_underflow 0
		.amdhsa_exception_fp_ieee_inexact 0
		.amdhsa_exception_int_div_zero 0
	.end_amdhsa_kernel
	.section	.text._ZL31rocblas_trsm_small_right_deviceIddPKPKdPKPdLi24EEv13rocblas_fill_18rocblas_operation_17rocblas_diagonal_iiT0_T1_lilT2_lili,"axG",@progbits,_ZL31rocblas_trsm_small_right_deviceIddPKPKdPKPdLi24EEv13rocblas_fill_18rocblas_operation_17rocblas_diagonal_iiT0_T1_lilT2_lili,comdat
.Lfunc_end96:
	.size	_ZL31rocblas_trsm_small_right_deviceIddPKPKdPKPdLi24EEv13rocblas_fill_18rocblas_operation_17rocblas_diagonal_iiT0_T1_lilT2_lili, .Lfunc_end96-_ZL31rocblas_trsm_small_right_deviceIddPKPKdPKPdLi24EEv13rocblas_fill_18rocblas_operation_17rocblas_diagonal_iiT0_T1_lilT2_lili
                                        ; -- End function
	.set _ZL31rocblas_trsm_small_right_deviceIddPKPKdPKPdLi24EEv13rocblas_fill_18rocblas_operation_17rocblas_diagonal_iiT0_T1_lilT2_lili.num_vgpr, 38
	.set _ZL31rocblas_trsm_small_right_deviceIddPKPKdPKPdLi24EEv13rocblas_fill_18rocblas_operation_17rocblas_diagonal_iiT0_T1_lilT2_lili.num_agpr, 0
	.set _ZL31rocblas_trsm_small_right_deviceIddPKPKdPKPdLi24EEv13rocblas_fill_18rocblas_operation_17rocblas_diagonal_iiT0_T1_lilT2_lili.numbered_sgpr, 26
	.set _ZL31rocblas_trsm_small_right_deviceIddPKPKdPKPdLi24EEv13rocblas_fill_18rocblas_operation_17rocblas_diagonal_iiT0_T1_lilT2_lili.num_named_barrier, 0
	.set _ZL31rocblas_trsm_small_right_deviceIddPKPKdPKPdLi24EEv13rocblas_fill_18rocblas_operation_17rocblas_diagonal_iiT0_T1_lilT2_lili.private_seg_size, 0
	.set _ZL31rocblas_trsm_small_right_deviceIddPKPKdPKPdLi24EEv13rocblas_fill_18rocblas_operation_17rocblas_diagonal_iiT0_T1_lilT2_lili.uses_vcc, 1
	.set _ZL31rocblas_trsm_small_right_deviceIddPKPKdPKPdLi24EEv13rocblas_fill_18rocblas_operation_17rocblas_diagonal_iiT0_T1_lilT2_lili.uses_flat_scratch, 0
	.set _ZL31rocblas_trsm_small_right_deviceIddPKPKdPKPdLi24EEv13rocblas_fill_18rocblas_operation_17rocblas_diagonal_iiT0_T1_lilT2_lili.has_dyn_sized_stack, 0
	.set _ZL31rocblas_trsm_small_right_deviceIddPKPKdPKPdLi24EEv13rocblas_fill_18rocblas_operation_17rocblas_diagonal_iiT0_T1_lilT2_lili.has_recursion, 0
	.set _ZL31rocblas_trsm_small_right_deviceIddPKPKdPKPdLi24EEv13rocblas_fill_18rocblas_operation_17rocblas_diagonal_iiT0_T1_lilT2_lili.has_indirect_call, 0
	.section	.AMDGPU.csdata,"",@progbits
; Kernel info:
; codeLenInByte = 5736
; TotalNumSgprs: 32
; NumVgprs: 38
; NumAgprs: 0
; TotalNumVgprs: 38
; ScratchSize: 0
; MemoryBound: 0
; FloatMode: 240
; IeeeMode: 1
; LDSByteSize: 9216 bytes/workgroup (compile time only)
; SGPRBlocks: 12
; VGPRBlocks: 10
; NumSGPRsForWavesPerEU: 102
; NumVGPRsForWavesPerEU: 81
; AccumOffset: 40
; Occupancy: 5
; WaveLimiterHint : 0
; COMPUTE_PGM_RSRC2:SCRATCH_EN: 0
; COMPUTE_PGM_RSRC2:USER_SGPR: 2
; COMPUTE_PGM_RSRC2:TRAP_HANDLER: 0
; COMPUTE_PGM_RSRC2:TGID_X_EN: 1
; COMPUTE_PGM_RSRC2:TGID_Y_EN: 0
; COMPUTE_PGM_RSRC2:TGID_Z_EN: 1
; COMPUTE_PGM_RSRC2:TIDIG_COMP_CNT: 0
; COMPUTE_PGM_RSRC3_GFX90A:ACCUM_OFFSET: 9
; COMPUTE_PGM_RSRC3_GFX90A:TG_SPLIT: 0
	.section	.text._ZL38rocblas_trsm_small_left_device_sharedBILi28ELi28ELb0EddPKPKdPKPdEv13rocblas_fill_18rocblas_operation_17rocblas_diagonal_iiT3_T4_lilT5_lili,"axG",@progbits,_ZL38rocblas_trsm_small_left_device_sharedBILi28ELi28ELb0EddPKPKdPKPdEv13rocblas_fill_18rocblas_operation_17rocblas_diagonal_iiT3_T4_lilT5_lili,comdat
	.globl	_ZL38rocblas_trsm_small_left_device_sharedBILi28ELi28ELb0EddPKPKdPKPdEv13rocblas_fill_18rocblas_operation_17rocblas_diagonal_iiT3_T4_lilT5_lili ; -- Begin function _ZL38rocblas_trsm_small_left_device_sharedBILi28ELi28ELb0EddPKPKdPKPdEv13rocblas_fill_18rocblas_operation_17rocblas_diagonal_iiT3_T4_lilT5_lili
	.p2align	8
	.type	_ZL38rocblas_trsm_small_left_device_sharedBILi28ELi28ELb0EddPKPKdPKPdEv13rocblas_fill_18rocblas_operation_17rocblas_diagonal_iiT3_T4_lilT5_lili,@function
_ZL38rocblas_trsm_small_left_device_sharedBILi28ELi28ELb0EddPKPKdPKPdEv13rocblas_fill_18rocblas_operation_17rocblas_diagonal_iiT3_T4_lilT5_lili: ; @_ZL38rocblas_trsm_small_left_device_sharedBILi28ELi28ELb0EddPKPKdPKPdEv13rocblas_fill_18rocblas_operation_17rocblas_diagonal_iiT3_T4_lilT5_lili
; %bb.0:
	s_load_dwordx2 s[18:19], s[0:1], 0x28
	s_load_dwordx4 s[12:15], s[0:1], 0x40
	s_load_dwordx4 s[4:7], s[0:1], 0x4
	s_load_dwordx4 s[8:11], s[0:1], 0x18
	s_mov_b32 s16, s3
	s_mov_b32 s17, 0
	s_lshl_b64 s[20:21], s[16:17], 3
	s_waitcnt lgkmcnt(0)
	s_add_u32 s12, s12, s20
	s_addc_u32 s13, s13, s21
	s_load_dwordx2 s[12:13], s[12:13], 0x0
	s_min_i32 s22, s6, 28
	v_cmp_gt_i32_e32 vcc, s22, v0
	s_and_saveexec_b64 s[16:17], vcc
	s_cbranch_execz .LBB97_6
; %bb.1:
	s_load_dword s24, s[0:1], 0x30
	v_lshlrev_b32_e32 v2, 3, v0
	v_mov_b32_e32 v3, 0
	v_mov_b32_e32 v1, v2
	s_mov_b32 s3, s22
	s_waitcnt lgkmcnt(0)
	s_ashr_i32 s25, s24, 31
	s_add_u32 s10, s10, s20
	s_addc_u32 s11, s11, s21
	s_load_dwordx2 s[10:11], s[10:11], 0x0
	s_lshl_b64 s[18:19], s[18:19], 3
	s_waitcnt lgkmcnt(0)
	s_add_u32 s18, s10, s18
	s_addc_u32 s19, s11, s19
	s_lshl_b64 s[10:11], s[24:25], 3
	v_lshl_add_u64 v[4:5], s[18:19], 0, v[2:3]
.LBB97_2:                               ; =>This Inner Loop Header: Depth=1
	flat_load_dwordx2 v[6:7], v[4:5]
	s_add_i32 s3, s3, -1
	v_lshl_add_u64 v[4:5], v[4:5], 0, s[10:11]
	s_cmp_eq_u32 s3, 0
	s_waitcnt vmcnt(0) lgkmcnt(0)
	ds_write_b64 v1, v[6:7]
	v_add_u32_e32 v1, 0xe0, v1
	s_cbranch_scc0 .LBB97_2
; %bb.3:
	v_mul_u32_u24_e32 v1, 0xe0, v0
	s_cmpk_lg_i32 s5, 0x84
	v_mov_b64_e32 v[4:5], 1.0
	v_add_u32_e32 v1, v2, v1
	s_cbranch_scc0 .LBB97_5
; %bb.4:
	ds_read_b64 v[2:3], v1
	s_waitcnt lgkmcnt(0)
	v_div_scale_f64 v[4:5], s[10:11], v[2:3], v[2:3], 1.0
	v_rcp_f64_e32 v[6:7], v[4:5]
	v_div_scale_f64 v[8:9], vcc, 1.0, v[2:3], 1.0
	v_fma_f64 v[10:11], -v[4:5], v[6:7], 1.0
	v_fmac_f64_e32 v[6:7], v[6:7], v[10:11]
	v_fma_f64 v[10:11], -v[4:5], v[6:7], 1.0
	v_fmac_f64_e32 v[6:7], v[6:7], v[10:11]
	v_mul_f64 v[10:11], v[8:9], v[6:7]
	v_fma_f64 v[4:5], -v[4:5], v[10:11], v[8:9]
	v_div_fmas_f64 v[4:5], v[4:5], v[6:7], v[10:11]
	v_div_fixup_f64 v[4:5], v[4:5], v[2:3], 1.0
.LBB97_5:
	ds_write_b64 v1, v[4:5]
.LBB97_6:
	s_or_b64 exec, exec, s[16:17]
	s_load_dword s3, s[0:1], 0x68
	s_load_dword s16, s[0:1], 0x50
	s_lshl_b64 s[0:1], s[14:15], 3
	s_waitcnt lgkmcnt(0)
	s_add_u32 s5, s12, s0
	s_mul_i32 s0, s2, 0xffffffe4
	s_addc_u32 s10, s13, s1
	s_add_i32 s3, s3, -1
	s_add_i32 s0, s7, s0
	s_cmp_ge_u32 s2, s3
	s_mul_i32 s2, s2, 28
	s_cselect_b32 s7, s0, 28
	s_mul_hi_i32 s1, s16, s2
	s_mul_i32 s0, s16, s2
	s_lshl_b64 s[0:1], s[0:1], 3
	s_add_u32 s2, s5, s0
	s_addc_u32 s3, s10, s1
	s_cmp_gt_i32 s6, 0
	v_cmp_gt_i32_e64 s[0:1], s7, v0
	s_cselect_b64 s[10:11], -1, 0
	s_and_b64 s[14:15], s[0:1], s[10:11]
	s_and_saveexec_b64 s[12:13], s[14:15]
	s_cbranch_execz .LBB97_9
; %bb.7:
	v_mad_i64_i32 v[2:3], s[14:15], s16, v0, 0
	v_mov_b32_e32 v1, 0x1880
	v_lshl_add_u64 v[2:3], v[2:3], 3, s[2:3]
	v_lshl_add_u32 v1, v0, 3, v1
	s_mov_b32 s5, s22
.LBB97_8:                               ; =>This Inner Loop Header: Depth=1
	flat_load_dwordx2 v[4:5], v[2:3]
	s_add_i32 s5, s5, -1
	v_lshl_add_u64 v[2:3], v[2:3], 0, 8
	s_cmp_lg_u32 s5, 0
	s_waitcnt vmcnt(0) lgkmcnt(0)
	v_mul_f64 v[4:5], s[8:9], v[4:5]
	ds_write_b64 v1, v[4:5]
	v_add_u32_e32 v1, 0xe0, v1
	s_cbranch_scc1 .LBB97_8
.LBB97_9:
	s_or_b64 exec, exec, s[12:13]
	v_mov_b32_e32 v1, 0x1880
	s_cmpk_eq_i32 s4, 0x6f
	v_lshl_add_u32 v1, v0, 3, v1
	s_mov_b64 s[4:5], -1
	s_waitcnt lgkmcnt(0)
	; wave barrier
	s_cbranch_scc1 .LBB97_24
; %bb.10:
	s_cmp_gt_i32 s6, 27
	s_cselect_b64 s[4:5], -1, 0
	s_mov_b32 s8, 0
	s_and_b64 vcc, exec, s[4:5]
	s_cbranch_vccz .LBB97_12
; %bb.11:
	v_add_u32_e32 v61, 0x800, v1
	v_add_u32_e32 v60, 0xc00, v1
	;; [unrolled: 1-line block ×3, first 2 shown]
	v_mov_b32_e32 v59, 0
	ds_read2_b64 v[38:41], v1 offset1:28
	ds_read2_b64 v[42:45], v1 offset0:56 offset1:84
	ds_read2_b64 v[46:49], v1 offset0:112 offset1:140
	ds_read2_b64 v[50:53], v1 offset0:168 offset1:196
	ds_read2_b64 v[54:57], v1 offset0:224 offset1:252
	ds_read2_b64 v[34:37], v61 offset0:24 offset1:52
	ds_read2_b64 v[30:33], v61 offset0:80 offset1:108
	ds_read2_b64 v[26:29], v61 offset0:136 offset1:164
	ds_read2_b64 v[22:25], v61 offset0:192 offset1:220
	ds_read2_b64 v[18:21], v60 offset0:120 offset1:148
	ds_read2_b64 v[14:17], v58 offset0:48 offset1:76
	ds_read2_b64 v[62:65], v59 offset1:58
	ds_read2_b64 v[10:13], v58 offset0:104 offset1:132
	ds_read_b128 v[66:69], v59 offset:224
	ds_read2_b64 v[6:9], v58 offset0:160 offset1:188
	ds_read2_b64 v[2:5], v58 offset0:216 offset1:244
	ds_read_b128 v[70:73], v59 offset:448
	s_waitcnt lgkmcnt(5)
	v_mul_f64 v[38:39], v[62:63], v[38:39]
	s_waitcnt lgkmcnt(3)
	v_fma_f64 v[40:41], -v[38:39], v[66:67], v[40:41]
	v_mul_f64 v[40:41], v[68:69], v[40:41]
	ds_read_b128 v[66:69], v59 offset:672
	s_waitcnt lgkmcnt(1)
	v_fma_f64 v[42:43], -v[38:39], v[70:71], v[42:43]
	v_fma_f64 v[42:43], -v[40:41], v[72:73], v[42:43]
	ds_read_b128 v[70:73], v59 offset:688
	v_mul_f64 v[42:43], v[64:65], v[42:43]
	ds_read_b128 v[62:65], v59 offset:896
	s_waitcnt lgkmcnt(2)
	v_fma_f64 v[44:45], -v[38:39], v[66:67], v[44:45]
	v_fma_f64 v[44:45], -v[40:41], v[68:69], v[44:45]
	ds_read_b128 v[66:69], v59 offset:912
	s_waitcnt lgkmcnt(2)
	v_fma_f64 v[44:45], -v[42:43], v[70:71], v[44:45]
	v_mul_f64 v[44:45], v[72:73], v[44:45]
	ds_write2_b64 v1, v[38:39], v[40:41] offset1:28
	ds_write2_b64 v1, v[42:43], v[44:45] offset0:56 offset1:84
	s_waitcnt lgkmcnt(3)
	v_fma_f64 v[46:47], -v[38:39], v[62:63], v[46:47]
	v_fma_f64 v[46:47], -v[40:41], v[64:65], v[46:47]
	ds_read2_b64 v[62:65], v59 offset0:116 offset1:174
	ds_read_b128 v[70:73], v59 offset:1120
	s_waitcnt lgkmcnt(4)
	v_fma_f64 v[46:47], -v[42:43], v[66:67], v[46:47]
	v_fma_f64 v[46:47], -v[44:45], v[68:69], v[46:47]
	ds_read_b128 v[66:69], v59 offset:1136
	ds_read_b128 v[74:77], v59 offset:1152
	s_waitcnt lgkmcnt(2)
	v_fma_f64 v[48:49], -v[38:39], v[70:71], v[48:49]
	v_fma_f64 v[48:49], -v[40:41], v[72:73], v[48:49]
	v_mul_f64 v[46:47], v[62:63], v[46:47]
	s_waitcnt lgkmcnt(1)
	v_fma_f64 v[48:49], -v[42:43], v[66:67], v[48:49]
	v_fma_f64 v[48:49], -v[44:45], v[68:69], v[48:49]
	ds_read_b128 v[66:69], v59 offset:1344
	ds_read_b128 v[70:73], v59 offset:1360
	s_waitcnt lgkmcnt(2)
	v_fma_f64 v[48:49], -v[46:47], v[74:75], v[48:49]
	v_mul_f64 v[48:49], v[76:77], v[48:49]
	ds_read_b128 v[74:77], v59 offset:1376
	s_waitcnt lgkmcnt(2)
	v_fma_f64 v[50:51], -v[38:39], v[66:67], v[50:51]
	v_fma_f64 v[50:51], -v[40:41], v[68:69], v[50:51]
	s_waitcnt lgkmcnt(1)
	v_fma_f64 v[50:51], -v[42:43], v[70:71], v[50:51]
	ds_read_b128 v[66:69], v59 offset:1568
	v_fma_f64 v[50:51], -v[44:45], v[72:73], v[50:51]
	s_waitcnt lgkmcnt(1)
	v_fma_f64 v[50:51], -v[46:47], v[74:75], v[50:51]
	ds_read_b128 v[70:73], v59 offset:1584
	v_fma_f64 v[50:51], -v[48:49], v[76:77], v[50:51]
	v_mul_f64 v[50:51], v[64:65], v[50:51]
	ds_read_b128 v[62:65], v59 offset:1600
	s_waitcnt lgkmcnt(2)
	v_fma_f64 v[52:53], -v[38:39], v[66:67], v[52:53]
	v_fma_f64 v[52:53], -v[40:41], v[68:69], v[52:53]
	ds_read_b128 v[66:69], v59 offset:1616
	s_waitcnt lgkmcnt(2)
	v_fma_f64 v[52:53], -v[42:43], v[70:71], v[52:53]
	v_fma_f64 v[52:53], -v[44:45], v[72:73], v[52:53]
	s_waitcnt lgkmcnt(1)
	v_fma_f64 v[52:53], -v[46:47], v[62:63], v[52:53]
	v_fma_f64 v[52:53], -v[48:49], v[64:65], v[52:53]
	ds_read_b128 v[62:65], v59 offset:1792
	s_waitcnt lgkmcnt(1)
	v_fma_f64 v[52:53], -v[50:51], v[66:67], v[52:53]
	v_mul_f64 v[52:53], v[68:69], v[52:53]
	ds_read_b128 v[66:69], v59 offset:1808
	ds_read_b128 v[70:73], v59 offset:1824
	s_waitcnt lgkmcnt(2)
	v_fma_f64 v[54:55], -v[38:39], v[62:63], v[54:55]
	v_fma_f64 v[54:55], -v[40:41], v[64:65], v[54:55]
	ds_read_b128 v[62:65], v59 offset:1840
	s_waitcnt lgkmcnt(2)
	v_fma_f64 v[54:55], -v[42:43], v[66:67], v[54:55]
	v_fma_f64 v[54:55], -v[44:45], v[68:69], v[54:55]
	s_movk_i32 s12, 0x400
	ds_write2_b64 v1, v[46:47], v[48:49] offset0:112 offset1:140
	ds_write2_b64 v1, v[50:51], v[52:53] offset0:168 offset1:196
	s_waitcnt lgkmcnt(3)
	v_fma_f64 v[54:55], -v[46:47], v[70:71], v[54:55]
	v_add_u32_e64 v66, s12, 0
	v_fma_f64 v[54:55], -v[48:49], v[72:73], v[54:55]
	ds_read2_b64 v[66:69], v66 offset0:104 offset1:162
	ds_read_b128 v[70:73], v59 offset:2016
	s_waitcnt lgkmcnt(4)
	v_fma_f64 v[54:55], -v[50:51], v[62:63], v[54:55]
	v_fma_f64 v[54:55], -v[52:53], v[64:65], v[54:55]
	ds_read_b128 v[62:65], v59 offset:2032
	ds_read_b128 v[74:77], v59 offset:2048
	s_waitcnt lgkmcnt(2)
	v_fma_f64 v[56:57], -v[38:39], v[70:71], v[56:57]
	v_fma_f64 v[56:57], -v[40:41], v[72:73], v[56:57]
	ds_read_b128 v[70:73], v59 offset:2064
	s_waitcnt lgkmcnt(2)
	v_fma_f64 v[56:57], -v[42:43], v[62:63], v[56:57]
	v_fma_f64 v[56:57], -v[44:45], v[64:65], v[56:57]
	;; [unrolled: 4-line block ×3, first 2 shown]
	s_waitcnt lgkmcnt(1)
	v_fma_f64 v[56:57], -v[50:51], v[70:71], v[56:57]
	v_mul_f64 v[54:55], v[66:67], v[54:55]
	v_fma_f64 v[56:57], -v[52:53], v[72:73], v[56:57]
	ds_read_b128 v[70:73], v59 offset:2240
	s_waitcnt lgkmcnt(1)
	v_fma_f64 v[56:57], -v[54:55], v[62:63], v[56:57]
	v_mul_f64 v[56:57], v[64:65], v[56:57]
	ds_write2_b64 v1, v[54:55], v[56:57] offset0:224 offset1:252
	ds_read_b128 v[62:65], v59 offset:2256
	ds_read_b128 v[74:77], v59 offset:2272
	;; [unrolled: 1-line block ×3, first 2 shown]
	s_waitcnt lgkmcnt(4)
	v_fma_f64 v[34:35], -v[38:39], v[70:71], v[34:35]
	v_fma_f64 v[34:35], -v[40:41], v[72:73], v[34:35]
	s_waitcnt lgkmcnt(2)
	v_fma_f64 v[34:35], -v[42:43], v[62:63], v[34:35]
	v_fma_f64 v[34:35], -v[44:45], v[64:65], v[34:35]
	ds_read_b128 v[62:65], v59 offset:2304
	ds_read_b128 v[70:73], v59 offset:2464
	s_waitcnt lgkmcnt(3)
	v_fma_f64 v[34:35], -v[46:47], v[74:75], v[34:35]
	v_fma_f64 v[34:35], -v[48:49], v[76:77], v[34:35]
	s_waitcnt lgkmcnt(2)
	v_fma_f64 v[34:35], -v[50:51], v[78:79], v[34:35]
	v_fma_f64 v[34:35], -v[52:53], v[80:81], v[34:35]
	;; [unrolled: 3-line block ×3, first 2 shown]
	ds_read_b128 v[62:65], v59 offset:2480
	v_mul_f64 v[34:35], v[68:69], v[34:35]
	ds_read_b128 v[66:69], v59 offset:2496
	s_waitcnt lgkmcnt(2)
	v_fma_f64 v[36:37], -v[38:39], v[70:71], v[36:37]
	v_fma_f64 v[36:37], -v[40:41], v[72:73], v[36:37]
	ds_read_b128 v[70:73], v59 offset:2512
	s_waitcnt lgkmcnt(2)
	v_fma_f64 v[36:37], -v[42:43], v[62:63], v[36:37]
	v_fma_f64 v[36:37], -v[44:45], v[64:65], v[36:37]
	;; [unrolled: 4-line block ×4, first 2 shown]
	s_waitcnt lgkmcnt(1)
	v_fma_f64 v[36:37], -v[54:55], v[62:63], v[36:37]
	v_fma_f64 v[36:37], -v[56:57], v[64:65], v[36:37]
	ds_read_b128 v[62:65], v59 offset:2688
	s_waitcnt lgkmcnt(1)
	v_fma_f64 v[36:37], -v[34:35], v[66:67], v[36:37]
	v_mul_f64 v[36:37], v[68:69], v[36:37]
	ds_read_b128 v[66:69], v59 offset:2704
	ds_read_b128 v[70:73], v59 offset:2720
	s_waitcnt lgkmcnt(2)
	v_fma_f64 v[30:31], -v[38:39], v[62:63], v[30:31]
	v_fma_f64 v[30:31], -v[40:41], v[64:65], v[30:31]
	ds_read_b128 v[62:65], v59 offset:2736
	s_waitcnt lgkmcnt(2)
	v_fma_f64 v[30:31], -v[42:43], v[66:67], v[30:31]
	v_fma_f64 v[30:31], -v[44:45], v[68:69], v[30:31]
	s_waitcnt lgkmcnt(1)
	v_fma_f64 v[30:31], -v[46:47], v[70:71], v[30:31]
	ds_read_b128 v[66:69], v59 offset:2752
	v_fma_f64 v[30:31], -v[48:49], v[72:73], v[30:31]
	s_waitcnt lgkmcnt(1)
	v_fma_f64 v[30:31], -v[50:51], v[62:63], v[30:31]
	v_fma_f64 v[30:31], -v[52:53], v[64:65], v[30:31]
	ds_read_b128 v[62:65], v59 offset:2768
	s_waitcnt lgkmcnt(1)
	v_fma_f64 v[30:31], -v[54:55], v[66:67], v[30:31]
	v_fma_f64 v[30:31], -v[56:57], v[68:69], v[30:31]
	s_movk_i32 s9, 0x800
	ds_write2_b64 v61, v[34:35], v[36:37] offset0:24 offset1:52
	s_waitcnt lgkmcnt(1)
	v_fma_f64 v[30:31], -v[34:35], v[62:63], v[30:31]
	v_fma_f64 v[30:31], -v[36:37], v[64:65], v[30:31]
	ds_read_b128 v[62:65], v59 offset:2912
	v_add_u32_e64 v66, s9, 0
	ds_read2_b64 v[70:73], v66 offset0:92 offset1:150
	ds_read_b128 v[66:69], v59 offset:2928
	ds_read_b128 v[74:77], v59 offset:2944
	ds_read_b128 v[78:81], v59 offset:2960
	s_movk_i32 s8, 0xc00
	s_waitcnt lgkmcnt(4)
	v_fma_f64 v[32:33], -v[38:39], v[62:63], v[32:33]
	v_fma_f64 v[32:33], -v[40:41], v[64:65], v[32:33]
	s_waitcnt lgkmcnt(2)
	v_fma_f64 v[32:33], -v[42:43], v[66:67], v[32:33]
	v_fma_f64 v[32:33], -v[44:45], v[68:69], v[32:33]
	ds_read_b128 v[62:65], v59 offset:2976
	ds_read_b128 v[66:69], v59 offset:2992
	s_waitcnt lgkmcnt(3)
	v_fma_f64 v[32:33], -v[46:47], v[74:75], v[32:33]
	v_fma_f64 v[32:33], -v[48:49], v[76:77], v[32:33]
	s_waitcnt lgkmcnt(2)
	v_fma_f64 v[32:33], -v[50:51], v[78:79], v[32:33]
	v_fma_f64 v[32:33], -v[52:53], v[80:81], v[32:33]
	ds_read_b128 v[74:77], v59 offset:3008
	s_waitcnt lgkmcnt(2)
	v_fma_f64 v[32:33], -v[54:55], v[62:63], v[32:33]
	v_fma_f64 v[32:33], -v[56:57], v[64:65], v[32:33]
	ds_read_b128 v[62:65], v59 offset:3136
	s_waitcnt lgkmcnt(2)
	v_fma_f64 v[32:33], -v[34:35], v[66:67], v[32:33]
	v_mul_f64 v[30:31], v[70:71], v[30:31]
	v_fma_f64 v[32:33], -v[36:37], v[68:69], v[32:33]
	ds_read_b128 v[66:69], v59 offset:3152
	s_waitcnt lgkmcnt(2)
	v_fma_f64 v[32:33], -v[30:31], v[74:75], v[32:33]
	v_mul_f64 v[32:33], v[76:77], v[32:33]
	ds_read_b128 v[74:77], v59 offset:3168
	s_waitcnt lgkmcnt(2)
	v_fma_f64 v[26:27], -v[38:39], v[62:63], v[26:27]
	v_fma_f64 v[26:27], -v[40:41], v[64:65], v[26:27]
	ds_read_b128 v[62:65], v59 offset:3184
	s_waitcnt lgkmcnt(2)
	v_fma_f64 v[26:27], -v[42:43], v[66:67], v[26:27]
	v_fma_f64 v[26:27], -v[44:45], v[68:69], v[26:27]
	ds_read_b128 v[66:69], v59 offset:3200
	s_waitcnt lgkmcnt(2)
	v_fma_f64 v[26:27], -v[46:47], v[74:75], v[26:27]
	v_fma_f64 v[26:27], -v[48:49], v[76:77], v[26:27]
	ds_read_b128 v[74:77], v59 offset:3216
	s_waitcnt lgkmcnt(2)
	v_fma_f64 v[26:27], -v[50:51], v[62:63], v[26:27]
	v_fma_f64 v[26:27], -v[52:53], v[64:65], v[26:27]
	ds_read_b128 v[62:65], v59 offset:3232
	s_waitcnt lgkmcnt(2)
	v_fma_f64 v[26:27], -v[54:55], v[66:67], v[26:27]
	v_fma_f64 v[26:27], -v[56:57], v[68:69], v[26:27]
	s_waitcnt lgkmcnt(1)
	v_fma_f64 v[26:27], -v[34:35], v[74:75], v[26:27]
	v_fma_f64 v[26:27], -v[36:37], v[76:77], v[26:27]
	s_waitcnt lgkmcnt(0)
	v_fma_f64 v[26:27], -v[30:31], v[62:63], v[26:27]
	v_fma_f64 v[26:27], -v[32:33], v[64:65], v[26:27]
	ds_read_b128 v[62:65], v59 offset:3360
	ds_write2_b64 v61, v[30:31], v[32:33] offset0:80 offset1:108
	v_mul_f64 v[26:27], v[72:73], v[26:27]
	ds_read_b128 v[66:69], v59 offset:3376
	ds_read_b128 v[70:73], v59 offset:3392
	;; [unrolled: 1-line block ×3, first 2 shown]
	s_movk_i32 s7, 0x1000
	s_waitcnt lgkmcnt(4)
	v_fma_f64 v[28:29], -v[38:39], v[62:63], v[28:29]
	v_fma_f64 v[28:29], -v[40:41], v[64:65], v[28:29]
	s_waitcnt lgkmcnt(2)
	v_fma_f64 v[28:29], -v[42:43], v[66:67], v[28:29]
	v_fma_f64 v[28:29], -v[44:45], v[68:69], v[28:29]
	ds_read_b128 v[62:65], v59 offset:3424
	ds_read_b128 v[66:69], v59 offset:3440
	s_waitcnt lgkmcnt(3)
	v_fma_f64 v[28:29], -v[46:47], v[70:71], v[28:29]
	v_fma_f64 v[28:29], -v[48:49], v[72:73], v[28:29]
	s_waitcnt lgkmcnt(2)
	v_fma_f64 v[28:29], -v[50:51], v[74:75], v[28:29]
	v_fma_f64 v[28:29], -v[52:53], v[76:77], v[28:29]
	ds_read_b128 v[70:73], v59 offset:3456
	s_waitcnt lgkmcnt(2)
	v_fma_f64 v[28:29], -v[54:55], v[62:63], v[28:29]
	v_fma_f64 v[28:29], -v[56:57], v[64:65], v[28:29]
	ds_read_b128 v[62:65], v59 offset:3472
	s_waitcnt lgkmcnt(2)
	v_fma_f64 v[28:29], -v[34:35], v[66:67], v[28:29]
	v_fma_f64 v[28:29], -v[36:37], v[68:69], v[28:29]
	s_waitcnt lgkmcnt(1)
	v_fma_f64 v[28:29], -v[30:31], v[70:71], v[28:29]
	v_fma_f64 v[28:29], -v[32:33], v[72:73], v[28:29]
	ds_read_b128 v[66:69], v59 offset:3584
	s_waitcnt lgkmcnt(1)
	v_fma_f64 v[28:29], -v[26:27], v[62:63], v[28:29]
	v_mul_f64 v[28:29], v[64:65], v[28:29]
	ds_read_b128 v[62:65], v59 offset:3600
	ds_read_b128 v[70:73], v59 offset:3616
	s_waitcnt lgkmcnt(2)
	v_fma_f64 v[22:23], -v[38:39], v[66:67], v[22:23]
	v_fma_f64 v[22:23], -v[40:41], v[68:69], v[22:23]
	ds_read_b128 v[66:69], v59 offset:3632
	s_waitcnt lgkmcnt(2)
	v_fma_f64 v[22:23], -v[42:43], v[62:63], v[22:23]
	v_fma_f64 v[22:23], -v[44:45], v[64:65], v[22:23]
	;; [unrolled: 4-line block ×6, first 2 shown]
	s_waitcnt lgkmcnt(1)
	v_fma_f64 v[22:23], -v[30:31], v[66:67], v[22:23]
	v_fma_f64 v[22:23], -v[32:33], v[68:69], v[22:23]
	s_waitcnt lgkmcnt(0)
	v_fma_f64 v[22:23], -v[26:27], v[62:63], v[22:23]
	v_fma_f64 v[22:23], -v[28:29], v[64:65], v[22:23]
	ds_read_b128 v[62:65], v59 offset:3808
	ds_write2_b64 v61, v[26:27], v[28:29] offset0:136 offset1:164
	v_add_u32_e64 v66, s8, 0
	ds_read2_b64 v[70:73], v66 offset0:80 offset1:138
	ds_read_b128 v[66:69], v59 offset:3824
	ds_read_b128 v[74:77], v59 offset:3840
	;; [unrolled: 1-line block ×3, first 2 shown]
	s_waitcnt lgkmcnt(5)
	v_fma_f64 v[24:25], -v[38:39], v[62:63], v[24:25]
	v_fma_f64 v[24:25], -v[40:41], v[64:65], v[24:25]
	s_waitcnt lgkmcnt(2)
	v_fma_f64 v[24:25], -v[42:43], v[66:67], v[24:25]
	v_fma_f64 v[24:25], -v[44:45], v[68:69], v[24:25]
	ds_read_b128 v[62:65], v59 offset:3872
	ds_read_b128 v[66:69], v59 offset:3888
	s_waitcnt lgkmcnt(3)
	v_fma_f64 v[24:25], -v[46:47], v[74:75], v[24:25]
	v_fma_f64 v[24:25], -v[48:49], v[76:77], v[24:25]
	s_waitcnt lgkmcnt(2)
	v_fma_f64 v[24:25], -v[50:51], v[78:79], v[24:25]
	v_fma_f64 v[24:25], -v[52:53], v[80:81], v[24:25]
	ds_read_b128 v[74:77], v59 offset:3904
	s_waitcnt lgkmcnt(2)
	v_fma_f64 v[24:25], -v[54:55], v[62:63], v[24:25]
	v_fma_f64 v[24:25], -v[56:57], v[64:65], v[24:25]
	ds_read_b128 v[62:65], v59 offset:3920
	s_waitcnt lgkmcnt(2)
	v_fma_f64 v[24:25], -v[34:35], v[66:67], v[24:25]
	v_fma_f64 v[24:25], -v[36:37], v[68:69], v[24:25]
	ds_read_b128 v[66:69], v59 offset:3936
	s_waitcnt lgkmcnt(2)
	v_fma_f64 v[24:25], -v[30:31], v[74:75], v[24:25]
	v_fma_f64 v[24:25], -v[32:33], v[76:77], v[24:25]
	s_waitcnt lgkmcnt(1)
	v_fma_f64 v[24:25], -v[26:27], v[62:63], v[24:25]
	v_mul_f64 v[22:23], v[70:71], v[22:23]
	v_fma_f64 v[24:25], -v[28:29], v[64:65], v[24:25]
	ds_read_b128 v[62:65], v59 offset:4032
	s_waitcnt lgkmcnt(1)
	v_fma_f64 v[24:25], -v[22:23], v[66:67], v[24:25]
	v_mul_f64 v[24:25], v[68:69], v[24:25]
	ds_read_b128 v[66:69], v59 offset:4048
	ds_read_b128 v[74:77], v59 offset:4064
	s_waitcnt lgkmcnt(2)
	v_fma_f64 v[18:19], -v[38:39], v[62:63], v[18:19]
	v_fma_f64 v[18:19], -v[40:41], v[64:65], v[18:19]
	ds_read_b128 v[62:65], v59 offset:4080
	s_waitcnt lgkmcnt(2)
	v_fma_f64 v[18:19], -v[42:43], v[66:67], v[18:19]
	v_fma_f64 v[18:19], -v[44:45], v[68:69], v[18:19]
	ds_read_b128 v[66:69], v59 offset:4096
	s_waitcnt lgkmcnt(2)
	v_fma_f64 v[18:19], -v[46:47], v[74:75], v[18:19]
	v_fma_f64 v[18:19], -v[48:49], v[76:77], v[18:19]
	ds_read_b128 v[74:77], v59 offset:4112
	s_waitcnt lgkmcnt(2)
	v_fma_f64 v[18:19], -v[50:51], v[62:63], v[18:19]
	v_fma_f64 v[18:19], -v[52:53], v[64:65], v[18:19]
	ds_read_b128 v[62:65], v59 offset:4128
	s_waitcnt lgkmcnt(2)
	v_fma_f64 v[18:19], -v[54:55], v[66:67], v[18:19]
	v_fma_f64 v[18:19], -v[56:57], v[68:69], v[18:19]
	ds_read_b128 v[66:69], v59 offset:4144
	s_waitcnt lgkmcnt(2)
	v_fma_f64 v[18:19], -v[34:35], v[74:75], v[18:19]
	v_fma_f64 v[18:19], -v[36:37], v[76:77], v[18:19]
	ds_read_b128 v[74:77], v59 offset:4160
	s_waitcnt lgkmcnt(2)
	v_fma_f64 v[18:19], -v[30:31], v[62:63], v[18:19]
	v_fma_f64 v[18:19], -v[32:33], v[64:65], v[18:19]
	s_waitcnt lgkmcnt(1)
	v_fma_f64 v[18:19], -v[26:27], v[66:67], v[18:19]
	ds_read_b128 v[62:65], v59 offset:4256
	v_fma_f64 v[18:19], -v[28:29], v[68:69], v[18:19]
	s_waitcnt lgkmcnt(1)
	v_fma_f64 v[18:19], -v[22:23], v[74:75], v[18:19]
	ds_write2_b64 v61, v[22:23], v[24:25] offset0:192 offset1:220
	v_fma_f64 v[18:19], -v[24:25], v[76:77], v[18:19]
	v_mul_f64 v[18:19], v[72:73], v[18:19]
	ds_read_b128 v[66:69], v59 offset:4272
	ds_read_b128 v[70:73], v59 offset:4288
	;; [unrolled: 1-line block ×3, first 2 shown]
	s_waitcnt lgkmcnt(4)
	v_fma_f64 v[20:21], -v[38:39], v[62:63], v[20:21]
	v_fma_f64 v[20:21], -v[40:41], v[64:65], v[20:21]
	s_waitcnt lgkmcnt(2)
	v_fma_f64 v[20:21], -v[42:43], v[66:67], v[20:21]
	v_fma_f64 v[20:21], -v[44:45], v[68:69], v[20:21]
	ds_read_b128 v[62:65], v59 offset:4320
	ds_read_b128 v[66:69], v59 offset:4336
	s_waitcnt lgkmcnt(3)
	v_fma_f64 v[20:21], -v[46:47], v[70:71], v[20:21]
	v_fma_f64 v[20:21], -v[48:49], v[72:73], v[20:21]
	s_waitcnt lgkmcnt(2)
	v_fma_f64 v[20:21], -v[50:51], v[74:75], v[20:21]
	v_fma_f64 v[20:21], -v[52:53], v[76:77], v[20:21]
	ds_read_b128 v[70:73], v59 offset:4352
	s_waitcnt lgkmcnt(2)
	v_fma_f64 v[20:21], -v[54:55], v[62:63], v[20:21]
	v_fma_f64 v[20:21], -v[56:57], v[64:65], v[20:21]
	ds_read_b128 v[62:65], v59 offset:4368
	;; [unrolled: 4-line block ×6, first 2 shown]
	s_waitcnt lgkmcnt(2)
	v_fma_f64 v[20:21], -v[18:19], v[70:71], v[20:21]
	v_mul_f64 v[20:21], v[72:73], v[20:21]
	ds_write2_b64 v60, v[18:19], v[20:21] offset0:120 offset1:148
	s_waitcnt lgkmcnt(2)
	v_fma_f64 v[14:15], -v[38:39], v[62:63], v[14:15]
	ds_read_b128 v[60:63], v59 offset:4512
	v_fma_f64 v[14:15], -v[40:41], v[64:65], v[14:15]
	s_waitcnt lgkmcnt(2)
	v_fma_f64 v[14:15], -v[42:43], v[66:67], v[14:15]
	ds_read_b128 v[64:67], v59 offset:4528
	v_fma_f64 v[14:15], -v[44:45], v[68:69], v[14:15]
	ds_read_b128 v[68:71], v59 offset:4544
	s_waitcnt lgkmcnt(2)
	v_fma_f64 v[14:15], -v[46:47], v[60:61], v[14:15]
	v_fma_f64 v[14:15], -v[48:49], v[62:63], v[14:15]
	ds_read_b128 v[60:63], v59 offset:4560
	s_waitcnt lgkmcnt(2)
	v_fma_f64 v[14:15], -v[50:51], v[64:65], v[14:15]
	;; [unrolled: 4-line block ×5, first 2 shown]
	v_fma_f64 v[14:15], -v[32:33], v[66:67], v[14:15]
	s_waitcnt lgkmcnt(1)
	v_fma_f64 v[14:15], -v[26:27], v[68:69], v[14:15]
	v_fma_f64 v[14:15], -v[28:29], v[70:71], v[14:15]
	ds_read_b128 v[64:67], v59 offset:4624
	s_waitcnt lgkmcnt(1)
	v_fma_f64 v[14:15], -v[22:23], v[60:61], v[14:15]
	v_fma_f64 v[14:15], -v[24:25], v[62:63], v[14:15]
	ds_read_b128 v[60:63], v59 offset:4704
	v_add_u32_e64 v80, s7, 0
	s_waitcnt lgkmcnt(1)
	v_fma_f64 v[14:15], -v[18:19], v[64:65], v[14:15]
	ds_read2_b64 v[68:71], v80 offset0:68 offset1:126
	v_fma_f64 v[14:15], -v[20:21], v[66:67], v[14:15]
	ds_read_b128 v[64:67], v59 offset:4720
	ds_read_b128 v[72:75], v59 offset:4736
	;; [unrolled: 1-line block ×3, first 2 shown]
	s_waitcnt lgkmcnt(4)
	v_fma_f64 v[16:17], -v[38:39], v[60:61], v[16:17]
	v_fma_f64 v[16:17], -v[40:41], v[62:63], v[16:17]
	s_waitcnt lgkmcnt(2)
	v_fma_f64 v[16:17], -v[42:43], v[64:65], v[16:17]
	v_fma_f64 v[16:17], -v[44:45], v[66:67], v[16:17]
	ds_read_b128 v[60:63], v59 offset:4768
	ds_read_b128 v[64:67], v59 offset:4784
	s_waitcnt lgkmcnt(3)
	v_fma_f64 v[16:17], -v[46:47], v[72:73], v[16:17]
	v_fma_f64 v[16:17], -v[48:49], v[74:75], v[16:17]
	s_waitcnt lgkmcnt(2)
	v_fma_f64 v[16:17], -v[50:51], v[76:77], v[16:17]
	v_fma_f64 v[16:17], -v[52:53], v[78:79], v[16:17]
	ds_read_b128 v[72:75], v59 offset:4800
	s_waitcnt lgkmcnt(2)
	v_fma_f64 v[16:17], -v[54:55], v[60:61], v[16:17]
	v_fma_f64 v[16:17], -v[56:57], v[62:63], v[16:17]
	ds_read_b128 v[60:63], v59 offset:4816
	;; [unrolled: 4-line block ×5, first 2 shown]
	s_waitcnt lgkmcnt(2)
	v_fma_f64 v[16:17], -v[22:23], v[64:65], v[16:17]
	v_fma_f64 v[16:17], -v[24:25], v[66:67], v[16:17]
	s_waitcnt lgkmcnt(1)
	v_fma_f64 v[16:17], -v[18:19], v[72:73], v[16:17]
	v_mul_f64 v[14:15], v[68:69], v[14:15]
	v_fma_f64 v[16:17], -v[20:21], v[74:75], v[16:17]
	ds_read_b128 v[64:67], v59 offset:4928
	s_waitcnt lgkmcnt(1)
	v_fma_f64 v[16:17], -v[14:15], v[60:61], v[16:17]
	v_mul_f64 v[16:17], v[62:63], v[16:17]
	ds_read_b128 v[60:63], v59 offset:4944
	ds_read_b128 v[72:75], v59 offset:4960
	s_waitcnt lgkmcnt(2)
	v_fma_f64 v[10:11], -v[38:39], v[64:65], v[10:11]
	v_fma_f64 v[10:11], -v[40:41], v[66:67], v[10:11]
	ds_read_b128 v[64:67], v59 offset:4976
	s_waitcnt lgkmcnt(2)
	v_fma_f64 v[10:11], -v[42:43], v[60:61], v[10:11]
	v_fma_f64 v[10:11], -v[44:45], v[62:63], v[10:11]
	;; [unrolled: 4-line block ×5, first 2 shown]
	s_waitcnt lgkmcnt(1)
	v_fma_f64 v[10:11], -v[34:35], v[72:73], v[10:11]
	ds_read_b128 v[60:63], v59 offset:5040
	v_fma_f64 v[10:11], -v[36:37], v[74:75], v[10:11]
	s_waitcnt lgkmcnt(1)
	v_fma_f64 v[10:11], -v[30:31], v[64:65], v[10:11]
	v_fma_f64 v[10:11], -v[32:33], v[66:67], v[10:11]
	ds_read_b128 v[64:67], v59 offset:5056
	ds_read_b128 v[72:75], v59 offset:5072
	s_waitcnt lgkmcnt(2)
	v_fma_f64 v[10:11], -v[26:27], v[60:61], v[10:11]
	v_fma_f64 v[10:11], -v[28:29], v[62:63], v[10:11]
	ds_read_b128 v[60:63], v59 offset:5088
	s_waitcnt lgkmcnt(2)
	v_fma_f64 v[10:11], -v[22:23], v[64:65], v[10:11]
	v_fma_f64 v[10:11], -v[24:25], v[66:67], v[10:11]
	s_waitcnt lgkmcnt(1)
	v_fma_f64 v[10:11], -v[18:19], v[72:73], v[10:11]
	v_fma_f64 v[10:11], -v[20:21], v[74:75], v[10:11]
	;; [unrolled: 3-line block ×3, first 2 shown]
	ds_read_b128 v[60:63], v59 offset:5152
	ds_write2_b64 v58, v[14:15], v[16:17] offset0:48 offset1:76
	v_mul_f64 v[10:11], v[70:71], v[10:11]
	ds_read_b128 v[64:67], v59 offset:5168
	ds_read_b128 v[68:71], v59 offset:5184
	;; [unrolled: 1-line block ×3, first 2 shown]
	s_mov_b32 s8, 28
	s_waitcnt lgkmcnt(4)
	v_fma_f64 v[12:13], -v[38:39], v[60:61], v[12:13]
	v_fma_f64 v[12:13], -v[40:41], v[62:63], v[12:13]
	s_waitcnt lgkmcnt(2)
	v_fma_f64 v[12:13], -v[42:43], v[64:65], v[12:13]
	v_fma_f64 v[12:13], -v[44:45], v[66:67], v[12:13]
	ds_read_b128 v[60:63], v59 offset:5216
	ds_read_b128 v[64:67], v59 offset:5232
	s_waitcnt lgkmcnt(3)
	v_fma_f64 v[12:13], -v[46:47], v[68:69], v[12:13]
	v_fma_f64 v[12:13], -v[48:49], v[70:71], v[12:13]
	s_waitcnt lgkmcnt(2)
	v_fma_f64 v[12:13], -v[50:51], v[72:73], v[12:13]
	v_fma_f64 v[12:13], -v[52:53], v[74:75], v[12:13]
	ds_read_b128 v[68:71], v59 offset:5248
	s_waitcnt lgkmcnt(2)
	v_fma_f64 v[12:13], -v[54:55], v[60:61], v[12:13]
	v_fma_f64 v[12:13], -v[56:57], v[62:63], v[12:13]
	ds_read_b128 v[60:63], v59 offset:5264
	;; [unrolled: 4-line block ×6, first 2 shown]
	s_waitcnt lgkmcnt(2)
	v_fma_f64 v[12:13], -v[18:19], v[68:69], v[12:13]
	v_fma_f64 v[12:13], -v[20:21], v[70:71], v[12:13]
	s_waitcnt lgkmcnt(1)
	v_fma_f64 v[12:13], -v[14:15], v[60:61], v[12:13]
	v_fma_f64 v[12:13], -v[16:17], v[62:63], v[12:13]
	ds_read_b128 v[60:63], v59 offset:5376
	s_waitcnt lgkmcnt(1)
	v_fma_f64 v[12:13], -v[10:11], v[64:65], v[12:13]
	v_mul_f64 v[12:13], v[66:67], v[12:13]
	ds_read_b128 v[64:67], v59 offset:5392
	ds_read_b128 v[68:71], v59 offset:5408
	s_waitcnt lgkmcnt(2)
	v_fma_f64 v[6:7], -v[38:39], v[60:61], v[6:7]
	v_fma_f64 v[6:7], -v[40:41], v[62:63], v[6:7]
	ds_read_b128 v[60:63], v59 offset:5424
	s_waitcnt lgkmcnt(2)
	v_fma_f64 v[6:7], -v[42:43], v[64:65], v[6:7]
	v_fma_f64 v[6:7], -v[44:45], v[66:67], v[6:7]
	;; [unrolled: 4-line block ×9, first 2 shown]
	s_waitcnt lgkmcnt(1)
	v_fma_f64 v[6:7], -v[18:19], v[60:61], v[6:7]
	ds_read_b128 v[68:71], v59 offset:5552
	v_fma_f64 v[6:7], -v[20:21], v[62:63], v[6:7]
	s_waitcnt lgkmcnt(1)
	v_fma_f64 v[6:7], -v[14:15], v[64:65], v[6:7]
	v_fma_f64 v[6:7], -v[16:17], v[66:67], v[6:7]
	ds_read_b128 v[64:67], v59 offset:5600
	ds_write2_b64 v58, v[10:11], v[12:13] offset0:104 offset1:132
	s_waitcnt lgkmcnt(2)
	v_fma_f64 v[6:7], -v[10:11], v[68:69], v[6:7]
	ds_read2_b64 v[60:63], v80 offset0:184 offset1:242
	v_fma_f64 v[6:7], -v[12:13], v[70:71], v[6:7]
	ds_read_b128 v[68:71], v59 offset:5616
	ds_read_b128 v[72:75], v59 offset:5632
	;; [unrolled: 1-line block ×3, first 2 shown]
	s_waitcnt lgkmcnt(5)
	v_fma_f64 v[8:9], -v[38:39], v[64:65], v[8:9]
	v_fma_f64 v[8:9], -v[40:41], v[66:67], v[8:9]
	s_waitcnt lgkmcnt(2)
	v_fma_f64 v[8:9], -v[42:43], v[68:69], v[8:9]
	v_fma_f64 v[8:9], -v[44:45], v[70:71], v[8:9]
	ds_read_b128 v[64:67], v59 offset:5664
	ds_read_b128 v[68:71], v59 offset:5680
	s_waitcnt lgkmcnt(3)
	v_fma_f64 v[8:9], -v[46:47], v[72:73], v[8:9]
	v_fma_f64 v[8:9], -v[48:49], v[74:75], v[8:9]
	s_waitcnt lgkmcnt(2)
	v_fma_f64 v[8:9], -v[50:51], v[76:77], v[8:9]
	v_fma_f64 v[8:9], -v[52:53], v[78:79], v[8:9]
	ds_read_b128 v[72:75], v59 offset:5696
	s_waitcnt lgkmcnt(2)
	v_fma_f64 v[8:9], -v[54:55], v[64:65], v[8:9]
	v_fma_f64 v[8:9], -v[56:57], v[66:67], v[8:9]
	ds_read_b128 v[64:67], v59 offset:5712
	;; [unrolled: 4-line block ×8, first 2 shown]
	s_waitcnt lgkmcnt(2)
	v_fma_f64 v[8:9], -v[10:11], v[68:69], v[8:9]
	v_mul_f64 v[6:7], v[60:61], v[6:7]
	v_fma_f64 v[8:9], -v[12:13], v[70:71], v[8:9]
	ds_read_b128 v[68:71], v59 offset:5840
	s_waitcnt lgkmcnt(2)
	v_fma_f64 v[8:9], -v[6:7], v[72:73], v[8:9]
	v_mul_f64 v[8:9], v[74:75], v[8:9]
	ds_read_b128 v[72:75], v59 offset:5856
	s_waitcnt lgkmcnt(2)
	v_fma_f64 v[2:3], -v[38:39], v[64:65], v[2:3]
	v_fma_f64 v[2:3], -v[40:41], v[66:67], v[2:3]
	ds_read_b128 v[64:67], v59 offset:5872
	s_waitcnt lgkmcnt(2)
	v_fma_f64 v[2:3], -v[42:43], v[68:69], v[2:3]
	v_fma_f64 v[2:3], -v[44:45], v[70:71], v[2:3]
	ds_read_b128 v[68:71], v59 offset:5888
	s_waitcnt lgkmcnt(2)
	v_fma_f64 v[2:3], -v[46:47], v[72:73], v[2:3]
	v_fma_f64 v[2:3], -v[48:49], v[74:75], v[2:3]
	ds_read_b128 v[72:75], v59 offset:5904
	s_waitcnt lgkmcnt(2)
	v_fma_f64 v[2:3], -v[50:51], v[64:65], v[2:3]
	v_fma_f64 v[2:3], -v[52:53], v[66:67], v[2:3]
	ds_read_b128 v[64:67], v59 offset:5920
	s_waitcnt lgkmcnt(2)
	v_fma_f64 v[2:3], -v[54:55], v[68:69], v[2:3]
	v_fma_f64 v[2:3], -v[56:57], v[70:71], v[2:3]
	ds_read_b128 v[68:71], v59 offset:5936
	s_waitcnt lgkmcnt(2)
	v_fma_f64 v[2:3], -v[34:35], v[72:73], v[2:3]
	v_fma_f64 v[2:3], -v[36:37], v[74:75], v[2:3]
	ds_read_b128 v[72:75], v59 offset:5952
	s_waitcnt lgkmcnt(2)
	v_fma_f64 v[2:3], -v[30:31], v[64:65], v[2:3]
	v_fma_f64 v[2:3], -v[32:33], v[66:67], v[2:3]
	ds_read_b128 v[64:67], v59 offset:5968
	s_waitcnt lgkmcnt(2)
	v_fma_f64 v[2:3], -v[26:27], v[68:69], v[2:3]
	v_fma_f64 v[2:3], -v[28:29], v[70:71], v[2:3]
	ds_read_b128 v[68:71], v59 offset:5984
	s_waitcnt lgkmcnt(2)
	v_fma_f64 v[2:3], -v[22:23], v[72:73], v[2:3]
	v_fma_f64 v[2:3], -v[24:25], v[74:75], v[2:3]
	ds_read_b128 v[72:75], v59 offset:6000
	s_waitcnt lgkmcnt(2)
	v_fma_f64 v[2:3], -v[18:19], v[64:65], v[2:3]
	v_fma_f64 v[2:3], -v[20:21], v[66:67], v[2:3]
	ds_read_b128 v[64:67], v59 offset:6016
	s_waitcnt lgkmcnt(2)
	v_fma_f64 v[2:3], -v[14:15], v[68:69], v[2:3]
	v_fma_f64 v[2:3], -v[16:17], v[70:71], v[2:3]
	s_waitcnt lgkmcnt(1)
	v_fma_f64 v[2:3], -v[10:11], v[72:73], v[2:3]
	v_fma_f64 v[2:3], -v[12:13], v[74:75], v[2:3]
	s_waitcnt lgkmcnt(0)
	v_fma_f64 v[2:3], -v[6:7], v[64:65], v[2:3]
	v_fma_f64 v[2:3], -v[8:9], v[66:67], v[2:3]
	ds_read_b128 v[64:67], v59 offset:6048
	ds_write2_b64 v58, v[6:7], v[8:9] offset0:160 offset1:188
	v_mul_f64 v[76:77], v[62:63], v[2:3]
	ds_read_b128 v[60:63], v59 offset:6064
	ds_read_b128 v[68:71], v59 offset:6080
	;; [unrolled: 1-line block ×3, first 2 shown]
	s_waitcnt lgkmcnt(4)
	v_fma_f64 v[2:3], -v[38:39], v[64:65], v[4:5]
	v_fma_f64 v[2:3], -v[40:41], v[66:67], v[2:3]
	s_waitcnt lgkmcnt(2)
	v_fma_f64 v[2:3], -v[42:43], v[60:61], v[2:3]
	v_fma_f64 v[2:3], -v[44:45], v[62:63], v[2:3]
	s_waitcnt lgkmcnt(1)
	v_fma_f64 v[38:39], -v[46:47], v[68:69], v[2:3]
	ds_read_b128 v[2:5], v59 offset:6112
	v_fma_f64 v[38:39], -v[48:49], v[70:71], v[38:39]
	s_waitcnt lgkmcnt(1)
	v_fma_f64 v[42:43], -v[50:51], v[72:73], v[38:39]
	ds_read_b128 v[38:41], v59 offset:6128
	;; [unrolled: 4-line block ×7, first 2 shown]
	v_fma_f64 v[22:23], -v[24:25], v[36:37], v[22:23]
	s_waitcnt lgkmcnt(1)
	v_fma_f64 v[18:19], -v[18:19], v[30:31], v[22:23]
	v_fma_f64 v[22:23], -v[20:21], v[32:33], v[18:19]
	ds_read_b128 v[18:21], v59 offset:6224
	s_waitcnt lgkmcnt(1)
	v_fma_f64 v[2:3], -v[14:15], v[2:3], v[22:23]
	ds_read_b128 v[22:25], v59 offset:6240
	v_fma_f64 v[14:15], -v[16:17], v[4:5], v[2:3]
	ds_read_b128 v[2:5], v59 offset:6256
	s_waitcnt lgkmcnt(2)
	v_fma_f64 v[10:11], -v[10:11], v[18:19], v[14:15]
	v_fma_f64 v[10:11], -v[12:13], v[20:21], v[10:11]
	s_waitcnt lgkmcnt(1)
	v_fma_f64 v[6:7], -v[6:7], v[22:23], v[10:11]
	v_fma_f64 v[6:7], -v[8:9], v[24:25], v[6:7]
	s_waitcnt lgkmcnt(0)
	v_fma_f64 v[2:3], -v[76:77], v[2:3], v[6:7]
	v_mul_f64 v[2:3], v[4:5], v[2:3]
	ds_write2_b64 v58, v[76:77], v[2:3] offset0:216 offset1:244
.LBB97_12:
	s_cmp_lt_i32 s8, s22
	s_cbranch_scc0 .LBB97_23
; %bb.13:
	s_add_i32 s7, s8, 23
	s_cmp_ge_u32 s7, s22
	s_cbranch_scc1 .LBB97_18
; %bb.14:
	s_mul_i32 s7, s8, 0xe0
	v_add_u32_e32 v51, s7, v1
	ds_read2_b64 v[46:49], v51 offset1:28
	ds_read2_b64 v[42:45], v51 offset0:56 offset1:84
	ds_read2_b64 v[38:41], v51 offset0:112 offset1:140
	;; [unrolled: 1-line block ×4, first 2 shown]
	v_add_u32_e32 v2, 0x800, v51
	ds_read2_b64 v[26:29], v2 offset0:24 offset1:52
	ds_read2_b64 v[22:25], v2 offset0:80 offset1:108
	;; [unrolled: 1-line block ×4, first 2 shown]
	v_add_u32_e32 v2, 0xc00, v51
	ds_read2_b64 v[10:13], v2 offset0:120 offset1:148
	v_add_u32_e32 v2, 0x1000, v51
	ds_read2_b64 v[6:9], v2 offset0:48 offset1:76
	ds_read2_b64 v[2:5], v2 offset0:104 offset1:132
	s_andn2_b64 vcc, exec, s[4:5]
	s_cbranch_vccnz .LBB97_17
; %bb.15:
	v_mov_b32_e32 v50, 0x1880
	v_lshl_add_u32 v50, v0, 3, v50
	s_mov_b32 s4, s8
	s_mov_b32 s5, s7
.LBB97_16:                              ; =>This Inner Loop Header: Depth=1
	ds_read2_b64 v[52:55], v50 offset1:28
	v_mov_b32_e32 v124, s5
	ds_read_b128 v[56:59], v124
	ds_read_b128 v[60:63], v124 offset:224
	ds_read_b128 v[64:67], v124 offset:448
	ds_read_b128 v[68:71], v124 offset:672
	ds_read_b128 v[72:75], v124 offset:896
	ds_read_b128 v[76:79], v124 offset:1120
	ds_read_b128 v[80:83], v124 offset:1344
	ds_read_b128 v[84:87], v124 offset:1568
	ds_read_b128 v[88:91], v124 offset:1792
	ds_read_b128 v[92:95], v124 offset:2016
	ds_read_b128 v[96:99], v124 offset:2240
	ds_read_b128 v[100:103], v124 offset:2464
	ds_read_b128 v[104:107], v124 offset:2688
	ds_read_b128 v[108:111], v124 offset:2912
	ds_read_b128 v[112:115], v124 offset:3136
	ds_read_b128 v[116:119], v124 offset:3360
	ds_read_b128 v[120:123], v124 offset:3584
	s_add_i32 s5, s5, 16
	s_add_i32 s4, s4, -2
	s_waitcnt lgkmcnt(14)
	v_fma_f64 v[46:47], -v[52:53], v[56:57], v[46:47]
	v_fma_f64 v[48:49], -v[52:53], v[60:61], v[48:49]
	;; [unrolled: 1-line block ×3, first 2 shown]
	s_waitcnt lgkmcnt(13)
	v_fma_f64 v[44:45], -v[52:53], v[68:69], v[44:45]
	s_waitcnt lgkmcnt(12)
	v_fma_f64 v[38:39], -v[52:53], v[72:73], v[38:39]
	;; [unrolled: 2-line block ×4, first 2 shown]
	v_fma_f64 v[46:47], -v[54:55], v[58:59], v[46:47]
	ds_read_b128 v[56:59], v124 offset:3808
	v_fma_f64 v[48:49], -v[54:55], v[62:63], v[48:49]
	ds_read_b128 v[60:63], v124 offset:4032
	;; [unrolled: 2-line block ×7, first 2 shown]
	s_waitcnt lgkmcnt(14)
	v_fma_f64 v[30:31], -v[52:53], v[88:89], v[30:31]
	v_fma_f64 v[32:33], -v[52:53], v[92:93], v[32:33]
	s_waitcnt lgkmcnt(13)
	v_fma_f64 v[26:27], -v[52:53], v[96:97], v[26:27]
	s_waitcnt lgkmcnt(12)
	;; [unrolled: 2-line block ×14, first 2 shown]
	v_fma_f64 v[4:5], -v[52:53], v[80:81], v[4:5]
	v_fma_f64 v[36:37], -v[52:53], v[84:85], v[36:37]
	v_add_u32_e32 v50, 0x1c0, v50
	s_cmp_lg_u32 s4, 0
	v_fma_f64 v[36:37], -v[54:55], v[86:87], v[36:37]
	v_fma_f64 v[30:31], -v[54:55], v[90:91], v[30:31]
	;; [unrolled: 1-line block ×17, first 2 shown]
	s_cbranch_scc1 .LBB97_16
.LBB97_17:
	s_lshl_b32 s5, s8, 3
	s_add_i32 s4, s5, s7
	v_mov_b32_e32 v50, s4
	ds_read2_b64 v[52:55], v50 offset1:58
	s_add_i32 s4, s8, 24
	s_add_i32 s8, s7, 0xe0
	s_add_i32 s9, s5, s8
	v_mov_b32_e32 v56, s9
	ds_read_b128 v[56:59], v56
	s_add_i32 s9, s7, 0x1c0
	s_waitcnt lgkmcnt(1)
	v_mul_f64 v[46:47], v[52:53], v[46:47]
	s_add_i32 s12, s5, s9
	ds_write_b64 v51, v[46:47]
	v_mov_b32_e32 v51, s12
	ds_read_b128 v[60:63], v51
	s_waitcnt lgkmcnt(2)
	v_fma_f64 v[48:49], -v[46:47], v[56:57], v[48:49]
	v_add_u32_e32 v51, s8, v1
	s_add_i32 s8, s7, 0x2a0
	v_mul_f64 v[48:49], v[58:59], v[48:49]
	s_add_i32 s12, s5, s8
	ds_write_b64 v51, v[48:49]
	v_mov_b32_e32 v51, s12
	s_waitcnt lgkmcnt(1)
	v_fma_f64 v[42:43], -v[46:47], v[60:61], v[42:43]
	ds_read_b128 v[56:59], v51
	v_fma_f64 v[42:43], -v[48:49], v[62:63], v[42:43]
	v_mul_f64 v[42:43], v[54:55], v[42:43]
	ds_read_b128 v[52:55], v51 offset:16
	v_add_u32_e32 v51, s9, v1
	s_waitcnt lgkmcnt(1)
	v_fma_f64 v[44:45], -v[46:47], v[56:57], v[44:45]
	s_add_i32 s9, s7, 0x380
	v_fma_f64 v[44:45], -v[48:49], v[58:59], v[44:45]
	s_add_i32 s12, s5, s9
	ds_write_b64 v51, v[42:43]
	s_waitcnt lgkmcnt(1)
	v_fma_f64 v[44:45], -v[42:43], v[52:53], v[44:45]
	v_mov_b32_e32 v51, s12
	v_mul_f64 v[44:45], v[54:55], v[44:45]
	ds_read_b128 v[52:55], v51
	ds_read_b128 v[56:59], v51 offset:16
	v_add_u32_e32 v60, s8, v1
	s_add_i32 s8, s7, 0x460
	ds_write_b64 v60, v[44:45]
	ds_read2_b64 v[60:63], v50 offset0:116 offset1:174
	s_add_i32 s12, s5, s8
	s_waitcnt lgkmcnt(3)
	v_fma_f64 v[38:39], -v[46:47], v[52:53], v[38:39]
	v_mov_b32_e32 v51, s12
	v_fma_f64 v[38:39], -v[48:49], v[54:55], v[38:39]
	ds_read_b128 v[52:55], v51
	s_waitcnt lgkmcnt(3)
	v_fma_f64 v[38:39], -v[42:43], v[56:57], v[38:39]
	v_fma_f64 v[38:39], -v[44:45], v[58:59], v[38:39]
	ds_read_b128 v[56:59], v51 offset:16
	s_waitcnt lgkmcnt(2)
	v_mul_f64 v[38:39], v[60:61], v[38:39]
	v_add_u32_e32 v60, s9, v1
	s_add_i32 s9, s7, 0x540
	ds_read_b128 v[64:67], v51 offset:32
	s_add_i32 s12, s5, s9
	s_waitcnt lgkmcnt(2)
	v_fma_f64 v[40:41], -v[46:47], v[52:53], v[40:41]
	v_mov_b32_e32 v51, s12
	v_fma_f64 v[40:41], -v[48:49], v[54:55], v[40:41]
	ds_read_b128 v[52:55], v51
	s_waitcnt lgkmcnt(2)
	v_fma_f64 v[40:41], -v[42:43], v[56:57], v[40:41]
	v_fma_f64 v[40:41], -v[44:45], v[58:59], v[40:41]
	ds_read_b128 v[56:59], v51 offset:16
	s_waitcnt lgkmcnt(2)
	v_fma_f64 v[40:41], -v[38:39], v[64:65], v[40:41]
	v_mul_f64 v[40:41], v[66:67], v[40:41]
	ds_read_b128 v[64:67], v51 offset:32
	s_waitcnt lgkmcnt(2)
	v_fma_f64 v[34:35], -v[46:47], v[52:53], v[34:35]
	v_fma_f64 v[34:35], -v[48:49], v[54:55], v[34:35]
	ds_write_b64 v60, v[38:39]
	v_add_u32_e32 v60, s8, v1
	s_waitcnt lgkmcnt(2)
	v_fma_f64 v[34:35], -v[42:43], v[56:57], v[34:35]
	s_add_i32 s8, s7, 0x620
	v_fma_f64 v[34:35], -v[44:45], v[58:59], v[34:35]
	v_add_u32_e32 v51, s9, v1
	s_add_i32 s9, s5, s8
	s_waitcnt lgkmcnt(1)
	v_fma_f64 v[34:35], -v[38:39], v[64:65], v[34:35]
	v_mov_b32_e32 v64, s9
	ds_read_b128 v[52:55], v64
	v_fma_f64 v[34:35], -v[40:41], v[66:67], v[34:35]
	v_mul_f64 v[34:35], v[62:63], v[34:35]
	ds_write_b64 v60, v[40:41]
	ds_write_b64 v51, v[34:35]
	ds_read_b128 v[56:59], v64 offset:16
	ds_read_b128 v[60:63], v64 offset:32
	;; [unrolled: 1-line block ×3, first 2 shown]
	s_waitcnt lgkmcnt(5)
	v_fma_f64 v[36:37], -v[46:47], v[52:53], v[36:37]
	v_fma_f64 v[36:37], -v[48:49], v[54:55], v[36:37]
	s_waitcnt lgkmcnt(2)
	v_fma_f64 v[36:37], -v[42:43], v[56:57], v[36:37]
	v_fma_f64 v[36:37], -v[44:45], v[58:59], v[36:37]
	s_waitcnt lgkmcnt(1)
	v_fma_f64 v[36:37], -v[38:39], v[60:61], v[36:37]
	v_add_u32_e32 v51, s8, v1
	s_add_i32 s8, s7, 0x700
	v_fma_f64 v[36:37], -v[40:41], v[62:63], v[36:37]
	s_add_i32 s9, s5, s8
	s_waitcnt lgkmcnt(0)
	v_fma_f64 v[36:37], -v[34:35], v[64:65], v[36:37]
	v_mov_b32_e32 v64, s9
	ds_read_b128 v[52:55], v64
	v_mul_f64 v[36:37], v[66:67], v[36:37]
	ds_write_b64 v51, v[36:37]
	ds_read_b128 v[56:59], v64 offset:16
	ds_read_b128 v[60:63], v64 offset:32
	;; [unrolled: 1-line block ×3, first 2 shown]
	v_add_u32_e32 v51, 0x400, v50
	s_waitcnt lgkmcnt(4)
	v_fma_f64 v[30:31], -v[46:47], v[52:53], v[30:31]
	v_fma_f64 v[30:31], -v[48:49], v[54:55], v[30:31]
	s_waitcnt lgkmcnt(2)
	v_fma_f64 v[30:31], -v[42:43], v[56:57], v[30:31]
	v_fma_f64 v[30:31], -v[44:45], v[58:59], v[30:31]
	ds_read2_b64 v[52:55], v51 offset0:104 offset1:162
	s_waitcnt lgkmcnt(2)
	v_fma_f64 v[30:31], -v[38:39], v[60:61], v[30:31]
	v_fma_f64 v[30:31], -v[40:41], v[62:63], v[30:31]
	s_waitcnt lgkmcnt(1)
	v_fma_f64 v[30:31], -v[34:35], v[64:65], v[30:31]
	v_add_u32_e32 v51, s8, v1
	s_add_i32 s8, s7, 0x7e0
	v_fma_f64 v[30:31], -v[36:37], v[66:67], v[30:31]
	s_add_i32 s9, s5, s8
	s_waitcnt lgkmcnt(0)
	v_mul_f64 v[30:31], v[52:53], v[30:31]
	v_mov_b32_e32 v52, s9
	ds_read_b128 v[56:59], v52
	ds_write_b64 v51, v[30:31]
	ds_read_b128 v[60:63], v52 offset:16
	ds_read_b128 v[64:67], v52 offset:32
	;; [unrolled: 1-line block ×3, first 2 shown]
	s_add_i32 s9, s7, 0x8c0
	s_add_i32 s12, s5, s9
	s_waitcnt lgkmcnt(4)
	v_fma_f64 v[32:33], -v[46:47], v[56:57], v[32:33]
	v_fma_f64 v[32:33], -v[48:49], v[58:59], v[32:33]
	s_waitcnt lgkmcnt(2)
	v_fma_f64 v[32:33], -v[42:43], v[60:61], v[32:33]
	v_fma_f64 v[32:33], -v[44:45], v[62:63], v[32:33]
	ds_read_b128 v[56:59], v52 offset:64
	s_waitcnt lgkmcnt(2)
	v_fma_f64 v[32:33], -v[38:39], v[64:65], v[32:33]
	v_fma_f64 v[32:33], -v[40:41], v[66:67], v[32:33]
	s_waitcnt lgkmcnt(1)
	v_fma_f64 v[32:33], -v[34:35], v[68:69], v[32:33]
	v_mov_b32_e32 v51, s12
	v_fma_f64 v[32:33], -v[36:37], v[70:71], v[32:33]
	ds_read_b128 v[60:63], v51
	s_waitcnt lgkmcnt(1)
	v_fma_f64 v[32:33], -v[30:31], v[56:57], v[32:33]
	v_mul_f64 v[32:33], v[58:59], v[32:33]
	v_add_u32_e32 v52, s8, v1
	ds_write_b64 v52, v[32:33]
	ds_read_b128 v[56:59], v51 offset:16
	ds_read_b128 v[64:67], v51 offset:32
	;; [unrolled: 1-line block ×3, first 2 shown]
	s_waitcnt lgkmcnt(4)
	v_fma_f64 v[26:27], -v[46:47], v[60:61], v[26:27]
	v_fma_f64 v[26:27], -v[48:49], v[62:63], v[26:27]
	s_waitcnt lgkmcnt(2)
	v_fma_f64 v[26:27], -v[42:43], v[56:57], v[26:27]
	v_fma_f64 v[26:27], -v[44:45], v[58:59], v[26:27]
	ds_read_b128 v[56:59], v51 offset:64
	s_waitcnt lgkmcnt(2)
	v_fma_f64 v[26:27], -v[38:39], v[64:65], v[26:27]
	v_fma_f64 v[26:27], -v[40:41], v[66:67], v[26:27]
	s_waitcnt lgkmcnt(1)
	v_fma_f64 v[26:27], -v[34:35], v[68:69], v[26:27]
	v_fma_f64 v[26:27], -v[36:37], v[70:71], v[26:27]
	s_add_i32 s8, s7, 0x9a0
	s_waitcnt lgkmcnt(0)
	v_fma_f64 v[26:27], -v[30:31], v[56:57], v[26:27]
	v_add_u32_e32 v51, s9, v1
	s_add_i32 s9, s5, s8
	v_fma_f64 v[26:27], -v[32:33], v[58:59], v[26:27]
	v_mov_b32_e32 v68, s9
	v_mul_f64 v[26:27], v[54:55], v[26:27]
	ds_read_b128 v[52:55], v68
	ds_write_b64 v51, v[26:27]
	ds_read_b128 v[56:59], v68 offset:16
	ds_read_b128 v[60:63], v68 offset:32
	;; [unrolled: 1-line block ×3, first 2 shown]
	v_add_u32_e32 v51, s8, v1
	s_add_i32 s8, s7, 0xa80
	s_waitcnt lgkmcnt(4)
	v_fma_f64 v[28:29], -v[46:47], v[52:53], v[28:29]
	v_fma_f64 v[28:29], -v[48:49], v[54:55], v[28:29]
	s_waitcnt lgkmcnt(2)
	v_fma_f64 v[28:29], -v[42:43], v[56:57], v[28:29]
	v_fma_f64 v[28:29], -v[44:45], v[58:59], v[28:29]
	ds_read_b128 v[52:55], v68 offset:64
	ds_read_b128 v[56:59], v68 offset:80
	s_waitcnt lgkmcnt(3)
	v_fma_f64 v[28:29], -v[38:39], v[60:61], v[28:29]
	v_fma_f64 v[28:29], -v[40:41], v[62:63], v[28:29]
	s_waitcnt lgkmcnt(2)
	v_fma_f64 v[28:29], -v[34:35], v[64:65], v[28:29]
	v_fma_f64 v[28:29], -v[36:37], v[66:67], v[28:29]
	s_add_i32 s9, s5, s8
	s_waitcnt lgkmcnt(1)
	v_fma_f64 v[28:29], -v[30:31], v[52:53], v[28:29]
	v_mov_b32_e32 v68, s9
	v_fma_f64 v[28:29], -v[32:33], v[54:55], v[28:29]
	ds_read_b128 v[52:55], v68
	s_waitcnt lgkmcnt(1)
	v_fma_f64 v[28:29], -v[26:27], v[56:57], v[28:29]
	v_mul_f64 v[28:29], v[58:59], v[28:29]
	ds_write_b64 v51, v[28:29]
	ds_read_b128 v[56:59], v68 offset:16
	ds_read_b128 v[60:63], v68 offset:32
	ds_read_b128 v[64:67], v68 offset:48
	s_waitcnt lgkmcnt(4)
	v_fma_f64 v[22:23], -v[46:47], v[52:53], v[22:23]
	v_fma_f64 v[22:23], -v[48:49], v[54:55], v[22:23]
	s_waitcnt lgkmcnt(2)
	v_fma_f64 v[22:23], -v[42:43], v[56:57], v[22:23]
	v_fma_f64 v[22:23], -v[44:45], v[58:59], v[22:23]
	ds_read_b128 v[52:55], v68 offset:64
	ds_read_b128 v[56:59], v68 offset:80
	s_waitcnt lgkmcnt(3)
	v_fma_f64 v[22:23], -v[38:39], v[60:61], v[22:23]
	v_fma_f64 v[22:23], -v[40:41], v[62:63], v[22:23]
	s_waitcnt lgkmcnt(2)
	v_fma_f64 v[22:23], -v[34:35], v[64:65], v[22:23]
	v_add_u32_e32 v51, 0x800, v50
	v_fma_f64 v[22:23], -v[36:37], v[66:67], v[22:23]
	ds_read2_b64 v[60:63], v51 offset0:92 offset1:150
	s_waitcnt lgkmcnt(2)
	v_fma_f64 v[22:23], -v[30:31], v[52:53], v[22:23]
	v_fma_f64 v[22:23], -v[32:33], v[54:55], v[22:23]
	s_waitcnt lgkmcnt(1)
	v_fma_f64 v[22:23], -v[26:27], v[56:57], v[22:23]
	v_add_u32_e32 v51, s8, v1
	s_add_i32 s8, s7, 0xb60
	v_fma_f64 v[22:23], -v[28:29], v[58:59], v[22:23]
	s_add_i32 s9, s5, s8
	s_waitcnt lgkmcnt(0)
	v_mul_f64 v[22:23], v[60:61], v[22:23]
	v_mov_b32_e32 v60, s9
	ds_read_b128 v[52:55], v60
	ds_write_b64 v51, v[22:23]
	ds_read_b128 v[56:59], v60 offset:16
	ds_read_b128 v[64:67], v60 offset:32
	;; [unrolled: 1-line block ×3, first 2 shown]
	s_add_i32 s9, s7, 0xc40
	s_add_i32 s12, s5, s9
	s_waitcnt lgkmcnt(4)
	v_fma_f64 v[24:25], -v[46:47], v[52:53], v[24:25]
	v_fma_f64 v[24:25], -v[48:49], v[54:55], v[24:25]
	s_waitcnt lgkmcnt(2)
	v_fma_f64 v[24:25], -v[42:43], v[56:57], v[24:25]
	v_fma_f64 v[24:25], -v[44:45], v[58:59], v[24:25]
	ds_read_b128 v[52:55], v60 offset:64
	ds_read_b128 v[56:59], v60 offset:80
	s_waitcnt lgkmcnt(3)
	v_fma_f64 v[24:25], -v[38:39], v[64:65], v[24:25]
	v_fma_f64 v[24:25], -v[40:41], v[66:67], v[24:25]
	s_waitcnt lgkmcnt(2)
	v_fma_f64 v[24:25], -v[34:35], v[68:69], v[24:25]
	v_fma_f64 v[24:25], -v[36:37], v[70:71], v[24:25]
	;; [unrolled: 3-line block ×3, first 2 shown]
	ds_read_b128 v[52:55], v60 offset:96
	s_waitcnt lgkmcnt(1)
	v_fma_f64 v[24:25], -v[26:27], v[56:57], v[24:25]
	v_mov_b32_e32 v51, s12
	v_fma_f64 v[24:25], -v[28:29], v[58:59], v[24:25]
	ds_read_b128 v[56:59], v51
	s_waitcnt lgkmcnt(1)
	v_fma_f64 v[24:25], -v[22:23], v[52:53], v[24:25]
	v_mul_f64 v[24:25], v[54:55], v[24:25]
	v_add_u32_e32 v52, s8, v1
	ds_write_b64 v52, v[24:25]
	ds_read_b128 v[52:55], v51 offset:16
	ds_read_b128 v[64:67], v51 offset:32
	;; [unrolled: 1-line block ×3, first 2 shown]
	s_waitcnt lgkmcnt(4)
	v_fma_f64 v[18:19], -v[46:47], v[56:57], v[18:19]
	v_fma_f64 v[18:19], -v[48:49], v[58:59], v[18:19]
	s_waitcnt lgkmcnt(2)
	v_fma_f64 v[18:19], -v[42:43], v[52:53], v[18:19]
	v_fma_f64 v[18:19], -v[44:45], v[54:55], v[18:19]
	ds_read_b128 v[52:55], v51 offset:64
	ds_read_b128 v[56:59], v51 offset:80
	s_waitcnt lgkmcnt(3)
	v_fma_f64 v[18:19], -v[38:39], v[64:65], v[18:19]
	v_fma_f64 v[18:19], -v[40:41], v[66:67], v[18:19]
	s_waitcnt lgkmcnt(2)
	v_fma_f64 v[18:19], -v[34:35], v[68:69], v[18:19]
	v_fma_f64 v[18:19], -v[36:37], v[70:71], v[18:19]
	ds_read_b128 v[64:67], v51 offset:96
	s_waitcnt lgkmcnt(2)
	v_fma_f64 v[18:19], -v[30:31], v[52:53], v[18:19]
	v_fma_f64 v[18:19], -v[32:33], v[54:55], v[18:19]
	s_add_i32 s8, s7, 0xd20
	s_waitcnt lgkmcnt(1)
	v_fma_f64 v[18:19], -v[26:27], v[56:57], v[18:19]
	v_add_u32_e32 v51, s9, v1
	s_add_i32 s9, s5, s8
	v_fma_f64 v[18:19], -v[28:29], v[58:59], v[18:19]
	v_mov_b32_e32 v68, s9
	s_waitcnt lgkmcnt(0)
	v_fma_f64 v[18:19], -v[22:23], v[64:65], v[18:19]
	ds_read_b128 v[52:55], v68
	v_fma_f64 v[18:19], -v[24:25], v[66:67], v[18:19]
	v_mul_f64 v[18:19], v[62:63], v[18:19]
	ds_write_b64 v51, v[18:19]
	ds_read_b128 v[56:59], v68 offset:16
	ds_read_b128 v[60:63], v68 offset:32
	;; [unrolled: 1-line block ×3, first 2 shown]
	s_waitcnt lgkmcnt(4)
	v_fma_f64 v[20:21], -v[46:47], v[52:53], v[20:21]
	v_fma_f64 v[20:21], -v[48:49], v[54:55], v[20:21]
	s_waitcnt lgkmcnt(2)
	v_fma_f64 v[20:21], -v[42:43], v[56:57], v[20:21]
	v_fma_f64 v[20:21], -v[44:45], v[58:59], v[20:21]
	ds_read_b128 v[52:55], v68 offset:64
	ds_read_b128 v[56:59], v68 offset:80
	s_waitcnt lgkmcnt(3)
	v_fma_f64 v[20:21], -v[38:39], v[60:61], v[20:21]
	v_fma_f64 v[20:21], -v[40:41], v[62:63], v[20:21]
	s_waitcnt lgkmcnt(2)
	v_fma_f64 v[20:21], -v[34:35], v[64:65], v[20:21]
	v_fma_f64 v[20:21], -v[36:37], v[66:67], v[20:21]
	ds_read_b128 v[60:63], v68 offset:96
	s_waitcnt lgkmcnt(2)
	v_fma_f64 v[20:21], -v[30:31], v[52:53], v[20:21]
	v_fma_f64 v[20:21], -v[32:33], v[54:55], v[20:21]
	ds_read_b128 v[52:55], v68 offset:112
	s_waitcnt lgkmcnt(2)
	v_fma_f64 v[20:21], -v[26:27], v[56:57], v[20:21]
	v_fma_f64 v[20:21], -v[28:29], v[58:59], v[20:21]
	s_waitcnt lgkmcnt(1)
	v_fma_f64 v[20:21], -v[22:23], v[60:61], v[20:21]
	v_add_u32_e32 v51, s8, v1
	s_add_i32 s8, s7, 0xe00
	v_fma_f64 v[20:21], -v[24:25], v[62:63], v[20:21]
	s_add_i32 s9, s5, s8
	s_waitcnt lgkmcnt(0)
	v_fma_f64 v[20:21], -v[18:19], v[52:53], v[20:21]
	v_mov_b32_e32 v68, s9
	v_mul_f64 v[20:21], v[54:55], v[20:21]
	ds_read_b128 v[52:55], v68
	ds_write_b64 v51, v[20:21]
	ds_read_b128 v[56:59], v68 offset:16
	ds_read_b128 v[60:63], v68 offset:32
	;; [unrolled: 1-line block ×3, first 2 shown]
	v_add_u32_e32 v51, 0xc00, v50
	v_add_u32_e32 v50, 0x1000, v50
	s_waitcnt lgkmcnt(4)
	v_fma_f64 v[14:15], -v[46:47], v[52:53], v[14:15]
	v_fma_f64 v[14:15], -v[48:49], v[54:55], v[14:15]
	s_waitcnt lgkmcnt(2)
	v_fma_f64 v[14:15], -v[42:43], v[56:57], v[14:15]
	v_fma_f64 v[14:15], -v[44:45], v[58:59], v[14:15]
	ds_read_b128 v[52:55], v68 offset:64
	ds_read_b128 v[56:59], v68 offset:80
	s_waitcnt lgkmcnt(3)
	v_fma_f64 v[14:15], -v[38:39], v[60:61], v[14:15]
	v_fma_f64 v[14:15], -v[40:41], v[62:63], v[14:15]
	s_waitcnt lgkmcnt(2)
	v_fma_f64 v[14:15], -v[34:35], v[64:65], v[14:15]
	v_fma_f64 v[14:15], -v[36:37], v[66:67], v[14:15]
	;; [unrolled: 3-line block ×3, first 2 shown]
	ds_read_b128 v[52:55], v68 offset:96
	s_waitcnt lgkmcnt(1)
	v_fma_f64 v[14:15], -v[26:27], v[56:57], v[14:15]
	v_fma_f64 v[14:15], -v[28:29], v[58:59], v[14:15]
	ds_read_b128 v[56:59], v68 offset:112
	ds_read2_b64 v[60:63], v51 offset0:80 offset1:138
	s_waitcnt lgkmcnt(2)
	v_fma_f64 v[14:15], -v[22:23], v[52:53], v[14:15]
	v_fma_f64 v[14:15], -v[24:25], v[54:55], v[14:15]
	v_add_u32_e32 v51, s8, v1
	s_waitcnt lgkmcnt(1)
	v_fma_f64 v[14:15], -v[18:19], v[56:57], v[14:15]
	s_add_i32 s8, s7, 0xee0
	v_fma_f64 v[14:15], -v[20:21], v[58:59], v[14:15]
	s_add_i32 s9, s5, s8
	s_waitcnt lgkmcnt(0)
	v_mul_f64 v[14:15], v[60:61], v[14:15]
	v_mov_b32_e32 v60, s9
	ds_read_b128 v[52:55], v60
	ds_write_b64 v51, v[14:15]
	ds_read_b128 v[56:59], v60 offset:16
	ds_read_b128 v[64:67], v60 offset:32
	;; [unrolled: 1-line block ×3, first 2 shown]
	s_add_i32 s9, s7, 0xfc0
	s_add_i32 s12, s5, s9
	s_waitcnt lgkmcnt(4)
	v_fma_f64 v[16:17], -v[46:47], v[52:53], v[16:17]
	v_fma_f64 v[16:17], -v[48:49], v[54:55], v[16:17]
	s_waitcnt lgkmcnt(2)
	v_fma_f64 v[16:17], -v[42:43], v[56:57], v[16:17]
	v_fma_f64 v[16:17], -v[44:45], v[58:59], v[16:17]
	ds_read_b128 v[52:55], v60 offset:64
	ds_read_b128 v[56:59], v60 offset:80
	s_waitcnt lgkmcnt(3)
	v_fma_f64 v[16:17], -v[38:39], v[64:65], v[16:17]
	v_fma_f64 v[16:17], -v[40:41], v[66:67], v[16:17]
	s_waitcnt lgkmcnt(2)
	v_fma_f64 v[16:17], -v[34:35], v[68:69], v[16:17]
	v_fma_f64 v[16:17], -v[36:37], v[70:71], v[16:17]
	ds_read_b128 v[64:67], v60 offset:96
	s_waitcnt lgkmcnt(2)
	v_fma_f64 v[16:17], -v[30:31], v[52:53], v[16:17]
	v_fma_f64 v[16:17], -v[32:33], v[54:55], v[16:17]
	ds_read_b128 v[52:55], v60 offset:112
	s_waitcnt lgkmcnt(2)
	v_fma_f64 v[16:17], -v[26:27], v[56:57], v[16:17]
	v_fma_f64 v[16:17], -v[28:29], v[58:59], v[16:17]
	v_mov_b32_e32 v51, s12
	ds_read_b128 v[56:59], v51
	s_waitcnt lgkmcnt(2)
	v_fma_f64 v[16:17], -v[22:23], v[64:65], v[16:17]
	v_fma_f64 v[16:17], -v[24:25], v[66:67], v[16:17]
	s_waitcnt lgkmcnt(1)
	v_fma_f64 v[16:17], -v[18:19], v[52:53], v[16:17]
	v_fma_f64 v[16:17], -v[20:21], v[54:55], v[16:17]
	ds_read_b128 v[52:55], v60 offset:128
	s_waitcnt lgkmcnt(1)
	v_fma_f64 v[10:11], -v[46:47], v[56:57], v[10:11]
	v_fma_f64 v[10:11], -v[48:49], v[58:59], v[10:11]
	s_waitcnt lgkmcnt(0)
	v_fma_f64 v[16:17], -v[14:15], v[52:53], v[16:17]
	v_mul_f64 v[16:17], v[54:55], v[16:17]
	v_add_u32_e32 v52, s8, v1
	ds_write_b64 v52, v[16:17]
	ds_read_b128 v[52:55], v51 offset:16
	ds_read_b128 v[64:67], v51 offset:32
	ds_read_b128 v[68:71], v51 offset:48
	ds_read_b128 v[56:59], v51 offset:80
	s_add_i32 s8, s7, 0x10a0
	s_waitcnt lgkmcnt(3)
	v_fma_f64 v[10:11], -v[42:43], v[52:53], v[10:11]
	v_fma_f64 v[10:11], -v[44:45], v[54:55], v[10:11]
	ds_read_b128 v[52:55], v51 offset:64
	s_waitcnt lgkmcnt(3)
	v_fma_f64 v[10:11], -v[38:39], v[64:65], v[10:11]
	v_fma_f64 v[10:11], -v[40:41], v[66:67], v[10:11]
	s_waitcnt lgkmcnt(2)
	v_fma_f64 v[10:11], -v[34:35], v[68:69], v[10:11]
	v_fma_f64 v[10:11], -v[36:37], v[70:71], v[10:11]
	;; [unrolled: 3-line block ×3, first 2 shown]
	ds_read_b128 v[52:55], v51 offset:96
	ds_read_b128 v[64:67], v51 offset:112
	v_fma_f64 v[10:11], -v[26:27], v[56:57], v[10:11]
	v_fma_f64 v[10:11], -v[28:29], v[58:59], v[10:11]
	ds_read_b128 v[56:59], v51 offset:128
	s_waitcnt lgkmcnt(2)
	v_fma_f64 v[10:11], -v[22:23], v[52:53], v[10:11]
	v_fma_f64 v[10:11], -v[24:25], v[54:55], v[10:11]
	s_waitcnt lgkmcnt(1)
	v_fma_f64 v[10:11], -v[18:19], v[64:65], v[10:11]
	v_add_u32_e32 v51, s9, v1
	s_add_i32 s9, s5, s8
	v_fma_f64 v[10:11], -v[20:21], v[66:67], v[10:11]
	v_mov_b32_e32 v68, s9
	s_waitcnt lgkmcnt(0)
	v_fma_f64 v[10:11], -v[14:15], v[56:57], v[10:11]
	ds_read_b128 v[52:55], v68
	v_fma_f64 v[10:11], -v[16:17], v[58:59], v[10:11]
	v_mul_f64 v[10:11], v[62:63], v[10:11]
	ds_write_b64 v51, v[10:11]
	ds_read_b128 v[56:59], v68 offset:16
	ds_read_b128 v[60:63], v68 offset:32
	;; [unrolled: 1-line block ×3, first 2 shown]
	s_waitcnt lgkmcnt(4)
	v_fma_f64 v[12:13], -v[46:47], v[52:53], v[12:13]
	v_fma_f64 v[12:13], -v[48:49], v[54:55], v[12:13]
	s_waitcnt lgkmcnt(2)
	v_fma_f64 v[12:13], -v[42:43], v[56:57], v[12:13]
	v_fma_f64 v[12:13], -v[44:45], v[58:59], v[12:13]
	ds_read_b128 v[52:55], v68 offset:64
	ds_read_b128 v[56:59], v68 offset:80
	s_waitcnt lgkmcnt(3)
	v_fma_f64 v[12:13], -v[38:39], v[60:61], v[12:13]
	v_fma_f64 v[12:13], -v[40:41], v[62:63], v[12:13]
	s_waitcnt lgkmcnt(2)
	v_fma_f64 v[12:13], -v[34:35], v[64:65], v[12:13]
	v_fma_f64 v[12:13], -v[36:37], v[66:67], v[12:13]
	ds_read_b128 v[60:63], v68 offset:96
	s_waitcnt lgkmcnt(2)
	v_fma_f64 v[12:13], -v[30:31], v[52:53], v[12:13]
	v_fma_f64 v[12:13], -v[32:33], v[54:55], v[12:13]
	ds_read_b128 v[52:55], v68 offset:112
	;; [unrolled: 4-line block ×4, first 2 shown]
	s_waitcnt lgkmcnt(2)
	v_fma_f64 v[12:13], -v[18:19], v[52:53], v[12:13]
	v_add_u32_e32 v51, s8, v1
	s_add_i32 s8, s7, 0x1180
	v_fma_f64 v[12:13], -v[20:21], v[54:55], v[12:13]
	s_add_i32 s9, s5, s8
	s_waitcnt lgkmcnt(1)
	v_fma_f64 v[12:13], -v[14:15], v[56:57], v[12:13]
	v_mov_b32_e32 v68, s9
	v_fma_f64 v[12:13], -v[16:17], v[58:59], v[12:13]
	ds_read_b128 v[52:55], v68
	s_waitcnt lgkmcnt(1)
	v_fma_f64 v[12:13], -v[10:11], v[60:61], v[12:13]
	v_mul_f64 v[12:13], v[62:63], v[12:13]
	ds_write_b64 v51, v[12:13]
	ds_read_b128 v[56:59], v68 offset:16
	ds_read_b128 v[60:63], v68 offset:32
	;; [unrolled: 1-line block ×3, first 2 shown]
	s_waitcnt lgkmcnt(4)
	v_fma_f64 v[6:7], -v[46:47], v[52:53], v[6:7]
	v_fma_f64 v[6:7], -v[48:49], v[54:55], v[6:7]
	s_waitcnt lgkmcnt(2)
	v_fma_f64 v[6:7], -v[42:43], v[56:57], v[6:7]
	v_fma_f64 v[6:7], -v[44:45], v[58:59], v[6:7]
	ds_read_b128 v[52:55], v68 offset:64
	ds_read_b128 v[56:59], v68 offset:80
	s_waitcnt lgkmcnt(3)
	v_fma_f64 v[6:7], -v[38:39], v[60:61], v[6:7]
	v_fma_f64 v[6:7], -v[40:41], v[62:63], v[6:7]
	s_waitcnt lgkmcnt(2)
	v_fma_f64 v[6:7], -v[34:35], v[64:65], v[6:7]
	v_fma_f64 v[6:7], -v[36:37], v[66:67], v[6:7]
	ds_read_b128 v[60:63], v68 offset:96
	s_waitcnt lgkmcnt(2)
	v_fma_f64 v[6:7], -v[30:31], v[52:53], v[6:7]
	v_fma_f64 v[6:7], -v[32:33], v[54:55], v[6:7]
	ds_read_b128 v[52:55], v68 offset:112
	s_waitcnt lgkmcnt(2)
	v_fma_f64 v[6:7], -v[26:27], v[56:57], v[6:7]
	v_fma_f64 v[6:7], -v[28:29], v[58:59], v[6:7]
	s_waitcnt lgkmcnt(1)
	v_fma_f64 v[6:7], -v[22:23], v[60:61], v[6:7]
	v_fma_f64 v[6:7], -v[24:25], v[62:63], v[6:7]
	ds_read_b128 v[56:59], v68 offset:128
	s_waitcnt lgkmcnt(1)
	v_fma_f64 v[6:7], -v[18:19], v[52:53], v[6:7]
	v_fma_f64 v[6:7], -v[20:21], v[54:55], v[6:7]
	ds_read_b128 v[52:55], v68 offset:144
	ds_read2_b64 v[60:63], v50 offset0:68 offset1:126
	s_waitcnt lgkmcnt(2)
	v_fma_f64 v[6:7], -v[14:15], v[56:57], v[6:7]
	v_fma_f64 v[6:7], -v[16:17], v[58:59], v[6:7]
	s_waitcnt lgkmcnt(1)
	v_fma_f64 v[6:7], -v[10:11], v[52:53], v[6:7]
	v_fma_f64 v[6:7], -v[12:13], v[54:55], v[6:7]
	v_add_u32_e32 v54, s8, v1
	s_add_i32 s8, s7, 0x1260
	s_add_i32 s9, s5, s8
	v_mov_b32_e32 v68, s9
	ds_read_b128 v[50:53], v68
	s_waitcnt lgkmcnt(1)
	v_mul_f64 v[6:7], v[60:61], v[6:7]
	ds_write_b64 v54, v[6:7]
	ds_read_b128 v[54:57], v68 offset:16
	ds_read_b128 v[58:61], v68 offset:32
	;; [unrolled: 1-line block ×3, first 2 shown]
	s_add_i32 s9, s7, 0x1340
	s_waitcnt lgkmcnt(4)
	v_fma_f64 v[8:9], -v[46:47], v[50:51], v[8:9]
	v_fma_f64 v[8:9], -v[48:49], v[52:53], v[8:9]
	s_waitcnt lgkmcnt(2)
	v_fma_f64 v[8:9], -v[42:43], v[54:55], v[8:9]
	v_fma_f64 v[8:9], -v[44:45], v[56:57], v[8:9]
	ds_read_b128 v[50:53], v68 offset:64
	ds_read_b128 v[54:57], v68 offset:80
	s_waitcnt lgkmcnt(3)
	v_fma_f64 v[8:9], -v[38:39], v[58:59], v[8:9]
	v_fma_f64 v[8:9], -v[40:41], v[60:61], v[8:9]
	s_waitcnt lgkmcnt(2)
	v_fma_f64 v[8:9], -v[34:35], v[64:65], v[8:9]
	v_fma_f64 v[8:9], -v[36:37], v[66:67], v[8:9]
	ds_read_b128 v[58:61], v68 offset:96
	s_waitcnt lgkmcnt(2)
	v_fma_f64 v[8:9], -v[30:31], v[50:51], v[8:9]
	v_fma_f64 v[8:9], -v[32:33], v[52:53], v[8:9]
	ds_read_b128 v[50:53], v68 offset:112
	;; [unrolled: 4-line block ×5, first 2 shown]
	s_waitcnt lgkmcnt(2)
	v_fma_f64 v[8:9], -v[14:15], v[54:55], v[8:9]
	v_fma_f64 v[8:9], -v[16:17], v[56:57], v[8:9]
	s_add_i32 s12, s5, s9
	s_waitcnt lgkmcnt(1)
	v_fma_f64 v[8:9], -v[10:11], v[58:59], v[8:9]
	v_mov_b32_e32 v68, s12
	v_fma_f64 v[8:9], -v[12:13], v[60:61], v[8:9]
	ds_read_b128 v[54:57], v68
	s_waitcnt lgkmcnt(1)
	v_fma_f64 v[8:9], -v[6:7], v[50:51], v[8:9]
	v_mul_f64 v[8:9], v[52:53], v[8:9]
	v_add_u32_e32 v50, s8, v1
	ds_write_b64 v50, v[8:9]
	ds_read_b128 v[50:53], v68 offset:16
	ds_read_b128 v[58:61], v68 offset:32
	;; [unrolled: 1-line block ×3, first 2 shown]
	s_waitcnt lgkmcnt(4)
	v_fma_f64 v[2:3], -v[46:47], v[54:55], v[2:3]
	v_fma_f64 v[2:3], -v[48:49], v[56:57], v[2:3]
	s_waitcnt lgkmcnt(2)
	v_fma_f64 v[2:3], -v[42:43], v[50:51], v[2:3]
	v_fma_f64 v[2:3], -v[44:45], v[52:53], v[2:3]
	ds_read_b128 v[50:53], v68 offset:64
	ds_read_b128 v[54:57], v68 offset:80
	s_waitcnt lgkmcnt(3)
	v_fma_f64 v[2:3], -v[38:39], v[58:59], v[2:3]
	v_fma_f64 v[2:3], -v[40:41], v[60:61], v[2:3]
	s_waitcnt lgkmcnt(2)
	v_fma_f64 v[2:3], -v[34:35], v[64:65], v[2:3]
	v_fma_f64 v[2:3], -v[36:37], v[66:67], v[2:3]
	ds_read_b128 v[58:61], v68 offset:96
	s_waitcnt lgkmcnt(2)
	v_fma_f64 v[2:3], -v[30:31], v[50:51], v[2:3]
	v_fma_f64 v[2:3], -v[32:33], v[52:53], v[2:3]
	ds_read_b128 v[50:53], v68 offset:112
	;; [unrolled: 4-line block ×5, first 2 shown]
	s_waitcnt lgkmcnt(2)
	v_fma_f64 v[2:3], -v[14:15], v[54:55], v[2:3]
	v_fma_f64 v[2:3], -v[16:17], v[56:57], v[2:3]
	s_waitcnt lgkmcnt(1)
	v_fma_f64 v[2:3], -v[10:11], v[58:59], v[2:3]
	s_addk_i32 s7, 0x1420
	v_fma_f64 v[2:3], -v[12:13], v[60:61], v[2:3]
	s_add_i32 s5, s5, s7
	s_waitcnt lgkmcnt(0)
	v_fma_f64 v[2:3], -v[6:7], v[50:51], v[2:3]
	v_mov_b32_e32 v68, s5
	v_fma_f64 v[2:3], -v[8:9], v[52:53], v[2:3]
	ds_read_b128 v[50:53], v68
	v_mul_f64 v[66:67], v[62:63], v[2:3]
	v_add_u32_e32 v2, s9, v1
	ds_write_b64 v2, v[66:67]
	ds_read_b128 v[54:57], v68 offset:16
	ds_read_b128 v[58:61], v68 offset:32
	ds_read_b128 v[62:65], v68 offset:48
	s_waitcnt lgkmcnt(4)
	v_fma_f64 v[2:3], -v[46:47], v[50:51], v[4:5]
	v_fma_f64 v[2:3], -v[48:49], v[52:53], v[2:3]
	s_waitcnt lgkmcnt(2)
	v_fma_f64 v[2:3], -v[42:43], v[54:55], v[2:3]
	v_fma_f64 v[2:3], -v[44:45], v[56:57], v[2:3]
	s_waitcnt lgkmcnt(1)
	v_fma_f64 v[38:39], -v[38:39], v[58:59], v[2:3]
	ds_read_b128 v[2:5], v68 offset:64
	v_fma_f64 v[38:39], -v[40:41], v[60:61], v[38:39]
	s_waitcnt lgkmcnt(1)
	v_fma_f64 v[34:35], -v[34:35], v[62:63], v[38:39]
	ds_read_b128 v[38:41], v68 offset:80
	;; [unrolled: 4-line block ×5, first 2 shown]
	v_fma_f64 v[22:23], -v[24:25], v[36:37], v[22:23]
	s_waitcnt lgkmcnt(1)
	v_fma_f64 v[2:3], -v[18:19], v[2:3], v[22:23]
	v_fma_f64 v[18:19], -v[20:21], v[4:5], v[2:3]
	ds_read_b128 v[2:5], v68 offset:144
	s_waitcnt lgkmcnt(1)
	v_fma_f64 v[14:15], -v[14:15], v[26:27], v[18:19]
	ds_read_b128 v[18:21], v68 offset:160
	v_fma_f64 v[22:23], -v[16:17], v[28:29], v[14:15]
	ds_read_b128 v[14:17], v68 offset:176
	s_waitcnt lgkmcnt(2)
	v_fma_f64 v[2:3], -v[10:11], v[2:3], v[22:23]
	v_fma_f64 v[2:3], -v[12:13], v[4:5], v[2:3]
	s_waitcnt lgkmcnt(1)
	v_fma_f64 v[2:3], -v[6:7], v[18:19], v[2:3]
	v_fma_f64 v[2:3], -v[8:9], v[20:21], v[2:3]
	s_waitcnt lgkmcnt(0)
	v_fma_f64 v[2:3], -v[66:67], v[14:15], v[2:3]
	v_mul_f64 v[2:3], v[16:17], v[2:3]
	v_add_u32_e32 v4, s7, v1
	s_mov_b32 s8, s4
	ds_write_b64 v4, v[2:3]
.LBB97_18:
	s_cmp_ge_i32 s8, s22
	s_cbranch_scc1 .LBB97_23
; %bb.19:
	v_mov_b32_e32 v2, 0x1880
	s_mul_i32 s4, s8, 0xe0
	v_lshl_add_u32 v4, v0, 3, v2
	s_branch .LBB97_21
.LBB97_20:                              ;   in Loop: Header=BB97_21 Depth=1
	s_mul_i32 s5, s8, 0xe8
	v_mov_b32_e32 v6, s5
	ds_read_b64 v[6:7], v6
	s_add_i32 s8, s8, 1
	s_addk_i32 s4, 0xe0
	s_cmp_ge_i32 s8, s22
	s_waitcnt lgkmcnt(0)
	v_mul_f64 v[2:3], v[6:7], v[2:3]
	ds_write_b64 v5, v[2:3]
	s_cbranch_scc1 .LBB97_23
.LBB97_21:                              ; =>This Loop Header: Depth=1
                                        ;     Child Loop BB97_22 Depth 2
	s_mul_i32 s5, s8, 0xe0
	v_add_u32_e32 v5, s5, v1
	ds_read_b64 v[2:3], v5
	s_cmp_eq_u32 s8, 0
	v_mov_b32_e32 v6, v4
	s_mov_b32 s5, s8
	s_mov_b32 s7, s4
	s_cbranch_scc1 .LBB97_20
.LBB97_22:                              ;   Parent Loop BB97_21 Depth=1
                                        ; =>  This Inner Loop Header: Depth=2
	v_mov_b32_e32 v7, s7
	ds_read_b64 v[8:9], v6
	ds_read_b64 v[10:11], v7
	s_add_i32 s7, s7, 8
	s_add_i32 s5, s5, -1
	v_add_u32_e32 v6, 0xe0, v6
	s_cmp_lg_u32 s5, 0
	s_waitcnt lgkmcnt(0)
	v_fma_f64 v[2:3], -v[8:9], v[10:11], v[2:3]
	s_cbranch_scc1 .LBB97_22
	s_branch .LBB97_20
.LBB97_23:
	s_mov_b64 s[4:5], 0
.LBB97_24:
	s_and_b64 vcc, exec, s[4:5]
	s_cbranch_vccz .LBB97_50
; %bb.25:
	s_add_i32 s4, s22, -1
	s_cmp_gt_i32 s6, 27
	s_mov_b32 s5, s4
	s_cbranch_scc0 .LBB97_27
; %bb.26:
	v_add_u32_e32 v66, 0x1000, v1
	v_add_u32_e32 v78, 0xc00, v1
	;; [unrolled: 1-line block ×3, first 2 shown]
	v_mov_b32_e32 v116, 0
	ds_read2_b64 v[26:29], v66 offset0:216 offset1:244
	ds_read2_b64 v[30:33], v66 offset0:160 offset1:188
	ds_read2_b64 v[34:37], v66 offset0:104 offset1:132
	ds_read2_b64 v[38:41], v66 offset0:48 offset1:76
	ds_read2_b64 v[42:45], v78 offset0:120 offset1:148
	ds_read2_b64 v[46:49], v100 offset0:192 offset1:220
	ds_read2_b64 v[50:53], v100 offset0:136 offset1:164
	ds_read2_b64 v[54:57], v100 offset0:80 offset1:108
	ds_read2_b64 v[22:25], v100 offset0:24 offset1:52
	ds_read2_b64 v[18:21], v1 offset0:224 offset1:252
	ds_read2_b64 v[14:17], v1 offset0:168 offset1:196
	ds_read2_b64 v[10:13], v1 offset0:112 offset1:140
	ds_read2_b64 v[6:9], v1 offset0:56 offset1:84
	ds_read2_b64 v[2:5], v1 offset1:28
	ds_read_b128 v[58:61], v116 offset:6256
	s_movk_i32 s6, 0x1000
	v_add_u32_e64 v67, s6, 0
	s_movk_i32 s7, 0xc00
	s_movk_i32 s5, 0x800
	s_waitcnt lgkmcnt(0)
	v_mul_f64 v[68:69], v[60:61], v[28:29]
	v_fma_f64 v[58:59], -v[68:69], v[58:59], v[26:27]
	ds_read2_b64 v[26:29], v67 offset0:184 offset1:242
	ds_read_b128 v[88:91], v116 offset:3936
	ds_read_b128 v[118:121], v116 offset:1344
	s_waitcnt lgkmcnt(2)
	v_mul_f64 v[70:71], v[28:29], v[58:59]
	ds_read_b128 v[58:61], v116 offset:6240
	ds_write2_b64 v66, v[70:71], v[68:69] offset0:216 offset1:244
	s_waitcnt lgkmcnt(1)
	v_fma_f64 v[28:29], -v[68:69], v[60:61], v[32:33]
	ds_read_b128 v[60:63], v116 offset:6016
	s_waitcnt lgkmcnt(0)
	v_fma_f64 v[28:29], -v[70:71], v[62:63], v[28:29]
	ds_read_b128 v[62:65], v116 offset:5792
	s_waitcnt lgkmcnt(0)
	v_mul_f64 v[76:77], v[64:65], v[28:29]
	v_fma_f64 v[28:29], -v[68:69], v[58:59], v[30:31]
	v_fma_f64 v[28:29], -v[70:71], v[60:61], v[28:29]
	;; [unrolled: 1-line block ×3, first 2 shown]
	v_mul_f64 v[74:75], v[26:27], v[28:29]
	ds_read_b128 v[26:29], v116 offset:6224
	ds_read_b128 v[58:61], v116 offset:5552
	ds_write2_b64 v66, v[74:75], v[76:77] offset0:160 offset1:188
	s_waitcnt lgkmcnt(2)
	v_fma_f64 v[32:33], -v[68:69], v[28:29], v[36:37]
	ds_read_b128 v[28:31], v116 offset:6000
	v_fma_f64 v[26:27], -v[68:69], v[26:27], v[34:35]
	s_waitcnt lgkmcnt(0)
	v_fma_f64 v[36:37], -v[70:71], v[30:31], v[32:33]
	ds_read_b128 v[30:33], v116 offset:5776
	v_fma_f64 v[26:27], -v[70:71], v[28:29], v[26:27]
	s_waitcnt lgkmcnt(0)
	v_fma_f64 v[32:33], -v[76:77], v[32:33], v[36:37]
	v_fma_f64 v[32:33], -v[74:75], v[60:61], v[32:33]
	ds_read_b128 v[60:63], v116 offset:5328
	v_fma_f64 v[26:27], -v[76:77], v[30:31], v[26:27]
	v_fma_f64 v[26:27], -v[74:75], v[58:59], v[26:27]
	s_waitcnt lgkmcnt(0)
	v_mul_f64 v[82:83], v[62:63], v[32:33]
	v_fma_f64 v[30:31], -v[82:83], v[60:61], v[26:27]
	ds_read2_b64 v[26:29], v67 offset0:68 offset1:126
	ds_read_b128 v[58:61], v116 offset:5312
	s_waitcnt lgkmcnt(1)
	v_mul_f64 v[80:81], v[28:29], v[30:31]
	ds_read_b128 v[28:31], v116 offset:6208
	ds_write2_b64 v66, v[80:81], v[82:83] offset0:104 offset1:132
	s_waitcnt lgkmcnt(1)
	v_fma_f64 v[34:35], -v[68:69], v[30:31], v[40:41]
	ds_read_b128 v[30:33], v116 offset:5984
	v_fma_f64 v[28:29], -v[68:69], v[28:29], v[38:39]
	s_waitcnt lgkmcnt(0)
	v_fma_f64 v[36:37], -v[70:71], v[32:33], v[34:35]
	ds_read_b128 v[32:35], v116 offset:5760
	v_fma_f64 v[28:29], -v[70:71], v[30:31], v[28:29]
	;; [unrolled: 4-line block ×3, first 2 shown]
	s_waitcnt lgkmcnt(0)
	v_fma_f64 v[36:37], -v[74:75], v[36:37], v[40:41]
	v_fma_f64 v[36:37], -v[82:83], v[60:61], v[36:37]
	ds_read_b128 v[60:63], v116 offset:5088
	v_fma_f64 v[28:29], -v[74:75], v[34:35], v[28:29]
	v_fma_f64 v[28:29], -v[82:83], v[58:59], v[28:29]
	s_waitcnt lgkmcnt(0)
	v_fma_f64 v[36:37], -v[80:81], v[62:63], v[36:37]
	ds_read_b128 v[62:65], v116 offset:4864
	v_fma_f64 v[28:29], -v[80:81], v[60:61], v[28:29]
	ds_read_b128 v[58:61], v116 offset:4624
	s_waitcnt lgkmcnt(1)
	v_mul_f64 v[86:87], v[64:65], v[36:37]
	v_fma_f64 v[28:29], -v[86:87], v[62:63], v[28:29]
	v_mul_f64 v[64:65], v[26:27], v[28:29]
	ds_read_b128 v[26:29], v116 offset:6192
	ds_write2_b64 v66, v[64:65], v[86:87] offset0:48 offset1:76
	s_waitcnt lgkmcnt(1)
	v_fma_f64 v[32:33], -v[68:69], v[28:29], v[44:45]
	ds_read_b128 v[28:31], v116 offset:5968
	v_fma_f64 v[26:27], -v[68:69], v[26:27], v[42:43]
	s_waitcnt lgkmcnt(0)
	v_fma_f64 v[34:35], -v[70:71], v[30:31], v[32:33]
	ds_read_b128 v[30:33], v116 offset:5744
	v_fma_f64 v[26:27], -v[70:71], v[28:29], v[26:27]
	;; [unrolled: 4-line block ×6, first 2 shown]
	s_waitcnt lgkmcnt(0)
	v_fma_f64 v[40:41], -v[86:87], v[40:41], v[44:45]
	v_fma_f64 v[40:41], -v[64:65], v[60:61], v[40:41]
	ds_read_b128 v[60:63], v116 offset:4400
	v_fma_f64 v[26:27], -v[86:87], v[38:39], v[26:27]
	v_fma_f64 v[26:27], -v[64:65], v[58:59], v[26:27]
	s_waitcnt lgkmcnt(0)
	v_mul_f64 v[66:67], v[62:63], v[40:41]
	v_fma_f64 v[30:31], -v[66:67], v[60:61], v[26:27]
	v_add_u32_e64 v26, s7, 0
	ds_read2_b64 v[26:29], v26 offset0:80 offset1:138
	ds_read_b128 v[58:61], v116 offset:4384
	s_waitcnt lgkmcnt(1)
	v_mul_f64 v[72:73], v[28:29], v[30:31]
	ds_read_b128 v[28:31], v116 offset:6176
	ds_write2_b64 v78, v[72:73], v[66:67] offset0:120 offset1:148
	s_waitcnt lgkmcnt(1)
	v_fma_f64 v[34:35], -v[68:69], v[30:31], v[48:49]
	ds_read_b128 v[30:33], v116 offset:5952
	v_fma_f64 v[28:29], -v[68:69], v[28:29], v[46:47]
	s_waitcnt lgkmcnt(0)
	v_fma_f64 v[36:37], -v[70:71], v[32:33], v[34:35]
	ds_read_b128 v[32:35], v116 offset:5728
	v_fma_f64 v[28:29], -v[70:71], v[30:31], v[28:29]
	;; [unrolled: 4-line block ×7, first 2 shown]
	s_waitcnt lgkmcnt(0)
	v_fma_f64 v[44:45], -v[64:65], v[44:45], v[48:49]
	v_fma_f64 v[44:45], -v[66:67], v[60:61], v[44:45]
	ds_read_b128 v[60:63], v116 offset:4160
	v_fma_f64 v[28:29], -v[64:65], v[42:43], v[28:29]
	v_fma_f64 v[28:29], -v[66:67], v[58:59], v[28:29]
	s_waitcnt lgkmcnt(0)
	v_fma_f64 v[44:45], -v[72:73], v[62:63], v[44:45]
	v_mul_f64 v[78:79], v[90:91], v[44:45]
	v_fma_f64 v[28:29], -v[72:73], v[60:61], v[28:29]
	v_fma_f64 v[28:29], -v[78:79], v[88:89], v[28:29]
	v_mul_f64 v[84:85], v[26:27], v[28:29]
	ds_read_b128 v[26:29], v116 offset:6160
	ds_read_b128 v[58:61], v116 offset:3696
	ds_write2_b64 v100, v[84:85], v[78:79] offset0:192 offset1:220
	s_waitcnt lgkmcnt(2)
	v_fma_f64 v[32:33], -v[68:69], v[28:29], v[52:53]
	ds_read_b128 v[28:31], v116 offset:5936
	v_fma_f64 v[26:27], -v[68:69], v[26:27], v[50:51]
	s_waitcnt lgkmcnt(0)
	v_fma_f64 v[34:35], -v[70:71], v[30:31], v[32:33]
	ds_read_b128 v[30:33], v116 offset:5712
	v_fma_f64 v[26:27], -v[70:71], v[28:29], v[26:27]
	;; [unrolled: 4-line block ×10, first 2 shown]
	s_waitcnt lgkmcnt(0)
	v_fma_f64 v[48:49], -v[78:79], v[48:49], v[52:53]
	v_fma_f64 v[48:49], -v[84:85], v[60:61], v[48:49]
	ds_read_b128 v[60:63], v116 offset:3472
	v_fma_f64 v[26:27], -v[78:79], v[46:47], v[26:27]
	v_fma_f64 v[26:27], -v[84:85], v[58:59], v[26:27]
	s_waitcnt lgkmcnt(0)
	v_mul_f64 v[88:89], v[62:63], v[48:49]
	v_fma_f64 v[30:31], -v[88:89], v[60:61], v[26:27]
	v_add_u32_e64 v26, s5, 0
	ds_read2_b64 v[26:29], v26 offset0:92 offset1:150
	s_movk_i32 s5, 0x400
	s_waitcnt lgkmcnt(0)
	v_mul_f64 v[90:91], v[28:29], v[30:31]
	ds_read_b128 v[28:31], v116 offset:6144
	ds_write2_b64 v100, v[90:91], v[88:89] offset0:136 offset1:164
	s_waitcnt lgkmcnt(1)
	v_fma_f64 v[34:35], -v[68:69], v[30:31], v[56:57]
	ds_read_b128 v[30:33], v116 offset:5920
	v_fma_f64 v[28:29], -v[68:69], v[28:29], v[54:55]
	s_waitcnt lgkmcnt(0)
	v_fma_f64 v[36:37], -v[70:71], v[32:33], v[34:35]
	ds_read_b128 v[32:35], v116 offset:5696
	v_fma_f64 v[28:29], -v[70:71], v[30:31], v[28:29]
	;; [unrolled: 4-line block ×14, first 2 shown]
	s_waitcnt lgkmcnt(0)
	v_mul_f64 v[92:93], v[62:63], v[52:53]
	v_fma_f64 v[28:29], -v[92:93], v[60:61], v[28:29]
	v_mul_f64 v[94:95], v[26:27], v[28:29]
	ds_read_b128 v[26:29], v116 offset:6128
	ds_write2_b64 v100, v[94:95], v[92:93] offset0:80 offset1:108
	s_waitcnt lgkmcnt(1)
	v_fma_f64 v[24:25], -v[68:69], v[28:29], v[24:25]
	ds_read_b128 v[28:31], v116 offset:5904
	v_fma_f64 v[22:23], -v[68:69], v[26:27], v[22:23]
	s_waitcnt lgkmcnt(0)
	v_fma_f64 v[24:25], -v[70:71], v[30:31], v[24:25]
	ds_read_b128 v[30:33], v116 offset:5680
	v_fma_f64 v[22:23], -v[70:71], v[28:29], v[22:23]
	;; [unrolled: 4-line block ×16, first 2 shown]
	s_waitcnt lgkmcnt(0)
	v_mul_f64 v[96:97], v[60:61], v[24:25]
	v_fma_f64 v[26:27], -v[96:97], v[58:59], v[22:23]
	v_add_u32_e64 v22, s5, 0
	ds_read2_b64 v[22:25], v22 offset0:104 offset1:162
	s_mov_b32 s5, -1
	s_waitcnt lgkmcnt(0)
	v_mul_f64 v[98:99], v[24:25], v[26:27]
	ds_read_b128 v[24:27], v116 offset:6112
	ds_write2_b64 v100, v[98:99], v[96:97] offset0:24 offset1:52
	s_waitcnt lgkmcnt(1)
	v_fma_f64 v[20:21], -v[68:69], v[26:27], v[20:21]
	ds_read_b128 v[26:29], v116 offset:5888
	v_fma_f64 v[18:19], -v[68:69], v[24:25], v[18:19]
	s_waitcnt lgkmcnt(0)
	v_fma_f64 v[20:21], -v[70:71], v[28:29], v[20:21]
	ds_read_b128 v[28:31], v116 offset:5664
	v_fma_f64 v[18:19], -v[70:71], v[26:27], v[18:19]
	;; [unrolled: 4-line block ×18, first 2 shown]
	s_waitcnt lgkmcnt(0)
	v_mul_f64 v[100:101], v[62:63], v[20:21]
	v_fma_f64 v[18:19], -v[100:101], v[60:61], v[18:19]
	v_mul_f64 v[102:103], v[22:23], v[18:19]
	ds_read_b128 v[18:21], v116 offset:6096
	ds_write2_b64 v1, v[102:103], v[100:101] offset0:224 offset1:252
	s_waitcnt lgkmcnt(1)
	v_fma_f64 v[16:17], -v[68:69], v[20:21], v[16:17]
	ds_read_b128 v[20:23], v116 offset:5872
	v_fma_f64 v[14:15], -v[68:69], v[18:19], v[14:15]
	s_waitcnt lgkmcnt(0)
	v_fma_f64 v[16:17], -v[70:71], v[22:23], v[16:17]
	ds_read_b128 v[22:25], v116 offset:5648
	v_fma_f64 v[14:15], -v[70:71], v[20:21], v[14:15]
	;; [unrolled: 4-line block ×20, first 2 shown]
	s_waitcnt lgkmcnt(0)
	v_mul_f64 v[104:105], v[60:61], v[16:17]
	v_fma_f64 v[18:19], -v[104:105], v[58:59], v[14:15]
	ds_read2_b64 v[14:17], v116 offset0:116 offset1:174
	s_waitcnt lgkmcnt(0)
	v_mul_f64 v[106:107], v[16:17], v[18:19]
	ds_read_b128 v[16:19], v116 offset:6080
	ds_write2_b64 v1, v[106:107], v[104:105] offset0:168 offset1:196
	s_waitcnt lgkmcnt(1)
	v_fma_f64 v[12:13], -v[68:69], v[18:19], v[12:13]
	ds_read_b128 v[18:21], v116 offset:5856
	v_fma_f64 v[10:11], -v[68:69], v[16:17], v[10:11]
	s_waitcnt lgkmcnt(0)
	v_fma_f64 v[12:13], -v[70:71], v[20:21], v[12:13]
	ds_read_b128 v[20:23], v116 offset:5632
	v_fma_f64 v[10:11], -v[70:71], v[18:19], v[10:11]
	;; [unrolled: 4-line block ×22, first 2 shown]
	s_waitcnt lgkmcnt(0)
	v_mul_f64 v[108:109], v[62:63], v[12:13]
	v_fma_f64 v[10:11], -v[108:109], v[60:61], v[10:11]
	v_mul_f64 v[110:111], v[14:15], v[10:11]
	ds_read_b128 v[10:13], v116 offset:6064
	ds_write2_b64 v1, v[110:111], v[108:109] offset0:112 offset1:140
	s_waitcnt lgkmcnt(1)
	v_fma_f64 v[8:9], -v[68:69], v[12:13], v[8:9]
	ds_read_b128 v[12:15], v116 offset:5840
	v_fma_f64 v[6:7], -v[68:69], v[10:11], v[6:7]
	s_waitcnt lgkmcnt(0)
	v_fma_f64 v[8:9], -v[70:71], v[14:15], v[8:9]
	ds_read_b128 v[14:17], v116 offset:5616
	v_fma_f64 v[6:7], -v[70:71], v[12:13], v[6:7]
	;; [unrolled: 4-line block ×4, first 2 shown]
	ds_read_b128 v[14:17], v116 offset:4480
	s_waitcnt lgkmcnt(1)
	v_fma_f64 v[8:9], -v[82:83], v[20:21], v[8:9]
	ds_read_b128 v[20:23], v116 offset:4944
	v_fma_f64 v[6:7], -v[82:83], v[18:19], v[6:7]
	s_waitcnt lgkmcnt(0)
	v_fma_f64 v[8:9], -v[80:81], v[22:23], v[8:9]
	ds_read_b128 v[22:25], v116 offset:4720
	v_fma_f64 v[6:7], -v[80:81], v[20:21], v[6:7]
	ds_read_b128 v[18:21], v116 offset:5152
	s_waitcnt lgkmcnt(1)
	v_fma_f64 v[8:9], -v[86:87], v[24:25], v[8:9]
	ds_read_b128 v[24:27], v116 offset:4496
	v_fma_f64 v[6:7], -v[86:87], v[22:23], v[6:7]
	s_waitcnt lgkmcnt(0)
	v_fma_f64 v[8:9], -v[64:65], v[26:27], v[8:9]
	ds_read_b128 v[26:29], v116 offset:4272
	v_fma_f64 v[6:7], -v[64:65], v[24:25], v[6:7]
	;; [unrolled: 9-line block ×5, first 2 shown]
	s_waitcnt lgkmcnt(0)
	v_fma_f64 v[8:9], -v[92:93], v[40:41], v[8:9]
	ds_read_b128 v[40:43], v116 offset:2704
	v_fma_f64 v[6:7], -v[92:93], v[38:39], v[6:7]
	ds_read_b128 v[36:39], v116 offset:4928
	s_waitcnt lgkmcnt(1)
	v_fma_f64 v[8:9], -v[94:95], v[42:43], v[8:9]
	ds_read_b128 v[42:45], v116 offset:2480
	v_fma_f64 v[6:7], -v[94:95], v[40:41], v[6:7]
	s_waitcnt lgkmcnt(0)
	v_fma_f64 v[8:9], -v[96:97], v[44:45], v[8:9]
	ds_read_b128 v[44:47], v116 offset:2256
	v_fma_f64 v[6:7], -v[96:97], v[42:43], v[6:7]
	;; [unrolled: 4-line block ×9, first 2 shown]
	s_waitcnt lgkmcnt(0)
	v_mul_f64 v[112:113], v[60:61], v[8:9]
	v_fma_f64 v[10:11], -v[112:113], v[58:59], v[6:7]
	ds_read2_b64 v[6:9], v116 offset1:58
	s_waitcnt lgkmcnt(0)
	v_mul_f64 v[114:115], v[8:9], v[10:11]
	ds_read_b128 v[8:11], v116 offset:6048
	ds_write2_b64 v1, v[114:115], v[112:113] offset0:56 offset1:84
	s_waitcnt lgkmcnt(1)
	v_fma_f64 v[4:5], -v[68:69], v[10:11], v[4:5]
	v_fma_f64 v[4:5], -v[70:71], v[32:33], v[4:5]
	;; [unrolled: 1-line block ×3, first 2 shown]
	ds_read_b128 v[32:35], v116 offset:4704
	v_fma_f64 v[4:5], -v[74:75], v[24:25], v[4:5]
	v_fma_f64 v[4:5], -v[82:83], v[20:21], v[4:5]
	ds_read_b128 v[10:13], v116 offset:4256
	v_fma_f64 v[4:5], -v[80:81], v[38:39], v[4:5]
	ds_read_b128 v[38:41], v116 offset:4032
	s_waitcnt lgkmcnt(2)
	v_fma_f64 v[4:5], -v[86:87], v[34:35], v[4:5]
	v_fma_f64 v[4:5], -v[64:65], v[16:17], v[4:5]
	s_waitcnt lgkmcnt(1)
	v_fma_f64 v[4:5], -v[66:67], v[12:13], v[4:5]
	v_fma_f64 v[2:3], -v[68:69], v[8:9], v[2:3]
	s_waitcnt lgkmcnt(0)
	v_fma_f64 v[4:5], -v[72:73], v[40:41], v[4:5]
	ds_read_b128 v[40:43], v116 offset:3808
	v_fma_f64 v[2:3], -v[70:71], v[30:31], v[2:3]
	v_fma_f64 v[2:3], -v[76:77], v[26:27], v[2:3]
	v_fma_f64 v[2:3], -v[74:75], v[22:23], v[2:3]
	v_fma_f64 v[2:3], -v[82:83], v[18:19], v[2:3]
	s_waitcnt lgkmcnt(0)
	v_fma_f64 v[4:5], -v[78:79], v[42:43], v[4:5]
	ds_read_b128 v[42:45], v116 offset:3584
	v_fma_f64 v[2:3], -v[80:81], v[36:37], v[2:3]
	v_fma_f64 v[2:3], -v[86:87], v[32:33], v[2:3]
	v_fma_f64 v[2:3], -v[64:65], v[14:15], v[2:3]
	v_fma_f64 v[2:3], -v[66:67], v[10:11], v[2:3]
	s_waitcnt lgkmcnt(0)
	v_fma_f64 v[4:5], -v[84:85], v[44:45], v[4:5]
	ds_read_b128 v[44:47], v116 offset:3360
	v_fma_f64 v[2:3], -v[72:73], v[38:39], v[2:3]
	v_fma_f64 v[2:3], -v[78:79], v[40:41], v[2:3]
	v_fma_f64 v[2:3], -v[84:85], v[42:43], v[2:3]
	s_waitcnt lgkmcnt(0)
	v_fma_f64 v[4:5], -v[88:89], v[46:47], v[4:5]
	ds_read_b128 v[46:49], v116 offset:3136
	v_fma_f64 v[2:3], -v[88:89], v[44:45], v[2:3]
	s_waitcnt lgkmcnt(0)
	v_fma_f64 v[4:5], -v[90:91], v[48:49], v[4:5]
	ds_read_b128 v[48:51], v116 offset:2912
	;; [unrolled: 4-line block ×8, first 2 shown]
	v_fma_f64 v[2:3], -v[102:103], v[58:59], v[2:3]
	s_waitcnt lgkmcnt(0)
	v_fma_f64 v[4:5], -v[104:105], v[62:63], v[4:5]
	v_fma_f64 v[4:5], -v[106:107], v[120:121], v[4:5]
	ds_read_b128 v[120:123], v116 offset:1120
	v_fma_f64 v[2:3], -v[104:105], v[60:61], v[2:3]
	v_fma_f64 v[2:3], -v[106:107], v[118:119], v[2:3]
	s_waitcnt lgkmcnt(0)
	v_fma_f64 v[4:5], -v[108:109], v[122:123], v[4:5]
	ds_read_b128 v[122:125], v116 offset:896
	v_fma_f64 v[2:3], -v[108:109], v[120:121], v[2:3]
	s_waitcnt lgkmcnt(0)
	v_fma_f64 v[4:5], -v[110:111], v[124:125], v[4:5]
	ds_read_b128 v[124:127], v116 offset:672
	;; [unrolled: 4-line block ×4, first 2 shown]
	v_fma_f64 v[2:3], -v[114:115], v[126:127], v[2:3]
	s_waitcnt lgkmcnt(0)
	v_mul_f64 v[4:5], v[130:131], v[4:5]
	v_fma_f64 v[2:3], -v[4:5], v[128:129], v[2:3]
	v_mul_f64 v[2:3], v[6:7], v[2:3]
	ds_write2_b64 v1, v[2:3], v[4:5] offset1:28
.LBB97_27:
	s_cmp_gt_i32 s5, -1
	s_cbranch_scc0 .LBB97_50
; %bb.28:
	s_cmp_lt_u32 s5, 23
	s_cbranch_scc1 .LBB97_33
; %bb.29:
	s_mul_i32 s6, s5, 0xe0
	v_add_u32_e32 v50, s6, v1
	v_add_u32_e32 v2, 0xffffff20, v50
	v_add_u32_e32 v3, 0xfffffe40, v50
	v_add_u32_e32 v4, 0xfffffd60, v50
	ds_read_b64 v[10:11], v50
	ds_read_b64 v[8:9], v2
	ds_read_b64 v[14:15], v3
	ds_read_b64 v[12:13], v4
	v_add_u32_e32 v2, 0xfffffc80, v50
	v_add_u32_e32 v3, 0xfffffba0, v50
	v_add_u32_e32 v4, 0xfffffac0, v50
	v_add_u32_e32 v5, 0xfffff9e0, v50
	ds_read_b64 v[16:17], v2
	ds_read_b64 v[18:19], v3
	ds_read_b64 v[22:23], v4
	ds_read_b64 v[24:25], v5
	;; [unrolled: 8-line block ×6, first 2 shown]
	s_cmp_le_i32 s4, s5
	s_cbranch_scc1 .LBB97_32
; %bb.30:
	s_mul_i32 s7, s22, 0xe0
	s_lshl_b32 s8, s5, 3
	v_lshl_add_u32 v51, v0, 3, s7
	s_add_i32 s7, s7, s8
	v_add_u32_e32 v51, 0x17a0, v51
	s_addk_i32 s7, 0xfe68
	s_mov_b32 s8, s4
.LBB97_31:                              ; =>This Inner Loop Header: Depth=1
	v_mov_b32_e32 v96, s7
	ds_read_b64 v[100:101], v51
	ds_read2_b64 v[52:55], v96 offset0:22 offset1:23
	ds_read2_b64 v[56:59], v96 offset0:20 offset1:21
	;; [unrolled: 1-line block ×11, first 2 shown]
	ds_read2_b64 v[96:99], v96 offset1:1
	s_add_i32 s8, s8, -1
	s_addk_i32 s7, 0xff20
	v_add_u32_e32 v51, 0xffffff20, v51
	s_cmp_gt_i32 s8, s5
	s_waitcnt lgkmcnt(11)
	v_fma_f64 v[10:11], -v[100:101], v[54:55], v[10:11]
	v_fma_f64 v[8:9], -v[100:101], v[52:53], v[8:9]
	s_waitcnt lgkmcnt(10)
	v_fma_f64 v[14:15], -v[100:101], v[58:59], v[14:15]
	v_fma_f64 v[12:13], -v[100:101], v[56:57], v[12:13]
	;; [unrolled: 3-line block ×12, first 2 shown]
	s_cbranch_scc1 .LBB97_31
.LBB97_32:
	s_lshl_b32 s7, s5, 3
	s_add_i32 s8, s7, -8
	s_add_i32 s8, s8, s6
	v_mov_b32_e32 v51, s8
	ds_read2_b64 v[52:55], v51 offset1:1
	s_addk_i32 s8, 0xff20
	v_mov_b32_e32 v51, s8
	ds_read_b64 v[56:57], v51
	s_sub_i32 s12, s7, 24
	s_waitcnt lgkmcnt(1)
	v_mul_f64 v[10:11], v[54:55], v[10:11]
	s_add_i32 s13, s12, s6
	ds_write_b64 v50, v[10:11]
	v_mov_b32_e32 v50, s13
	v_fma_f64 v[8:9], -v[10:11], v[52:53], v[8:9]
	ds_read2_b64 v[50:53], v50 offset1:1
	s_add_i32 s8, s6, 0xffffff20
	s_waitcnt lgkmcnt(2)
	v_mul_f64 v[8:9], v[56:57], v[8:9]
	v_add_u32_e32 v54, s8, v1
	s_add_i32 s9, s12, s8
	ds_write_b64 v54, v[8:9]
	v_mov_b32_e32 v54, s9
	s_add_i32 s9, s6, 0xfffffe40
	s_add_i32 s12, s12, s9
	ds_read2_b64 v[54:57], v54 offset1:1
	s_waitcnt lgkmcnt(2)
	v_fma_f64 v[14:15], -v[10:11], v[52:53], v[14:15]
	v_mov_b32_e32 v52, s12
	ds_read2_b64 v[58:61], v52 offset1:1
	s_add_i32 s12, s13, 0xfffffd60
	v_mov_b32_e32 v52, s12
	ds_read_b64 v[52:53], v52
	s_waitcnt lgkmcnt(2)
	v_fma_f64 v[14:15], -v[8:9], v[56:57], v[14:15]
	v_fma_f64 v[12:13], -v[10:11], v[50:51], v[12:13]
	s_sub_i32 s14, s7, 40
	s_waitcnt lgkmcnt(1)
	v_mul_f64 v[14:15], v[60:61], v[14:15]
	v_fma_f64 v[12:13], -v[8:9], v[54:55], v[12:13]
	s_add_i32 s15, s14, s6
	v_fma_f64 v[12:13], -v[14:15], v[58:59], v[12:13]
	v_mov_b32_e32 v50, s15
	s_waitcnt lgkmcnt(0)
	v_mul_f64 v[12:13], v[52:53], v[12:13]
	ds_read2_b64 v[50:53], v50 offset1:1
	s_add_i32 s12, s6, 0xfffffd60
	v_add_u32_e32 v54, s12, v1
	s_add_i32 s13, s14, s8
	v_add_u32_e32 v56, s9, v1
	ds_write_b64 v54, v[12:13]
	v_mov_b32_e32 v54, s13
	s_add_i32 s13, s14, s9
	ds_write_b64 v56, v[14:15]
	ds_read2_b64 v[54:57], v54 offset1:1
	s_waitcnt lgkmcnt(3)
	v_fma_f64 v[16:17], -v[10:11], v[52:53], v[16:17]
	v_mov_b32_e32 v52, s13
	s_add_i32 s13, s14, s12
	ds_read2_b64 v[58:61], v52 offset1:1
	v_mov_b32_e32 v52, s13
	s_add_i32 s13, s6, 0xfffffc80
	s_add_i32 s14, s14, s13
	ds_read2_b64 v[62:65], v52 offset1:1
	v_mov_b32_e32 v52, s14
	ds_read2_b64 v[66:69], v52 offset1:1
	s_add_i32 s14, s15, 0xfffffba0
	v_mov_b32_e32 v52, s14
	s_waitcnt lgkmcnt(3)
	v_fma_f64 v[16:17], -v[8:9], v[56:57], v[16:17]
	ds_read_b64 v[52:53], v52
	v_fma_f64 v[18:19], -v[10:11], v[50:51], v[18:19]
	s_waitcnt lgkmcnt(3)
	v_fma_f64 v[16:17], -v[14:15], v[60:61], v[16:17]
	v_fma_f64 v[18:19], -v[8:9], v[54:55], v[18:19]
	s_waitcnt lgkmcnt(2)
	v_fma_f64 v[16:17], -v[12:13], v[64:65], v[16:17]
	v_fma_f64 v[18:19], -v[14:15], v[58:59], v[18:19]
	s_sub_i32 s17, s7, 56
	s_waitcnt lgkmcnt(1)
	v_mul_f64 v[16:17], v[68:69], v[16:17]
	v_fma_f64 v[18:19], -v[12:13], v[62:63], v[18:19]
	s_add_i32 s18, s17, s6
	v_fma_f64 v[18:19], -v[16:17], v[66:67], v[18:19]
	v_mov_b32_e32 v50, s18
	s_waitcnt lgkmcnt(0)
	v_mul_f64 v[18:19], v[52:53], v[18:19]
	ds_read2_b64 v[50:53], v50 offset1:1
	s_add_i32 s14, s6, 0xfffffba0
	v_add_u32_e32 v54, s14, v1
	s_add_i32 s15, s17, s8
	v_add_u32_e32 v56, s13, v1
	ds_write_b64 v54, v[18:19]
	v_mov_b32_e32 v54, s15
	s_add_i32 s15, s17, s9
	ds_write_b64 v56, v[16:17]
	ds_read2_b64 v[54:57], v54 offset1:1
	s_waitcnt lgkmcnt(3)
	v_fma_f64 v[22:23], -v[10:11], v[52:53], v[22:23]
	v_mov_b32_e32 v52, s15
	s_add_i32 s15, s17, s12
	ds_read2_b64 v[58:61], v52 offset1:1
	v_mov_b32_e32 v52, s15
	s_add_i32 s15, s17, s13
	ds_read2_b64 v[62:65], v52 offset1:1
	;; [unrolled: 3-line block ×3, first 2 shown]
	v_mov_b32_e32 v52, s15
	s_add_i32 s15, s6, 0xfffffac0
	s_add_i32 s17, s17, s15
	ds_read2_b64 v[70:73], v52 offset1:1
	v_mov_b32_e32 v52, s17
	s_waitcnt lgkmcnt(4)
	v_fma_f64 v[22:23], -v[8:9], v[56:57], v[22:23]
	ds_read2_b64 v[74:77], v52 offset1:1
	s_add_i32 s17, s18, 0xfffff9e0
	v_fma_f64 v[24:25], -v[10:11], v[50:51], v[24:25]
	s_waitcnt lgkmcnt(4)
	v_fma_f64 v[22:23], -v[14:15], v[60:61], v[22:23]
	v_mov_b32_e32 v52, s17
	v_fma_f64 v[24:25], -v[8:9], v[54:55], v[24:25]
	s_waitcnt lgkmcnt(3)
	v_fma_f64 v[22:23], -v[12:13], v[64:65], v[22:23]
	ds_read_b64 v[52:53], v52
	v_fma_f64 v[24:25], -v[14:15], v[58:59], v[24:25]
	s_waitcnt lgkmcnt(3)
	v_fma_f64 v[22:23], -v[16:17], v[68:69], v[22:23]
	v_fma_f64 v[24:25], -v[12:13], v[62:63], v[24:25]
	s_waitcnt lgkmcnt(2)
	v_fma_f64 v[22:23], -v[18:19], v[72:73], v[22:23]
	v_fma_f64 v[24:25], -v[16:17], v[66:67], v[24:25]
	s_add_i32 s19, s7, 0xffffffb8
	s_waitcnt lgkmcnt(1)
	v_mul_f64 v[22:23], v[76:77], v[22:23]
	v_fma_f64 v[24:25], -v[18:19], v[70:71], v[24:25]
	s_add_i32 s20, s19, s6
	v_fma_f64 v[24:25], -v[22:23], v[74:75], v[24:25]
	v_mov_b32_e32 v50, s20
	s_waitcnt lgkmcnt(0)
	v_mul_f64 v[24:25], v[52:53], v[24:25]
	ds_read2_b64 v[50:53], v50 offset1:1
	s_add_i32 s17, s6, 0xfffff9e0
	v_add_u32_e32 v54, s17, v1
	s_add_i32 s18, s19, s8
	v_add_u32_e32 v56, s15, v1
	ds_write_b64 v54, v[24:25]
	v_mov_b32_e32 v54, s18
	s_add_i32 s18, s19, s9
	ds_write_b64 v56, v[22:23]
	ds_read2_b64 v[54:57], v54 offset1:1
	s_waitcnt lgkmcnt(3)
	v_fma_f64 v[28:29], -v[10:11], v[52:53], v[28:29]
	v_mov_b32_e32 v52, s18
	s_add_i32 s18, s19, s12
	ds_read2_b64 v[58:61], v52 offset1:1
	v_mov_b32_e32 v52, s18
	s_add_i32 s18, s19, s13
	ds_read2_b64 v[62:65], v52 offset1:1
	;; [unrolled: 3-line block ×5, first 2 shown]
	v_mov_b32_e32 v52, s18
	s_add_i32 s18, s6, 0xfffff900
	s_waitcnt lgkmcnt(5)
	v_fma_f64 v[28:29], -v[8:9], v[56:57], v[28:29]
	s_add_i32 s19, s19, s18
	v_fma_f64 v[30:31], -v[10:11], v[50:51], v[30:31]
	s_waitcnt lgkmcnt(4)
	v_fma_f64 v[28:29], -v[14:15], v[60:61], v[28:29]
	ds_read2_b64 v[78:81], v52 offset1:1
	v_mov_b32_e32 v52, s19
	v_fma_f64 v[30:31], -v[8:9], v[54:55], v[30:31]
	s_waitcnt lgkmcnt(4)
	v_fma_f64 v[28:29], -v[12:13], v[64:65], v[28:29]
	ds_read2_b64 v[82:85], v52 offset1:1
	s_add_i32 s19, s20, 0xfffff820
	v_fma_f64 v[30:31], -v[14:15], v[58:59], v[30:31]
	s_waitcnt lgkmcnt(4)
	v_fma_f64 v[28:29], -v[16:17], v[68:69], v[28:29]
	v_mov_b32_e32 v52, s19
	v_fma_f64 v[30:31], -v[12:13], v[62:63], v[30:31]
	s_waitcnt lgkmcnt(3)
	v_fma_f64 v[28:29], -v[18:19], v[72:73], v[28:29]
	ds_read_b64 v[52:53], v52
	v_fma_f64 v[30:31], -v[16:17], v[66:67], v[30:31]
	s_waitcnt lgkmcnt(3)
	v_fma_f64 v[28:29], -v[22:23], v[76:77], v[28:29]
	v_fma_f64 v[30:31], -v[18:19], v[70:71], v[30:31]
	s_waitcnt lgkmcnt(2)
	v_fma_f64 v[28:29], -v[24:25], v[80:81], v[28:29]
	v_fma_f64 v[30:31], -v[22:23], v[74:75], v[30:31]
	s_add_i32 s21, s7, 0xffffffa8
	s_waitcnt lgkmcnt(1)
	v_mul_f64 v[28:29], v[84:85], v[28:29]
	v_fma_f64 v[30:31], -v[24:25], v[78:79], v[30:31]
	s_add_i32 s23, s21, s6
	v_fma_f64 v[30:31], -v[28:29], v[82:83], v[30:31]
	v_mov_b32_e32 v50, s23
	s_waitcnt lgkmcnt(0)
	v_mul_f64 v[30:31], v[52:53], v[30:31]
	ds_read2_b64 v[50:53], v50 offset1:1
	s_add_i32 s19, s6, 0xfffff820
	v_add_u32_e32 v54, s19, v1
	s_add_i32 s20, s21, s8
	v_add_u32_e32 v56, s18, v1
	ds_write_b64 v54, v[30:31]
	v_mov_b32_e32 v54, s20
	s_add_i32 s20, s21, s9
	ds_write_b64 v56, v[28:29]
	ds_read2_b64 v[54:57], v54 offset1:1
	s_waitcnt lgkmcnt(3)
	v_fma_f64 v[36:37], -v[10:11], v[52:53], v[36:37]
	v_mov_b32_e32 v52, s20
	s_add_i32 s20, s21, s12
	ds_read2_b64 v[58:61], v52 offset1:1
	v_mov_b32_e32 v52, s20
	s_add_i32 s20, s21, s13
	ds_read2_b64 v[62:65], v52 offset1:1
	;; [unrolled: 3-line block ×5, first 2 shown]
	v_mov_b32_e32 v52, s20
	s_add_i32 s20, s21, s18
	s_waitcnt lgkmcnt(5)
	v_fma_f64 v[36:37], -v[8:9], v[56:57], v[36:37]
	ds_read2_b64 v[78:81], v52 offset1:1
	v_mov_b32_e32 v52, s20
	s_add_i32 s20, s21, s19
	v_fma_f64 v[38:39], -v[10:11], v[50:51], v[38:39]
	s_waitcnt lgkmcnt(5)
	v_fma_f64 v[36:37], -v[14:15], v[60:61], v[36:37]
	ds_read2_b64 v[82:85], v52 offset1:1
	v_mov_b32_e32 v52, s20
	s_add_i32 s20, s6, 0xfffff740
	v_fma_f64 v[38:39], -v[8:9], v[54:55], v[38:39]
	s_waitcnt lgkmcnt(5)
	v_fma_f64 v[36:37], -v[12:13], v[64:65], v[36:37]
	s_add_i32 s21, s21, s20
	v_fma_f64 v[38:39], -v[14:15], v[58:59], v[38:39]
	s_waitcnt lgkmcnt(4)
	v_fma_f64 v[36:37], -v[16:17], v[68:69], v[36:37]
	ds_read2_b64 v[86:89], v52 offset1:1
	v_mov_b32_e32 v52, s21
	v_fma_f64 v[38:39], -v[12:13], v[62:63], v[38:39]
	s_waitcnt lgkmcnt(4)
	v_fma_f64 v[36:37], -v[18:19], v[72:73], v[36:37]
	ds_read2_b64 v[90:93], v52 offset1:1
	s_add_i32 s21, s23, 0xfffff660
	v_fma_f64 v[38:39], -v[16:17], v[66:67], v[38:39]
	s_waitcnt lgkmcnt(4)
	v_fma_f64 v[36:37], -v[22:23], v[76:77], v[36:37]
	v_mov_b32_e32 v52, s21
	v_fma_f64 v[38:39], -v[18:19], v[70:71], v[38:39]
	s_waitcnt lgkmcnt(3)
	v_fma_f64 v[36:37], -v[24:25], v[80:81], v[36:37]
	ds_read_b64 v[52:53], v52
	v_fma_f64 v[38:39], -v[22:23], v[74:75], v[38:39]
	s_waitcnt lgkmcnt(3)
	v_fma_f64 v[36:37], -v[28:29], v[84:85], v[36:37]
	v_fma_f64 v[38:39], -v[24:25], v[78:79], v[38:39]
	s_waitcnt lgkmcnt(2)
	v_fma_f64 v[36:37], -v[30:31], v[88:89], v[36:37]
	v_fma_f64 v[38:39], -v[28:29], v[82:83], v[38:39]
	s_add_i32 s24, s7, 0xffffff98
	s_waitcnt lgkmcnt(1)
	v_mul_f64 v[36:37], v[92:93], v[36:37]
	v_fma_f64 v[38:39], -v[30:31], v[86:87], v[38:39]
	s_add_i32 s25, s24, s6
	v_fma_f64 v[38:39], -v[36:37], v[90:91], v[38:39]
	v_mov_b32_e32 v50, s25
	s_waitcnt lgkmcnt(0)
	v_mul_f64 v[38:39], v[52:53], v[38:39]
	ds_read2_b64 v[50:53], v50 offset1:1
	s_add_i32 s21, s6, 0xfffff660
	v_add_u32_e32 v54, s21, v1
	s_add_i32 s23, s24, s8
	v_add_u32_e32 v56, s20, v1
	ds_write_b64 v54, v[38:39]
	v_mov_b32_e32 v54, s23
	s_add_i32 s23, s24, s9
	ds_write_b64 v56, v[36:37]
	ds_read2_b64 v[54:57], v54 offset1:1
	s_waitcnt lgkmcnt(3)
	v_fma_f64 v[42:43], -v[10:11], v[52:53], v[42:43]
	v_mov_b32_e32 v52, s23
	s_add_i32 s23, s24, s12
	ds_read2_b64 v[58:61], v52 offset1:1
	v_mov_b32_e32 v52, s23
	s_add_i32 s23, s24, s13
	ds_read2_b64 v[62:65], v52 offset1:1
	;; [unrolled: 3-line block ×5, first 2 shown]
	v_mov_b32_e32 v52, s23
	s_add_i32 s23, s24, s18
	s_waitcnt lgkmcnt(5)
	v_fma_f64 v[42:43], -v[8:9], v[56:57], v[42:43]
	ds_read2_b64 v[78:81], v52 offset1:1
	v_mov_b32_e32 v52, s23
	s_add_i32 s23, s24, s19
	v_fma_f64 v[44:45], -v[10:11], v[50:51], v[44:45]
	s_waitcnt lgkmcnt(5)
	v_fma_f64 v[42:43], -v[14:15], v[60:61], v[42:43]
	ds_read2_b64 v[82:85], v52 offset1:1
	v_mov_b32_e32 v52, s23
	s_add_i32 s23, s24, s20
	v_fma_f64 v[44:45], -v[8:9], v[54:55], v[44:45]
	;; [unrolled: 6-line block ×4, first 2 shown]
	s_waitcnt lgkmcnt(5)
	v_fma_f64 v[42:43], -v[18:19], v[72:73], v[42:43]
	s_add_i32 s24, s24, s23
	v_fma_f64 v[44:45], -v[16:17], v[66:67], v[44:45]
	s_waitcnt lgkmcnt(4)
	v_fma_f64 v[42:43], -v[22:23], v[76:77], v[42:43]
	ds_read2_b64 v[94:97], v52 offset1:1
	v_mov_b32_e32 v52, s24
	v_fma_f64 v[44:45], -v[18:19], v[70:71], v[44:45]
	s_waitcnt lgkmcnt(4)
	v_fma_f64 v[42:43], -v[24:25], v[80:81], v[42:43]
	ds_read2_b64 v[98:101], v52 offset1:1
	s_add_i32 s24, s25, 0xfffff4a0
	v_fma_f64 v[44:45], -v[22:23], v[74:75], v[44:45]
	s_waitcnt lgkmcnt(4)
	v_fma_f64 v[42:43], -v[28:29], v[84:85], v[42:43]
	v_mov_b32_e32 v52, s24
	v_fma_f64 v[44:45], -v[24:25], v[78:79], v[44:45]
	s_waitcnt lgkmcnt(3)
	v_fma_f64 v[42:43], -v[30:31], v[88:89], v[42:43]
	ds_read_b64 v[52:53], v52
	v_fma_f64 v[44:45], -v[28:29], v[82:83], v[44:45]
	s_waitcnt lgkmcnt(3)
	v_fma_f64 v[42:43], -v[36:37], v[92:93], v[42:43]
	v_fma_f64 v[44:45], -v[30:31], v[86:87], v[44:45]
	s_waitcnt lgkmcnt(2)
	v_fma_f64 v[42:43], -v[38:39], v[96:97], v[42:43]
	v_fma_f64 v[44:45], -v[36:37], v[90:91], v[44:45]
	s_add_i32 s26, s7, 0xffffff88
	s_waitcnt lgkmcnt(1)
	v_mul_f64 v[42:43], v[100:101], v[42:43]
	v_fma_f64 v[44:45], -v[38:39], v[94:95], v[44:45]
	s_add_i32 s27, s26, s6
	v_fma_f64 v[44:45], -v[42:43], v[98:99], v[44:45]
	v_mov_b32_e32 v50, s27
	s_waitcnt lgkmcnt(0)
	v_mul_f64 v[44:45], v[52:53], v[44:45]
	ds_read2_b64 v[50:53], v50 offset1:1
	s_add_i32 s24, s6, 0xfffff4a0
	v_add_u32_e32 v56, s23, v1
	v_add_u32_e32 v54, s24, v1
	s_add_i32 s25, s26, s8
	ds_write_b64 v56, v[42:43]
	ds_write_b64 v54, v[44:45]
	v_mov_b32_e32 v54, s25
	s_add_i32 s25, s26, s9
	ds_read2_b64 v[54:57], v54 offset1:1
	s_waitcnt lgkmcnt(3)
	v_fma_f64 v[48:49], -v[10:11], v[52:53], v[48:49]
	v_mov_b32_e32 v52, s25
	s_add_i32 s25, s26, s12
	ds_read2_b64 v[58:61], v52 offset1:1
	v_mov_b32_e32 v52, s25
	s_add_i32 s25, s26, s13
	ds_read2_b64 v[62:65], v52 offset1:1
	;; [unrolled: 3-line block ×5, first 2 shown]
	v_mov_b32_e32 v52, s25
	s_add_i32 s25, s26, s18
	s_waitcnt lgkmcnt(5)
	v_fma_f64 v[48:49], -v[8:9], v[56:57], v[48:49]
	ds_read2_b64 v[78:81], v52 offset1:1
	v_mov_b32_e32 v52, s25
	s_add_i32 s25, s26, s19
	v_fma_f64 v[46:47], -v[10:11], v[50:51], v[46:47]
	s_waitcnt lgkmcnt(5)
	v_fma_f64 v[48:49], -v[14:15], v[60:61], v[48:49]
	ds_read2_b64 v[82:85], v52 offset1:1
	v_mov_b32_e32 v52, s25
	s_add_i32 s25, s26, s20
	v_fma_f64 v[46:47], -v[8:9], v[54:55], v[46:47]
	;; [unrolled: 6-line block ×6, first 2 shown]
	s_waitcnt lgkmcnt(5)
	v_fma_f64 v[48:49], -v[24:25], v[80:81], v[48:49]
	s_add_i32 s26, s26, s25
	v_fma_f64 v[46:47], -v[22:23], v[74:75], v[46:47]
	s_waitcnt lgkmcnt(4)
	v_fma_f64 v[48:49], -v[28:29], v[84:85], v[48:49]
	ds_read2_b64 v[102:105], v52 offset1:1
	v_mov_b32_e32 v52, s26
	v_fma_f64 v[46:47], -v[24:25], v[78:79], v[46:47]
	s_waitcnt lgkmcnt(4)
	v_fma_f64 v[48:49], -v[30:31], v[88:89], v[48:49]
	ds_read2_b64 v[106:109], v52 offset1:1
	s_add_i32 s26, s27, 0xfffff2e0
	v_fma_f64 v[46:47], -v[28:29], v[82:83], v[46:47]
	s_waitcnt lgkmcnt(4)
	v_fma_f64 v[48:49], -v[36:37], v[92:93], v[48:49]
	v_mov_b32_e32 v52, s26
	v_fma_f64 v[46:47], -v[30:31], v[86:87], v[46:47]
	s_waitcnt lgkmcnt(3)
	v_fma_f64 v[48:49], -v[38:39], v[96:97], v[48:49]
	ds_read_b64 v[52:53], v52
	v_fma_f64 v[46:47], -v[36:37], v[90:91], v[46:47]
	s_waitcnt lgkmcnt(3)
	v_fma_f64 v[48:49], -v[42:43], v[100:101], v[48:49]
	v_fma_f64 v[46:47], -v[38:39], v[94:95], v[46:47]
	s_waitcnt lgkmcnt(2)
	v_fma_f64 v[48:49], -v[44:45], v[104:105], v[48:49]
	v_fma_f64 v[46:47], -v[42:43], v[98:99], v[46:47]
	s_add_i32 s28, s7, 0xffffff78
	s_waitcnt lgkmcnt(1)
	v_mul_f64 v[48:49], v[108:109], v[48:49]
	v_fma_f64 v[46:47], -v[44:45], v[102:103], v[46:47]
	s_add_i32 s29, s28, s6
	v_fma_f64 v[46:47], -v[48:49], v[106:107], v[46:47]
	v_mov_b32_e32 v50, s29
	s_waitcnt lgkmcnt(0)
	v_mul_f64 v[46:47], v[52:53], v[46:47]
	ds_read2_b64 v[50:53], v50 offset1:1
	s_add_i32 s26, s6, 0xfffff2e0
	v_add_u32_e32 v56, s25, v1
	v_add_u32_e32 v54, s26, v1
	s_add_i32 s27, s28, s8
	ds_write_b64 v56, v[48:49]
	ds_write_b64 v54, v[46:47]
	v_mov_b32_e32 v54, s27
	s_add_i32 s27, s28, s9
	ds_read2_b64 v[54:57], v54 offset1:1
	s_waitcnt lgkmcnt(3)
	v_fma_f64 v[40:41], -v[10:11], v[52:53], v[40:41]
	v_mov_b32_e32 v52, s27
	s_add_i32 s27, s28, s12
	ds_read2_b64 v[58:61], v52 offset1:1
	v_mov_b32_e32 v52, s27
	s_add_i32 s27, s28, s13
	ds_read2_b64 v[62:65], v52 offset1:1
	;; [unrolled: 3-line block ×5, first 2 shown]
	v_mov_b32_e32 v52, s27
	s_add_i32 s27, s28, s18
	s_waitcnt lgkmcnt(5)
	v_fma_f64 v[40:41], -v[8:9], v[56:57], v[40:41]
	ds_read2_b64 v[78:81], v52 offset1:1
	v_mov_b32_e32 v52, s27
	s_add_i32 s27, s28, s19
	v_fma_f64 v[34:35], -v[10:11], v[50:51], v[34:35]
	s_waitcnt lgkmcnt(5)
	v_fma_f64 v[40:41], -v[14:15], v[60:61], v[40:41]
	ds_read2_b64 v[82:85], v52 offset1:1
	v_mov_b32_e32 v52, s27
	s_add_i32 s27, s28, s20
	v_fma_f64 v[34:35], -v[8:9], v[54:55], v[34:35]
	s_waitcnt lgkmcnt(5)
	v_fma_f64 v[40:41], -v[12:13], v[64:65], v[40:41]
	ds_read2_b64 v[86:89], v52 offset1:1
	v_mov_b32_e32 v52, s27
	s_add_i32 s27, s28, s21
	v_fma_f64 v[34:35], -v[14:15], v[58:59], v[34:35]
	s_waitcnt lgkmcnt(5)
	v_fma_f64 v[40:41], -v[16:17], v[68:69], v[40:41]
	ds_read2_b64 v[90:93], v52 offset1:1
	v_mov_b32_e32 v52, s27
	s_add_i32 s27, s28, s23
	v_fma_f64 v[34:35], -v[12:13], v[62:63], v[34:35]
	s_waitcnt lgkmcnt(5)
	v_fma_f64 v[40:41], -v[18:19], v[72:73], v[40:41]
	ds_read2_b64 v[94:97], v52 offset1:1
	v_mov_b32_e32 v52, s27
	s_add_i32 s27, s28, s24
	v_fma_f64 v[34:35], -v[16:17], v[66:67], v[34:35]
	s_waitcnt lgkmcnt(5)
	v_fma_f64 v[40:41], -v[22:23], v[76:77], v[40:41]
	ds_read2_b64 v[98:101], v52 offset1:1
	v_mov_b32_e32 v52, s27
	s_add_i32 s27, s28, s25
	v_fma_f64 v[34:35], -v[18:19], v[70:71], v[34:35]
	s_waitcnt lgkmcnt(5)
	v_fma_f64 v[40:41], -v[24:25], v[80:81], v[40:41]
	ds_read2_b64 v[102:105], v52 offset1:1
	v_mov_b32_e32 v52, s27
	s_add_i32 s27, s28, s26
	v_fma_f64 v[34:35], -v[22:23], v[74:75], v[34:35]
	s_waitcnt lgkmcnt(5)
	v_fma_f64 v[40:41], -v[28:29], v[84:85], v[40:41]
	ds_read2_b64 v[106:109], v52 offset1:1
	v_mov_b32_e32 v52, s27
	s_add_i32 s27, s6, 0xfffff200
	v_fma_f64 v[34:35], -v[24:25], v[78:79], v[34:35]
	s_waitcnt lgkmcnt(5)
	v_fma_f64 v[40:41], -v[30:31], v[88:89], v[40:41]
	s_add_i32 s28, s28, s27
	v_fma_f64 v[34:35], -v[28:29], v[82:83], v[34:35]
	s_waitcnt lgkmcnt(4)
	v_fma_f64 v[40:41], -v[36:37], v[92:93], v[40:41]
	ds_read2_b64 v[110:113], v52 offset1:1
	v_mov_b32_e32 v52, s28
	v_fma_f64 v[34:35], -v[30:31], v[86:87], v[34:35]
	s_waitcnt lgkmcnt(4)
	v_fma_f64 v[40:41], -v[38:39], v[96:97], v[40:41]
	ds_read2_b64 v[114:117], v52 offset1:1
	s_add_i32 s28, s29, 0xfffff120
	v_fma_f64 v[34:35], -v[36:37], v[90:91], v[34:35]
	s_waitcnt lgkmcnt(4)
	v_fma_f64 v[40:41], -v[42:43], v[100:101], v[40:41]
	v_mov_b32_e32 v52, s28
	v_fma_f64 v[34:35], -v[38:39], v[94:95], v[34:35]
	s_waitcnt lgkmcnt(3)
	v_fma_f64 v[40:41], -v[44:45], v[104:105], v[40:41]
	ds_read_b64 v[52:53], v52
	v_fma_f64 v[34:35], -v[42:43], v[98:99], v[34:35]
	s_waitcnt lgkmcnt(3)
	v_fma_f64 v[40:41], -v[48:49], v[108:109], v[40:41]
	v_fma_f64 v[34:35], -v[44:45], v[102:103], v[34:35]
	s_waitcnt lgkmcnt(2)
	v_fma_f64 v[40:41], -v[46:47], v[112:113], v[40:41]
	v_fma_f64 v[34:35], -v[48:49], v[106:107], v[34:35]
	s_add_i32 s30, s7, 0xffffff68
	s_waitcnt lgkmcnt(1)
	v_mul_f64 v[40:41], v[116:117], v[40:41]
	v_fma_f64 v[34:35], -v[46:47], v[110:111], v[34:35]
	s_add_i32 s31, s30, s6
	v_fma_f64 v[34:35], -v[40:41], v[114:115], v[34:35]
	v_mov_b32_e32 v50, s31
	s_waitcnt lgkmcnt(0)
	v_mul_f64 v[34:35], v[52:53], v[34:35]
	ds_read2_b64 v[50:53], v50 offset1:1
	s_add_i32 s28, s6, 0xfffff120
	v_add_u32_e32 v56, s27, v1
	v_add_u32_e32 v54, s28, v1
	s_add_i32 s29, s30, s8
	ds_write_b64 v56, v[40:41]
	ds_write_b64 v54, v[34:35]
	v_mov_b32_e32 v54, s29
	s_add_i32 s29, s30, s9
	ds_read2_b64 v[54:57], v54 offset1:1
	s_waitcnt lgkmcnt(3)
	v_fma_f64 v[32:33], -v[10:11], v[52:53], v[32:33]
	v_mov_b32_e32 v52, s29
	s_add_i32 s29, s30, s12
	ds_read2_b64 v[58:61], v52 offset1:1
	v_mov_b32_e32 v52, s29
	s_add_i32 s29, s30, s13
	ds_read2_b64 v[62:65], v52 offset1:1
	;; [unrolled: 3-line block ×5, first 2 shown]
	v_mov_b32_e32 v52, s29
	s_add_i32 s29, s30, s18
	s_waitcnt lgkmcnt(5)
	v_fma_f64 v[32:33], -v[8:9], v[56:57], v[32:33]
	ds_read2_b64 v[78:81], v52 offset1:1
	v_mov_b32_e32 v52, s29
	s_add_i32 s29, s30, s19
	s_waitcnt lgkmcnt(5)
	v_fma_f64 v[32:33], -v[14:15], v[60:61], v[32:33]
	ds_read2_b64 v[82:85], v52 offset1:1
	;; [unrolled: 5-line block ×10, first 2 shown]
	v_mov_b32_e32 v52, s29
	s_add_i32 s29, s6, 0xfffff040
	s_waitcnt lgkmcnt(5)
	v_fma_f64 v[32:33], -v[38:39], v[96:97], v[32:33]
	s_add_i32 s30, s30, s29
	s_waitcnt lgkmcnt(4)
	v_fma_f64 v[32:33], -v[42:43], v[100:101], v[32:33]
	ds_read2_b64 v[118:121], v52 offset1:1
	v_mov_b32_e32 v52, s30
	s_waitcnt lgkmcnt(4)
	v_fma_f64 v[32:33], -v[44:45], v[104:105], v[32:33]
	v_fma_f64 v[56:57], -v[10:11], v[50:51], v[26:27]
	ds_read2_b64 v[50:53], v52 offset1:1
	s_waitcnt lgkmcnt(4)
	v_fma_f64 v[32:33], -v[48:49], v[108:109], v[32:33]
	s_waitcnt lgkmcnt(3)
	v_fma_f64 v[32:33], -v[46:47], v[112:113], v[32:33]
	;; [unrolled: 2-line block ×3, first 2 shown]
	s_add_i32 s30, s31, 0xffffef60
	s_waitcnt lgkmcnt(1)
	v_fma_f64 v[26:27], -v[34:35], v[120:121], v[32:33]
	v_mov_b32_e32 v32, s30
	ds_read_b64 v[32:33], v32
	s_waitcnt lgkmcnt(1)
	v_mul_f64 v[26:27], v[52:53], v[26:27]
	v_add_u32_e32 v52, s29, v1
	ds_write_b64 v52, v[26:27]
	v_fma_f64 v[52:53], -v[8:9], v[54:55], v[56:57]
	v_fma_f64 v[52:53], -v[14:15], v[58:59], v[52:53]
	;; [unrolled: 1-line block ×17, first 2 shown]
	s_add_i32 s34, s7, 0xffffff58
	v_fma_f64 v[50:51], -v[26:27], v[50:51], v[52:53]
	s_add_i32 s31, s34, s6
	s_waitcnt lgkmcnt(1)
	v_mul_f64 v[32:33], v[32:33], v[50:51]
	v_mov_b32_e32 v50, s31
	ds_read2_b64 v[50:53], v50 offset1:1
	s_add_i32 s30, s6, 0xffffef60
	v_add_u32_e32 v54, s30, v1
	s_add_i32 s31, s34, s8
	ds_write_b64 v54, v[32:33]
	v_mov_b32_e32 v54, s31
	s_add_i32 s31, s34, s9
	ds_read2_b64 v[54:57], v54 offset1:1
	s_waitcnt lgkmcnt(2)
	v_fma_f64 v[20:21], -v[10:11], v[52:53], v[20:21]
	v_mov_b32_e32 v52, s31
	s_add_i32 s31, s34, s12
	ds_read2_b64 v[58:61], v52 offset1:1
	v_mov_b32_e32 v52, s31
	s_add_i32 s31, s34, s13
	ds_read2_b64 v[62:65], v52 offset1:1
	;; [unrolled: 3-line block ×4, first 2 shown]
	v_mov_b32_e32 v52, s31
	s_add_i32 s31, s34, s17
	s_waitcnt lgkmcnt(4)
	v_fma_f64 v[20:21], -v[8:9], v[56:57], v[20:21]
	ds_read2_b64 v[74:77], v52 offset1:1
	v_mov_b32_e32 v52, s31
	s_add_i32 s31, s34, s18
	s_waitcnt lgkmcnt(4)
	v_fma_f64 v[20:21], -v[14:15], v[60:61], v[20:21]
	ds_read2_b64 v[78:81], v52 offset1:1
	;; [unrolled: 5-line block ×10, first 2 shown]
	v_mov_b32_e32 v52, s31
	s_add_i32 s31, s34, s28
	s_waitcnt lgkmcnt(4)
	v_fma_f64 v[20:21], -v[38:39], v[96:97], v[20:21]
	v_mov_b32_e32 v53, s31
	s_add_i32 s31, s34, s29
	s_waitcnt lgkmcnt(3)
	v_fma_f64 v[20:21], -v[42:43], v[100:101], v[20:21]
	ds_read2_b64 v[114:117], v52 offset1:1
	ds_read2_b64 v[118:121], v53 offset1:1
	v_mov_b32_e32 v52, s31
	s_add_i32 s31, s34, s30
	s_waitcnt lgkmcnt(4)
	v_fma_f64 v[20:21], -v[44:45], v[104:105], v[20:21]
	v_mov_b32_e32 v56, s31
	v_fma_f64 v[6:7], -v[10:11], v[50:51], v[6:7]
	s_waitcnt lgkmcnt(3)
	v_fma_f64 v[20:21], -v[48:49], v[108:109], v[20:21]
	v_fma_f64 v[6:7], -v[8:9], v[54:55], v[6:7]
	ds_read2_b64 v[50:53], v52 offset1:1
	ds_read2_b64 v[54:57], v56 offset1:1
	s_waitcnt lgkmcnt(4)
	v_fma_f64 v[20:21], -v[46:47], v[112:113], v[20:21]
	s_waitcnt lgkmcnt(3)
	v_fma_f64 v[20:21], -v[40:41], v[116:117], v[20:21]
	s_waitcnt lgkmcnt(2)
	v_fma_f64 v[20:21], -v[34:35], v[120:121], v[20:21]
	s_add_i32 s31, s6, 0xffffee80
	s_waitcnt lgkmcnt(1)
	v_fma_f64 v[20:21], -v[26:27], v[52:53], v[20:21]
	s_add_i32 s33, s34, s31
	s_waitcnt lgkmcnt(0)
	v_fma_f64 v[20:21], -v[32:33], v[56:57], v[20:21]
	v_mov_b32_e32 v56, s33
	v_fma_f64 v[52:53], -v[14:15], v[58:59], v[6:7]
	ds_read2_b64 v[56:59], v56 offset1:1
	s_add_i32 s33, s6, 0xffffeda0
	s_add_i32 s34, s34, s33
	v_mov_b32_e32 v6, s34
	ds_read_b64 v[60:61], v6
	s_waitcnt lgkmcnt(1)
	v_mul_f64 v[6:7], v[58:59], v[20:21]
	v_add_u32_e32 v20, s31, v1
	ds_write_b64 v20, v[6:7]
	v_fma_f64 v[20:21], -v[12:13], v[62:63], v[52:53]
	v_fma_f64 v[20:21], -v[16:17], v[66:67], v[20:21]
	;; [unrolled: 1-line block ×14, first 2 shown]
	s_addk_i32 s7, 0xff48
	v_fma_f64 v[20:21], -v[34:35], v[118:119], v[20:21]
	s_add_i32 s34, s7, s6
	v_fma_f64 v[20:21], -v[26:27], v[50:51], v[20:21]
	v_mov_b32_e32 v50, s34
	ds_read2_b64 v[50:53], v50 offset1:1
	v_fma_f64 v[20:21], -v[32:33], v[54:55], v[20:21]
	v_fma_f64 v[20:21], -v[6:7], v[56:57], v[20:21]
	s_waitcnt lgkmcnt(2)
	v_mul_f64 v[20:21], v[60:61], v[20:21]
	v_add_u32_e32 v54, s33, v1
	s_add_i32 s8, s7, s8
	ds_write_b64 v54, v[20:21]
	v_mov_b32_e32 v54, s8
	s_add_i32 s8, s7, s9
	ds_read2_b64 v[54:57], v54 offset1:1
	s_waitcnt lgkmcnt(2)
	v_fma_f64 v[4:5], -v[10:11], v[52:53], v[4:5]
	v_mov_b32_e32 v52, s8
	s_add_i32 s8, s7, s12
	ds_read2_b64 v[58:61], v52 offset1:1
	v_mov_b32_e32 v52, s8
	s_add_i32 s8, s7, s13
	ds_read2_b64 v[62:65], v52 offset1:1
	;; [unrolled: 3-line block ×4, first 2 shown]
	v_mov_b32_e32 v52, s8
	s_add_i32 s8, s7, s17
	s_waitcnt lgkmcnt(4)
	v_fma_f64 v[4:5], -v[8:9], v[56:57], v[4:5]
	ds_read2_b64 v[74:77], v52 offset1:1
	v_mov_b32_e32 v52, s8
	s_add_i32 s8, s7, s18
	s_waitcnt lgkmcnt(4)
	v_fma_f64 v[4:5], -v[14:15], v[60:61], v[4:5]
	ds_read2_b64 v[78:81], v52 offset1:1
	;; [unrolled: 5-line block ×10, first 2 shown]
	v_mov_b32_e32 v52, s8
	s_waitcnt lgkmcnt(4)
	v_fma_f64 v[4:5], -v[38:39], v[96:97], v[4:5]
	ds_read2_b64 v[114:117], v52 offset1:1
	s_waitcnt lgkmcnt(4)
	v_fma_f64 v[4:5], -v[42:43], v[100:101], v[4:5]
	s_waitcnt lgkmcnt(3)
	v_fma_f64 v[4:5], -v[44:45], v[104:105], v[4:5]
	;; [unrolled: 2-line block ×3, first 2 shown]
	s_add_i32 s8, s7, s28
	s_waitcnt lgkmcnt(1)
	v_fma_f64 v[4:5], -v[46:47], v[112:113], v[4:5]
	v_mov_b32_e32 v52, s8
	s_add_i32 s8, s7, s29
	ds_read2_b64 v[118:121], v52 offset1:1
	s_waitcnt lgkmcnt(1)
	v_fma_f64 v[60:61], -v[40:41], v[116:117], v[4:5]
	v_mov_b32_e32 v4, s8
	s_add_i32 s8, s7, s30
	v_mov_b32_e32 v52, s8
	s_add_i32 s8, s7, s31
	v_fma_f64 v[10:11], -v[10:11], v[50:51], v[2:3]
	ds_read2_b64 v[2:5], v4 offset1:1
	ds_read2_b64 v[50:53], v52 offset1:1
	v_mov_b32_e32 v56, s8
	s_add_i32 s8, s7, s33
	v_fma_f64 v[8:9], -v[8:9], v[54:55], v[10:11]
	v_mov_b32_e32 v54, s8
	v_fma_f64 v[14:15], -v[14:15], v[58:59], v[8:9]
	ds_read2_b64 v[8:11], v56 offset1:1
	ds_read2_b64 v[54:57], v54 offset1:1
	s_waitcnt lgkmcnt(4)
	v_fma_f64 v[58:59], -v[34:35], v[120:121], v[60:61]
	s_waitcnt lgkmcnt(3)
	v_fma_f64 v[4:5], -v[26:27], v[4:5], v[58:59]
	s_add_i32 s8, s6, 0xffffecc0
	s_waitcnt lgkmcnt(2)
	v_fma_f64 v[4:5], -v[32:33], v[52:53], v[4:5]
	s_add_i32 s9, s7, s8
	s_waitcnt lgkmcnt(1)
	v_fma_f64 v[4:5], -v[6:7], v[10:11], v[4:5]
	v_mov_b32_e32 v10, s9
	s_waitcnt lgkmcnt(0)
	v_fma_f64 v[4:5], -v[20:21], v[56:57], v[4:5]
	ds_read2_b64 v[56:59], v10 offset1:1
	v_fma_f64 v[10:11], -v[12:13], v[62:63], v[14:15]
	v_fma_f64 v[10:11], -v[16:17], v[66:67], v[10:11]
	;; [unrolled: 1-line block ×12, first 2 shown]
	s_addk_i32 s6, 0xebe0
	v_fma_f64 v[10:11], -v[46:47], v[110:111], v[10:11]
	s_add_i32 s7, s7, s6
	v_fma_f64 v[10:11], -v[40:41], v[114:115], v[10:11]
	v_mov_b32_e32 v12, s7
	v_fma_f64 v[10:11], -v[34:35], v[118:119], v[10:11]
	ds_read_b64 v[12:13], v12
	v_fma_f64 v[2:3], -v[26:27], v[2:3], v[10:11]
	v_fma_f64 v[2:3], -v[32:33], v[50:51], v[2:3]
	;; [unrolled: 1-line block ×3, first 2 shown]
	s_waitcnt lgkmcnt(1)
	v_mul_f64 v[4:5], v[58:59], v[4:5]
	v_fma_f64 v[2:3], -v[20:21], v[54:55], v[2:3]
	v_add_u32_e32 v14, s8, v1
	v_fma_f64 v[2:3], -v[4:5], v[56:57], v[2:3]
	ds_write_b64 v14, v[4:5]
	s_waitcnt lgkmcnt(1)
	v_mul_f64 v[2:3], v[12:13], v[2:3]
	v_add_u32_e32 v4, s6, v1
	s_sub_i32 s5, s5, 24
	ds_write_b64 v4, v[2:3]
.LBB97_33:
	s_cmp_lt_i32 s5, 0
	s_cbranch_scc1 .LBB97_50
; %bb.34:
	s_and_b32 s6, s5, 3
	s_cmp_eq_u32 s6, 3
	s_mul_i32 s7, s22, 0xe0
	s_mov_b32 s6, s5
	s_cbranch_scc1 .LBB97_39
; %bb.35:
	s_add_i32 s6, s5, 1
	s_and_b32 s8, s6, 3
	s_lshl_b32 s6, s5, 3
	s_add_i32 s6, s7, s6
	v_lshl_add_u32 v2, v0, 3, s7
	s_add_i32 s9, s6, 0xffffff20
	v_add_u32_e32 v4, 0x17a0, v2
	s_mov_b32 s12, 0
	s_mov_b32 s6, s5
	s_branch .LBB97_37
.LBB97_36:                              ;   in Loop: Header=BB97_37 Depth=1
	s_mul_i32 s13, s6, 0xe8
	v_mov_b32_e32 v6, s13
	ds_read_b64 v[6:7], v6
	s_add_i32 s6, s6, -1
	s_add_i32 s12, s12, 1
	s_add_i32 s9, s9, -8
	s_cmp_lg_u32 s12, s8
	s_waitcnt lgkmcnt(0)
	v_mul_f64 v[2:3], v[6:7], v[2:3]
	ds_write_b64 v5, v[2:3]
	s_cbranch_scc0 .LBB97_39
.LBB97_37:                              ; =>This Loop Header: Depth=1
                                        ;     Child Loop BB97_38 Depth 2
	s_mul_i32 s13, s6, 0xe0
	v_add_u32_e32 v5, s13, v1
	ds_read_b64 v[2:3], v5
	s_cmp_le_i32 s4, s6
	v_mov_b32_e32 v6, v4
	s_mov_b32 s13, s9
	s_mov_b32 s14, s4
	s_cbranch_scc1 .LBB97_36
.LBB97_38:                              ;   Parent Loop BB97_37 Depth=1
                                        ; =>  This Inner Loop Header: Depth=2
	v_mov_b32_e32 v7, s13
	ds_read_b64 v[8:9], v6
	ds_read_b64 v[10:11], v7
	s_add_i32 s14, s14, -1
	s_addk_i32 s13, 0xff20
	v_add_u32_e32 v6, 0xffffff20, v6
	s_cmp_gt_i32 s14, s6
	s_waitcnt lgkmcnt(0)
	v_fma_f64 v[2:3], -v[8:9], v[10:11], v[2:3]
	s_cbranch_scc1 .LBB97_38
	s_branch .LBB97_36
.LBB97_39:
	s_cmp_lt_u32 s5, 3
	s_cbranch_scc1 .LBB97_50
; %bb.40:
	s_lshl_b32 s5, s6, 3
	s_add_i32 s9, s7, s5
	v_lshl_add_u32 v2, v0, 3, s7
	s_add_i32 s5, s9, 0xffffff20
	v_add_u32_e32 v6, 0x17a0, v2
	s_add_i32 s7, s9, 0xffffff18
	s_add_i32 s8, s9, 0xffffff10
	s_addk_i32 s9, 0xff08
	s_branch .LBB97_42
.LBB97_41:                              ;   in Loop: Header=BB97_42 Depth=1
	s_add_i32 s12, s13, 0xffffff18
	v_mov_b32_e32 v2, s12
	ds_read_b64 v[2:3], v2
	s_add_i32 s12, s6, -4
	s_sub_i32 s5, s5, 32
	s_sub_i32 s7, s7, 32
	s_sub_i32 s8, s8, 32
	s_sub_i32 s9, s9, 32
	s_waitcnt lgkmcnt(0)
	v_mul_f64 v[2:3], v[2:3], v[4:5]
	s_cmp_lt_i32 s6, 4
	s_mov_b32 s6, s12
	ds_write_b64 v7, v[2:3]
	s_cbranch_scc1 .LBB97_50
.LBB97_42:                              ; =>This Loop Header: Depth=1
                                        ;     Child Loop BB97_43 Depth 2
                                        ;     Child Loop BB97_45 Depth 2
	;; [unrolled: 1-line block ×4, first 2 shown]
	s_mul_i32 s12, s6, 0xe0
	v_add_u32_e32 v8, s12, v1
	ds_read_b64 v[2:3], v8
	s_cmp_le_i32 s4, s6
	v_mov_b32_e32 v4, v6
	s_mov_b32 s13, s5
	s_mov_b32 s14, s4
	s_cbranch_scc1 .LBB97_44
.LBB97_43:                              ;   Parent Loop BB97_42 Depth=1
                                        ; =>  This Inner Loop Header: Depth=2
	v_mov_b32_e32 v5, s13
	ds_read_b64 v[10:11], v4
	ds_read_b64 v[12:13], v5
	s_add_i32 s14, s14, -1
	s_addk_i32 s13, 0xff20
	v_add_u32_e32 v4, 0xffffff20, v4
	s_cmp_gt_i32 s14, s6
	s_waitcnt lgkmcnt(0)
	v_fma_f64 v[2:3], -v[10:11], v[12:13], v[2:3]
	s_cbranch_scc1 .LBB97_43
.LBB97_44:                              ;   in Loop: Header=BB97_42 Depth=1
	s_mul_i32 s13, s6, 0xe8
	v_mov_b32_e32 v4, s13
	ds_read_b64 v[10:11], v4
	s_addk_i32 s12, 0xff20
	v_add_u32_e32 v7, s12, v1
	ds_read_b64 v[4:5], v7
	s_cmp_le_i32 s22, s6
	s_waitcnt lgkmcnt(1)
	v_mul_f64 v[2:3], v[10:11], v[2:3]
	ds_write_b64 v8, v[2:3]
	v_mov_b32_e32 v2, v6
	s_mov_b32 s14, s7
	s_mov_b32 s15, s22
	s_cbranch_scc1 .LBB97_46
.LBB97_45:                              ;   Parent Loop BB97_42 Depth=1
                                        ; =>  This Inner Loop Header: Depth=2
	v_mov_b32_e32 v3, s14
	ds_read_b64 v[8:9], v2
	ds_read_b64 v[10:11], v3
	s_add_i32 s15, s15, -1
	s_addk_i32 s14, 0xff20
	v_add_u32_e32 v2, 0xffffff20, v2
	s_cmp_gt_i32 s15, s6
	s_waitcnt lgkmcnt(0)
	v_fma_f64 v[4:5], -v[8:9], v[10:11], v[4:5]
	s_cbranch_scc1 .LBB97_45
.LBB97_46:                              ;   in Loop: Header=BB97_42 Depth=1
	s_addk_i32 s13, 0xff18
	v_mov_b32_e32 v2, s13
	ds_read_b64 v[10:11], v2
	s_addk_i32 s12, 0xff20
	v_add_u32_e32 v8, s12, v1
	ds_read_b64 v[2:3], v8
	s_add_i32 s14, s6, -2
	s_waitcnt lgkmcnt(1)
	v_mul_f64 v[4:5], v[10:11], v[4:5]
	ds_write_b64 v7, v[4:5]
	s_cmp_le_i32 s4, s14
	v_mov_b32_e32 v4, v6
	s_mov_b32 s15, s8
	s_mov_b32 s17, s4
	s_cbranch_scc1 .LBB97_48
.LBB97_47:                              ;   Parent Loop BB97_42 Depth=1
                                        ; =>  This Inner Loop Header: Depth=2
	v_mov_b32_e32 v5, s15
	ds_read_b64 v[10:11], v4
	ds_read_b64 v[12:13], v5
	s_add_i32 s17, s17, -1
	s_addk_i32 s15, 0xff20
	v_add_u32_e32 v4, 0xffffff20, v4
	s_cmp_gt_i32 s17, s14
	s_waitcnt lgkmcnt(0)
	v_fma_f64 v[2:3], -v[10:11], v[12:13], v[2:3]
	s_cbranch_scc1 .LBB97_47
.LBB97_48:                              ;   in Loop: Header=BB97_42 Depth=1
	s_addk_i32 s13, 0xff18
	v_mov_b32_e32 v4, s13
	ds_read_b64 v[10:11], v4
	s_addk_i32 s12, 0xff20
	v_add_u32_e32 v7, s12, v1
	ds_read_b64 v[4:5], v7
	s_add_i32 s14, s6, -3
	s_waitcnt lgkmcnt(1)
	v_mul_f64 v[2:3], v[10:11], v[2:3]
	ds_write_b64 v8, v[2:3]
	s_cmp_le_i32 s4, s14
	v_mov_b32_e32 v2, v6
	s_mov_b32 s12, s9
	s_mov_b32 s15, s4
	s_cbranch_scc1 .LBB97_41
.LBB97_49:                              ;   Parent Loop BB97_42 Depth=1
                                        ; =>  This Inner Loop Header: Depth=2
	v_mov_b32_e32 v3, s12
	ds_read_b64 v[8:9], v2
	ds_read_b64 v[10:11], v3
	s_add_i32 s15, s15, -1
	s_addk_i32 s12, 0xff20
	v_add_u32_e32 v2, 0xffffff20, v2
	s_cmp_gt_i32 s15, s14
	s_waitcnt lgkmcnt(0)
	v_fma_f64 v[4:5], -v[8:9], v[10:11], v[4:5]
	s_cbranch_scc1 .LBB97_49
	s_branch .LBB97_41
.LBB97_50:
	s_waitcnt lgkmcnt(0)
	; wave barrier
	s_and_saveexec_b64 s[4:5], s[0:1]
	s_cbranch_execz .LBB97_54
; %bb.51:
	s_andn2_b64 vcc, exec, s[10:11]
	s_cbranch_vccnz .LBB97_54
; %bb.52:
	v_mad_i64_i32 v[2:3], s[0:1], s16, v0, 0
	v_mov_b32_e32 v1, 0x1880
	v_lshl_add_u64 v[2:3], v[2:3], 3, s[2:3]
	v_lshl_add_u32 v0, v0, 3, v1
.LBB97_53:                              ; =>This Inner Loop Header: Depth=1
	ds_read_b64 v[4:5], v0
	s_add_i32 s22, s22, -1
	v_add_u32_e32 v0, 0xe0, v0
	s_cmp_lg_u32 s22, 0
	s_waitcnt lgkmcnt(0)
	flat_store_dwordx2 v[2:3], v[4:5]
	v_lshl_add_u64 v[2:3], v[2:3], 0, 8
	s_cbranch_scc1 .LBB97_53
.LBB97_54:
	s_endpgm
	.section	.rodata,"a",@progbits
	.p2align	6, 0x0
	.amdhsa_kernel _ZL38rocblas_trsm_small_left_device_sharedBILi28ELi28ELb0EddPKPKdPKPdEv13rocblas_fill_18rocblas_operation_17rocblas_diagonal_iiT3_T4_lilT5_lili
		.amdhsa_group_segment_fixed_size 12544
		.amdhsa_private_segment_fixed_size 0
		.amdhsa_kernarg_size 360
		.amdhsa_user_sgpr_count 2
		.amdhsa_user_sgpr_dispatch_ptr 0
		.amdhsa_user_sgpr_queue_ptr 0
		.amdhsa_user_sgpr_kernarg_segment_ptr 1
		.amdhsa_user_sgpr_dispatch_id 0
		.amdhsa_user_sgpr_kernarg_preload_length 0
		.amdhsa_user_sgpr_kernarg_preload_offset 0
		.amdhsa_user_sgpr_private_segment_size 0
		.amdhsa_uses_dynamic_stack 0
		.amdhsa_enable_private_segment 0
		.amdhsa_system_sgpr_workgroup_id_x 1
		.amdhsa_system_sgpr_workgroup_id_y 0
		.amdhsa_system_sgpr_workgroup_id_z 1
		.amdhsa_system_sgpr_workgroup_info 0
		.amdhsa_system_vgpr_workitem_id 0
		.amdhsa_next_free_vgpr 132
		.amdhsa_next_free_sgpr 96
		.amdhsa_accum_offset 132
		.amdhsa_reserve_vcc 1
		.amdhsa_float_round_mode_32 0
		.amdhsa_float_round_mode_16_64 0
		.amdhsa_float_denorm_mode_32 3
		.amdhsa_float_denorm_mode_16_64 3
		.amdhsa_dx10_clamp 1
		.amdhsa_ieee_mode 1
		.amdhsa_fp16_overflow 0
		.amdhsa_tg_split 0
		.amdhsa_exception_fp_ieee_invalid_op 0
		.amdhsa_exception_fp_denorm_src 0
		.amdhsa_exception_fp_ieee_div_zero 0
		.amdhsa_exception_fp_ieee_overflow 0
		.amdhsa_exception_fp_ieee_underflow 0
		.amdhsa_exception_fp_ieee_inexact 0
		.amdhsa_exception_int_div_zero 0
	.end_amdhsa_kernel
	.section	.text._ZL38rocblas_trsm_small_left_device_sharedBILi28ELi28ELb0EddPKPKdPKPdEv13rocblas_fill_18rocblas_operation_17rocblas_diagonal_iiT3_T4_lilT5_lili,"axG",@progbits,_ZL38rocblas_trsm_small_left_device_sharedBILi28ELi28ELb0EddPKPKdPKPdEv13rocblas_fill_18rocblas_operation_17rocblas_diagonal_iiT3_T4_lilT5_lili,comdat
.Lfunc_end97:
	.size	_ZL38rocblas_trsm_small_left_device_sharedBILi28ELi28ELb0EddPKPKdPKPdEv13rocblas_fill_18rocblas_operation_17rocblas_diagonal_iiT3_T4_lilT5_lili, .Lfunc_end97-_ZL38rocblas_trsm_small_left_device_sharedBILi28ELi28ELb0EddPKPKdPKPdEv13rocblas_fill_18rocblas_operation_17rocblas_diagonal_iiT3_T4_lilT5_lili
                                        ; -- End function
	.set _ZL38rocblas_trsm_small_left_device_sharedBILi28ELi28ELb0EddPKPKdPKPdEv13rocblas_fill_18rocblas_operation_17rocblas_diagonal_iiT3_T4_lilT5_lili.num_vgpr, 132
	.set _ZL38rocblas_trsm_small_left_device_sharedBILi28ELi28ELb0EddPKPKdPKPdEv13rocblas_fill_18rocblas_operation_17rocblas_diagonal_iiT3_T4_lilT5_lili.num_agpr, 0
	.set _ZL38rocblas_trsm_small_left_device_sharedBILi28ELi28ELb0EddPKPKdPKPdEv13rocblas_fill_18rocblas_operation_17rocblas_diagonal_iiT3_T4_lilT5_lili.numbered_sgpr, 35
	.set _ZL38rocblas_trsm_small_left_device_sharedBILi28ELi28ELb0EddPKPKdPKPdEv13rocblas_fill_18rocblas_operation_17rocblas_diagonal_iiT3_T4_lilT5_lili.num_named_barrier, 0
	.set _ZL38rocblas_trsm_small_left_device_sharedBILi28ELi28ELb0EddPKPKdPKPdEv13rocblas_fill_18rocblas_operation_17rocblas_diagonal_iiT3_T4_lilT5_lili.private_seg_size, 0
	.set _ZL38rocblas_trsm_small_left_device_sharedBILi28ELi28ELb0EddPKPKdPKPdEv13rocblas_fill_18rocblas_operation_17rocblas_diagonal_iiT3_T4_lilT5_lili.uses_vcc, 1
	.set _ZL38rocblas_trsm_small_left_device_sharedBILi28ELi28ELb0EddPKPKdPKPdEv13rocblas_fill_18rocblas_operation_17rocblas_diagonal_iiT3_T4_lilT5_lili.uses_flat_scratch, 0
	.set _ZL38rocblas_trsm_small_left_device_sharedBILi28ELi28ELb0EddPKPKdPKPdEv13rocblas_fill_18rocblas_operation_17rocblas_diagonal_iiT3_T4_lilT5_lili.has_dyn_sized_stack, 0
	.set _ZL38rocblas_trsm_small_left_device_sharedBILi28ELi28ELb0EddPKPKdPKPdEv13rocblas_fill_18rocblas_operation_17rocblas_diagonal_iiT3_T4_lilT5_lili.has_recursion, 0
	.set _ZL38rocblas_trsm_small_left_device_sharedBILi28ELi28ELb0EddPKPKdPKPdEv13rocblas_fill_18rocblas_operation_17rocblas_diagonal_iiT3_T4_lilT5_lili.has_indirect_call, 0
	.section	.AMDGPU.csdata,"",@progbits
; Kernel info:
; codeLenInByte = 26384
; TotalNumSgprs: 41
; NumVgprs: 132
; NumAgprs: 0
; TotalNumVgprs: 132
; ScratchSize: 0
; MemoryBound: 0
; FloatMode: 240
; IeeeMode: 1
; LDSByteSize: 12544 bytes/workgroup (compile time only)
; SGPRBlocks: 12
; VGPRBlocks: 16
; NumSGPRsForWavesPerEU: 102
; NumVGPRsForWavesPerEU: 132
; AccumOffset: 132
; Occupancy: 3
; WaveLimiterHint : 0
; COMPUTE_PGM_RSRC2:SCRATCH_EN: 0
; COMPUTE_PGM_RSRC2:USER_SGPR: 2
; COMPUTE_PGM_RSRC2:TRAP_HANDLER: 0
; COMPUTE_PGM_RSRC2:TGID_X_EN: 1
; COMPUTE_PGM_RSRC2:TGID_Y_EN: 0
; COMPUTE_PGM_RSRC2:TGID_Z_EN: 1
; COMPUTE_PGM_RSRC2:TIDIG_COMP_CNT: 0
; COMPUTE_PGM_RSRC3_GFX90A:ACCUM_OFFSET: 32
; COMPUTE_PGM_RSRC3_GFX90A:TG_SPLIT: 0
	.section	.text._ZL30rocblas_trsm_small_left_deviceILi28ELi28ELb0EddPKPKdPKPdEv13rocblas_fill_18rocblas_operation_17rocblas_diagonal_iiT3_T4_lilT5_lili,"axG",@progbits,_ZL30rocblas_trsm_small_left_deviceILi28ELi28ELb0EddPKPKdPKPdEv13rocblas_fill_18rocblas_operation_17rocblas_diagonal_iiT3_T4_lilT5_lili,comdat
	.globl	_ZL30rocblas_trsm_small_left_deviceILi28ELi28ELb0EddPKPKdPKPdEv13rocblas_fill_18rocblas_operation_17rocblas_diagonal_iiT3_T4_lilT5_lili ; -- Begin function _ZL30rocblas_trsm_small_left_deviceILi28ELi28ELb0EddPKPKdPKPdEv13rocblas_fill_18rocblas_operation_17rocblas_diagonal_iiT3_T4_lilT5_lili
	.p2align	8
	.type	_ZL30rocblas_trsm_small_left_deviceILi28ELi28ELb0EddPKPKdPKPdEv13rocblas_fill_18rocblas_operation_17rocblas_diagonal_iiT3_T4_lilT5_lili,@function
_ZL30rocblas_trsm_small_left_deviceILi28ELi28ELb0EddPKPKdPKPdEv13rocblas_fill_18rocblas_operation_17rocblas_diagonal_iiT3_T4_lilT5_lili: ; @_ZL30rocblas_trsm_small_left_deviceILi28ELi28ELb0EddPKPKdPKPdEv13rocblas_fill_18rocblas_operation_17rocblas_diagonal_iiT3_T4_lilT5_lili
; %bb.0:
	s_load_dwordx2 s[18:19], s[0:1], 0x28
	s_load_dwordx4 s[12:15], s[0:1], 0x40
	s_load_dwordx4 s[8:11], s[0:1], 0x4
	s_load_dwordx4 s[4:7], s[0:1], 0x18
	s_mov_b32 s16, s3
	s_mov_b32 s17, 0
	s_lshl_b64 s[20:21], s[16:17], 3
	s_waitcnt lgkmcnt(0)
	s_add_u32 s12, s12, s20
	s_addc_u32 s13, s13, s21
	s_load_dwordx2 s[12:13], s[12:13], 0x0
	s_min_i32 s22, s10, 28
	v_cmp_gt_i32_e32 vcc, s22, v0
	s_and_saveexec_b64 s[16:17], vcc
	s_cbranch_execz .LBB98_6
; %bb.1:
	s_load_dword s24, s[0:1], 0x30
	v_lshlrev_b32_e32 v2, 3, v0
	v_mov_b32_e32 v3, 0
	v_mov_b32_e32 v1, v2
	s_mov_b32 s3, s22
	s_waitcnt lgkmcnt(0)
	s_ashr_i32 s25, s24, 31
	s_add_u32 s6, s6, s20
	s_addc_u32 s7, s7, s21
	s_load_dwordx2 s[6:7], s[6:7], 0x0
	s_lshl_b64 s[18:19], s[18:19], 3
	s_waitcnt lgkmcnt(0)
	s_add_u32 s18, s6, s18
	s_addc_u32 s19, s7, s19
	s_lshl_b64 s[6:7], s[24:25], 3
	v_lshl_add_u64 v[4:5], s[18:19], 0, v[2:3]
.LBB98_2:                               ; =>This Inner Loop Header: Depth=1
	flat_load_dwordx2 v[6:7], v[4:5]
	s_add_i32 s3, s3, -1
	v_lshl_add_u64 v[4:5], v[4:5], 0, s[6:7]
	s_cmp_eq_u32 s3, 0
	s_waitcnt vmcnt(0) lgkmcnt(0)
	ds_write_b64 v1, v[6:7]
	v_add_u32_e32 v1, 0xe0, v1
	s_cbranch_scc0 .LBB98_2
; %bb.3:
	v_mul_u32_u24_e32 v1, 0xe0, v0
	s_cmpk_lg_i32 s9, 0x84
	v_mov_b64_e32 v[4:5], 1.0
	v_add_u32_e32 v1, v2, v1
	s_cbranch_scc0 .LBB98_5
; %bb.4:
	ds_read_b64 v[2:3], v1
	s_waitcnt lgkmcnt(0)
	v_div_scale_f64 v[4:5], s[6:7], v[2:3], v[2:3], 1.0
	v_rcp_f64_e32 v[6:7], v[4:5]
	v_div_scale_f64 v[8:9], vcc, 1.0, v[2:3], 1.0
	v_fma_f64 v[10:11], -v[4:5], v[6:7], 1.0
	v_fmac_f64_e32 v[6:7], v[6:7], v[10:11]
	v_fma_f64 v[10:11], -v[4:5], v[6:7], 1.0
	v_fmac_f64_e32 v[6:7], v[6:7], v[10:11]
	v_mul_f64 v[10:11], v[8:9], v[6:7]
	v_fma_f64 v[4:5], -v[4:5], v[10:11], v[8:9]
	v_div_fmas_f64 v[4:5], v[4:5], v[6:7], v[10:11]
	v_div_fixup_f64 v[4:5], v[4:5], v[2:3], 1.0
.LBB98_5:
	ds_write_b64 v1, v[4:5]
.LBB98_6:
	s_or_b64 exec, exec, s[16:17]
	s_load_dword s3, s[0:1], 0x68
	s_mul_i32 s6, s2, 0xffffffe4
	s_add_i32 s6, s11, s6
	s_waitcnt lgkmcnt(0)
	; wave barrier
	s_add_i32 s3, s3, -1
	s_cmp_ge_u32 s2, s3
	s_cselect_b32 s3, s6, 28
	v_cmp_gt_i32_e32 vcc, s3, v0
	s_and_saveexec_b64 s[6:7], vcc
	s_cbranch_execz .LBB98_51
; %bb.7:
	s_load_dword s6, s[0:1], 0x50
	s_lshl_b64 s[0:1], s[14:15], 3
	s_add_u32 s0, s12, s0
	v_mad_u64_u32 v[0:1], s[2:3], s2, 28, v[0:1]
	s_addc_u32 s1, s13, s1
	s_waitcnt lgkmcnt(0)
	v_mad_i64_i32 v[0:1], s[2:3], s6, v0, 0
	v_lshl_add_u64 v[48:49], v[0:1], 3, s[0:1]
	s_cmpk_eq_i32 s8, 0x6f
	s_mov_b64 s[0:1], -1
	s_cbranch_scc1 .LBB98_25
; %bb.8:
	s_cmp_lt_i32 s10, 28
	s_cselect_b64 s[0:1], -1, 0
	s_cmp_gt_i32 s10, 27
	s_mov_b32 s2, 0
	s_cbranch_scc0 .LBB98_10
; %bb.9:
	flat_load_dwordx4 v[0:3], v[48:49]
	flat_load_dwordx4 v[4:7], v[48:49] offset:16
	flat_load_dwordx4 v[8:11], v[48:49] offset:32
	;; [unrolled: 1-line block ×3, first 2 shown]
	v_mov_b32_e32 v58, 0
	ds_read_b64 v[12:13], v58
	flat_load_dwordx4 v[40:43], v[48:49] offset:64
	s_mov_b32 s2, 28
	s_waitcnt vmcnt(0) lgkmcnt(0)
	v_mul_f64 v[0:1], s[4:5], v[0:1]
	v_mul_f64 v[24:25], v[12:13], v[0:1]
	flat_store_dwordx2 v[48:49], v[24:25]
	ds_read_b128 v[12:15], v58 offset:224
	s_waitcnt lgkmcnt(0)
	v_mul_f64 v[0:1], v[24:25], v[12:13]
	v_fma_f64 v[0:1], s[4:5], v[2:3], -v[0:1]
	v_mul_f64 v[26:27], v[14:15], v[0:1]
	flat_store_dwordx2 v[48:49], v[26:27] offset:8
	ds_read_b128 v[0:3], v58 offset:448
	ds_read_b64 v[12:13], v58 offset:464
	s_waitcnt lgkmcnt(0)
	v_mul_f64 v[0:1], v[24:25], v[0:1]
	v_fma_f64 v[0:1], s[4:5], v[4:5], -v[0:1]
	v_fma_f64 v[0:1], -v[26:27], v[2:3], v[0:1]
	v_mul_f64 v[28:29], v[12:13], v[0:1]
	flat_store_dwordx2 v[48:49], v[28:29] offset:16
	ds_read_b128 v[0:3], v58 offset:672
	ds_read_b128 v[12:15], v58 offset:688
	flat_load_dwordx4 v[20:23], v[48:49] offset:80
	s_waitcnt lgkmcnt(0)
	v_mul_f64 v[0:1], v[24:25], v[0:1]
	v_fma_f64 v[0:1], s[4:5], v[6:7], -v[0:1]
	v_fma_f64 v[0:1], -v[26:27], v[2:3], v[0:1]
	v_fma_f64 v[0:1], -v[28:29], v[12:13], v[0:1]
	v_mul_f64 v[30:31], v[14:15], v[0:1]
	flat_store_dwordx2 v[48:49], v[30:31] offset:24
	ds_read_b128 v[0:3], v58 offset:896
	ds_read_b128 v[4:7], v58 offset:912
	ds_read_b64 v[12:13], v58 offset:928
	s_waitcnt lgkmcnt(0)
	v_mul_f64 v[0:1], v[24:25], v[0:1]
	v_fma_f64 v[0:1], s[4:5], v[8:9], -v[0:1]
	v_fma_f64 v[0:1], -v[26:27], v[2:3], v[0:1]
	v_fma_f64 v[0:1], -v[28:29], v[4:5], v[0:1]
	;; [unrolled: 1-line block ×3, first 2 shown]
	v_mul_f64 v[32:33], v[12:13], v[0:1]
	flat_store_dwordx2 v[48:49], v[32:33] offset:32
	ds_read_b128 v[0:3], v58 offset:1120
	flat_load_dwordx4 v[16:19], v[48:49] offset:96
	flat_load_dwordx4 v[12:15], v[48:49] offset:112
	ds_read_b128 v[4:7], v58 offset:1136
	ds_read_b128 v[44:47], v58 offset:1152
	s_waitcnt lgkmcnt(0)
	v_mul_f64 v[0:1], v[24:25], v[0:1]
	v_fma_f64 v[0:1], s[4:5], v[10:11], -v[0:1]
	v_fma_f64 v[0:1], -v[26:27], v[2:3], v[0:1]
	v_fma_f64 v[0:1], -v[28:29], v[4:5], v[0:1]
	;; [unrolled: 1-line block ×4, first 2 shown]
	v_mul_f64 v[34:35], v[46:47], v[0:1]
	flat_store_dwordx2 v[48:49], v[34:35] offset:40
	ds_read_b128 v[0:3], v58 offset:1344
	flat_load_dwordx4 v[8:11], v[48:49] offset:128
	flat_load_dwordx4 v[4:7], v[48:49] offset:144
	ds_read_b128 v[44:47], v58 offset:1360
	ds_read_b128 v[50:53], v58 offset:1376
	ds_read_b64 v[54:55], v58 offset:1392
	s_waitcnt lgkmcnt(0)
	v_mul_f64 v[0:1], v[24:25], v[0:1]
	v_fma_f64 v[0:1], s[4:5], v[36:37], -v[0:1]
	v_fma_f64 v[0:1], -v[26:27], v[2:3], v[0:1]
	v_fma_f64 v[0:1], -v[28:29], v[44:45], v[0:1]
	;; [unrolled: 1-line block ×5, first 2 shown]
	v_mul_f64 v[36:37], v[54:55], v[0:1]
	flat_store_dwordx2 v[48:49], v[36:37] offset:48
	ds_read_b128 v[44:47], v58 offset:1568
	flat_load_dwordx4 v[0:3], v[48:49] offset:160
	ds_read_b128 v[50:53], v58 offset:1584
	ds_read_b128 v[54:57], v58 offset:1600
	;; [unrolled: 1-line block ×3, first 2 shown]
	s_waitcnt lgkmcnt(0)
	v_mul_f64 v[44:45], v[24:25], v[44:45]
	v_fma_f64 v[38:39], s[4:5], v[38:39], -v[44:45]
	v_fma_f64 v[38:39], -v[26:27], v[46:47], v[38:39]
	v_fma_f64 v[38:39], -v[28:29], v[50:51], v[38:39]
	;; [unrolled: 1-line block ×6, first 2 shown]
	v_mul_f64 v[38:39], v[62:63], v[38:39]
	flat_store_dwordx2 v[48:49], v[38:39] offset:56
	ds_read_b128 v[44:47], v58 offset:1792
	ds_read_b128 v[50:53], v58 offset:1808
	;; [unrolled: 1-line block ×4, first 2 shown]
	ds_read_b64 v[64:65], v58 offset:1856
	s_waitcnt lgkmcnt(0)
	v_mul_f64 v[44:45], v[24:25], v[44:45]
	v_fma_f64 v[40:41], s[4:5], v[40:41], -v[44:45]
	v_fma_f64 v[40:41], -v[26:27], v[46:47], v[40:41]
	v_fma_f64 v[40:41], -v[28:29], v[50:51], v[40:41]
	;; [unrolled: 1-line block ×7, first 2 shown]
	v_mul_f64 v[40:41], v[64:65], v[40:41]
	flat_store_dwordx2 v[48:49], v[40:41] offset:64
	ds_read_b128 v[44:47], v58 offset:2016
	ds_read_b128 v[50:53], v58 offset:2032
	;; [unrolled: 1-line block ×5, first 2 shown]
	s_waitcnt lgkmcnt(0)
	v_mul_f64 v[44:45], v[24:25], v[44:45]
	v_fma_f64 v[42:43], s[4:5], v[42:43], -v[44:45]
	v_fma_f64 v[42:43], -v[26:27], v[46:47], v[42:43]
	v_fma_f64 v[42:43], -v[28:29], v[50:51], v[42:43]
	;; [unrolled: 1-line block ×8, first 2 shown]
	v_mul_f64 v[42:43], v[66:67], v[42:43]
	flat_store_dwordx2 v[48:49], v[42:43] offset:72
	ds_read_b128 v[44:47], v58 offset:2240
	ds_read_b128 v[50:53], v58 offset:2256
	;; [unrolled: 1-line block ×5, first 2 shown]
	ds_read_b64 v[68:69], v58 offset:2320
	s_waitcnt lgkmcnt(0)
	v_mul_f64 v[44:45], v[24:25], v[44:45]
	s_waitcnt vmcnt(0)
	v_fma_f64 v[20:21], s[4:5], v[20:21], -v[44:45]
	v_fma_f64 v[20:21], -v[26:27], v[46:47], v[20:21]
	v_fma_f64 v[20:21], -v[28:29], v[50:51], v[20:21]
	v_fma_f64 v[20:21], -v[30:31], v[52:53], v[20:21]
	v_fma_f64 v[20:21], -v[32:33], v[54:55], v[20:21]
	v_fma_f64 v[20:21], -v[34:35], v[56:57], v[20:21]
	v_fma_f64 v[20:21], -v[36:37], v[60:61], v[20:21]
	v_fma_f64 v[20:21], -v[38:39], v[62:63], v[20:21]
	v_fma_f64 v[20:21], -v[40:41], v[64:65], v[20:21]
	v_fma_f64 v[20:21], -v[42:43], v[66:67], v[20:21]
	v_mul_f64 v[20:21], v[68:69], v[20:21]
	flat_store_dwordx2 v[48:49], v[20:21] offset:80
	ds_read_b128 v[44:47], v58 offset:2464
	ds_read_b128 v[50:53], v58 offset:2480
	;; [unrolled: 1-line block ×6, first 2 shown]
	s_waitcnt lgkmcnt(0)
	v_mul_f64 v[44:45], v[24:25], v[44:45]
	v_fma_f64 v[22:23], s[4:5], v[22:23], -v[44:45]
	v_fma_f64 v[22:23], -v[26:27], v[46:47], v[22:23]
	v_fma_f64 v[22:23], -v[28:29], v[50:51], v[22:23]
	v_fma_f64 v[22:23], -v[30:31], v[52:53], v[22:23]
	v_fma_f64 v[22:23], -v[32:33], v[54:55], v[22:23]
	v_fma_f64 v[22:23], -v[34:35], v[56:57], v[22:23]
	v_fma_f64 v[22:23], -v[36:37], v[60:61], v[22:23]
	v_fma_f64 v[22:23], -v[38:39], v[62:63], v[22:23]
	v_fma_f64 v[22:23], -v[40:41], v[64:65], v[22:23]
	v_fma_f64 v[22:23], -v[42:43], v[66:67], v[22:23]
	v_fma_f64 v[22:23], -v[20:21], v[68:69], v[22:23]
	v_mul_f64 v[22:23], v[70:71], v[22:23]
	flat_store_dwordx2 v[48:49], v[22:23] offset:88
	ds_read_b128 v[44:47], v58 offset:2688
	ds_read_b128 v[50:53], v58 offset:2704
	;; [unrolled: 1-line block ×6, first 2 shown]
	ds_read_b64 v[72:73], v58 offset:2784
	s_waitcnt lgkmcnt(0)
	v_mul_f64 v[44:45], v[24:25], v[44:45]
	v_fma_f64 v[16:17], s[4:5], v[16:17], -v[44:45]
	v_fma_f64 v[16:17], -v[26:27], v[46:47], v[16:17]
	v_fma_f64 v[16:17], -v[28:29], v[50:51], v[16:17]
	;; [unrolled: 1-line block ×11, first 2 shown]
	v_mul_f64 v[16:17], v[72:73], v[16:17]
	flat_store_dwordx2 v[48:49], v[16:17] offset:96
	ds_read_b128 v[44:47], v58 offset:2912
	ds_read_b128 v[50:53], v58 offset:2928
	;; [unrolled: 1-line block ×6, first 2 shown]
	s_waitcnt lgkmcnt(0)
	v_mul_f64 v[44:45], v[24:25], v[44:45]
	v_fma_f64 v[18:19], s[4:5], v[18:19], -v[44:45]
	v_fma_f64 v[18:19], -v[26:27], v[46:47], v[18:19]
	v_fma_f64 v[18:19], -v[28:29], v[50:51], v[18:19]
	;; [unrolled: 1-line block ×6, first 2 shown]
	ds_read_b128 v[72:75], v58 offset:3008
	v_fma_f64 v[18:19], -v[38:39], v[62:63], v[18:19]
	v_fma_f64 v[18:19], -v[40:41], v[64:65], v[18:19]
	;; [unrolled: 1-line block ×5, first 2 shown]
	s_waitcnt lgkmcnt(0)
	v_fma_f64 v[18:19], -v[16:17], v[72:73], v[18:19]
	v_mul_f64 v[18:19], v[74:75], v[18:19]
	flat_store_dwordx2 v[48:49], v[18:19] offset:104
	ds_read_b128 v[44:47], v58 offset:3136
	ds_read_b128 v[50:53], v58 offset:3152
	;; [unrolled: 1-line block ×6, first 2 shown]
	s_waitcnt lgkmcnt(0)
	v_mul_f64 v[44:45], v[24:25], v[44:45]
	v_fma_f64 v[12:13], s[4:5], v[12:13], -v[44:45]
	v_fma_f64 v[12:13], -v[26:27], v[46:47], v[12:13]
	v_fma_f64 v[12:13], -v[28:29], v[50:51], v[12:13]
	;; [unrolled: 1-line block ×7, first 2 shown]
	ds_read_b128 v[44:47], v58 offset:3232
	ds_read_b64 v[72:73], v58 offset:3248
	v_fma_f64 v[12:13], -v[40:41], v[64:65], v[12:13]
	v_fma_f64 v[12:13], -v[42:43], v[66:67], v[12:13]
	;; [unrolled: 1-line block ×4, first 2 shown]
	s_waitcnt lgkmcnt(0)
	v_fma_f64 v[12:13], -v[16:17], v[44:45], v[12:13]
	v_fma_f64 v[12:13], -v[18:19], v[46:47], v[12:13]
	v_mul_f64 v[12:13], v[72:73], v[12:13]
	flat_store_dwordx2 v[48:49], v[12:13] offset:112
	ds_read_b128 v[44:47], v58 offset:3360
	ds_read_b128 v[50:53], v58 offset:3376
	;; [unrolled: 1-line block ×6, first 2 shown]
	s_waitcnt lgkmcnt(0)
	v_mul_f64 v[44:45], v[24:25], v[44:45]
	v_fma_f64 v[14:15], s[4:5], v[14:15], -v[44:45]
	v_fma_f64 v[14:15], -v[26:27], v[46:47], v[14:15]
	v_fma_f64 v[14:15], -v[28:29], v[50:51], v[14:15]
	;; [unrolled: 1-line block ×7, first 2 shown]
	ds_read_b128 v[44:47], v58 offset:3456
	ds_read_b128 v[72:75], v58 offset:3472
	v_fma_f64 v[14:15], -v[40:41], v[64:65], v[14:15]
	v_fma_f64 v[14:15], -v[42:43], v[66:67], v[14:15]
	;; [unrolled: 1-line block ×4, first 2 shown]
	s_waitcnt lgkmcnt(0)
	v_fma_f64 v[14:15], -v[16:17], v[44:45], v[14:15]
	v_fma_f64 v[14:15], -v[18:19], v[46:47], v[14:15]
	;; [unrolled: 1-line block ×3, first 2 shown]
	v_mul_f64 v[14:15], v[74:75], v[14:15]
	flat_store_dwordx2 v[48:49], v[14:15] offset:120
	ds_read_b128 v[44:47], v58 offset:3584
	ds_read_b128 v[50:53], v58 offset:3600
	;; [unrolled: 1-line block ×6, first 2 shown]
	s_waitcnt lgkmcnt(0)
	v_mul_f64 v[44:45], v[24:25], v[44:45]
	v_fma_f64 v[8:9], s[4:5], v[8:9], -v[44:45]
	v_fma_f64 v[8:9], -v[26:27], v[46:47], v[8:9]
	v_fma_f64 v[8:9], -v[28:29], v[50:51], v[8:9]
	v_fma_f64 v[8:9], -v[30:31], v[52:53], v[8:9]
	v_fma_f64 v[8:9], -v[32:33], v[54:55], v[8:9]
	v_fma_f64 v[8:9], -v[34:35], v[56:57], v[8:9]
	v_fma_f64 v[8:9], -v[36:37], v[60:61], v[8:9]
	v_fma_f64 v[8:9], -v[38:39], v[62:63], v[8:9]
	v_fma_f64 v[8:9], -v[40:41], v[64:65], v[8:9]
	ds_read_b128 v[44:47], v58 offset:3680
	ds_read_b128 v[50:53], v58 offset:3696
	ds_read_b64 v[72:73], v58 offset:3712
	v_fma_f64 v[8:9], -v[42:43], v[66:67], v[8:9]
	v_fma_f64 v[8:9], -v[20:21], v[68:69], v[8:9]
	;; [unrolled: 1-line block ×3, first 2 shown]
	s_waitcnt lgkmcnt(0)
	v_fma_f64 v[8:9], -v[16:17], v[44:45], v[8:9]
	v_fma_f64 v[8:9], -v[18:19], v[46:47], v[8:9]
	;; [unrolled: 1-line block ×4, first 2 shown]
	v_mul_f64 v[44:45], v[72:73], v[8:9]
	flat_store_dwordx2 v[48:49], v[44:45] offset:128
	ds_read_b128 v[50:53], v58 offset:3808
	ds_read_b128 v[54:57], v58 offset:3824
	;; [unrolled: 1-line block ×6, first 2 shown]
	s_waitcnt lgkmcnt(0)
	v_mul_f64 v[8:9], v[24:25], v[50:51]
	v_fma_f64 v[8:9], s[4:5], v[10:11], -v[8:9]
	v_fma_f64 v[46:47], -v[26:27], v[52:53], v[8:9]
	v_fma_f64 v[46:47], -v[28:29], v[54:55], v[46:47]
	;; [unrolled: 1-line block ×7, first 2 shown]
	ds_read_b128 v[8:11], v58 offset:3904
	ds_read_b128 v[50:53], v58 offset:3920
	v_fma_f64 v[46:47], -v[40:41], v[68:69], v[46:47]
	v_fma_f64 v[46:47], -v[42:43], v[70:71], v[46:47]
	;; [unrolled: 1-line block ×3, first 2 shown]
	ds_read_b128 v[54:57], v58 offset:3936
	v_fma_f64 v[46:47], -v[22:23], v[74:75], v[46:47]
	s_waitcnt lgkmcnt(0)
	v_fma_f64 v[8:9], -v[16:17], v[8:9], v[46:47]
	v_fma_f64 v[8:9], -v[18:19], v[10:11], v[8:9]
	;; [unrolled: 1-line block ×5, first 2 shown]
	v_mul_f64 v[46:47], v[56:57], v[8:9]
	flat_store_dwordx2 v[48:49], v[46:47] offset:136
	ds_read_b128 v[8:11], v58 offset:4032
	ds_read_b128 v[50:53], v58 offset:4048
	ds_read_b128 v[54:57], v58 offset:4064
	ds_read_b128 v[60:63], v58 offset:4080
	ds_read_b128 v[64:67], v58 offset:4096
	ds_read_b128 v[68:71], v58 offset:4112
	s_waitcnt lgkmcnt(0)
	v_mul_f64 v[8:9], v[24:25], v[8:9]
	v_fma_f64 v[4:5], s[4:5], v[4:5], -v[8:9]
	v_fma_f64 v[4:5], -v[26:27], v[10:11], v[4:5]
	v_fma_f64 v[4:5], -v[28:29], v[50:51], v[4:5]
	;; [unrolled: 1-line block ×7, first 2 shown]
	ds_read_b128 v[8:11], v58 offset:4128
	ds_read_b128 v[50:53], v58 offset:4144
	v_fma_f64 v[4:5], -v[40:41], v[64:65], v[4:5]
	v_fma_f64 v[4:5], -v[42:43], v[66:67], v[4:5]
	v_fma_f64 v[4:5], -v[20:21], v[68:69], v[4:5]
	v_fma_f64 v[4:5], -v[22:23], v[70:71], v[4:5]
	ds_read_b128 v[54:57], v58 offset:4160
	ds_read_b64 v[72:73], v58 offset:4176
	s_waitcnt lgkmcnt(0)
	v_fma_f64 v[4:5], -v[16:17], v[8:9], v[4:5]
	v_fma_f64 v[4:5], -v[18:19], v[10:11], v[4:5]
	;; [unrolled: 1-line block ×6, first 2 shown]
	v_mul_f64 v[50:51], v[72:73], v[4:5]
	flat_store_dwordx2 v[48:49], v[50:51] offset:144
	ds_read_b128 v[52:55], v58 offset:4256
	flat_load_dwordx4 v[8:11], v[48:49] offset:176
	ds_read_b128 v[60:63], v58 offset:4272
	ds_read_b128 v[64:67], v58 offset:4288
	;; [unrolled: 1-line block ×3, first 2 shown]
	s_waitcnt lgkmcnt(0)
	v_mul_f64 v[4:5], v[24:25], v[52:53]
	v_fma_f64 v[52:53], s[4:5], v[6:7], -v[4:5]
	v_fma_f64 v[52:53], -v[26:27], v[54:55], v[52:53]
	v_fma_f64 v[52:53], -v[28:29], v[60:61], v[52:53]
	v_fma_f64 v[56:57], -v[30:31], v[62:63], v[52:53]
	ds_read_b128 v[4:7], v58 offset:4320
	ds_read_b128 v[72:75], v58 offset:4336
	v_fma_f64 v[56:57], -v[32:33], v[64:65], v[56:57]
	v_fma_f64 v[56:57], -v[34:35], v[66:67], v[56:57]
	v_fma_f64 v[56:57], -v[36:37], v[68:69], v[56:57]
	v_fma_f64 v[56:57], -v[38:39], v[70:71], v[56:57]
	ds_read_b128 v[52:55], v58 offset:4352
	ds_read_b128 v[60:63], v58 offset:4368
	s_waitcnt lgkmcnt(0)
	v_fma_f64 v[4:5], -v[40:41], v[4:5], v[56:57]
	v_fma_f64 v[4:5], -v[42:43], v[6:7], v[4:5]
	;; [unrolled: 1-line block ×4, first 2 shown]
	ds_read_b128 v[64:67], v58 offset:4384
	ds_read_b128 v[68:71], v58 offset:4400
	v_fma_f64 v[4:5], -v[16:17], v[52:53], v[4:5]
	v_fma_f64 v[4:5], -v[18:19], v[54:55], v[4:5]
	v_fma_f64 v[4:5], -v[12:13], v[60:61], v[4:5]
	v_fma_f64 v[4:5], -v[14:15], v[62:63], v[4:5]
	s_waitcnt lgkmcnt(0)
	v_fma_f64 v[4:5], -v[44:45], v[64:65], v[4:5]
	v_fma_f64 v[4:5], -v[46:47], v[66:67], v[4:5]
	;; [unrolled: 1-line block ×3, first 2 shown]
	v_mul_f64 v[52:53], v[70:71], v[4:5]
	flat_store_dwordx2 v[48:49], v[52:53] offset:152
	ds_read_b128 v[4:7], v58 offset:4480
	ds_read_b128 v[54:57], v58 offset:4496
	;; [unrolled: 1-line block ×4, first 2 shown]
	s_waitcnt lgkmcnt(0)
	v_mul_f64 v[4:5], v[24:25], v[4:5]
	v_fma_f64 v[0:1], s[4:5], v[0:1], -v[4:5]
	v_fma_f64 v[0:1], -v[26:27], v[6:7], v[0:1]
	v_fma_f64 v[0:1], -v[28:29], v[54:55], v[0:1]
	;; [unrolled: 1-line block ×3, first 2 shown]
	ds_read_b128 v[4:7], v58 offset:4544
	ds_read_b128 v[68:71], v58 offset:4560
	v_fma_f64 v[0:1], -v[32:33], v[60:61], v[0:1]
	v_fma_f64 v[0:1], -v[34:35], v[62:63], v[0:1]
	;; [unrolled: 1-line block ×4, first 2 shown]
	ds_read_b128 v[54:57], v58 offset:4576
	ds_read_b128 v[60:63], v58 offset:4592
	s_waitcnt lgkmcnt(0)
	v_fma_f64 v[0:1], -v[40:41], v[4:5], v[0:1]
	v_fma_f64 v[0:1], -v[42:43], v[6:7], v[0:1]
	;; [unrolled: 1-line block ×5, first 2 shown]
	ds_read_b128 v[4:7], v58 offset:4608
	ds_read_b128 v[64:67], v58 offset:4624
	ds_read_b64 v[72:73], v58 offset:4640
	v_fma_f64 v[0:1], -v[18:19], v[56:57], v[0:1]
	v_fma_f64 v[0:1], -v[12:13], v[60:61], v[0:1]
	v_fma_f64 v[0:1], -v[14:15], v[62:63], v[0:1]
	s_waitcnt lgkmcnt(0)
	v_fma_f64 v[0:1], -v[44:45], v[4:5], v[0:1]
	v_fma_f64 v[0:1], -v[46:47], v[6:7], v[0:1]
	;; [unrolled: 1-line block ×4, first 2 shown]
	v_mul_f64 v[54:55], v[72:73], v[0:1]
	flat_store_dwordx2 v[48:49], v[54:55] offset:160
	ds_read_b128 v[4:7], v58 offset:4704
	ds_read_b128 v[60:63], v58 offset:4720
	;; [unrolled: 1-line block ×4, first 2 shown]
	s_waitcnt lgkmcnt(0)
	v_mul_f64 v[0:1], v[24:25], v[4:5]
	v_fma_f64 v[4:5], s[4:5], v[2:3], -v[0:1]
	v_fma_f64 v[4:5], -v[26:27], v[6:7], v[4:5]
	v_fma_f64 v[4:5], -v[28:29], v[60:61], v[4:5]
	;; [unrolled: 1-line block ×3, first 2 shown]
	ds_read_b128 v[0:3], v58 offset:4768
	ds_read_b128 v[72:75], v58 offset:4784
	v_fma_f64 v[56:57], -v[32:33], v[64:65], v[56:57]
	v_fma_f64 v[56:57], -v[34:35], v[66:67], v[56:57]
	;; [unrolled: 1-line block ×4, first 2 shown]
	ds_read_b128 v[4:7], v58 offset:4800
	ds_read_b128 v[60:63], v58 offset:4816
	s_waitcnt lgkmcnt(0)
	v_fma_f64 v[0:1], -v[40:41], v[0:1], v[56:57]
	v_fma_f64 v[56:57], -v[42:43], v[2:3], v[0:1]
	;; [unrolled: 1-line block ×4, first 2 shown]
	ds_read_b128 v[64:67], v58 offset:4832
	ds_read_b128 v[68:71], v58 offset:4848
	v_fma_f64 v[4:5], -v[16:17], v[4:5], v[56:57]
	v_fma_f64 v[4:5], -v[18:19], v[6:7], v[4:5]
	;; [unrolled: 1-line block ×3, first 2 shown]
	ds_read_b128 v[0:3], v58 offset:4864
	v_fma_f64 v[4:5], -v[14:15], v[62:63], v[4:5]
	s_waitcnt lgkmcnt(0)
	v_fma_f64 v[4:5], -v[44:45], v[64:65], v[4:5]
	v_fma_f64 v[4:5], -v[46:47], v[66:67], v[4:5]
	;; [unrolled: 1-line block ×5, first 2 shown]
	flat_load_dwordx4 v[4:7], v[48:49] offset:192
	v_mul_f64 v[56:57], v[2:3], v[0:1]
	flat_store_dwordx2 v[48:49], v[56:57] offset:168
	ds_read_b128 v[0:3], v58 offset:4928
	ds_read_b128 v[60:63], v58 offset:4944
	;; [unrolled: 1-line block ×4, first 2 shown]
	s_waitcnt lgkmcnt(0)
	v_mul_f64 v[0:1], v[24:25], v[0:1]
	s_waitcnt vmcnt(0)
	v_fma_f64 v[0:1], s[4:5], v[8:9], -v[0:1]
	v_fma_f64 v[0:1], -v[26:27], v[2:3], v[0:1]
	v_fma_f64 v[0:1], -v[28:29], v[60:61], v[0:1]
	;; [unrolled: 1-line block ×3, first 2 shown]
	ds_read_b128 v[0:3], v58 offset:4992
	ds_read_b128 v[60:63], v58 offset:5008
	v_fma_f64 v[8:9], -v[32:33], v[64:65], v[8:9]
	v_fma_f64 v[8:9], -v[34:35], v[66:67], v[8:9]
	;; [unrolled: 1-line block ×4, first 2 shown]
	ds_read_b128 v[64:67], v58 offset:5024
	ds_read_b128 v[68:71], v58 offset:5040
	s_waitcnt lgkmcnt(3)
	v_fma_f64 v[0:1], -v[40:41], v[0:1], v[8:9]
	v_fma_f64 v[0:1], -v[42:43], v[2:3], v[0:1]
	s_waitcnt lgkmcnt(2)
	v_fma_f64 v[0:1], -v[20:21], v[60:61], v[0:1]
	v_fma_f64 v[8:9], -v[22:23], v[62:63], v[0:1]
	ds_read_b128 v[0:3], v58 offset:5056
	ds_read_b128 v[60:63], v58 offset:5072
	s_waitcnt lgkmcnt(3)
	v_fma_f64 v[8:9], -v[16:17], v[64:65], v[8:9]
	v_fma_f64 v[8:9], -v[18:19], v[66:67], v[8:9]
	s_waitcnt lgkmcnt(2)
	v_fma_f64 v[8:9], -v[12:13], v[68:69], v[8:9]
	v_fma_f64 v[8:9], -v[14:15], v[70:71], v[8:9]
	ds_read_b128 v[64:67], v58 offset:5088
	ds_read_b64 v[72:73], v58 offset:5104
	s_waitcnt lgkmcnt(3)
	v_fma_f64 v[0:1], -v[44:45], v[0:1], v[8:9]
	v_fma_f64 v[0:1], -v[46:47], v[2:3], v[0:1]
	s_waitcnt lgkmcnt(2)
	v_fma_f64 v[0:1], -v[50:51], v[60:61], v[0:1]
	v_fma_f64 v[0:1], -v[52:53], v[62:63], v[0:1]
	s_waitcnt lgkmcnt(1)
	v_fma_f64 v[0:1], -v[54:55], v[64:65], v[0:1]
	v_fma_f64 v[0:1], -v[56:57], v[66:67], v[0:1]
	s_waitcnt lgkmcnt(0)
	v_mul_f64 v[8:9], v[72:73], v[0:1]
	flat_store_dwordx2 v[48:49], v[8:9] offset:176
	ds_read_b128 v[0:3], v58 offset:5152
	ds_read_b128 v[60:63], v58 offset:5168
	;; [unrolled: 1-line block ×4, first 2 shown]
	s_waitcnt lgkmcnt(0)
	v_mul_f64 v[0:1], v[24:25], v[0:1]
	v_fma_f64 v[0:1], s[4:5], v[10:11], -v[0:1]
	v_fma_f64 v[10:11], -v[26:27], v[2:3], v[0:1]
	v_fma_f64 v[10:11], -v[28:29], v[60:61], v[10:11]
	v_fma_f64 v[10:11], -v[30:31], v[62:63], v[10:11]
	ds_read_b128 v[0:3], v58 offset:5216
	ds_read_b128 v[72:75], v58 offset:5232
	v_fma_f64 v[10:11], -v[32:33], v[64:65], v[10:11]
	v_fma_f64 v[10:11], -v[34:35], v[66:67], v[10:11]
	v_fma_f64 v[10:11], -v[36:37], v[68:69], v[10:11]
	v_fma_f64 v[10:11], -v[38:39], v[70:71], v[10:11]
	ds_read_b128 v[60:63], v58 offset:5248
	ds_read_b128 v[64:67], v58 offset:5264
	s_waitcnt lgkmcnt(0)
	v_fma_f64 v[0:1], -v[40:41], v[0:1], v[10:11]
	v_fma_f64 v[10:11], -v[42:43], v[2:3], v[0:1]
	;; [unrolled: 1-line block ×4, first 2 shown]
	ds_read_b128 v[0:3], v58 offset:5280
	ds_read_b128 v[68:71], v58 offset:5296
	v_fma_f64 v[10:11], -v[16:17], v[60:61], v[10:11]
	v_fma_f64 v[10:11], -v[18:19], v[62:63], v[10:11]
	;; [unrolled: 1-line block ×4, first 2 shown]
	ds_read_b128 v[60:63], v58 offset:5312
	ds_read_b128 v[72:75], v58 offset:5328
	s_waitcnt lgkmcnt(0)
	v_fma_f64 v[0:1], -v[44:45], v[0:1], v[10:11]
	v_fma_f64 v[0:1], -v[46:47], v[2:3], v[0:1]
	;; [unrolled: 1-line block ×7, first 2 shown]
	v_mul_f64 v[10:11], v[74:75], v[0:1]
	flat_load_dwordx4 v[0:3], v[48:49] offset:208
	s_nop 0
	flat_store_dwordx2 v[48:49], v[10:11] offset:184
	ds_read_b128 v[60:63], v58 offset:5376
	ds_read_b128 v[64:67], v58 offset:5392
	s_waitcnt lgkmcnt(0)
	v_mul_f64 v[60:61], v[24:25], v[60:61]
	v_fma_f64 v[4:5], s[4:5], v[4:5], -v[60:61]
	v_fma_f64 v[4:5], -v[26:27], v[62:63], v[4:5]
	ds_read_b128 v[60:63], v58 offset:5408
	ds_read_b128 v[68:71], v58 offset:5424
	v_fma_f64 v[4:5], -v[28:29], v[64:65], v[4:5]
	v_fma_f64 v[4:5], -v[30:31], v[66:67], v[4:5]
	ds_read_b128 v[64:67], v58 offset:5440
	s_waitcnt lgkmcnt(0)
	v_fma_f64 v[4:5], -v[32:33], v[60:61], v[4:5]
	v_fma_f64 v[4:5], -v[34:35], v[62:63], v[4:5]
	ds_read_b128 v[60:63], v58 offset:5456
	v_fma_f64 v[4:5], -v[36:37], v[68:69], v[4:5]
	v_fma_f64 v[4:5], -v[38:39], v[70:71], v[4:5]
	;; [unrolled: 1-line block ×4, first 2 shown]
	ds_read_b128 v[64:67], v58 offset:5472
	ds_read_b128 v[68:71], v58 offset:5488
	s_waitcnt lgkmcnt(0)
	v_fma_f64 v[4:5], -v[20:21], v[60:61], v[4:5]
	v_fma_f64 v[4:5], -v[22:23], v[62:63], v[4:5]
	ds_read_b128 v[60:63], v58 offset:5504
	v_fma_f64 v[4:5], -v[16:17], v[64:65], v[4:5]
	v_fma_f64 v[4:5], -v[18:19], v[66:67], v[4:5]
	ds_read_b128 v[64:67], v58 offset:5520
	v_fma_f64 v[4:5], -v[12:13], v[68:69], v[4:5]
	v_fma_f64 v[4:5], -v[14:15], v[70:71], v[4:5]
	s_waitcnt lgkmcnt(0)
	v_fma_f64 v[4:5], -v[44:45], v[60:61], v[4:5]
	v_fma_f64 v[4:5], -v[46:47], v[62:63], v[4:5]
	ds_read_b128 v[60:63], v58 offset:5536
	ds_read_b128 v[68:71], v58 offset:5552
	ds_read_b64 v[72:73], v58 offset:5568
	v_fma_f64 v[4:5], -v[50:51], v[64:65], v[4:5]
	v_fma_f64 v[4:5], -v[52:53], v[66:67], v[4:5]
	s_waitcnt lgkmcnt(0)
	v_fma_f64 v[4:5], -v[54:55], v[60:61], v[4:5]
	v_fma_f64 v[4:5], -v[56:57], v[62:63], v[4:5]
	;; [unrolled: 1-line block ×4, first 2 shown]
	v_mul_f64 v[4:5], v[72:73], v[4:5]
	flat_store_dwordx2 v[48:49], v[4:5] offset:192
	ds_read_b128 v[60:63], v58 offset:5600
	ds_read_b128 v[64:67], v58 offset:5616
	;; [unrolled: 1-line block ×4, first 2 shown]
	s_waitcnt lgkmcnt(0)
	v_mul_f64 v[60:61], v[24:25], v[60:61]
	v_fma_f64 v[6:7], s[4:5], v[6:7], -v[60:61]
	v_fma_f64 v[6:7], -v[26:27], v[62:63], v[6:7]
	v_fma_f64 v[6:7], -v[28:29], v[64:65], v[6:7]
	;; [unrolled: 1-line block ×3, first 2 shown]
	ds_read_b128 v[60:63], v58 offset:5664
	ds_read_b128 v[64:67], v58 offset:5680
	v_fma_f64 v[6:7], -v[32:33], v[68:69], v[6:7]
	v_fma_f64 v[6:7], -v[34:35], v[70:71], v[6:7]
	;; [unrolled: 1-line block ×4, first 2 shown]
	ds_read_b128 v[68:71], v58 offset:5696
	ds_read_b128 v[72:75], v58 offset:5712
	s_waitcnt lgkmcnt(0)
	v_fma_f64 v[6:7], -v[40:41], v[60:61], v[6:7]
	v_fma_f64 v[6:7], -v[42:43], v[62:63], v[6:7]
	;; [unrolled: 1-line block ×4, first 2 shown]
	ds_read_b128 v[60:63], v58 offset:5728
	ds_read_b128 v[64:67], v58 offset:5744
	v_fma_f64 v[6:7], -v[16:17], v[68:69], v[6:7]
	v_fma_f64 v[6:7], -v[18:19], v[70:71], v[6:7]
	;; [unrolled: 1-line block ×4, first 2 shown]
	ds_read_b128 v[68:71], v58 offset:5760
	ds_read_b128 v[72:75], v58 offset:5776
	s_waitcnt lgkmcnt(0)
	v_fma_f64 v[6:7], -v[44:45], v[60:61], v[6:7]
	v_fma_f64 v[6:7], -v[46:47], v[62:63], v[6:7]
	;; [unrolled: 1-line block ×3, first 2 shown]
	ds_read_b128 v[60:63], v58 offset:5792
	v_fma_f64 v[6:7], -v[52:53], v[66:67], v[6:7]
	v_fma_f64 v[6:7], -v[54:55], v[68:69], v[6:7]
	;; [unrolled: 1-line block ×5, first 2 shown]
	s_waitcnt lgkmcnt(0)
	v_fma_f64 v[6:7], -v[4:5], v[60:61], v[6:7]
	v_mul_f64 v[6:7], v[62:63], v[6:7]
	flat_store_dwordx2 v[48:49], v[6:7] offset:200
	ds_read_b128 v[60:63], v58 offset:5824
	ds_read_b128 v[64:67], v58 offset:5840
	s_waitcnt lgkmcnt(0)
	v_mul_f64 v[60:61], v[24:25], v[60:61]
	s_waitcnt vmcnt(0)
	v_fma_f64 v[0:1], s[4:5], v[0:1], -v[60:61]
	v_fma_f64 v[0:1], -v[26:27], v[62:63], v[0:1]
	ds_read_b128 v[60:63], v58 offset:5856
	ds_read_b128 v[68:71], v58 offset:5872
	v_fma_f64 v[0:1], -v[28:29], v[64:65], v[0:1]
	v_fma_f64 v[0:1], -v[30:31], v[66:67], v[0:1]
	ds_read_b128 v[64:67], v58 offset:5888
	s_waitcnt lgkmcnt(2)
	v_fma_f64 v[0:1], -v[32:33], v[60:61], v[0:1]
	v_fma_f64 v[0:1], -v[34:35], v[62:63], v[0:1]
	ds_read_b128 v[60:63], v58 offset:5904
	s_waitcnt lgkmcnt(2)
	v_fma_f64 v[0:1], -v[36:37], v[68:69], v[0:1]
	v_fma_f64 v[0:1], -v[38:39], v[70:71], v[0:1]
	s_waitcnt lgkmcnt(1)
	v_fma_f64 v[0:1], -v[40:41], v[64:65], v[0:1]
	v_fma_f64 v[0:1], -v[42:43], v[66:67], v[0:1]
	ds_read_b128 v[64:67], v58 offset:5920
	ds_read_b128 v[68:71], v58 offset:5936
	s_waitcnt lgkmcnt(2)
	v_fma_f64 v[0:1], -v[20:21], v[60:61], v[0:1]
	v_fma_f64 v[0:1], -v[22:23], v[62:63], v[0:1]
	ds_read_b128 v[60:63], v58 offset:5952
	s_waitcnt lgkmcnt(2)
	v_fma_f64 v[0:1], -v[16:17], v[64:65], v[0:1]
	v_fma_f64 v[0:1], -v[18:19], v[66:67], v[0:1]
	;; [unrolled: 4-line block ×3, first 2 shown]
	s_waitcnt lgkmcnt(1)
	v_fma_f64 v[0:1], -v[44:45], v[60:61], v[0:1]
	v_fma_f64 v[0:1], -v[46:47], v[62:63], v[0:1]
	ds_read_b128 v[60:63], v58 offset:5984
	ds_read_b128 v[68:71], v58 offset:6000
	s_waitcnt lgkmcnt(2)
	v_fma_f64 v[0:1], -v[50:51], v[64:65], v[0:1]
	v_fma_f64 v[0:1], -v[52:53], v[66:67], v[0:1]
	ds_read_b128 v[64:67], v58 offset:6016
	s_waitcnt lgkmcnt(2)
	v_fma_f64 v[0:1], -v[54:55], v[60:61], v[0:1]
	v_fma_f64 v[0:1], -v[56:57], v[62:63], v[0:1]
	ds_read_b64 v[60:61], v58 offset:6032
	s_waitcnt lgkmcnt(2)
	v_fma_f64 v[0:1], -v[8:9], v[68:69], v[0:1]
	v_fma_f64 v[0:1], -v[10:11], v[70:71], v[0:1]
	s_waitcnt lgkmcnt(1)
	v_fma_f64 v[0:1], -v[4:5], v[64:65], v[0:1]
	v_fma_f64 v[0:1], -v[6:7], v[66:67], v[0:1]
	s_waitcnt lgkmcnt(0)
	v_mul_f64 v[72:73], v[60:61], v[0:1]
	flat_store_dwordx2 v[48:49], v[72:73] offset:208
	ds_read_b128 v[60:63], v58 offset:6048
	ds_read_b128 v[64:67], v58 offset:6064
	s_waitcnt lgkmcnt(0)
	v_mul_f64 v[0:1], v[24:25], v[60:61]
	v_fma_f64 v[24:25], s[4:5], v[2:3], -v[0:1]
	ds_read_b128 v[0:3], v58 offset:6080
	ds_read_b128 v[68:71], v58 offset:6096
	v_fma_f64 v[24:25], -v[26:27], v[62:63], v[24:25]
	v_fma_f64 v[24:25], -v[28:29], v[64:65], v[24:25]
	;; [unrolled: 1-line block ×3, first 2 shown]
	s_waitcnt lgkmcnt(0)
	v_fma_f64 v[0:1], -v[32:33], v[0:1], v[24:25]
	ds_read_b128 v[24:27], v58 offset:6112
	v_fma_f64 v[0:1], -v[34:35], v[2:3], v[0:1]
	v_fma_f64 v[28:29], -v[36:37], v[68:69], v[0:1]
	ds_read_b128 v[0:3], v58 offset:6128
	v_fma_f64 v[28:29], -v[38:39], v[70:71], v[28:29]
	s_waitcnt lgkmcnt(0)
	v_fma_f64 v[24:25], -v[40:41], v[24:25], v[28:29]
	ds_read_b128 v[28:31], v58 offset:6144
	v_fma_f64 v[24:25], -v[42:43], v[26:27], v[24:25]
	v_fma_f64 v[0:1], -v[20:21], v[0:1], v[24:25]
	ds_read_b128 v[24:27], v58 offset:6160
	v_fma_f64 v[0:1], -v[22:23], v[2:3], v[0:1]
	;; [unrolled: 7-line block ×3, first 2 shown]
	s_waitcnt lgkmcnt(0)
	v_fma_f64 v[0:1], -v[44:45], v[0:1], v[12:13]
	ds_read_b128 v[12:15], v58 offset:6208
	v_fma_f64 v[0:1], -v[46:47], v[2:3], v[0:1]
	v_fma_f64 v[0:1], -v[50:51], v[16:17], v[0:1]
	v_fma_f64 v[16:17], -v[52:53], v[18:19], v[0:1]
	ds_read_b128 v[0:3], v58 offset:6224
	s_waitcnt lgkmcnt(0)
	v_fma_f64 v[12:13], -v[54:55], v[12:13], v[16:17]
	ds_read_b128 v[16:19], v58 offset:6240
	v_fma_f64 v[20:21], -v[56:57], v[14:15], v[12:13]
	ds_read_b128 v[12:15], v58 offset:6256
	v_fma_f64 v[0:1], -v[8:9], v[0:1], v[20:21]
	v_fma_f64 v[0:1], -v[10:11], v[2:3], v[0:1]
	s_waitcnt lgkmcnt(0)
	v_fma_f64 v[0:1], -v[4:5], v[16:17], v[0:1]
	v_fma_f64 v[0:1], -v[6:7], v[18:19], v[0:1]
	;; [unrolled: 1-line block ×3, first 2 shown]
	v_mul_f64 v[0:1], v[14:15], v[0:1]
	flat_store_dwordx2 v[48:49], v[0:1] offset:216
.LBB98_10:
	s_cmp_lt_i32 s2, s22
	s_cbranch_scc0 .LBB98_24
; %bb.11:
	s_add_i32 s3, s2, 23
	s_cmp_ge_u32 s3, s22
	s_cbranch_scc1 .LBB98_19
; %bb.12:
	s_lshl_b32 s6, s2, 3
	s_mov_b32 s7, 0
	v_lshl_add_u64 v[50:51], v[48:49], 0, s[6:7]
	flat_load_dwordx4 v[0:3], v[50:51]
	flat_load_dwordx4 v[4:7], v[50:51] offset:16
	flat_load_dwordx4 v[8:11], v[50:51] offset:32
	;; [unrolled: 1-line block ×11, first 2 shown]
	s_andn2_b64 vcc, exec, s[0:1]
	s_cbranch_vccnz .LBB98_14
; %bb.13:
	s_mul_i32 s3, s2, 0xe0
	s_mov_b64 s[0:1], 0
	s_branch .LBB98_15
.LBB98_14:
	s_mov_b64 s[0:1], -1
                                        ; implicit-def: $sgpr3
.LBB98_15:
	s_waitcnt vmcnt(0) lgkmcnt(0)
	v_mul_f64 v[82:83], s[4:5], v[0:1]
	v_mul_f64 v[80:81], s[4:5], v[2:3]
	;; [unrolled: 1-line block ×23, first 2 shown]
	s_andn2_b64 vcc, exec, s[0:1]
	v_mul_f64 v[4:5], s[4:5], v[42:43]
	s_cbranch_vccnz .LBB98_18
; %bb.16:
	s_mul_i32 s3, s2, 0xe0
	s_mov_b32 s0, s2
	v_mov_b64_e32 v[14:15], v[48:49]
	s_mov_b32 s1, s3
.LBB98_17:                              ; =>This Inner Loop Header: Depth=1
	flat_load_dwordx4 v[0:3], v[14:15]
	v_mov_b32_e32 v22, s1
	ds_read_b128 v[16:19], v22
	s_add_i32 s1, s1, 16
	s_add_i32 s0, s0, -2
	v_lshl_add_u64 v[14:15], v[14:15], 0, 16
	s_cmp_lg_u32 s0, 0
	s_waitcnt vmcnt(0) lgkmcnt(0)
	v_fma_f64 v[16:17], -v[0:1], v[16:17], v[82:83]
	v_fma_f64 v[82:83], -v[2:3], v[18:19], v[16:17]
	ds_read_b128 v[16:19], v22 offset:224
	s_waitcnt lgkmcnt(0)
	v_fma_f64 v[16:17], -v[0:1], v[16:17], v[80:81]
	v_fma_f64 v[80:81], -v[2:3], v[18:19], v[16:17]
	ds_read_b128 v[16:19], v22 offset:448
	s_waitcnt lgkmcnt(0)
	;; [unrolled: 4-line block ×23, first 2 shown]
	v_fma_f64 v[0:1], -v[0:1], v[16:17], v[4:5]
	v_fma_f64 v[4:5], -v[2:3], v[18:19], v[0:1]
	s_cbranch_scc1 .LBB98_17
.LBB98_18:
	s_add_i32 s0, s6, s3
	v_mov_b32_e32 v85, s0
	ds_read_b64 v[0:1], v85
	s_or_b32 s0, s2, 1
	s_mulk_i32 s0, 0xe0
	s_add_i32 s0, s6, s0
	v_mov_b32_e32 v84, s0
	s_waitcnt lgkmcnt(0)
	v_mul_f64 v[0:1], v[0:1], v[82:83]
	flat_store_dwordx2 v[50:51], v[0:1]
	ds_read_b128 v[14:17], v84
	s_add_i32 s2, s2, 24
	s_waitcnt lgkmcnt(0)
	v_fma_f64 v[2:3], -v[0:1], v[14:15], v[80:81]
	v_mul_f64 v[2:3], v[16:17], v[2:3]
	flat_store_dwordx2 v[50:51], v[2:3] offset:8
	ds_read_b128 v[14:17], v84 offset:224
	ds_read_b64 v[18:19], v85 offset:464
	s_waitcnt lgkmcnt(0)
	v_fma_f64 v[14:15], -v[0:1], v[14:15], v[78:79]
	v_fma_f64 v[14:15], -v[2:3], v[16:17], v[14:15]
	v_mul_f64 v[14:15], v[18:19], v[14:15]
	flat_store_dwordx2 v[50:51], v[14:15] offset:16
	ds_read_b128 v[16:19], v84 offset:448
	ds_read_b128 v[22:25], v84 offset:464
	s_waitcnt lgkmcnt(0)
	v_fma_f64 v[16:17], -v[0:1], v[16:17], v[76:77]
	v_fma_f64 v[16:17], -v[2:3], v[18:19], v[16:17]
	;; [unrolled: 1-line block ×3, first 2 shown]
	v_mul_f64 v[16:17], v[24:25], v[16:17]
	flat_store_dwordx2 v[50:51], v[16:17] offset:24
	ds_read_b128 v[22:25], v84 offset:672
	ds_read_b128 v[34:37], v84 offset:688
	ds_read_b64 v[18:19], v85 offset:928
	s_waitcnt lgkmcnt(0)
	v_fma_f64 v[22:23], -v[0:1], v[22:23], v[74:75]
	v_fma_f64 v[22:23], -v[2:3], v[24:25], v[22:23]
	;; [unrolled: 1-line block ×4, first 2 shown]
	v_mul_f64 v[18:19], v[18:19], v[22:23]
	flat_store_dwordx2 v[50:51], v[18:19] offset:32
	ds_read_b128 v[22:25], v84 offset:896
	ds_read_b128 v[34:37], v84 offset:912
	;; [unrolled: 1-line block ×3, first 2 shown]
	s_waitcnt lgkmcnt(0)
	v_fma_f64 v[22:23], -v[0:1], v[22:23], v[72:73]
	v_fma_f64 v[22:23], -v[2:3], v[24:25], v[22:23]
	;; [unrolled: 1-line block ×5, first 2 shown]
	v_mul_f64 v[22:23], v[40:41], v[22:23]
	flat_store_dwordx2 v[50:51], v[22:23] offset:40
	ds_read_b128 v[24:27], v84 offset:1120
	ds_read_b128 v[34:37], v84 offset:1136
	;; [unrolled: 1-line block ×3, first 2 shown]
	ds_read_b64 v[30:31], v85 offset:1392
	s_waitcnt lgkmcnt(0)
	v_fma_f64 v[24:25], -v[0:1], v[24:25], v[70:71]
	v_fma_f64 v[24:25], -v[2:3], v[26:27], v[24:25]
	;; [unrolled: 1-line block ×6, first 2 shown]
	v_mul_f64 v[24:25], v[30:31], v[24:25]
	flat_store_dwordx2 v[50:51], v[24:25] offset:48
	ds_read_b128 v[34:37], v84 offset:1344
	ds_read_b128 v[38:41], v84 offset:1360
	;; [unrolled: 1-line block ×4, first 2 shown]
	s_waitcnt lgkmcnt(0)
	v_fma_f64 v[26:27], -v[0:1], v[34:35], v[68:69]
	v_fma_f64 v[26:27], -v[2:3], v[36:37], v[26:27]
	;; [unrolled: 1-line block ×7, first 2 shown]
	v_mul_f64 v[26:27], v[72:73], v[26:27]
	flat_store_dwordx2 v[50:51], v[26:27] offset:56
	ds_read_b128 v[34:37], v84 offset:1568
	ds_read_b128 v[38:41], v84 offset:1584
	;; [unrolled: 1-line block ×4, first 2 shown]
	ds_read_b64 v[30:31], v85 offset:1856
	s_waitcnt lgkmcnt(0)
	v_fma_f64 v[34:35], -v[0:1], v[34:35], v[66:67]
	v_fma_f64 v[34:35], -v[2:3], v[36:37], v[34:35]
	v_fma_f64 v[34:35], -v[14:15], v[38:39], v[34:35]
	v_fma_f64 v[34:35], -v[16:17], v[40:41], v[34:35]
	v_fma_f64 v[34:35], -v[18:19], v[42:43], v[34:35]
	v_fma_f64 v[34:35], -v[22:23], v[44:45], v[34:35]
	v_fma_f64 v[34:35], -v[24:25], v[68:69], v[34:35]
	v_fma_f64 v[34:35], -v[26:27], v[70:71], v[34:35]
	v_mul_f64 v[30:31], v[30:31], v[34:35]
	flat_store_dwordx2 v[50:51], v[30:31] offset:64
	ds_read_b128 v[34:37], v84 offset:1792
	ds_read_b128 v[38:41], v84 offset:1808
	;; [unrolled: 1-line block ×5, first 2 shown]
	s_waitcnt lgkmcnt(0)
	v_fma_f64 v[34:35], -v[0:1], v[34:35], v[64:65]
	v_fma_f64 v[34:35], -v[2:3], v[36:37], v[34:35]
	;; [unrolled: 1-line block ×9, first 2 shown]
	v_mul_f64 v[34:35], v[72:73], v[34:35]
	flat_store_dwordx2 v[50:51], v[34:35] offset:72
	ds_read_b128 v[36:39], v84 offset:2016
	ds_read_b128 v[40:43], v84 offset:2032
	;; [unrolled: 1-line block ×5, first 2 shown]
	ds_read_b64 v[72:73], v85 offset:2320
	s_waitcnt lgkmcnt(0)
	v_fma_f64 v[36:37], -v[0:1], v[36:37], v[62:63]
	v_fma_f64 v[36:37], -v[2:3], v[38:39], v[36:37]
	;; [unrolled: 1-line block ×10, first 2 shown]
	v_mul_f64 v[36:37], v[72:73], v[36:37]
	flat_store_dwordx2 v[50:51], v[36:37] offset:80
	ds_read_b128 v[38:41], v84 offset:2240
	ds_read_b128 v[42:45], v84 offset:2256
	;; [unrolled: 1-line block ×6, first 2 shown]
	s_waitcnt lgkmcnt(0)
	v_fma_f64 v[38:39], -v[0:1], v[38:39], v[60:61]
	v_fma_f64 v[38:39], -v[2:3], v[40:41], v[38:39]
	;; [unrolled: 1-line block ×11, first 2 shown]
	v_mul_f64 v[38:39], v[76:77], v[38:39]
	flat_store_dwordx2 v[50:51], v[38:39] offset:88
	ds_read_b128 v[40:43], v84 offset:2464
	ds_read_b128 v[44:47], v84 offset:2480
	;; [unrolled: 1-line block ×6, first 2 shown]
	s_waitcnt lgkmcnt(0)
	v_fma_f64 v[40:41], -v[0:1], v[40:41], v[58:59]
	v_fma_f64 v[40:41], -v[2:3], v[42:43], v[40:41]
	;; [unrolled: 1-line block ×7, first 2 shown]
	ds_read_b64 v[42:43], v85 offset:2784
	v_fma_f64 v[40:41], -v[26:27], v[66:67], v[40:41]
	v_fma_f64 v[40:41], -v[30:31], v[68:69], v[40:41]
	;; [unrolled: 1-line block ×5, first 2 shown]
	s_waitcnt lgkmcnt(0)
	v_mul_f64 v[40:41], v[42:43], v[40:41]
	flat_store_dwordx2 v[50:51], v[40:41] offset:96
	ds_read_b128 v[42:45], v84 offset:2688
	ds_read_b128 v[58:61], v84 offset:2704
	;; [unrolled: 1-line block ×6, first 2 shown]
	s_waitcnt lgkmcnt(0)
	v_fma_f64 v[42:43], -v[0:1], v[42:43], v[56:57]
	v_fma_f64 v[46:47], -v[2:3], v[44:45], v[42:43]
	;; [unrolled: 1-line block ×7, first 2 shown]
	ds_read_b128 v[42:45], v84 offset:2784
	v_fma_f64 v[46:47], -v[26:27], v[68:69], v[46:47]
	v_fma_f64 v[46:47], -v[30:31], v[70:71], v[46:47]
	;; [unrolled: 1-line block ×5, first 2 shown]
	s_waitcnt lgkmcnt(0)
	v_fma_f64 v[42:43], -v[40:41], v[42:43], v[46:47]
	v_mul_f64 v[42:43], v[44:45], v[42:43]
	flat_store_dwordx2 v[50:51], v[42:43] offset:104
	ds_read_b128 v[44:47], v84 offset:2912
	ds_read_b128 v[56:59], v84 offset:2928
	;; [unrolled: 1-line block ×6, first 2 shown]
	s_waitcnt lgkmcnt(0)
	v_fma_f64 v[44:45], -v[0:1], v[44:45], v[54:55]
	v_fma_f64 v[54:55], -v[2:3], v[46:47], v[44:45]
	;; [unrolled: 1-line block ×7, first 2 shown]
	ds_read_b128 v[44:47], v84 offset:3008
	v_fma_f64 v[54:55], -v[26:27], v[66:67], v[54:55]
	v_fma_f64 v[54:55], -v[30:31], v[68:69], v[54:55]
	ds_read_b64 v[56:57], v85 offset:3248
	v_fma_f64 v[54:55], -v[34:35], v[70:71], v[54:55]
	v_fma_f64 v[54:55], -v[36:37], v[72:73], v[54:55]
	v_fma_f64 v[54:55], -v[38:39], v[74:75], v[54:55]
	s_waitcnt lgkmcnt(0)
	v_fma_f64 v[44:45], -v[40:41], v[44:45], v[54:55]
	v_fma_f64 v[44:45], -v[42:43], v[46:47], v[44:45]
	v_mul_f64 v[44:45], v[56:57], v[44:45]
	flat_store_dwordx2 v[50:51], v[44:45] offset:112
	ds_read_b128 v[54:57], v84 offset:3136
	ds_read_b128 v[58:61], v84 offset:3152
	;; [unrolled: 1-line block ×6, first 2 shown]
	s_waitcnt lgkmcnt(0)
	v_fma_f64 v[46:47], -v[0:1], v[54:55], v[52:53]
	v_fma_f64 v[46:47], -v[2:3], v[56:57], v[46:47]
	;; [unrolled: 1-line block ×8, first 2 shown]
	ds_read_b128 v[52:55], v84 offset:3232
	ds_read_b128 v[56:59], v84 offset:3248
	v_fma_f64 v[46:47], -v[30:31], v[70:71], v[46:47]
	v_fma_f64 v[46:47], -v[34:35], v[72:73], v[46:47]
	;; [unrolled: 1-line block ×4, first 2 shown]
	s_waitcnt lgkmcnt(0)
	v_fma_f64 v[46:47], -v[40:41], v[52:53], v[46:47]
	v_fma_f64 v[46:47], -v[42:43], v[54:55], v[46:47]
	;; [unrolled: 1-line block ×3, first 2 shown]
	v_mul_f64 v[46:47], v[58:59], v[46:47]
	flat_store_dwordx2 v[50:51], v[46:47] offset:120
	ds_read_b128 v[52:55], v84 offset:3360
	ds_read_b128 v[56:59], v84 offset:3376
	;; [unrolled: 1-line block ×6, first 2 shown]
	s_waitcnt lgkmcnt(0)
	v_fma_f64 v[32:33], -v[0:1], v[52:53], v[32:33]
	v_fma_f64 v[32:33], -v[2:3], v[54:55], v[32:33]
	;; [unrolled: 1-line block ×8, first 2 shown]
	ds_read_b128 v[52:55], v84 offset:3456
	ds_read_b128 v[56:59], v84 offset:3472
	v_fma_f64 v[32:33], -v[30:31], v[68:69], v[32:33]
	v_fma_f64 v[32:33], -v[34:35], v[70:71], v[32:33]
	;; [unrolled: 1-line block ×3, first 2 shown]
	ds_read_b64 v[60:61], v85 offset:3712
	v_fma_f64 v[32:33], -v[38:39], v[74:75], v[32:33]
	s_waitcnt lgkmcnt(0)
	v_fma_f64 v[32:33], -v[40:41], v[52:53], v[32:33]
	v_fma_f64 v[32:33], -v[42:43], v[54:55], v[32:33]
	;; [unrolled: 1-line block ×4, first 2 shown]
	v_mul_f64 v[32:33], v[60:61], v[32:33]
	flat_store_dwordx2 v[50:51], v[32:33] offset:128
	ds_read_b128 v[52:55], v84 offset:3584
	ds_read_b128 v[56:59], v84 offset:3600
	;; [unrolled: 1-line block ×5, first 2 shown]
	s_waitcnt lgkmcnt(0)
	v_fma_f64 v[28:29], -v[0:1], v[52:53], v[28:29]
	v_fma_f64 v[28:29], -v[2:3], v[54:55], v[28:29]
	;; [unrolled: 1-line block ×6, first 2 shown]
	ds_read_b128 v[52:55], v84 offset:3664
	ds_read_b128 v[56:59], v84 offset:3680
	v_fma_f64 v[28:29], -v[24:25], v[64:65], v[28:29]
	v_fma_f64 v[28:29], -v[26:27], v[66:67], v[28:29]
	;; [unrolled: 1-line block ×4, first 2 shown]
	ds_read_b128 v[60:63], v84 offset:3696
	s_waitcnt lgkmcnt(0)
	v_fma_f64 v[28:29], -v[36:37], v[52:53], v[28:29]
	v_fma_f64 v[28:29], -v[38:39], v[54:55], v[28:29]
	ds_read_b128 v[52:55], v84 offset:3712
	v_fma_f64 v[28:29], -v[40:41], v[56:57], v[28:29]
	v_fma_f64 v[28:29], -v[42:43], v[58:59], v[28:29]
	;; [unrolled: 1-line block ×4, first 2 shown]
	s_waitcnt lgkmcnt(0)
	v_fma_f64 v[28:29], -v[32:33], v[52:53], v[28:29]
	v_mul_f64 v[28:29], v[54:55], v[28:29]
	flat_store_dwordx2 v[50:51], v[28:29] offset:136
	ds_read_b128 v[52:55], v84 offset:3808
	ds_read_b128 v[56:59], v84 offset:3824
	;; [unrolled: 1-line block ×4, first 2 shown]
	s_waitcnt lgkmcnt(0)
	v_fma_f64 v[20:21], -v[0:1], v[52:53], v[20:21]
	v_fma_f64 v[20:21], -v[2:3], v[54:55], v[20:21]
	;; [unrolled: 1-line block ×4, first 2 shown]
	ds_read_b128 v[52:55], v84 offset:3872
	ds_read_b128 v[56:59], v84 offset:3888
	v_fma_f64 v[20:21], -v[18:19], v[60:61], v[20:21]
	v_fma_f64 v[20:21], -v[22:23], v[62:63], v[20:21]
	;; [unrolled: 1-line block ×4, first 2 shown]
	ds_read_b128 v[60:63], v84 offset:3904
	s_waitcnt lgkmcnt(0)
	v_fma_f64 v[20:21], -v[30:31], v[52:53], v[20:21]
	v_fma_f64 v[20:21], -v[34:35], v[54:55], v[20:21]
	ds_read_b128 v[52:55], v84 offset:3920
	v_fma_f64 v[20:21], -v[36:37], v[56:57], v[20:21]
	v_fma_f64 v[20:21], -v[38:39], v[58:59], v[20:21]
	ds_read_b128 v[56:59], v84 offset:3936
	v_fma_f64 v[20:21], -v[40:41], v[60:61], v[20:21]
	v_fma_f64 v[20:21], -v[42:43], v[62:63], v[20:21]
	ds_read_b64 v[60:61], v85 offset:4176
	s_waitcnt lgkmcnt(0)
	v_fma_f64 v[20:21], -v[44:45], v[52:53], v[20:21]
	v_fma_f64 v[20:21], -v[46:47], v[54:55], v[20:21]
	;; [unrolled: 1-line block ×4, first 2 shown]
	v_mul_f64 v[20:21], v[60:61], v[20:21]
	flat_store_dwordx2 v[50:51], v[20:21] offset:144
	ds_read_b128 v[52:55], v84 offset:4032
	ds_read_b128 v[56:59], v84 offset:4048
	;; [unrolled: 1-line block ×4, first 2 shown]
	s_waitcnt lgkmcnt(0)
	v_fma_f64 v[12:13], -v[0:1], v[52:53], v[12:13]
	v_fma_f64 v[12:13], -v[2:3], v[54:55], v[12:13]
	;; [unrolled: 1-line block ×4, first 2 shown]
	ds_read_b128 v[52:55], v84 offset:4096
	ds_read_b128 v[56:59], v84 offset:4112
	v_fma_f64 v[12:13], -v[18:19], v[60:61], v[12:13]
	v_fma_f64 v[12:13], -v[22:23], v[62:63], v[12:13]
	;; [unrolled: 1-line block ×4, first 2 shown]
	ds_read_b128 v[60:63], v84 offset:4128
	s_waitcnt lgkmcnt(0)
	v_fma_f64 v[12:13], -v[30:31], v[52:53], v[12:13]
	v_fma_f64 v[12:13], -v[34:35], v[54:55], v[12:13]
	ds_read_b128 v[52:55], v84 offset:4144
	v_fma_f64 v[12:13], -v[36:37], v[56:57], v[12:13]
	v_fma_f64 v[12:13], -v[38:39], v[58:59], v[12:13]
	ds_read_b128 v[56:59], v84 offset:4160
	;; [unrolled: 3-line block ×3, first 2 shown]
	s_waitcnt lgkmcnt(0)
	v_fma_f64 v[12:13], -v[44:45], v[52:53], v[12:13]
	v_fma_f64 v[12:13], -v[46:47], v[54:55], v[12:13]
	;; [unrolled: 1-line block ×5, first 2 shown]
	v_mul_f64 v[12:13], v[62:63], v[12:13]
	flat_store_dwordx2 v[50:51], v[12:13] offset:152
	ds_read_b128 v[52:55], v84 offset:4256
	ds_read_b128 v[56:59], v84 offset:4272
	ds_read_b128 v[60:63], v84 offset:4288
	ds_read_b128 v[64:67], v84 offset:4304
	s_waitcnt lgkmcnt(0)
	v_fma_f64 v[10:11], -v[0:1], v[52:53], v[10:11]
	v_fma_f64 v[10:11], -v[2:3], v[54:55], v[10:11]
	;; [unrolled: 1-line block ×4, first 2 shown]
	ds_read_b128 v[52:55], v84 offset:4320
	ds_read_b128 v[56:59], v84 offset:4336
	v_fma_f64 v[10:11], -v[18:19], v[60:61], v[10:11]
	v_fma_f64 v[10:11], -v[22:23], v[62:63], v[10:11]
	;; [unrolled: 1-line block ×4, first 2 shown]
	ds_read_b128 v[60:63], v84 offset:4352
	s_waitcnt lgkmcnt(0)
	v_fma_f64 v[10:11], -v[30:31], v[52:53], v[10:11]
	v_fma_f64 v[10:11], -v[34:35], v[54:55], v[10:11]
	ds_read_b128 v[52:55], v84 offset:4368
	v_fma_f64 v[10:11], -v[36:37], v[56:57], v[10:11]
	v_fma_f64 v[10:11], -v[38:39], v[58:59], v[10:11]
	ds_read_b128 v[56:59], v84 offset:4384
	;; [unrolled: 3-line block ×3, first 2 shown]
	s_waitcnt lgkmcnt(0)
	v_fma_f64 v[10:11], -v[44:45], v[52:53], v[10:11]
	v_fma_f64 v[10:11], -v[46:47], v[54:55], v[10:11]
	ds_read_b64 v[52:53], v85 offset:4640
	v_fma_f64 v[10:11], -v[32:33], v[56:57], v[10:11]
	v_fma_f64 v[10:11], -v[28:29], v[58:59], v[10:11]
	;; [unrolled: 1-line block ×4, first 2 shown]
	s_waitcnt lgkmcnt(0)
	v_mul_f64 v[10:11], v[52:53], v[10:11]
	flat_store_dwordx2 v[50:51], v[10:11] offset:160
	ds_read_b128 v[52:55], v84 offset:4480
	ds_read_b128 v[56:59], v84 offset:4496
	;; [unrolled: 1-line block ×4, first 2 shown]
	s_waitcnt lgkmcnt(0)
	v_fma_f64 v[8:9], -v[0:1], v[52:53], v[8:9]
	v_fma_f64 v[8:9], -v[2:3], v[54:55], v[8:9]
	;; [unrolled: 1-line block ×4, first 2 shown]
	ds_read_b128 v[52:55], v84 offset:4544
	ds_read_b128 v[56:59], v84 offset:4560
	v_fma_f64 v[8:9], -v[18:19], v[60:61], v[8:9]
	v_fma_f64 v[8:9], -v[22:23], v[62:63], v[8:9]
	;; [unrolled: 1-line block ×4, first 2 shown]
	ds_read_b128 v[60:63], v84 offset:4576
	s_waitcnt lgkmcnt(0)
	v_fma_f64 v[8:9], -v[30:31], v[52:53], v[8:9]
	v_fma_f64 v[8:9], -v[34:35], v[54:55], v[8:9]
	ds_read_b128 v[52:55], v84 offset:4592
	v_fma_f64 v[8:9], -v[36:37], v[56:57], v[8:9]
	v_fma_f64 v[8:9], -v[38:39], v[58:59], v[8:9]
	ds_read_b128 v[56:59], v84 offset:4608
	v_fma_f64 v[8:9], -v[40:41], v[60:61], v[8:9]
	v_fma_f64 v[8:9], -v[42:43], v[62:63], v[8:9]
	ds_read_b128 v[60:63], v84 offset:4624
	s_waitcnt lgkmcnt(0)
	v_fma_f64 v[8:9], -v[44:45], v[52:53], v[8:9]
	v_fma_f64 v[8:9], -v[46:47], v[54:55], v[8:9]
	ds_read_b128 v[52:55], v84 offset:4640
	v_fma_f64 v[8:9], -v[32:33], v[56:57], v[8:9]
	v_fma_f64 v[8:9], -v[28:29], v[58:59], v[8:9]
	;; [unrolled: 1-line block ×4, first 2 shown]
	s_waitcnt lgkmcnt(0)
	v_fma_f64 v[8:9], -v[10:11], v[52:53], v[8:9]
	v_mul_f64 v[68:69], v[54:55], v[8:9]
	flat_store_dwordx2 v[50:51], v[68:69] offset:168
	ds_read_b128 v[52:55], v84 offset:4704
	ds_read_b128 v[56:59], v84 offset:4720
	;; [unrolled: 1-line block ×4, first 2 shown]
	s_waitcnt lgkmcnt(0)
	v_fma_f64 v[6:7], -v[0:1], v[52:53], v[6:7]
	v_fma_f64 v[6:7], -v[2:3], v[54:55], v[6:7]
	;; [unrolled: 1-line block ×5, first 2 shown]
	ds_read_b128 v[6:9], v84 offset:4768
	v_fma_f64 v[52:53], -v[22:23], v[62:63], v[52:53]
	v_fma_f64 v[56:57], -v[24:25], v[64:65], v[52:53]
	ds_read_b128 v[52:55], v84 offset:4784
	v_fma_f64 v[56:57], -v[26:27], v[66:67], v[56:57]
	s_waitcnt lgkmcnt(0)
	v_fma_f64 v[6:7], -v[30:31], v[6:7], v[56:57]
	ds_read_b128 v[56:59], v84 offset:4800
	v_fma_f64 v[6:7], -v[34:35], v[8:9], v[6:7]
	v_fma_f64 v[52:53], -v[36:37], v[52:53], v[6:7]
	ds_read_b128 v[6:9], v84 offset:4816
	v_fma_f64 v[52:53], -v[38:39], v[54:55], v[52:53]
	s_waitcnt lgkmcnt(0)
	v_fma_f64 v[56:57], -v[40:41], v[56:57], v[52:53]
	ds_read_b128 v[52:55], v84 offset:4832
	v_fma_f64 v[56:57], -v[42:43], v[58:59], v[56:57]
	v_fma_f64 v[6:7], -v[44:45], v[6:7], v[56:57]
	;; [unrolled: 1-line block ×3, first 2 shown]
	ds_read_b128 v[6:9], v84 offset:4848
	s_waitcnt lgkmcnt(0)
	v_fma_f64 v[52:53], -v[32:33], v[52:53], v[56:57]
	ds_read_b128 v[56:59], v84 offset:4864
	v_fma_f64 v[52:53], -v[28:29], v[54:55], v[52:53]
	ds_read_b64 v[54:55], v85 offset:5104
	v_fma_f64 v[6:7], -v[20:21], v[6:7], v[52:53]
	v_fma_f64 v[6:7], -v[12:13], v[8:9], v[6:7]
	s_waitcnt lgkmcnt(0)
	v_fma_f64 v[6:7], -v[10:11], v[56:57], v[6:7]
	v_fma_f64 v[6:7], -v[68:69], v[58:59], v[6:7]
	v_mul_f64 v[64:65], v[54:55], v[6:7]
	flat_store_dwordx2 v[50:51], v[64:65] offset:176
	ds_read_b128 v[6:9], v84 offset:4928
	ds_read_b128 v[52:55], v84 offset:4944
	;; [unrolled: 1-line block ×4, first 2 shown]
	s_waitcnt lgkmcnt(0)
	v_fma_f64 v[0:1], -v[0:1], v[6:7], v[4:5]
	v_fma_f64 v[0:1], -v[2:3], v[8:9], v[0:1]
	;; [unrolled: 1-line block ×5, first 2 shown]
	ds_read_b128 v[0:3], v84 offset:4992
	v_fma_f64 v[4:5], -v[22:23], v[58:59], v[4:5]
	v_fma_f64 v[8:9], -v[24:25], v[60:61], v[4:5]
	ds_read_b128 v[4:7], v84 offset:5008
	v_fma_f64 v[8:9], -v[26:27], v[62:63], v[8:9]
	s_waitcnt lgkmcnt(0)
	v_fma_f64 v[0:1], -v[30:31], v[0:1], v[8:9]
	ds_read_b128 v[14:17], v84 offset:5024
	v_fma_f64 v[0:1], -v[34:35], v[2:3], v[0:1]
	v_fma_f64 v[4:5], -v[36:37], v[4:5], v[0:1]
	ds_read_b128 v[0:3], v84 offset:5040
	v_fma_f64 v[4:5], -v[38:39], v[6:7], v[4:5]
	s_waitcnt lgkmcnt(0)
	v_fma_f64 v[8:9], -v[40:41], v[14:15], v[4:5]
	ds_read_b128 v[4:7], v84 offset:5056
	v_fma_f64 v[8:9], -v[42:43], v[16:17], v[8:9]
	v_fma_f64 v[0:1], -v[44:45], v[0:1], v[8:9]
	;; [unrolled: 1-line block ×3, first 2 shown]
	ds_read_b128 v[0:3], v84 offset:5072
	ds_read_b128 v[14:17], v84 offset:5088
	s_waitcnt lgkmcnt(0)
	v_fma_f64 v[4:5], -v[32:33], v[4:5], v[8:9]
	v_fma_f64 v[8:9], -v[28:29], v[6:7], v[4:5]
	ds_read_b128 v[4:7], v84 offset:5104
	v_fma_f64 v[0:1], -v[20:21], v[0:1], v[8:9]
	v_fma_f64 v[0:1], -v[12:13], v[2:3], v[0:1]
	;; [unrolled: 1-line block ×4, first 2 shown]
	s_waitcnt lgkmcnt(0)
	v_fma_f64 v[0:1], -v[64:65], v[4:5], v[0:1]
	v_mul_f64 v[0:1], v[6:7], v[0:1]
	flat_store_dwordx2 v[50:51], v[0:1] offset:184
.LBB98_19:
	s_cmp_ge_i32 s2, s22
	s_cbranch_scc1 .LBB98_24
; %bb.20:
	s_mul_i32 s0, s2, 0xe0
	s_mov_b32 s3, 0
	s_branch .LBB98_22
.LBB98_21:                              ;   in Loop: Header=BB98_22 Depth=1
	s_mul_i32 s1, s2, 0xe8
	v_mov_b32_e32 v4, s1
	ds_read_b64 v[4:5], v4
	s_add_i32 s2, s2, 1
	s_addk_i32 s0, 0xe0
	s_cmp_ge_i32 s2, s22
	s_waitcnt lgkmcnt(0)
	v_mul_f64 v[2:3], v[4:5], v[2:3]
	flat_store_dwordx2 v[0:1], v[2:3]
	s_cbranch_scc1 .LBB98_24
.LBB98_22:                              ; =>This Loop Header: Depth=1
                                        ;     Child Loop BB98_23 Depth 2
	v_lshl_add_u64 v[0:1], s[2:3], 3, v[48:49]
	flat_load_dwordx2 v[2:3], v[0:1]
	s_cmp_eq_u32 s2, 0
	v_mov_b64_e32 v[4:5], v[48:49]
	s_mov_b32 s1, s2
	s_mov_b32 s6, s0
	s_waitcnt vmcnt(0) lgkmcnt(0)
	v_mul_f64 v[2:3], s[4:5], v[2:3]
	s_cbranch_scc1 .LBB98_21
.LBB98_23:                              ;   Parent Loop BB98_22 Depth=1
                                        ; =>  This Inner Loop Header: Depth=2
	flat_load_dwordx2 v[6:7], v[4:5]
	v_mov_b32_e32 v8, s6
	ds_read_b64 v[8:9], v8
	s_add_i32 s6, s6, 8
	s_add_i32 s1, s1, -1
	v_lshl_add_u64 v[4:5], v[4:5], 0, 8
	s_cmp_lg_u32 s1, 0
	s_waitcnt vmcnt(0) lgkmcnt(0)
	v_fma_f64 v[2:3], -v[6:7], v[8:9], v[2:3]
	s_cbranch_scc1 .LBB98_23
	s_branch .LBB98_21
.LBB98_24:
	s_mov_b64 s[0:1], 0
.LBB98_25:
	s_and_b64 vcc, exec, s[0:1]
	s_cbranch_vccz .LBB98_51
; %bb.26:
	s_add_i32 s8, s22, -1
	s_cmp_gt_i32 s10, 27
	s_mov_b32 s0, s8
	s_cbranch_scc0 .LBB98_28
; %bb.27:
	flat_load_dwordx4 v[0:3], v[48:49] offset:208
	flat_load_dwordx4 v[22:25], v[48:49] offset:192
	;; [unrolled: 1-line block ×4, first 2 shown]
	v_mov_b32_e32 v50, 0
	ds_read_b64 v[4:5], v50 offset:6264
	s_mov_b32 s0, -1
	s_waitcnt vmcnt(0) lgkmcnt(0)
	v_mul_f64 v[2:3], s[4:5], v[2:3]
	v_mul_f64 v[16:17], v[4:5], v[2:3]
	flat_store_dwordx2 v[48:49], v[16:17] offset:216
	ds_read_b64 v[2:3], v50 offset:6256
	ds_read_b64 v[4:5], v50 offset:6032
	flat_load_dwordx4 v[34:37], v[48:49] offset:144
	flat_load_dwordx4 v[38:41], v[48:49] offset:128
	s_waitcnt lgkmcnt(0)
	v_mul_f64 v[2:3], v[16:17], v[2:3]
	v_fma_f64 v[0:1], s[4:5], v[0:1], -v[2:3]
	v_mul_f64 v[18:19], v[4:5], v[0:1]
	flat_store_dwordx2 v[48:49], v[18:19] offset:208
	ds_read_b64 v[0:1], v50 offset:6248
	ds_read_b64 v[2:3], v50 offset:6024
	;; [unrolled: 1-line block ×3, first 2 shown]
	flat_load_dwordx4 v[12:15], v[48:49] offset:112
	flat_load_dwordx4 v[8:11], v[48:49] offset:96
	s_waitcnt lgkmcnt(0)
	v_mul_f64 v[0:1], v[16:17], v[0:1]
	v_fma_f64 v[0:1], s[4:5], v[24:25], -v[0:1]
	v_fma_f64 v[0:1], -v[18:19], v[2:3], v[0:1]
	v_mul_f64 v[20:21], v[4:5], v[0:1]
	flat_store_dwordx2 v[48:49], v[20:21] offset:200
	ds_read_b64 v[24:25], v50 offset:6240
	flat_load_dwordx4 v[4:7], v[48:49] offset:80
	flat_load_dwordx4 v[0:3], v[48:49] offset:64
	ds_read_b64 v[42:43], v50 offset:6016
	ds_read_b64 v[44:45], v50 offset:5792
	;; [unrolled: 1-line block ×3, first 2 shown]
	s_waitcnt lgkmcnt(0)
	v_mul_f64 v[24:25], v[16:17], v[24:25]
	v_fma_f64 v[22:23], s[4:5], v[22:23], -v[24:25]
	v_fma_f64 v[22:23], -v[18:19], v[42:43], v[22:23]
	v_fma_f64 v[22:23], -v[20:21], v[44:45], v[22:23]
	v_mul_f64 v[22:23], v[46:47], v[22:23]
	flat_store_dwordx2 v[48:49], v[22:23] offset:192
	ds_read_b64 v[24:25], v50 offset:6232
	ds_read_b64 v[42:43], v50 offset:6008
	;; [unrolled: 1-line block ×5, first 2 shown]
	s_waitcnt lgkmcnt(0)
	v_mul_f64 v[24:25], v[16:17], v[24:25]
	v_fma_f64 v[24:25], s[4:5], v[28:29], -v[24:25]
	v_fma_f64 v[24:25], -v[18:19], v[42:43], v[24:25]
	v_fma_f64 v[24:25], -v[20:21], v[44:45], v[24:25]
	;; [unrolled: 1-line block ×3, first 2 shown]
	v_mul_f64 v[24:25], v[52:53], v[24:25]
	flat_store_dwordx2 v[48:49], v[24:25] offset:184
	ds_read_b64 v[28:29], v50 offset:6224
	ds_read_b64 v[42:43], v50 offset:6000
	ds_read_b64 v[44:45], v50 offset:5776
	ds_read_b64 v[46:47], v50 offset:5552
	ds_read_b64 v[52:53], v50 offset:5328
	ds_read_b64 v[54:55], v50 offset:5104
	s_waitcnt lgkmcnt(0)
	v_mul_f64 v[28:29], v[16:17], v[28:29]
	v_fma_f64 v[26:27], s[4:5], v[26:27], -v[28:29]
	v_fma_f64 v[26:27], -v[18:19], v[42:43], v[26:27]
	v_fma_f64 v[26:27], -v[20:21], v[44:45], v[26:27]
	;; [unrolled: 1-line block ×4, first 2 shown]
	v_mul_f64 v[26:27], v[54:55], v[26:27]
	flat_store_dwordx2 v[48:49], v[26:27] offset:176
	ds_read_b64 v[28:29], v50 offset:6216
	ds_read_b64 v[42:43], v50 offset:5992
	;; [unrolled: 1-line block ×7, first 2 shown]
	s_waitcnt lgkmcnt(0)
	v_mul_f64 v[28:29], v[16:17], v[28:29]
	v_fma_f64 v[28:29], s[4:5], v[32:33], -v[28:29]
	v_fma_f64 v[28:29], -v[18:19], v[42:43], v[28:29]
	v_fma_f64 v[28:29], -v[20:21], v[44:45], v[28:29]
	;; [unrolled: 1-line block ×5, first 2 shown]
	v_mul_f64 v[28:29], v[56:57], v[28:29]
	flat_store_dwordx2 v[48:49], v[28:29] offset:168
	ds_read_b64 v[32:33], v50 offset:6208
	ds_read_b64 v[42:43], v50 offset:5984
	;; [unrolled: 1-line block ×8, first 2 shown]
	s_waitcnt lgkmcnt(0)
	v_mul_f64 v[32:33], v[16:17], v[32:33]
	v_fma_f64 v[30:31], s[4:5], v[30:31], -v[32:33]
	v_fma_f64 v[30:31], -v[18:19], v[42:43], v[30:31]
	v_fma_f64 v[30:31], -v[20:21], v[44:45], v[30:31]
	;; [unrolled: 1-line block ×6, first 2 shown]
	v_mul_f64 v[30:31], v[58:59], v[30:31]
	flat_store_dwordx2 v[48:49], v[30:31] offset:160
	ds_read_b64 v[32:33], v50 offset:6200
	ds_read_b64 v[42:43], v50 offset:5976
	;; [unrolled: 1-line block ×9, first 2 shown]
	s_waitcnt lgkmcnt(0)
	v_mul_f64 v[32:33], v[16:17], v[32:33]
	s_waitcnt vmcnt(0)
	v_fma_f64 v[32:33], s[4:5], v[36:37], -v[32:33]
	v_fma_f64 v[32:33], -v[18:19], v[42:43], v[32:33]
	v_fma_f64 v[32:33], -v[20:21], v[44:45], v[32:33]
	;; [unrolled: 1-line block ×7, first 2 shown]
	v_mul_f64 v[32:33], v[60:61], v[32:33]
	flat_store_dwordx2 v[48:49], v[32:33] offset:152
	ds_read_b64 v[36:37], v50 offset:6192
	ds_read_b64 v[42:43], v50 offset:5968
	;; [unrolled: 1-line block ×10, first 2 shown]
	s_waitcnt lgkmcnt(0)
	v_mul_f64 v[36:37], v[16:17], v[36:37]
	v_fma_f64 v[34:35], s[4:5], v[34:35], -v[36:37]
	v_fma_f64 v[34:35], -v[18:19], v[42:43], v[34:35]
	v_fma_f64 v[34:35], -v[20:21], v[44:45], v[34:35]
	;; [unrolled: 1-line block ×8, first 2 shown]
	v_mul_f64 v[34:35], v[62:63], v[34:35]
	flat_store_dwordx2 v[48:49], v[34:35] offset:144
	ds_read_b64 v[36:37], v50 offset:6184
	ds_read_b64 v[42:43], v50 offset:5960
	;; [unrolled: 1-line block ×11, first 2 shown]
	s_waitcnt lgkmcnt(0)
	v_mul_f64 v[36:37], v[16:17], v[36:37]
	v_fma_f64 v[36:37], s[4:5], v[40:41], -v[36:37]
	v_fma_f64 v[36:37], -v[18:19], v[42:43], v[36:37]
	v_fma_f64 v[36:37], -v[20:21], v[44:45], v[36:37]
	;; [unrolled: 1-line block ×9, first 2 shown]
	v_mul_f64 v[36:37], v[64:65], v[36:37]
	flat_store_dwordx2 v[48:49], v[36:37] offset:136
	ds_read_b64 v[40:41], v50 offset:6176
	ds_read_b64 v[42:43], v50 offset:5952
	;; [unrolled: 1-line block ×8, first 2 shown]
	s_waitcnt lgkmcnt(0)
	v_mul_f64 v[40:41], v[16:17], v[40:41]
	v_fma_f64 v[38:39], s[4:5], v[38:39], -v[40:41]
	v_fma_f64 v[38:39], -v[18:19], v[42:43], v[38:39]
	v_fma_f64 v[38:39], -v[20:21], v[44:45], v[38:39]
	;; [unrolled: 1-line block ×5, first 2 shown]
	ds_read_b64 v[40:41], v50 offset:4384
	ds_read_b64 v[60:61], v50 offset:4160
	;; [unrolled: 1-line block ×4, first 2 shown]
	v_fma_f64 v[38:39], -v[28:29], v[56:57], v[38:39]
	v_fma_f64 v[38:39], -v[30:31], v[58:59], v[38:39]
	s_waitcnt lgkmcnt(0)
	v_fma_f64 v[38:39], -v[32:33], v[40:41], v[38:39]
	v_fma_f64 v[38:39], -v[34:35], v[60:61], v[38:39]
	;; [unrolled: 1-line block ×3, first 2 shown]
	v_mul_f64 v[38:39], v[64:65], v[38:39]
	flat_store_dwordx2 v[48:49], v[38:39] offset:128
	ds_read_b64 v[40:41], v50 offset:6168
	ds_read_b64 v[42:43], v50 offset:5944
	;; [unrolled: 1-line block ×9, first 2 shown]
	s_waitcnt lgkmcnt(0)
	v_mul_f64 v[40:41], v[16:17], v[40:41]
	v_fma_f64 v[14:15], s[4:5], v[14:15], -v[40:41]
	v_fma_f64 v[14:15], -v[18:19], v[42:43], v[14:15]
	v_fma_f64 v[14:15], -v[20:21], v[44:45], v[14:15]
	;; [unrolled: 1-line block ×6, first 2 shown]
	ds_read_b64 v[40:41], v50 offset:4152
	ds_read_b64 v[42:43], v50 offset:3928
	;; [unrolled: 1-line block ×4, first 2 shown]
	v_fma_f64 v[14:15], -v[30:31], v[58:59], v[14:15]
	v_fma_f64 v[14:15], -v[32:33], v[60:61], v[14:15]
	s_waitcnt lgkmcnt(0)
	v_fma_f64 v[14:15], -v[34:35], v[40:41], v[14:15]
	v_fma_f64 v[14:15], -v[36:37], v[42:43], v[14:15]
	;; [unrolled: 1-line block ×3, first 2 shown]
	v_mul_f64 v[14:15], v[64:65], v[14:15]
	flat_store_dwordx2 v[48:49], v[14:15] offset:120
	ds_read_b64 v[40:41], v50 offset:6160
	ds_read_b64 v[42:43], v50 offset:5936
	;; [unrolled: 1-line block ×10, first 2 shown]
	s_waitcnt lgkmcnt(0)
	v_mul_f64 v[40:41], v[16:17], v[40:41]
	v_fma_f64 v[12:13], s[4:5], v[12:13], -v[40:41]
	v_fma_f64 v[12:13], -v[18:19], v[42:43], v[12:13]
	v_fma_f64 v[12:13], -v[20:21], v[44:45], v[12:13]
	;; [unrolled: 1-line block ×7, first 2 shown]
	ds_read_b64 v[40:41], v50 offset:3920
	ds_read_b64 v[42:43], v50 offset:3696
	;; [unrolled: 1-line block ×4, first 2 shown]
	v_fma_f64 v[12:13], -v[32:33], v[60:61], v[12:13]
	v_fma_f64 v[12:13], -v[34:35], v[62:63], v[12:13]
	s_waitcnt lgkmcnt(0)
	v_fma_f64 v[12:13], -v[36:37], v[40:41], v[12:13]
	v_fma_f64 v[12:13], -v[38:39], v[42:43], v[12:13]
	;; [unrolled: 1-line block ×3, first 2 shown]
	v_mul_f64 v[12:13], v[66:67], v[12:13]
	flat_store_dwordx2 v[48:49], v[12:13] offset:112
	ds_read_b64 v[40:41], v50 offset:6152
	ds_read_b64 v[42:43], v50 offset:5928
	;; [unrolled: 1-line block ×11, first 2 shown]
	s_waitcnt lgkmcnt(0)
	v_mul_f64 v[40:41], v[16:17], v[40:41]
	v_fma_f64 v[10:11], s[4:5], v[10:11], -v[40:41]
	v_fma_f64 v[10:11], -v[18:19], v[42:43], v[10:11]
	v_fma_f64 v[10:11], -v[20:21], v[44:45], v[10:11]
	;; [unrolled: 1-line block ×8, first 2 shown]
	ds_read_b64 v[40:41], v50 offset:3688
	ds_read_b64 v[42:43], v50 offset:3464
	;; [unrolled: 1-line block ×4, first 2 shown]
	v_fma_f64 v[10:11], -v[34:35], v[62:63], v[10:11]
	v_fma_f64 v[10:11], -v[36:37], v[64:65], v[10:11]
	s_waitcnt lgkmcnt(0)
	v_fma_f64 v[10:11], -v[38:39], v[40:41], v[10:11]
	v_fma_f64 v[10:11], -v[14:15], v[42:43], v[10:11]
	;; [unrolled: 1-line block ×3, first 2 shown]
	v_mul_f64 v[10:11], v[46:47], v[10:11]
	flat_store_dwordx2 v[48:49], v[10:11] offset:104
	ds_read_b64 v[40:41], v50 offset:6144
	ds_read_b64 v[42:43], v50 offset:5920
	;; [unrolled: 1-line block ×8, first 2 shown]
	s_waitcnt lgkmcnt(0)
	v_mul_f64 v[40:41], v[16:17], v[40:41]
	v_fma_f64 v[8:9], s[4:5], v[8:9], -v[40:41]
	v_fma_f64 v[8:9], -v[18:19], v[42:43], v[8:9]
	v_fma_f64 v[8:9], -v[20:21], v[44:45], v[8:9]
	;; [unrolled: 1-line block ×5, first 2 shown]
	ds_read_b64 v[40:41], v50 offset:4352
	ds_read_b64 v[60:61], v50 offset:4128
	;; [unrolled: 1-line block ×4, first 2 shown]
	v_fma_f64 v[8:9], -v[28:29], v[56:57], v[8:9]
	v_fma_f64 v[8:9], -v[30:31], v[58:59], v[8:9]
	s_waitcnt lgkmcnt(0)
	v_fma_f64 v[8:9], -v[32:33], v[40:41], v[8:9]
	v_fma_f64 v[8:9], -v[34:35], v[60:61], v[8:9]
	ds_read_b64 v[42:43], v50 offset:3456
	ds_read_b64 v[44:45], v50 offset:3232
	ds_read_b64 v[46:47], v50 offset:3008
	ds_read_b64 v[66:67], v50 offset:2784
	v_fma_f64 v[8:9], -v[36:37], v[62:63], v[8:9]
	v_fma_f64 v[8:9], -v[38:39], v[64:65], v[8:9]
	s_waitcnt lgkmcnt(0)
	v_fma_f64 v[8:9], -v[14:15], v[42:43], v[8:9]
	v_fma_f64 v[8:9], -v[12:13], v[44:45], v[8:9]
	;; [unrolled: 1-line block ×3, first 2 shown]
	v_mul_f64 v[8:9], v[66:67], v[8:9]
	flat_store_dwordx2 v[48:49], v[8:9] offset:96
	ds_read_b64 v[40:41], v50 offset:6136
	ds_read_b64 v[42:43], v50 offset:5912
	;; [unrolled: 1-line block ×9, first 2 shown]
	s_waitcnt lgkmcnt(0)
	v_mul_f64 v[40:41], v[16:17], v[40:41]
	v_fma_f64 v[6:7], s[4:5], v[6:7], -v[40:41]
	v_fma_f64 v[6:7], -v[18:19], v[42:43], v[6:7]
	v_fma_f64 v[6:7], -v[20:21], v[44:45], v[6:7]
	;; [unrolled: 1-line block ×6, first 2 shown]
	ds_read_b64 v[40:41], v50 offset:4120
	ds_read_b64 v[42:43], v50 offset:3896
	;; [unrolled: 1-line block ×4, first 2 shown]
	v_fma_f64 v[6:7], -v[30:31], v[58:59], v[6:7]
	v_fma_f64 v[6:7], -v[32:33], v[60:61], v[6:7]
	s_waitcnt lgkmcnt(0)
	v_fma_f64 v[6:7], -v[34:35], v[40:41], v[6:7]
	v_fma_f64 v[6:7], -v[36:37], v[42:43], v[6:7]
	;; [unrolled: 1-line block ×3, first 2 shown]
	ds_read_b64 v[40:41], v50 offset:3224
	ds_read_b64 v[42:43], v50 offset:3000
	;; [unrolled: 1-line block ×4, first 2 shown]
	v_fma_f64 v[6:7], -v[14:15], v[64:65], v[6:7]
	s_waitcnt lgkmcnt(0)
	v_fma_f64 v[6:7], -v[12:13], v[40:41], v[6:7]
	v_fma_f64 v[6:7], -v[10:11], v[42:43], v[6:7]
	;; [unrolled: 1-line block ×3, first 2 shown]
	v_mul_f64 v[6:7], v[46:47], v[6:7]
	flat_store_dwordx2 v[48:49], v[6:7] offset:88
	ds_read_b64 v[40:41], v50 offset:6128
	ds_read_b64 v[42:43], v50 offset:5904
	;; [unrolled: 1-line block ×3, first 2 shown]
	s_waitcnt lgkmcnt(0)
	v_mul_f64 v[40:41], v[16:17], v[40:41]
	v_fma_f64 v[4:5], s[4:5], v[4:5], -v[40:41]
	ds_read_b64 v[40:41], v50 offset:5456
	v_fma_f64 v[4:5], -v[18:19], v[42:43], v[4:5]
	v_fma_f64 v[4:5], -v[20:21], v[44:45], v[4:5]
	ds_read_b64 v[42:43], v50 offset:5232
	ds_read_b64 v[44:45], v50 offset:5008
	;; [unrolled: 1-line block ×3, first 2 shown]
	s_waitcnt lgkmcnt(0)
	v_fma_f64 v[4:5], -v[22:23], v[40:41], v[4:5]
	ds_read_b64 v[40:41], v50 offset:4560
	v_fma_f64 v[4:5], -v[24:25], v[42:43], v[4:5]
	ds_read_b64 v[42:43], v50 offset:4336
	v_fma_f64 v[4:5], -v[26:27], v[44:45], v[4:5]
	v_fma_f64 v[4:5], -v[28:29], v[46:47], v[4:5]
	s_waitcnt lgkmcnt(0)
	v_fma_f64 v[4:5], -v[30:31], v[40:41], v[4:5]
	ds_read_b64 v[40:41], v50 offset:4112
	ds_read_b64 v[44:45], v50 offset:3888
	;; [unrolled: 1-line block ×3, first 2 shown]
	v_fma_f64 v[4:5], -v[32:33], v[42:43], v[4:5]
	ds_read_b64 v[42:43], v50 offset:3440
	s_waitcnt lgkmcnt(0)
	v_fma_f64 v[4:5], -v[34:35], v[40:41], v[4:5]
	ds_read_b64 v[40:41], v50 offset:3216
	v_fma_f64 v[4:5], -v[36:37], v[44:45], v[4:5]
	v_fma_f64 v[4:5], -v[38:39], v[46:47], v[4:5]
	;; [unrolled: 1-line block ×3, first 2 shown]
	ds_read_b64 v[42:43], v50 offset:2992
	ds_read_b64 v[44:45], v50 offset:2768
	;; [unrolled: 1-line block ×4, first 2 shown]
	s_waitcnt lgkmcnt(0)
	v_fma_f64 v[4:5], -v[12:13], v[40:41], v[4:5]
	v_fma_f64 v[4:5], -v[10:11], v[42:43], v[4:5]
	;; [unrolled: 1-line block ×3, first 2 shown]
	flat_load_dwordx4 v[42:45], v[48:49] offset:48
	v_fma_f64 v[4:5], -v[6:7], v[46:47], v[4:5]
	v_mul_f64 v[4:5], v[52:53], v[4:5]
	flat_store_dwordx2 v[48:49], v[4:5] offset:80
	ds_read_b64 v[40:41], v50 offset:6120
	ds_read_b64 v[46:47], v50 offset:5896
	;; [unrolled: 1-line block ×4, first 2 shown]
	s_waitcnt lgkmcnt(0)
	v_mul_f64 v[40:41], v[16:17], v[40:41]
	v_fma_f64 v[2:3], s[4:5], v[2:3], -v[40:41]
	ds_read_b64 v[40:41], v50 offset:5224
	v_fma_f64 v[2:3], -v[18:19], v[46:47], v[2:3]
	v_fma_f64 v[2:3], -v[20:21], v[52:53], v[2:3]
	;; [unrolled: 1-line block ×3, first 2 shown]
	ds_read_b64 v[46:47], v50 offset:5000
	ds_read_b64 v[52:53], v50 offset:4776
	;; [unrolled: 1-line block ×3, first 2 shown]
	s_waitcnt lgkmcnt(0)
	v_fma_f64 v[2:3], -v[24:25], v[40:41], v[2:3]
	ds_read_b64 v[40:41], v50 offset:4328
	v_fma_f64 v[2:3], -v[26:27], v[46:47], v[2:3]
	ds_read_b64 v[46:47], v50 offset:4104
	v_fma_f64 v[2:3], -v[28:29], v[52:53], v[2:3]
	v_fma_f64 v[2:3], -v[30:31], v[54:55], v[2:3]
	s_waitcnt lgkmcnt(0)
	v_fma_f64 v[2:3], -v[32:33], v[40:41], v[2:3]
	ds_read_b64 v[40:41], v50 offset:3880
	ds_read_b64 v[52:53], v50 offset:3656
	;; [unrolled: 1-line block ×3, first 2 shown]
	v_fma_f64 v[2:3], -v[34:35], v[46:47], v[2:3]
	ds_read_b64 v[46:47], v50 offset:3208
	s_waitcnt lgkmcnt(0)
	v_fma_f64 v[2:3], -v[36:37], v[40:41], v[2:3]
	ds_read_b64 v[40:41], v50 offset:2984
	v_fma_f64 v[2:3], -v[38:39], v[52:53], v[2:3]
	v_fma_f64 v[2:3], -v[14:15], v[54:55], v[2:3]
	;; [unrolled: 1-line block ×3, first 2 shown]
	ds_read_b64 v[46:47], v50 offset:2760
	ds_read_b64 v[52:53], v50 offset:2536
	;; [unrolled: 1-line block ×4, first 2 shown]
	s_waitcnt lgkmcnt(0)
	v_fma_f64 v[2:3], -v[10:11], v[40:41], v[2:3]
	v_fma_f64 v[2:3], -v[8:9], v[46:47], v[2:3]
	;; [unrolled: 1-line block ×4, first 2 shown]
	v_mul_f64 v[2:3], v[56:57], v[2:3]
	flat_store_dwordx2 v[48:49], v[2:3] offset:72
	ds_read_b64 v[40:41], v50 offset:6112
	ds_read_b64 v[46:47], v50 offset:5888
	;; [unrolled: 1-line block ×4, first 2 shown]
	s_waitcnt lgkmcnt(0)
	v_mul_f64 v[40:41], v[16:17], v[40:41]
	v_fma_f64 v[0:1], s[4:5], v[0:1], -v[40:41]
	ds_read_b64 v[40:41], v50 offset:5216
	v_fma_f64 v[0:1], -v[18:19], v[46:47], v[0:1]
	ds_read_b64 v[46:47], v50 offset:4992
	v_fma_f64 v[0:1], -v[20:21], v[52:53], v[0:1]
	v_fma_f64 v[0:1], -v[22:23], v[54:55], v[0:1]
	s_waitcnt lgkmcnt(0)
	v_fma_f64 v[0:1], -v[24:25], v[40:41], v[0:1]
	ds_read_b64 v[40:41], v50 offset:4768
	ds_read_b64 v[52:53], v50 offset:4544
	;; [unrolled: 1-line block ×3, first 2 shown]
	v_fma_f64 v[0:1], -v[26:27], v[46:47], v[0:1]
	ds_read_b64 v[46:47], v50 offset:4096
	s_waitcnt lgkmcnt(0)
	v_fma_f64 v[0:1], -v[28:29], v[40:41], v[0:1]
	ds_read_b64 v[40:41], v50 offset:3872
	v_fma_f64 v[0:1], -v[30:31], v[52:53], v[0:1]
	v_fma_f64 v[0:1], -v[32:33], v[54:55], v[0:1]
	;; [unrolled: 1-line block ×3, first 2 shown]
	ds_read_b64 v[46:47], v50 offset:3648
	ds_read_b64 v[52:53], v50 offset:3424
	;; [unrolled: 1-line block ×3, first 2 shown]
	s_waitcnt lgkmcnt(0)
	v_fma_f64 v[0:1], -v[36:37], v[40:41], v[0:1]
	ds_read_b64 v[40:41], v50 offset:2976
	v_fma_f64 v[0:1], -v[38:39], v[46:47], v[0:1]
	ds_read_b64 v[46:47], v50 offset:2752
	v_fma_f64 v[0:1], -v[14:15], v[52:53], v[0:1]
	v_fma_f64 v[0:1], -v[12:13], v[54:55], v[0:1]
	s_waitcnt lgkmcnt(0)
	v_fma_f64 v[0:1], -v[10:11], v[40:41], v[0:1]
	ds_read_b64 v[40:41], v50 offset:2528
	ds_read_b64 v[52:53], v50 offset:2304
	ds_read_b64 v[54:55], v50 offset:2080
	ds_read_b64 v[56:57], v50 offset:1856
	v_fma_f64 v[0:1], -v[8:9], v[46:47], v[0:1]
	s_waitcnt lgkmcnt(0)
	v_fma_f64 v[0:1], -v[6:7], v[40:41], v[0:1]
	v_fma_f64 v[0:1], -v[4:5], v[52:53], v[0:1]
	;; [unrolled: 1-line block ×3, first 2 shown]
	flat_load_dwordx4 v[52:55], v[48:49] offset:32
	v_mul_f64 v[0:1], v[56:57], v[0:1]
	flat_store_dwordx2 v[48:49], v[0:1] offset:64
	ds_read_b64 v[40:41], v50 offset:6104
	ds_read_b64 v[46:47], v50 offset:5880
	s_waitcnt lgkmcnt(0)
	v_mul_f64 v[40:41], v[16:17], v[40:41]
	s_waitcnt vmcnt(0)
	v_fma_f64 v[40:41], s[4:5], v[44:45], -v[40:41]
	ds_read_b64 v[44:45], v50 offset:5656
	ds_read_b64 v[56:57], v50 offset:5432
	;; [unrolled: 1-line block ×3, first 2 shown]
	v_fma_f64 v[40:41], -v[18:19], v[46:47], v[40:41]
	ds_read_b64 v[46:47], v50 offset:4984
	s_waitcnt lgkmcnt(3)
	v_fma_f64 v[40:41], -v[20:21], v[44:45], v[40:41]
	ds_read_b64 v[44:45], v50 offset:4760
	s_waitcnt lgkmcnt(3)
	v_fma_f64 v[40:41], -v[22:23], v[56:57], v[40:41]
	s_waitcnt lgkmcnt(2)
	v_fma_f64 v[40:41], -v[24:25], v[58:59], v[40:41]
	;; [unrolled: 2-line block ×3, first 2 shown]
	ds_read_b64 v[46:47], v50 offset:4536
	ds_read_b64 v[56:57], v50 offset:4312
	;; [unrolled: 1-line block ×3, first 2 shown]
	s_waitcnt lgkmcnt(3)
	v_fma_f64 v[40:41], -v[28:29], v[44:45], v[40:41]
	ds_read_b64 v[44:45], v50 offset:3864
	s_waitcnt lgkmcnt(3)
	v_fma_f64 v[40:41], -v[30:31], v[46:47], v[40:41]
	ds_read_b64 v[46:47], v50 offset:3640
	s_waitcnt lgkmcnt(3)
	v_fma_f64 v[40:41], -v[32:33], v[56:57], v[40:41]
	s_waitcnt lgkmcnt(2)
	v_fma_f64 v[40:41], -v[34:35], v[58:59], v[40:41]
	;; [unrolled: 2-line block ×3, first 2 shown]
	ds_read_b64 v[44:45], v50 offset:3416
	ds_read_b64 v[56:57], v50 offset:3192
	;; [unrolled: 1-line block ×3, first 2 shown]
	s_waitcnt lgkmcnt(3)
	v_fma_f64 v[40:41], -v[38:39], v[46:47], v[40:41]
	ds_read_b64 v[46:47], v50 offset:2744
	s_waitcnt lgkmcnt(3)
	v_fma_f64 v[40:41], -v[14:15], v[44:45], v[40:41]
	ds_read_b64 v[44:45], v50 offset:2520
	s_waitcnt lgkmcnt(3)
	v_fma_f64 v[40:41], -v[12:13], v[56:57], v[40:41]
	s_waitcnt lgkmcnt(2)
	v_fma_f64 v[40:41], -v[10:11], v[58:59], v[40:41]
	;; [unrolled: 2-line block ×3, first 2 shown]
	ds_read_b64 v[46:47], v50 offset:2296
	ds_read_b64 v[56:57], v50 offset:2072
	;; [unrolled: 1-line block ×4, first 2 shown]
	s_waitcnt lgkmcnt(4)
	v_fma_f64 v[40:41], -v[6:7], v[44:45], v[40:41]
	s_waitcnt lgkmcnt(3)
	v_fma_f64 v[40:41], -v[4:5], v[46:47], v[40:41]
	s_waitcnt lgkmcnt(2)
	v_fma_f64 v[40:41], -v[2:3], v[56:57], v[40:41]
	s_waitcnt lgkmcnt(1)
	v_fma_f64 v[40:41], -v[0:1], v[58:59], v[40:41]
	s_waitcnt lgkmcnt(0)
	v_mul_f64 v[40:41], v[60:61], v[40:41]
	flat_store_dwordx2 v[48:49], v[40:41] offset:56
	ds_read_b64 v[44:45], v50 offset:6096
	ds_read_b64 v[46:47], v50 offset:5872
	s_waitcnt lgkmcnt(0)
	v_mul_f64 v[44:45], v[16:17], v[44:45]
	v_fma_f64 v[42:43], s[4:5], v[42:43], -v[44:45]
	ds_read_b64 v[44:45], v50 offset:5648
	v_fma_f64 v[42:43], -v[18:19], v[46:47], v[42:43]
	ds_read_b64 v[46:47], v50 offset:5424
	ds_read_b64 v[56:57], v50 offset:5200
	;; [unrolled: 1-line block ×3, first 2 shown]
	s_waitcnt lgkmcnt(0)
	v_fma_f64 v[42:43], -v[20:21], v[44:45], v[42:43]
	ds_read_b64 v[44:45], v50 offset:4752
	v_fma_f64 v[42:43], -v[22:23], v[46:47], v[42:43]
	ds_read_b64 v[46:47], v50 offset:4528
	v_fma_f64 v[42:43], -v[24:25], v[56:57], v[42:43]
	v_fma_f64 v[42:43], -v[26:27], v[58:59], v[42:43]
	s_waitcnt lgkmcnt(0)
	v_fma_f64 v[42:43], -v[28:29], v[44:45], v[42:43]
	ds_read_b64 v[44:45], v50 offset:4304
	ds_read_b64 v[56:57], v50 offset:4080
	;; [unrolled: 1-line block ×3, first 2 shown]
	v_fma_f64 v[42:43], -v[30:31], v[46:47], v[42:43]
	ds_read_b64 v[46:47], v50 offset:3632
	s_waitcnt lgkmcnt(0)
	v_fma_f64 v[42:43], -v[32:33], v[44:45], v[42:43]
	ds_read_b64 v[44:45], v50 offset:3408
	v_fma_f64 v[42:43], -v[34:35], v[56:57], v[42:43]
	v_fma_f64 v[42:43], -v[36:37], v[58:59], v[42:43]
	;; [unrolled: 1-line block ×3, first 2 shown]
	ds_read_b64 v[46:47], v50 offset:3184
	ds_read_b64 v[56:57], v50 offset:2960
	;; [unrolled: 1-line block ×3, first 2 shown]
	s_waitcnt lgkmcnt(0)
	v_fma_f64 v[42:43], -v[14:15], v[44:45], v[42:43]
	ds_read_b64 v[44:45], v50 offset:2512
	v_fma_f64 v[42:43], -v[12:13], v[46:47], v[42:43]
	ds_read_b64 v[46:47], v50 offset:2288
	v_fma_f64 v[42:43], -v[10:11], v[56:57], v[42:43]
	v_fma_f64 v[42:43], -v[8:9], v[58:59], v[42:43]
	s_waitcnt lgkmcnt(0)
	v_fma_f64 v[42:43], -v[6:7], v[44:45], v[42:43]
	ds_read_b64 v[44:45], v50 offset:2064
	ds_read_b64 v[56:57], v50 offset:1840
	;; [unrolled: 1-line block ×4, first 2 shown]
	v_fma_f64 v[42:43], -v[4:5], v[46:47], v[42:43]
	s_waitcnt lgkmcnt(0)
	v_fma_f64 v[42:43], -v[2:3], v[44:45], v[42:43]
	v_fma_f64 v[42:43], -v[0:1], v[56:57], v[42:43]
	;; [unrolled: 1-line block ×3, first 2 shown]
	v_mul_f64 v[42:43], v[60:61], v[42:43]
	flat_store_dwordx2 v[48:49], v[42:43] offset:48
	ds_read_b64 v[44:45], v50 offset:6088
	ds_read_b64 v[46:47], v50 offset:5864
	flat_load_dwordx4 v[56:59], v[48:49] offset:16
	ds_read_b64 v[60:61], v50 offset:5640
	s_waitcnt lgkmcnt(0)
	v_mul_f64 v[44:45], v[16:17], v[44:45]
	v_fma_f64 v[44:45], s[4:5], v[54:55], -v[44:45]
	v_fma_f64 v[44:45], -v[18:19], v[46:47], v[44:45]
	ds_read_b64 v[46:47], v50 offset:5416
	v_fma_f64 v[44:45], -v[20:21], v[60:61], v[44:45]
	ds_read_b64 v[54:55], v50 offset:5192
	ds_read_b64 v[60:61], v50 offset:4968
	;; [unrolled: 1-line block ×3, first 2 shown]
	s_waitcnt lgkmcnt(0)
	v_fma_f64 v[44:45], -v[22:23], v[46:47], v[44:45]
	ds_read_b64 v[46:47], v50 offset:4520
	v_fma_f64 v[44:45], -v[24:25], v[54:55], v[44:45]
	ds_read_b64 v[54:55], v50 offset:4296
	v_fma_f64 v[44:45], -v[26:27], v[60:61], v[44:45]
	v_fma_f64 v[44:45], -v[28:29], v[62:63], v[44:45]
	s_waitcnt lgkmcnt(0)
	v_fma_f64 v[44:45], -v[30:31], v[46:47], v[44:45]
	ds_read_b64 v[46:47], v50 offset:4072
	ds_read_b64 v[60:61], v50 offset:3848
	;; [unrolled: 1-line block ×3, first 2 shown]
	v_fma_f64 v[44:45], -v[32:33], v[54:55], v[44:45]
	ds_read_b64 v[54:55], v50 offset:3400
	s_waitcnt lgkmcnt(0)
	v_fma_f64 v[44:45], -v[34:35], v[46:47], v[44:45]
	ds_read_b64 v[46:47], v50 offset:3176
	v_fma_f64 v[44:45], -v[36:37], v[60:61], v[44:45]
	v_fma_f64 v[44:45], -v[38:39], v[62:63], v[44:45]
	;; [unrolled: 1-line block ×3, first 2 shown]
	ds_read_b64 v[54:55], v50 offset:2952
	ds_read_b64 v[60:61], v50 offset:2728
	;; [unrolled: 1-line block ×3, first 2 shown]
	s_waitcnt lgkmcnt(0)
	v_fma_f64 v[44:45], -v[12:13], v[46:47], v[44:45]
	ds_read_b64 v[46:47], v50 offset:2280
	v_fma_f64 v[44:45], -v[10:11], v[54:55], v[44:45]
	ds_read_b64 v[54:55], v50 offset:2056
	v_fma_f64 v[44:45], -v[8:9], v[60:61], v[44:45]
	v_fma_f64 v[44:45], -v[6:7], v[62:63], v[44:45]
	s_waitcnt lgkmcnt(0)
	v_fma_f64 v[44:45], -v[4:5], v[46:47], v[44:45]
	ds_read_b64 v[46:47], v50 offset:1832
	ds_read_b64 v[60:61], v50 offset:1608
	;; [unrolled: 1-line block ×4, first 2 shown]
	v_fma_f64 v[44:45], -v[2:3], v[54:55], v[44:45]
	s_waitcnt lgkmcnt(0)
	v_fma_f64 v[44:45], -v[0:1], v[46:47], v[44:45]
	v_fma_f64 v[44:45], -v[40:41], v[60:61], v[44:45]
	;; [unrolled: 1-line block ×3, first 2 shown]
	v_mul_f64 v[44:45], v[64:65], v[44:45]
	flat_store_dwordx2 v[48:49], v[44:45] offset:40
	ds_read_b64 v[46:47], v50 offset:6080
	ds_read_b64 v[54:55], v50 offset:5856
	;; [unrolled: 1-line block ×4, first 2 shown]
	s_waitcnt lgkmcnt(0)
	v_mul_f64 v[46:47], v[16:17], v[46:47]
	v_fma_f64 v[46:47], s[4:5], v[52:53], -v[46:47]
	ds_read_b64 v[52:53], v50 offset:5184
	v_fma_f64 v[46:47], -v[18:19], v[54:55], v[46:47]
	v_fma_f64 v[46:47], -v[20:21], v[60:61], v[46:47]
	;; [unrolled: 1-line block ×3, first 2 shown]
	ds_read_b64 v[54:55], v50 offset:4960
	ds_read_b64 v[60:61], v50 offset:4736
	;; [unrolled: 1-line block ×3, first 2 shown]
	s_waitcnt lgkmcnt(0)
	v_fma_f64 v[46:47], -v[24:25], v[52:53], v[46:47]
	ds_read_b64 v[52:53], v50 offset:4288
	v_fma_f64 v[46:47], -v[26:27], v[54:55], v[46:47]
	ds_read_b64 v[54:55], v50 offset:4064
	v_fma_f64 v[46:47], -v[28:29], v[60:61], v[46:47]
	v_fma_f64 v[46:47], -v[30:31], v[62:63], v[46:47]
	s_waitcnt lgkmcnt(0)
	v_fma_f64 v[46:47], -v[32:33], v[52:53], v[46:47]
	ds_read_b64 v[52:53], v50 offset:3840
	ds_read_b64 v[60:61], v50 offset:3616
	;; [unrolled: 1-line block ×3, first 2 shown]
	v_fma_f64 v[46:47], -v[34:35], v[54:55], v[46:47]
	ds_read_b64 v[54:55], v50 offset:3168
	s_waitcnt lgkmcnt(0)
	v_fma_f64 v[46:47], -v[36:37], v[52:53], v[46:47]
	ds_read_b64 v[52:53], v50 offset:2944
	v_fma_f64 v[46:47], -v[38:39], v[60:61], v[46:47]
	v_fma_f64 v[46:47], -v[14:15], v[62:63], v[46:47]
	;; [unrolled: 1-line block ×3, first 2 shown]
	ds_read_b64 v[54:55], v50 offset:2720
	ds_read_b64 v[60:61], v50 offset:2496
	;; [unrolled: 1-line block ×3, first 2 shown]
	s_waitcnt lgkmcnt(0)
	v_fma_f64 v[46:47], -v[10:11], v[52:53], v[46:47]
	ds_read_b64 v[52:53], v50 offset:2048
	v_fma_f64 v[46:47], -v[8:9], v[54:55], v[46:47]
	ds_read_b64 v[54:55], v50 offset:1824
	v_fma_f64 v[46:47], -v[6:7], v[60:61], v[46:47]
	v_fma_f64 v[46:47], -v[4:5], v[62:63], v[46:47]
	s_waitcnt lgkmcnt(0)
	v_fma_f64 v[46:47], -v[2:3], v[52:53], v[46:47]
	ds_read_b64 v[52:53], v50 offset:1600
	ds_read_b64 v[60:61], v50 offset:1376
	;; [unrolled: 1-line block ×4, first 2 shown]
	v_fma_f64 v[46:47], -v[0:1], v[54:55], v[46:47]
	s_waitcnt lgkmcnt(0)
	v_fma_f64 v[46:47], -v[40:41], v[52:53], v[46:47]
	v_fma_f64 v[46:47], -v[42:43], v[60:61], v[46:47]
	;; [unrolled: 1-line block ×3, first 2 shown]
	v_mul_f64 v[46:47], v[64:65], v[46:47]
	flat_store_dwordx2 v[48:49], v[46:47] offset:32
	ds_read_b64 v[60:61], v50 offset:6072
	ds_read_b64 v[62:63], v50 offset:5848
	flat_load_dwordx4 v[52:55], v[48:49]
	ds_read_b64 v[64:65], v50 offset:5624
	ds_read_b64 v[66:67], v50 offset:5400
	s_waitcnt lgkmcnt(0)
	v_mul_f64 v[60:61], v[16:17], v[60:61]
	s_waitcnt vmcnt(0)
	v_fma_f64 v[58:59], s[4:5], v[58:59], -v[60:61]
	ds_read_b64 v[60:61], v50 offset:5176
	v_fma_f64 v[58:59], -v[18:19], v[62:63], v[58:59]
	v_fma_f64 v[58:59], -v[20:21], v[64:65], v[58:59]
	;; [unrolled: 1-line block ×3, first 2 shown]
	ds_read_b64 v[62:63], v50 offset:4952
	ds_read_b64 v[64:65], v50 offset:4728
	s_waitcnt lgkmcnt(2)
	v_fma_f64 v[58:59], -v[24:25], v[60:61], v[58:59]
	ds_read_b64 v[60:61], v50 offset:4504
	s_waitcnt lgkmcnt(2)
	v_fma_f64 v[58:59], -v[26:27], v[62:63], v[58:59]
	ds_read_b64 v[62:63], v50 offset:4280
	s_waitcnt lgkmcnt(2)
	v_fma_f64 v[58:59], -v[28:29], v[64:65], v[58:59]
	s_waitcnt lgkmcnt(1)
	v_fma_f64 v[58:59], -v[30:31], v[60:61], v[58:59]
	ds_read_b64 v[60:61], v50 offset:4056
	ds_read_b64 v[64:65], v50 offset:3832
	s_waitcnt lgkmcnt(2)
	v_fma_f64 v[58:59], -v[32:33], v[62:63], v[58:59]
	ds_read_b64 v[62:63], v50 offset:3608
	s_waitcnt lgkmcnt(2)
	v_fma_f64 v[58:59], -v[34:35], v[60:61], v[58:59]
	s_waitcnt lgkmcnt(1)
	v_fma_f64 v[58:59], -v[36:37], v[64:65], v[58:59]
	ds_read_b64 v[60:61], v50 offset:3384
	ds_read_b64 v[64:65], v50 offset:3160
	s_waitcnt lgkmcnt(2)
	v_fma_f64 v[58:59], -v[38:39], v[62:63], v[58:59]
	ds_read_b64 v[62:63], v50 offset:2936
	s_waitcnt lgkmcnt(2)
	v_fma_f64 v[58:59], -v[14:15], v[60:61], v[58:59]
	;; [unrolled: 3-line block ×3, first 2 shown]
	s_waitcnt lgkmcnt(1)
	v_fma_f64 v[58:59], -v[10:11], v[62:63], v[58:59]
	ds_read_b64 v[62:63], v50 offset:2488
	ds_read_b64 v[64:65], v50 offset:2264
	s_waitcnt lgkmcnt(2)
	v_fma_f64 v[58:59], -v[8:9], v[60:61], v[58:59]
	ds_read_b64 v[60:61], v50 offset:2040
	s_waitcnt lgkmcnt(2)
	v_fma_f64 v[58:59], -v[6:7], v[62:63], v[58:59]
	s_waitcnt lgkmcnt(1)
	v_fma_f64 v[58:59], -v[4:5], v[64:65], v[58:59]
	ds_read_b64 v[62:63], v50 offset:1816
	ds_read_b64 v[64:65], v50 offset:1592
	s_waitcnt lgkmcnt(2)
	v_fma_f64 v[58:59], -v[2:3], v[60:61], v[58:59]
	ds_read_b64 v[60:61], v50 offset:1368
	s_waitcnt lgkmcnt(2)
	v_fma_f64 v[58:59], -v[0:1], v[62:63], v[58:59]
	;; [unrolled: 3-line block ×3, first 2 shown]
	s_waitcnt lgkmcnt(1)
	v_fma_f64 v[58:59], -v[42:43], v[60:61], v[58:59]
	ds_read_b64 v[60:61], v50 offset:920
	ds_read_b64 v[64:65], v50 offset:696
	s_waitcnt lgkmcnt(2)
	v_fma_f64 v[58:59], -v[44:45], v[62:63], v[58:59]
	s_waitcnt lgkmcnt(1)
	v_fma_f64 v[58:59], -v[46:47], v[60:61], v[58:59]
	s_waitcnt lgkmcnt(0)
	v_mul_f64 v[58:59], v[64:65], v[58:59]
	flat_store_dwordx2 v[48:49], v[58:59] offset:24
	ds_read_b64 v[60:61], v50 offset:6064
	ds_read_b64 v[62:63], v50 offset:5840
	s_waitcnt lgkmcnt(0)
	v_mul_f64 v[60:61], v[16:17], v[60:61]
	v_fma_f64 v[56:57], s[4:5], v[56:57], -v[60:61]
	v_fma_f64 v[56:57], -v[18:19], v[62:63], v[56:57]
	ds_read_b64 v[60:61], v50 offset:5616
	ds_read_b64 v[62:63], v50 offset:5392
	ds_read_b64 v[64:65], v50 offset:5168
	ds_read_b64 v[66:67], v50 offset:4944
	s_waitcnt lgkmcnt(0)
	v_fma_f64 v[56:57], -v[20:21], v[60:61], v[56:57]
	v_fma_f64 v[56:57], -v[22:23], v[62:63], v[56:57]
	v_fma_f64 v[56:57], -v[24:25], v[64:65], v[56:57]
	v_fma_f64 v[56:57], -v[26:27], v[66:67], v[56:57]
	ds_read_b64 v[60:61], v50 offset:4720
	ds_read_b64 v[62:63], v50 offset:4496
	ds_read_b64 v[64:65], v50 offset:4272
	ds_read_b64 v[66:67], v50 offset:4048
	s_waitcnt lgkmcnt(0)
	v_fma_f64 v[56:57], -v[28:29], v[60:61], v[56:57]
	v_fma_f64 v[56:57], -v[30:31], v[62:63], v[56:57]
	v_fma_f64 v[56:57], -v[32:33], v[64:65], v[56:57]
	;; [unrolled: 9-line block ×6, first 2 shown]
	v_mul_f64 v[56:57], v[66:67], v[56:57]
	flat_store_dwordx2 v[48:49], v[56:57] offset:16
	ds_read_b64 v[60:61], v50 offset:6056
	ds_read_b64 v[62:63], v50 offset:5832
	;; [unrolled: 1-line block ×3, first 2 shown]
	s_waitcnt lgkmcnt(0)
	v_mul_f64 v[60:61], v[16:17], v[60:61]
	v_fma_f64 v[54:55], s[4:5], v[54:55], -v[60:61]
	ds_read_b64 v[60:61], v50 offset:5384
	v_fma_f64 v[54:55], -v[18:19], v[62:63], v[54:55]
	v_fma_f64 v[54:55], -v[20:21], v[64:65], v[54:55]
	ds_read_b64 v[62:63], v50 offset:5160
	ds_read_b64 v[64:65], v50 offset:4936
	s_waitcnt lgkmcnt(0)
	v_fma_f64 v[54:55], -v[22:23], v[60:61], v[54:55]
	ds_read_b64 v[60:61], v50 offset:4712
	v_fma_f64 v[54:55], -v[24:25], v[62:63], v[54:55]
	v_fma_f64 v[54:55], -v[26:27], v[64:65], v[54:55]
	ds_read_b64 v[62:63], v50 offset:4488
	ds_read_b64 v[64:65], v50 offset:4264
	s_waitcnt lgkmcnt(0)
	v_fma_f64 v[54:55], -v[28:29], v[60:61], v[54:55]
	ds_read_b64 v[60:61], v50 offset:4040
	v_fma_f64 v[54:55], -v[30:31], v[62:63], v[54:55]
	ds_read_b64 v[62:63], v50 offset:3816
	v_fma_f64 v[54:55], -v[32:33], v[64:65], v[54:55]
	s_waitcnt lgkmcnt(0)
	v_fma_f64 v[54:55], -v[34:35], v[60:61], v[54:55]
	ds_read_b64 v[60:61], v50 offset:3592
	ds_read_b64 v[64:65], v50 offset:3368
	v_fma_f64 v[54:55], -v[36:37], v[62:63], v[54:55]
	ds_read_b64 v[62:63], v50 offset:3144
	s_waitcnt lgkmcnt(0)
	v_fma_f64 v[54:55], -v[38:39], v[60:61], v[54:55]
	v_fma_f64 v[54:55], -v[14:15], v[64:65], v[54:55]
	ds_read_b64 v[60:61], v50 offset:2920
	ds_read_b64 v[64:65], v50 offset:2696
	v_fma_f64 v[54:55], -v[12:13], v[62:63], v[54:55]
	ds_read_b64 v[62:63], v50 offset:2472
	s_waitcnt lgkmcnt(0)
	v_fma_f64 v[54:55], -v[10:11], v[60:61], v[54:55]
	ds_read_b64 v[60:61], v50 offset:2248
	v_fma_f64 v[54:55], -v[8:9], v[64:65], v[54:55]
	v_fma_f64 v[54:55], -v[6:7], v[62:63], v[54:55]
	ds_read_b64 v[62:63], v50 offset:2024
	ds_read_b64 v[64:65], v50 offset:1800
	s_waitcnt lgkmcnt(0)
	v_fma_f64 v[54:55], -v[4:5], v[60:61], v[54:55]
	ds_read_b64 v[60:61], v50 offset:1576
	v_fma_f64 v[54:55], -v[2:3], v[62:63], v[54:55]
	v_fma_f64 v[54:55], -v[0:1], v[64:65], v[54:55]
	ds_read_b64 v[62:63], v50 offset:1352
	ds_read_b64 v[64:65], v50 offset:1128
	s_waitcnt lgkmcnt(0)
	v_fma_f64 v[54:55], -v[40:41], v[60:61], v[54:55]
	ds_read_b64 v[60:61], v50 offset:904
	v_fma_f64 v[54:55], -v[42:43], v[62:63], v[54:55]
	ds_read_b64 v[62:63], v50 offset:680
	v_fma_f64 v[54:55], -v[44:45], v[64:65], v[54:55]
	s_waitcnt lgkmcnt(0)
	v_fma_f64 v[54:55], -v[46:47], v[60:61], v[54:55]
	ds_read_b64 v[60:61], v50 offset:456
	ds_read_b64 v[64:65], v50 offset:232
	v_fma_f64 v[54:55], -v[58:59], v[62:63], v[54:55]
	s_waitcnt lgkmcnt(0)
	v_fma_f64 v[54:55], -v[56:57], v[60:61], v[54:55]
	v_mul_f64 v[54:55], v[64:65], v[54:55]
	flat_store_dwordx2 v[48:49], v[54:55] offset:8
	ds_read_b64 v[60:61], v50 offset:6048
	ds_read_b64 v[62:63], v50 offset:5824
	s_waitcnt lgkmcnt(0)
	v_mul_f64 v[16:17], v[16:17], v[60:61]
	v_fma_f64 v[16:17], s[4:5], v[52:53], -v[16:17]
	ds_read_b64 v[52:53], v50 offset:5600
	v_fma_f64 v[16:17], -v[18:19], v[62:63], v[16:17]
	ds_read_b64 v[18:19], v50 offset:5376
	ds_read_b64 v[60:61], v50 offset:5152
	;; [unrolled: 1-line block ×3, first 2 shown]
	s_waitcnt lgkmcnt(0)
	v_fma_f64 v[16:17], -v[20:21], v[52:53], v[16:17]
	ds_read_b64 v[20:21], v50 offset:4704
	v_fma_f64 v[16:17], -v[22:23], v[18:19], v[16:17]
	ds_read_b64 v[18:19], v50 offset:4480
	v_fma_f64 v[16:17], -v[24:25], v[60:61], v[16:17]
	v_fma_f64 v[16:17], -v[26:27], v[62:63], v[16:17]
	s_waitcnt lgkmcnt(0)
	v_fma_f64 v[16:17], -v[28:29], v[20:21], v[16:17]
	ds_read_b64 v[20:21], v50 offset:4256
	ds_read_b64 v[22:23], v50 offset:4032
	;; [unrolled: 1-line block ×3, first 2 shown]
	v_fma_f64 v[16:17], -v[30:31], v[18:19], v[16:17]
	ds_read_b64 v[18:19], v50 offset:3584
	s_waitcnt lgkmcnt(0)
	v_fma_f64 v[16:17], -v[32:33], v[20:21], v[16:17]
	ds_read_b64 v[20:21], v50 offset:3360
	v_fma_f64 v[16:17], -v[34:35], v[22:23], v[16:17]
	v_fma_f64 v[16:17], -v[36:37], v[24:25], v[16:17]
	;; [unrolled: 1-line block ×3, first 2 shown]
	ds_read_b64 v[18:19], v50 offset:3136
	ds_read_b64 v[22:23], v50 offset:2912
	;; [unrolled: 1-line block ×3, first 2 shown]
	s_waitcnt lgkmcnt(0)
	v_fma_f64 v[14:15], -v[14:15], v[20:21], v[16:17]
	ds_read_b64 v[16:17], v50 offset:2464
	v_fma_f64 v[12:13], -v[12:13], v[18:19], v[14:15]
	v_fma_f64 v[10:11], -v[10:11], v[22:23], v[12:13]
	;; [unrolled: 1-line block ×3, first 2 shown]
	ds_read_b64 v[10:11], v50 offset:2240
	s_waitcnt lgkmcnt(0)
	v_fma_f64 v[6:7], -v[6:7], v[16:17], v[8:9]
	ds_read_b64 v[8:9], v50 offset:2016
	ds_read_b64 v[12:13], v50 offset:1792
	;; [unrolled: 1-line block ×4, first 2 shown]
	v_fma_f64 v[4:5], -v[4:5], v[10:11], v[6:7]
	s_waitcnt lgkmcnt(0)
	v_fma_f64 v[2:3], -v[2:3], v[8:9], v[4:5]
	v_fma_f64 v[0:1], -v[0:1], v[12:13], v[2:3]
	v_fma_f64 v[0:1], -v[40:41], v[14:15], v[0:1]
	v_fma_f64 v[4:5], -v[42:43], v[16:17], v[0:1]
	ds_read_b64 v[6:7], v50 offset:1120
	ds_read_b64 v[8:9], v50 offset:896
	ds_read_b64 v[10:11], v50 offset:672
	ds_read_b64 v[12:13], v50 offset:448
	ds_read2_b64 v[0:3], v50 offset1:28
	s_waitcnt lgkmcnt(0)
	v_fma_f64 v[4:5], -v[44:45], v[6:7], v[4:5]
	v_fma_f64 v[4:5], -v[46:47], v[8:9], v[4:5]
	;; [unrolled: 1-line block ×5, first 2 shown]
	v_mul_f64 v[0:1], v[0:1], v[2:3]
	flat_store_dwordx2 v[48:49], v[0:1]
.LBB98_28:
	s_cmp_gt_i32 s0, -1
	s_cbranch_scc0 .LBB98_51
; %bb.29:
	s_cmp_lt_u32 s0, 23
	s_cbranch_scc1 .LBB98_34
; %bb.30:
	s_mov_b32 s3, 0
	s_mov_b32 s1, s3
	v_lshl_add_u64 v[8:9], s[0:1], 3, v[48:49]
	v_add_co_u32_e32 v4, vcc, -8, v8
	s_cmp_le_i32 s8, s0
	s_nop 0
	v_addc_co_u32_e32 v5, vcc, -1, v9, vcc
	v_add_co_u32_e32 v6, vcc, 0xffffffe8, v8
	s_nop 1
	v_addc_co_u32_e32 v7, vcc, -1, v9, vcc
	flat_load_dwordx4 v[0:3], v[4:5]
	flat_load_dwordx4 v[12:15], v[6:7]
	v_add_co_u32_e32 v4, vcc, 0xffffffd8, v8
	s_waitcnt vmcnt(0) lgkmcnt(0)
	v_mul_f64 v[50:51], s[4:5], v[0:1]
	v_addc_co_u32_e32 v5, vcc, -1, v9, vcc
	v_add_co_u32_e32 v6, vcc, 0xffffffc8, v8
	v_mul_f64 v[10:11], s[4:5], v[14:15]
	s_nop 0
	v_addc_co_u32_e32 v7, vcc, -1, v9, vcc
	flat_load_dwordx4 v[18:21], v[4:5]
	flat_load_dwordx4 v[22:25], v[6:7]
	v_add_co_u32_e32 v4, vcc, 0xffffffb8, v8
	v_mul_f64 v[12:13], s[4:5], v[12:13]
	s_nop 0
	v_addc_co_u32_e32 v5, vcc, -1, v9, vcc
	v_add_co_u32_e32 v6, vcc, 0xffffffa8, v8
	s_waitcnt vmcnt(0) lgkmcnt(0)
	v_mul_f64 v[16:17], s[4:5], v[20:21]
	v_addc_co_u32_e32 v7, vcc, -1, v9, vcc
	flat_load_dwordx4 v[28:31], v[4:5]
	flat_load_dwordx4 v[34:37], v[6:7]
	v_add_co_u32_e32 v4, vcc, 0xffffff98, v8
	v_mul_f64 v[18:19], s[4:5], v[18:19]
	s_nop 0
	v_addc_co_u32_e32 v5, vcc, -1, v9, vcc
	v_add_co_u32_e32 v6, vcc, 0xffffff88, v8
	v_mul_f64 v[20:21], s[4:5], v[24:25]
	s_nop 0
	v_addc_co_u32_e32 v7, vcc, -1, v9, vcc
	flat_load_dwordx4 v[38:41], v[4:5]
	flat_load_dwordx4 v[44:47], v[6:7]
	v_add_co_u32_e32 v4, vcc, 0xffffff78, v8
	v_mul_f64 v[24:25], s[4:5], v[22:23]
	s_nop 0
	v_addc_co_u32_e32 v5, vcc, -1, v9, vcc
	v_add_co_u32_e32 v6, vcc, 0xffffff68, v8
	s_waitcnt vmcnt(0) lgkmcnt(0)
	v_mul_f64 v[26:27], s[4:5], v[30:31]
	v_addc_co_u32_e32 v7, vcc, -1, v9, vcc
	flat_load_dwordx4 v[52:55], v[4:5]
	flat_load_dwordx4 v[56:59], v[6:7]
	v_add_co_u32_e32 v4, vcc, 0xffffff58, v8
	v_mul_f64 v[6:7], s[4:5], v[2:3]
	s_nop 0
	v_addc_co_u32_e32 v5, vcc, -1, v9, vcc
	flat_load_dwordx4 v[60:63], v[4:5]
	v_add_co_u32_e32 v4, vcc, 0xffffff48, v8
	v_mul_f64 v[30:31], s[4:5], v[28:29]
	s_nop 0
	v_addc_co_u32_e32 v5, vcc, -1, v9, vcc
	flat_load_dwordx4 v[64:67], v[4:5]
	v_mul_f64 v[32:33], s[4:5], v[36:37]
	v_mul_f64 v[36:37], s[4:5], v[34:35]
	;; [unrolled: 1-line block ×6, first 2 shown]
	s_waitcnt vmcnt(0) lgkmcnt(0)
	v_mul_f64 v[38:39], s[4:5], v[54:55]
	v_mul_f64 v[34:35], s[4:5], v[52:53]
	v_mul_f64 v[28:29], s[4:5], v[58:59]
	v_mul_f64 v[22:23], s[4:5], v[56:57]
	v_mul_f64 v[14:15], s[4:5], v[62:63]
	v_mul_f64 v[4:5], s[4:5], v[60:61]
	v_mul_f64 v[2:3], s[4:5], v[66:67]
	v_mul_f64 v[0:1], s[4:5], v[64:65]
	s_cbranch_scc1 .LBB98_33
; %bb.31:
	s_mul_i32 s1, s22, 0xe0
	s_lshl_b32 s2, s0, 3
	s_add_i32 s1, s1, s2
	s_addk_i32 s1, 0xfe68
	s_mov_b32 s2, s8
.LBB98_32:                              ; =>This Inner Loop Header: Depth=1
	v_lshl_add_u64 v[52:53], s[2:3], 3, v[48:49]
	flat_load_dwordx2 v[68:69], v[52:53]
	v_mov_b32_e32 v64, s1
	ds_read2_b64 v[52:55], v64 offset0:22 offset1:23
	ds_read2_b64 v[56:59], v64 offset0:20 offset1:21
	;; [unrolled: 1-line block ×3, first 2 shown]
	s_add_i32 s2, s2, -1
	s_addk_i32 s1, 0xff20
	s_cmp_gt_i32 s2, s0
	s_waitcnt vmcnt(0) lgkmcnt(0)
	v_fma_f64 v[6:7], -v[68:69], v[54:55], v[6:7]
	v_fma_f64 v[50:51], -v[68:69], v[52:53], v[50:51]
	ds_read2_b64 v[52:55], v64 offset0:16 offset1:17
	v_fma_f64 v[10:11], -v[68:69], v[58:59], v[10:11]
	v_fma_f64 v[12:13], -v[68:69], v[56:57], v[12:13]
	ds_read2_b64 v[56:59], v64 offset0:14 offset1:15
	;; [unrolled: 3-line block ×3, first 2 shown]
	s_waitcnt lgkmcnt(2)
	v_fma_f64 v[20:21], -v[68:69], v[54:55], v[20:21]
	v_fma_f64 v[24:25], -v[68:69], v[52:53], v[24:25]
	ds_read2_b64 v[52:55], v64 offset0:10 offset1:11
	s_waitcnt lgkmcnt(2)
	v_fma_f64 v[26:27], -v[68:69], v[58:59], v[26:27]
	v_fma_f64 v[30:31], -v[68:69], v[56:57], v[30:31]
	ds_read2_b64 v[56:59], v64 offset0:8 offset1:9
	;; [unrolled: 4-line block ×5, first 2 shown]
	ds_read2_b64 v[64:67], v64 offset1:1
	s_waitcnt lgkmcnt(3)
	v_fma_f64 v[38:39], -v[68:69], v[62:63], v[38:39]
	v_fma_f64 v[34:35], -v[68:69], v[60:61], v[34:35]
	s_waitcnt lgkmcnt(2)
	v_fma_f64 v[28:29], -v[68:69], v[54:55], v[28:29]
	v_fma_f64 v[22:23], -v[68:69], v[52:53], v[22:23]
	;; [unrolled: 3-line block ×4, first 2 shown]
	s_cbranch_scc1 .LBB98_32
.LBB98_33:
	s_mul_i32 s1, s0, 0xe8
	v_mov_b32_e32 v52, s1
	ds_read_b64 v[52:53], v52
	s_add_i32 s2, s0, -1
	s_mul_i32 s6, s0, 0xe0
	s_lshl_b32 s3, s2, 3
	s_add_i32 s7, s3, s6
	s_waitcnt lgkmcnt(0)
	v_mul_f64 v[6:7], v[52:53], v[6:7]
	flat_store_dwordx2 v[8:9], v[6:7]
	v_mov_b32_e32 v8, s7
	s_add_i32 s7, s6, 0xffffff20
	s_add_i32 s3, s3, s7
	v_mov_b32_e32 v52, s3
	ds_read_b64 v[8:9], v8
	ds_read_b64 v[52:53], v52
	s_mov_b32 s3, 0
	s_waitcnt lgkmcnt(0)
	v_fma_f64 v[8:9], -v[6:7], v[8:9], v[50:51]
	v_lshl_add_u64 v[50:51], s[2:3], 3, v[48:49]
	s_add_i32 s2, s0, -2
	s_lshl_b32 s10, s2, 3
	v_mul_f64 v[8:9], v[52:53], v[8:9]
	s_add_i32 s9, s10, s6
	flat_store_dwordx2 v[50:51], v[8:9]
	v_mov_b32_e32 v50, s9
	s_add_i32 s9, s10, s7
	v_mov_b32_e32 v52, s9
	s_add_i32 s9, s6, 0xfffffe40
	s_add_i32 s10, s10, s9
	v_mov_b32_e32 v54, s10
	ds_read_b64 v[50:51], v50
	ds_read_b64 v[52:53], v52
	;; [unrolled: 1-line block ×3, first 2 shown]
	s_waitcnt lgkmcnt(0)
	v_fma_f64 v[10:11], -v[6:7], v[50:51], v[10:11]
	v_lshl_add_u64 v[50:51], s[2:3], 3, v[48:49]
	s_add_i32 s2, s0, -3
	v_fma_f64 v[10:11], -v[8:9], v[52:53], v[10:11]
	s_lshl_b32 s11, s2, 3
	v_mul_f64 v[10:11], v[54:55], v[10:11]
	s_add_i32 s10, s11, s6
	flat_store_dwordx2 v[50:51], v[10:11]
	v_mov_b32_e32 v50, s10
	s_add_i32 s10, s11, s7
	v_mov_b32_e32 v52, s10
	s_add_i32 s10, s11, s9
	;; [unrolled: 2-line block ×3, first 2 shown]
	s_add_i32 s11, s11, s10
	v_mov_b32_e32 v56, s11
	ds_read_b64 v[50:51], v50
	ds_read_b64 v[52:53], v52
	;; [unrolled: 1-line block ×4, first 2 shown]
	s_waitcnt lgkmcnt(0)
	v_fma_f64 v[12:13], -v[6:7], v[50:51], v[12:13]
	v_fma_f64 v[12:13], -v[8:9], v[52:53], v[12:13]
	v_lshl_add_u64 v[50:51], s[2:3], 3, v[48:49]
	s_add_i32 s2, s0, -4
	v_fma_f64 v[12:13], -v[10:11], v[54:55], v[12:13]
	s_lshl_b32 s12, s2, 3
	v_mul_f64 v[12:13], v[56:57], v[12:13]
	s_add_i32 s11, s12, s6
	flat_store_dwordx2 v[50:51], v[12:13]
	v_mov_b32_e32 v50, s11
	s_add_i32 s11, s12, s7
	v_mov_b32_e32 v52, s11
	s_add_i32 s11, s12, s9
	;; [unrolled: 2-line block ×4, first 2 shown]
	s_add_i32 s12, s12, s11
	ds_read_b64 v[50:51], v50
	ds_read_b64 v[52:53], v52
	ds_read_b64 v[54:55], v54
	ds_read_b64 v[56:57], v56
	v_mov_b32_e32 v58, s12
	ds_read_b64 v[58:59], v58
	s_waitcnt lgkmcnt(0)
	v_fma_f64 v[16:17], -v[6:7], v[50:51], v[16:17]
	v_fma_f64 v[16:17], -v[8:9], v[52:53], v[16:17]
	;; [unrolled: 1-line block ×3, first 2 shown]
	v_lshl_add_u64 v[50:51], s[2:3], 3, v[48:49]
	s_add_i32 s2, s0, -5
	v_fma_f64 v[16:17], -v[12:13], v[56:57], v[16:17]
	s_lshl_b32 s13, s2, 3
	v_mul_f64 v[16:17], v[58:59], v[16:17]
	s_add_i32 s12, s13, s6
	flat_store_dwordx2 v[50:51], v[16:17]
	v_mov_b32_e32 v50, s12
	ds_read_b64 v[50:51], v50
	s_add_i32 s12, s13, s7
	v_mov_b32_e32 v52, s12
	s_add_i32 s12, s13, s9
	v_mov_b32_e32 v54, s12
	;; [unrolled: 2-line block ×3, first 2 shown]
	s_add_i32 s12, s13, s11
	s_waitcnt lgkmcnt(0)
	v_fma_f64 v[18:19], -v[6:7], v[50:51], v[18:19]
	v_mov_b32_e32 v50, s12
	s_add_i32 s12, s6, 0xfffffba0
	ds_read_b64 v[52:53], v52
	ds_read_b64 v[54:55], v54
	;; [unrolled: 1-line block ×3, first 2 shown]
	s_add_i32 s13, s13, s12
	v_mov_b32_e32 v58, s13
	ds_read_b64 v[50:51], v50
	ds_read_b64 v[58:59], v58
	s_waitcnt lgkmcnt(0)
	v_fma_f64 v[18:19], -v[8:9], v[52:53], v[18:19]
	v_fma_f64 v[18:19], -v[10:11], v[54:55], v[18:19]
	;; [unrolled: 1-line block ×4, first 2 shown]
	v_lshl_add_u64 v[50:51], s[2:3], 3, v[48:49]
	s_add_i32 s2, s0, -6
	s_lshl_b32 s14, s2, 3
	v_mul_f64 v[18:19], v[58:59], v[18:19]
	s_add_i32 s13, s14, s6
	flat_store_dwordx2 v[50:51], v[18:19]
	v_mov_b32_e32 v50, s13
	s_add_i32 s13, s14, s7
	v_mov_b32_e32 v52, s13
	ds_read_b64 v[50:51], v50
	ds_read_b64 v[52:53], v52
	s_add_i32 s13, s14, s9
	v_mov_b32_e32 v54, s13
	s_add_i32 s13, s14, s10
	v_mov_b32_e32 v56, s13
	s_add_i32 s13, s14, s11
	s_waitcnt lgkmcnt(0)
	v_fma_f64 v[20:21], -v[6:7], v[50:51], v[20:21]
	v_mov_b32_e32 v50, s13
	s_add_i32 s13, s14, s12
	ds_read_b64 v[54:55], v54
	ds_read_b64 v[56:57], v56
	v_fma_f64 v[20:21], -v[8:9], v[52:53], v[20:21]
	v_mov_b32_e32 v52, s13
	s_add_i32 s13, s6, 0xfffffac0
	s_add_i32 s14, s14, s13
	v_mov_b32_e32 v58, s14
	ds_read_b64 v[50:51], v50
	ds_read_b64 v[52:53], v52
	;; [unrolled: 1-line block ×3, first 2 shown]
	s_waitcnt lgkmcnt(0)
	v_fma_f64 v[20:21], -v[10:11], v[54:55], v[20:21]
	v_fma_f64 v[20:21], -v[12:13], v[56:57], v[20:21]
	;; [unrolled: 1-line block ×3, first 2 shown]
	v_lshl_add_u64 v[50:51], s[2:3], 3, v[48:49]
	s_add_i32 s2, s0, -7
	v_fma_f64 v[20:21], -v[18:19], v[52:53], v[20:21]
	s_lshl_b32 s15, s2, 3
	v_mul_f64 v[20:21], v[58:59], v[20:21]
	s_add_i32 s14, s15, s6
	flat_store_dwordx2 v[50:51], v[20:21]
	v_mov_b32_e32 v50, s14
	s_add_i32 s14, s15, s7
	v_mov_b32_e32 v52, s14
	s_add_i32 s14, s15, s9
	v_mov_b32_e32 v54, s14
	ds_read_b64 v[50:51], v50
	ds_read_b64 v[52:53], v52
	;; [unrolled: 1-line block ×3, first 2 shown]
	s_add_i32 s14, s15, s10
	v_mov_b32_e32 v56, s14
	s_add_i32 s14, s15, s11
	s_waitcnt lgkmcnt(0)
	v_fma_f64 v[24:25], -v[6:7], v[50:51], v[24:25]
	v_mov_b32_e32 v50, s14
	s_add_i32 s14, s15, s12
	ds_read_b64 v[56:57], v56
	v_fma_f64 v[24:25], -v[8:9], v[52:53], v[24:25]
	v_mov_b32_e32 v52, s14
	s_add_i32 s14, s15, s13
	v_fma_f64 v[24:25], -v[10:11], v[54:55], v[24:25]
	v_mov_b32_e32 v54, s14
	s_add_i32 s14, s6, 0xfffff9e0
	s_add_i32 s15, s15, s14
	v_mov_b32_e32 v58, s15
	ds_read_b64 v[50:51], v50
	ds_read_b64 v[52:53], v52
	;; [unrolled: 1-line block ×4, first 2 shown]
	s_waitcnt lgkmcnt(0)
	v_fma_f64 v[24:25], -v[12:13], v[56:57], v[24:25]
	v_fma_f64 v[24:25], -v[16:17], v[50:51], v[24:25]
	;; [unrolled: 1-line block ×3, first 2 shown]
	v_lshl_add_u64 v[50:51], s[2:3], 3, v[48:49]
	s_add_i32 s2, s0, -8
	v_fma_f64 v[24:25], -v[20:21], v[54:55], v[24:25]
	s_lshl_b32 s16, s2, 3
	v_mul_f64 v[24:25], v[58:59], v[24:25]
	s_add_i32 s15, s16, s6
	flat_store_dwordx2 v[50:51], v[24:25]
	v_mov_b32_e32 v50, s15
	s_add_i32 s15, s16, s7
	v_mov_b32_e32 v52, s15
	s_add_i32 s15, s16, s9
	v_mov_b32_e32 v54, s15
	s_add_i32 s15, s16, s10
	v_mov_b32_e32 v56, s15
	ds_read_b64 v[50:51], v50
	ds_read_b64 v[52:53], v52
	;; [unrolled: 1-line block ×4, first 2 shown]
	s_add_i32 s15, s16, s11
	s_waitcnt lgkmcnt(0)
	v_fma_f64 v[26:27], -v[6:7], v[50:51], v[26:27]
	v_mov_b32_e32 v50, s15
	s_add_i32 s15, s16, s12
	v_fma_f64 v[26:27], -v[8:9], v[52:53], v[26:27]
	v_mov_b32_e32 v52, s15
	s_add_i32 s15, s16, s13
	;; [unrolled: 3-line block ×4, first 2 shown]
	s_add_i32 s16, s16, s15
	ds_read_b64 v[50:51], v50
	ds_read_b64 v[52:53], v52
	ds_read_b64 v[54:55], v54
	ds_read_b64 v[56:57], v56
	v_mov_b32_e32 v58, s16
	ds_read_b64 v[58:59], v58
	s_waitcnt lgkmcnt(0)
	v_fma_f64 v[26:27], -v[16:17], v[50:51], v[26:27]
	v_fma_f64 v[26:27], -v[18:19], v[52:53], v[26:27]
	;; [unrolled: 1-line block ×3, first 2 shown]
	v_lshl_add_u64 v[50:51], s[2:3], 3, v[48:49]
	s_add_i32 s2, s0, -9
	v_fma_f64 v[26:27], -v[24:25], v[56:57], v[26:27]
	s_lshl_b32 s17, s2, 3
	v_mul_f64 v[26:27], v[58:59], v[26:27]
	s_add_i32 s16, s17, s6
	flat_store_dwordx2 v[50:51], v[26:27]
	v_mov_b32_e32 v50, s16
	s_add_i32 s16, s17, s7
	v_mov_b32_e32 v52, s16
	s_add_i32 s16, s17, s9
	;; [unrolled: 2-line block ×3, first 2 shown]
	v_mov_b32_e32 v56, s16
	ds_read_b64 v[50:51], v50
	ds_read_b64 v[52:53], v52
	;; [unrolled: 1-line block ×4, first 2 shown]
	s_add_i32 s16, s17, s11
	s_waitcnt lgkmcnt(0)
	v_fma_f64 v[30:31], -v[6:7], v[50:51], v[30:31]
	v_mov_b32_e32 v50, s16
	ds_read_b64 v[50:51], v50
	s_add_i32 s16, s17, s12
	v_fma_f64 v[30:31], -v[8:9], v[52:53], v[30:31]
	v_mov_b32_e32 v52, s16
	s_add_i32 s16, s17, s13
	v_fma_f64 v[30:31], -v[10:11], v[54:55], v[30:31]
	v_mov_b32_e32 v54, s16
	;; [unrolled: 3-line block ×3, first 2 shown]
	s_add_i32 s16, s17, s15
	s_waitcnt lgkmcnt(0)
	v_fma_f64 v[30:31], -v[16:17], v[50:51], v[30:31]
	v_mov_b32_e32 v50, s16
	s_add_i32 s16, s6, 0xfffff820
	ds_read_b64 v[52:53], v52
	ds_read_b64 v[54:55], v54
	;; [unrolled: 1-line block ×3, first 2 shown]
	s_add_i32 s17, s17, s16
	v_mov_b32_e32 v58, s17
	ds_read_b64 v[50:51], v50
	ds_read_b64 v[58:59], v58
	s_waitcnt lgkmcnt(0)
	v_fma_f64 v[30:31], -v[18:19], v[52:53], v[30:31]
	v_fma_f64 v[30:31], -v[20:21], v[54:55], v[30:31]
	;; [unrolled: 1-line block ×4, first 2 shown]
	v_lshl_add_u64 v[50:51], s[2:3], 3, v[48:49]
	s_add_i32 s2, s0, -10
	s_lshl_b32 s18, s2, 3
	v_mul_f64 v[30:31], v[58:59], v[30:31]
	s_add_i32 s17, s18, s6
	flat_store_dwordx2 v[50:51], v[30:31]
	v_mov_b32_e32 v50, s17
	s_add_i32 s17, s18, s7
	v_mov_b32_e32 v52, s17
	s_add_i32 s17, s18, s9
	;; [unrolled: 2-line block ×3, first 2 shown]
	v_mov_b32_e32 v56, s17
	ds_read_b64 v[50:51], v50
	ds_read_b64 v[52:53], v52
	;; [unrolled: 1-line block ×4, first 2 shown]
	s_add_i32 s17, s18, s11
	s_waitcnt lgkmcnt(0)
	v_fma_f64 v[32:33], -v[6:7], v[50:51], v[32:33]
	v_mov_b32_e32 v50, s17
	s_add_i32 s17, s18, s12
	v_fma_f64 v[32:33], -v[8:9], v[52:53], v[32:33]
	v_mov_b32_e32 v52, s17
	ds_read_b64 v[50:51], v50
	ds_read_b64 v[52:53], v52
	s_add_i32 s17, s18, s13
	v_fma_f64 v[32:33], -v[10:11], v[54:55], v[32:33]
	v_mov_b32_e32 v54, s17
	s_add_i32 s17, s18, s14
	v_fma_f64 v[32:33], -v[12:13], v[56:57], v[32:33]
	v_mov_b32_e32 v56, s17
	s_add_i32 s17, s18, s15
	s_waitcnt lgkmcnt(0)
	v_fma_f64 v[32:33], -v[16:17], v[50:51], v[32:33]
	v_mov_b32_e32 v50, s17
	s_add_i32 s17, s18, s16
	ds_read_b64 v[54:55], v54
	ds_read_b64 v[56:57], v56
	v_fma_f64 v[32:33], -v[18:19], v[52:53], v[32:33]
	v_mov_b32_e32 v52, s17
	s_add_i32 s17, s6, 0xfffff740
	s_add_i32 s18, s18, s17
	v_mov_b32_e32 v58, s18
	ds_read_b64 v[50:51], v50
	ds_read_b64 v[52:53], v52
	;; [unrolled: 1-line block ×3, first 2 shown]
	s_waitcnt lgkmcnt(0)
	v_fma_f64 v[32:33], -v[20:21], v[54:55], v[32:33]
	v_fma_f64 v[32:33], -v[24:25], v[56:57], v[32:33]
	;; [unrolled: 1-line block ×3, first 2 shown]
	v_lshl_add_u64 v[50:51], s[2:3], 3, v[48:49]
	s_add_i32 s2, s0, -11
	v_fma_f64 v[32:33], -v[30:31], v[52:53], v[32:33]
	s_lshl_b32 s19, s2, 3
	v_mul_f64 v[32:33], v[58:59], v[32:33]
	s_add_i32 s18, s19, s6
	flat_store_dwordx2 v[50:51], v[32:33]
	v_mov_b32_e32 v50, s18
	s_add_i32 s18, s19, s7
	v_mov_b32_e32 v52, s18
	s_add_i32 s18, s19, s9
	;; [unrolled: 2-line block ×3, first 2 shown]
	v_mov_b32_e32 v56, s18
	ds_read_b64 v[50:51], v50
	ds_read_b64 v[52:53], v52
	;; [unrolled: 1-line block ×4, first 2 shown]
	s_add_i32 s18, s19, s11
	s_waitcnt lgkmcnt(0)
	v_fma_f64 v[36:37], -v[6:7], v[50:51], v[36:37]
	v_mov_b32_e32 v50, s18
	s_add_i32 s18, s19, s12
	v_fma_f64 v[36:37], -v[8:9], v[52:53], v[36:37]
	v_mov_b32_e32 v52, s18
	s_add_i32 s18, s19, s13
	v_fma_f64 v[36:37], -v[10:11], v[54:55], v[36:37]
	v_mov_b32_e32 v54, s18
	ds_read_b64 v[50:51], v50
	ds_read_b64 v[52:53], v52
	;; [unrolled: 1-line block ×3, first 2 shown]
	s_add_i32 s18, s19, s14
	v_fma_f64 v[36:37], -v[12:13], v[56:57], v[36:37]
	v_mov_b32_e32 v56, s18
	s_add_i32 s18, s19, s15
	s_waitcnt lgkmcnt(0)
	v_fma_f64 v[36:37], -v[16:17], v[50:51], v[36:37]
	v_mov_b32_e32 v50, s18
	s_add_i32 s18, s19, s16
	ds_read_b64 v[56:57], v56
	v_fma_f64 v[36:37], -v[18:19], v[52:53], v[36:37]
	v_mov_b32_e32 v52, s18
	s_add_i32 s18, s19, s17
	v_fma_f64 v[36:37], -v[20:21], v[54:55], v[36:37]
	v_mov_b32_e32 v54, s18
	s_add_i32 s18, s6, 0xfffff660
	s_add_i32 s19, s19, s18
	v_mov_b32_e32 v58, s19
	ds_read_b64 v[50:51], v50
	ds_read_b64 v[52:53], v52
	;; [unrolled: 1-line block ×4, first 2 shown]
	s_waitcnt lgkmcnt(0)
	v_fma_f64 v[36:37], -v[24:25], v[56:57], v[36:37]
	v_fma_f64 v[36:37], -v[26:27], v[50:51], v[36:37]
	;; [unrolled: 1-line block ×3, first 2 shown]
	v_lshl_add_u64 v[50:51], s[2:3], 3, v[48:49]
	s_add_i32 s2, s0, -12
	v_fma_f64 v[36:37], -v[32:33], v[54:55], v[36:37]
	s_lshl_b32 s19, s2, 3
	v_mul_f64 v[36:37], v[58:59], v[36:37]
	s_add_i32 s20, s19, s6
	flat_store_dwordx2 v[50:51], v[36:37]
	v_mov_b32_e32 v50, s20
	s_add_i32 s20, s19, s7
	v_mov_b32_e32 v52, s20
	s_add_i32 s20, s19, s9
	v_mov_b32_e32 v54, s20
	ds_read_b64 v[50:51], v50
	ds_read_b64 v[52:53], v52
	ds_read_b64 v[54:55], v54
	s_add_i32 s20, s19, s10
	v_mov_b32_e32 v56, s20
	s_add_i32 s20, s19, s11
	ds_read_b64 v[56:57], v56
	s_waitcnt lgkmcnt(0)
	v_fma_f64 v[40:41], -v[6:7], v[50:51], v[40:41]
	v_mov_b32_e32 v50, s20
	s_add_i32 s20, s19, s12
	v_fma_f64 v[40:41], -v[8:9], v[52:53], v[40:41]
	v_mov_b32_e32 v52, s20
	s_add_i32 s20, s19, s13
	;; [unrolled: 3-line block ×3, first 2 shown]
	v_mov_b32_e32 v58, s20
	ds_read_b64 v[50:51], v50
	ds_read_b64 v[52:53], v52
	;; [unrolled: 1-line block ×4, first 2 shown]
	v_fma_f64 v[40:41], -v[12:13], v[56:57], v[40:41]
	s_add_i32 s20, s19, s15
	s_waitcnt lgkmcnt(0)
	v_fma_f64 v[40:41], -v[16:17], v[50:51], v[40:41]
	v_mov_b32_e32 v50, s20
	s_add_i32 s20, s19, s16
	v_fma_f64 v[40:41], -v[18:19], v[52:53], v[40:41]
	v_mov_b32_e32 v52, s20
	s_add_i32 s20, s19, s17
	s_add_i32 s19, s19, s18
	v_fma_f64 v[40:41], -v[20:21], v[54:55], v[40:41]
	v_mov_b32_e32 v54, s20
	v_mov_b32_e32 v56, s19
	s_add_i32 s19, s1, 0xfffff520
	v_fma_f64 v[40:41], -v[24:25], v[58:59], v[40:41]
	ds_read_b64 v[50:51], v50
	ds_read_b64 v[52:53], v52
	;; [unrolled: 1-line block ×4, first 2 shown]
	v_mov_b32_e32 v58, s19
	ds_read_b64 v[58:59], v58
	s_waitcnt lgkmcnt(0)
	v_fma_f64 v[40:41], -v[26:27], v[50:51], v[40:41]
	v_fma_f64 v[40:41], -v[30:31], v[52:53], v[40:41]
	;; [unrolled: 1-line block ×3, first 2 shown]
	v_lshl_add_u64 v[50:51], s[2:3], 3, v[48:49]
	s_add_i32 s2, s0, -13
	v_fma_f64 v[40:41], -v[36:37], v[56:57], v[40:41]
	s_lshl_b32 s20, s2, 3
	v_mul_f64 v[40:41], v[58:59], v[40:41]
	s_add_i32 s19, s20, s6
	flat_store_dwordx2 v[50:51], v[40:41]
	v_mov_b32_e32 v50, s19
	s_add_i32 s19, s20, s7
	v_mov_b32_e32 v52, s19
	s_add_i32 s19, s20, s9
	v_mov_b32_e32 v54, s19
	ds_read_b64 v[50:51], v50
	ds_read_b64 v[52:53], v52
	;; [unrolled: 1-line block ×3, first 2 shown]
	s_add_i32 s19, s20, s10
	v_mov_b32_e32 v56, s19
	s_add_i32 s19, s20, s11
	ds_read_b64 v[56:57], v56
	s_waitcnt lgkmcnt(0)
	v_fma_f64 v[42:43], -v[6:7], v[50:51], v[42:43]
	v_mov_b32_e32 v50, s19
	s_add_i32 s19, s20, s12
	v_fma_f64 v[42:43], -v[8:9], v[52:53], v[42:43]
	v_mov_b32_e32 v52, s19
	s_add_i32 s19, s20, s13
	;; [unrolled: 3-line block ×3, first 2 shown]
	v_mov_b32_e32 v58, s19
	ds_read_b64 v[50:51], v50
	ds_read_b64 v[52:53], v52
	;; [unrolled: 1-line block ×4, first 2 shown]
	v_fma_f64 v[42:43], -v[12:13], v[56:57], v[42:43]
	s_add_i32 s19, s20, s15
	s_waitcnt lgkmcnt(0)
	v_fma_f64 v[42:43], -v[16:17], v[50:51], v[42:43]
	v_mov_b32_e32 v50, s19
	ds_read_b64 v[50:51], v50
	s_add_i32 s19, s20, s16
	v_fma_f64 v[42:43], -v[18:19], v[52:53], v[42:43]
	v_mov_b32_e32 v52, s19
	s_add_i32 s19, s20, s17
	v_fma_f64 v[42:43], -v[20:21], v[54:55], v[42:43]
	v_mov_b32_e32 v54, s19
	s_add_i32 s19, s20, s18
	v_mov_b32_e32 v56, s19
	s_add_i32 s19, s6, 0xfffff580
	v_fma_f64 v[42:43], -v[24:25], v[58:59], v[42:43]
	s_add_i32 s20, s20, s19
	ds_read_b64 v[52:53], v52
	ds_read_b64 v[54:55], v54
	;; [unrolled: 1-line block ×3, first 2 shown]
	s_waitcnt lgkmcnt(0)
	v_fma_f64 v[42:43], -v[26:27], v[50:51], v[42:43]
	v_mov_b32_e32 v50, s20
	s_add_i32 s20, s1, 0xfffff438
	v_mov_b32_e32 v58, s20
	ds_read_b64 v[50:51], v50
	ds_read_b64 v[58:59], v58
	v_fma_f64 v[42:43], -v[30:31], v[52:53], v[42:43]
	v_fma_f64 v[42:43], -v[32:33], v[54:55], v[42:43]
	;; [unrolled: 1-line block ×3, first 2 shown]
	s_waitcnt lgkmcnt(0)
	v_fma_f64 v[42:43], -v[40:41], v[50:51], v[42:43]
	v_lshl_add_u64 v[50:51], s[2:3], 3, v[48:49]
	s_add_i32 s2, s0, -14
	s_lshl_b32 s21, s2, 3
	v_mul_f64 v[42:43], v[58:59], v[42:43]
	s_add_i32 s20, s21, s6
	flat_store_dwordx2 v[50:51], v[42:43]
	v_mov_b32_e32 v50, s20
	s_add_i32 s20, s21, s7
	v_mov_b32_e32 v52, s20
	s_add_i32 s20, s21, s9
	v_mov_b32_e32 v54, s20
	ds_read_b64 v[50:51], v50
	ds_read_b64 v[52:53], v52
	;; [unrolled: 1-line block ×3, first 2 shown]
	s_add_i32 s20, s21, s10
	v_mov_b32_e32 v56, s20
	s_add_i32 s20, s21, s11
	ds_read_b64 v[56:57], v56
	s_waitcnt lgkmcnt(0)
	v_fma_f64 v[46:47], -v[6:7], v[50:51], v[46:47]
	v_mov_b32_e32 v50, s20
	s_add_i32 s20, s21, s12
	v_fma_f64 v[46:47], -v[8:9], v[52:53], v[46:47]
	v_mov_b32_e32 v52, s20
	s_add_i32 s20, s21, s13
	;; [unrolled: 3-line block ×3, first 2 shown]
	v_mov_b32_e32 v58, s20
	ds_read_b64 v[50:51], v50
	ds_read_b64 v[52:53], v52
	;; [unrolled: 1-line block ×4, first 2 shown]
	v_fma_f64 v[46:47], -v[12:13], v[56:57], v[46:47]
	s_add_i32 s20, s21, s15
	s_waitcnt lgkmcnt(0)
	v_fma_f64 v[46:47], -v[16:17], v[50:51], v[46:47]
	v_mov_b32_e32 v50, s20
	s_add_i32 s20, s21, s16
	v_fma_f64 v[46:47], -v[18:19], v[52:53], v[46:47]
	v_mov_b32_e32 v52, s20
	ds_read_b64 v[50:51], v50
	ds_read_b64 v[52:53], v52
	s_add_i32 s20, s21, s17
	v_fma_f64 v[46:47], -v[20:21], v[54:55], v[46:47]
	v_mov_b32_e32 v54, s20
	s_add_i32 s20, s21, s18
	v_fma_f64 v[46:47], -v[24:25], v[58:59], v[46:47]
	v_mov_b32_e32 v56, s20
	s_add_i32 s20, s21, s19
	s_waitcnt lgkmcnt(0)
	v_fma_f64 v[46:47], -v[26:27], v[50:51], v[46:47]
	v_mov_b32_e32 v50, s20
	s_add_i32 s20, s6, 0xfffff4a0
	ds_read_b64 v[54:55], v54
	ds_read_b64 v[56:57], v56
	s_add_i32 s21, s21, s20
	v_fma_f64 v[46:47], -v[30:31], v[52:53], v[46:47]
	v_mov_b32_e32 v52, s21
	s_add_i32 s21, s1, 0xfffff350
	v_mov_b32_e32 v58, s21
	ds_read_b64 v[50:51], v50
	ds_read_b64 v[52:53], v52
	;; [unrolled: 1-line block ×3, first 2 shown]
	s_waitcnt lgkmcnt(0)
	v_fma_f64 v[46:47], -v[32:33], v[54:55], v[46:47]
	v_fma_f64 v[46:47], -v[36:37], v[56:57], v[46:47]
	;; [unrolled: 1-line block ×3, first 2 shown]
	v_lshl_add_u64 v[50:51], s[2:3], 3, v[48:49]
	s_add_i32 s2, s0, -15
	v_fma_f64 v[46:47], -v[42:43], v[52:53], v[46:47]
	s_lshl_b32 s23, s2, 3
	v_mul_f64 v[46:47], v[58:59], v[46:47]
	s_add_i32 s21, s23, s6
	flat_store_dwordx2 v[50:51], v[46:47]
	v_mov_b32_e32 v50, s21
	s_add_i32 s21, s23, s7
	v_mov_b32_e32 v52, s21
	s_add_i32 s21, s23, s9
	v_mov_b32_e32 v54, s21
	ds_read_b64 v[50:51], v50
	ds_read_b64 v[52:53], v52
	;; [unrolled: 1-line block ×3, first 2 shown]
	s_add_i32 s21, s23, s10
	v_mov_b32_e32 v56, s21
	s_add_i32 s21, s23, s11
	ds_read_b64 v[56:57], v56
	s_waitcnt lgkmcnt(0)
	v_fma_f64 v[44:45], -v[6:7], v[50:51], v[44:45]
	v_mov_b32_e32 v50, s21
	s_add_i32 s21, s23, s12
	v_fma_f64 v[44:45], -v[8:9], v[52:53], v[44:45]
	v_mov_b32_e32 v52, s21
	s_add_i32 s21, s23, s13
	;; [unrolled: 3-line block ×3, first 2 shown]
	v_mov_b32_e32 v58, s21
	ds_read_b64 v[50:51], v50
	ds_read_b64 v[52:53], v52
	;; [unrolled: 1-line block ×4, first 2 shown]
	v_fma_f64 v[44:45], -v[12:13], v[56:57], v[44:45]
	s_add_i32 s21, s23, s15
	s_waitcnt lgkmcnt(0)
	v_fma_f64 v[44:45], -v[16:17], v[50:51], v[44:45]
	v_mov_b32_e32 v50, s21
	s_add_i32 s21, s23, s16
	v_fma_f64 v[44:45], -v[18:19], v[52:53], v[44:45]
	v_mov_b32_e32 v52, s21
	s_add_i32 s21, s23, s17
	v_fma_f64 v[44:45], -v[20:21], v[54:55], v[44:45]
	v_mov_b32_e32 v54, s21
	ds_read_b64 v[50:51], v50
	ds_read_b64 v[52:53], v52
	;; [unrolled: 1-line block ×3, first 2 shown]
	s_add_i32 s21, s23, s18
	v_fma_f64 v[44:45], -v[24:25], v[58:59], v[44:45]
	v_mov_b32_e32 v56, s21
	s_add_i32 s21, s23, s19
	s_waitcnt lgkmcnt(0)
	v_fma_f64 v[44:45], -v[26:27], v[50:51], v[44:45]
	v_mov_b32_e32 v50, s21
	s_add_i32 s21, s23, s20
	ds_read_b64 v[56:57], v56
	v_fma_f64 v[44:45], -v[30:31], v[52:53], v[44:45]
	v_mov_b32_e32 v52, s21
	s_add_i32 s21, s6, 0xfffff3c0
	s_add_i32 s23, s23, s21
	v_fma_f64 v[44:45], -v[32:33], v[54:55], v[44:45]
	v_mov_b32_e32 v54, s23
	s_add_i32 s23, s1, 0xfffff268
	v_mov_b32_e32 v58, s23
	ds_read_b64 v[50:51], v50
	ds_read_b64 v[52:53], v52
	;; [unrolled: 1-line block ×4, first 2 shown]
	s_waitcnt lgkmcnt(0)
	v_fma_f64 v[44:45], -v[36:37], v[56:57], v[44:45]
	v_fma_f64 v[44:45], -v[40:41], v[50:51], v[44:45]
	;; [unrolled: 1-line block ×3, first 2 shown]
	v_lshl_add_u64 v[50:51], s[2:3], 3, v[48:49]
	s_add_i32 s2, s0, -16
	v_fma_f64 v[44:45], -v[46:47], v[54:55], v[44:45]
	s_lshl_b32 s24, s2, 3
	v_mul_f64 v[44:45], v[58:59], v[44:45]
	s_add_i32 s23, s24, s6
	flat_store_dwordx2 v[50:51], v[44:45]
	v_mov_b32_e32 v50, s23
	s_add_i32 s23, s24, s7
	v_mov_b32_e32 v52, s23
	s_add_i32 s23, s24, s9
	;; [unrolled: 2-line block ×3, first 2 shown]
	v_mov_b32_e32 v56, s23
	ds_read_b64 v[50:51], v50
	ds_read_b64 v[52:53], v52
	;; [unrolled: 1-line block ×4, first 2 shown]
	s_add_i32 s23, s24, s11
	s_waitcnt lgkmcnt(0)
	v_fma_f64 v[38:39], -v[6:7], v[50:51], v[38:39]
	v_mov_b32_e32 v50, s23
	s_add_i32 s23, s24, s12
	v_fma_f64 v[38:39], -v[8:9], v[52:53], v[38:39]
	v_mov_b32_e32 v52, s23
	s_add_i32 s23, s24, s13
	v_fma_f64 v[38:39], -v[10:11], v[54:55], v[38:39]
	v_mov_b32_e32 v54, s23
	ds_read_b64 v[50:51], v50
	ds_read_b64 v[52:53], v52
	;; [unrolled: 1-line block ×3, first 2 shown]
	s_add_i32 s23, s24, s14
	v_fma_f64 v[38:39], -v[12:13], v[56:57], v[38:39]
	v_mov_b32_e32 v56, s23
	s_add_i32 s23, s24, s15
	ds_read_b64 v[56:57], v56
	s_waitcnt lgkmcnt(0)
	v_fma_f64 v[38:39], -v[16:17], v[50:51], v[38:39]
	v_mov_b32_e32 v50, s23
	s_add_i32 s23, s24, s16
	v_fma_f64 v[38:39], -v[18:19], v[52:53], v[38:39]
	v_mov_b32_e32 v52, s23
	s_add_i32 s23, s24, s17
	;; [unrolled: 3-line block ×3, first 2 shown]
	v_mov_b32_e32 v58, s23
	ds_read_b64 v[50:51], v50
	ds_read_b64 v[52:53], v52
	;; [unrolled: 1-line block ×4, first 2 shown]
	v_fma_f64 v[38:39], -v[24:25], v[56:57], v[38:39]
	s_add_i32 s23, s24, s19
	s_waitcnt lgkmcnt(0)
	v_fma_f64 v[38:39], -v[26:27], v[50:51], v[38:39]
	v_mov_b32_e32 v50, s23
	s_add_i32 s23, s24, s20
	v_fma_f64 v[38:39], -v[30:31], v[52:53], v[38:39]
	v_mov_b32_e32 v52, s23
	s_add_i32 s23, s24, s21
	;; [unrolled: 3-line block ×3, first 2 shown]
	s_add_i32 s24, s24, s23
	v_mov_b32_e32 v56, s24
	s_add_i32 s24, s1, 0xfffff180
	v_fma_f64 v[38:39], -v[36:37], v[58:59], v[38:39]
	ds_read_b64 v[50:51], v50
	ds_read_b64 v[52:53], v52
	;; [unrolled: 1-line block ×4, first 2 shown]
	v_mov_b32_e32 v58, s24
	ds_read_b64 v[58:59], v58
	s_waitcnt lgkmcnt(0)
	v_fma_f64 v[38:39], -v[40:41], v[50:51], v[38:39]
	v_fma_f64 v[38:39], -v[42:43], v[52:53], v[38:39]
	;; [unrolled: 1-line block ×3, first 2 shown]
	v_lshl_add_u64 v[50:51], s[2:3], 3, v[48:49]
	s_sub_i32 s2, s0, 17
	v_fma_f64 v[38:39], -v[44:45], v[56:57], v[38:39]
	s_lshl_b32 s25, s2, 3
	v_mul_f64 v[38:39], v[58:59], v[38:39]
	s_add_i32 s24, s25, s6
	flat_store_dwordx2 v[50:51], v[38:39]
	v_mov_b32_e32 v50, s24
	s_add_i32 s24, s25, s7
	v_mov_b32_e32 v52, s24
	s_add_i32 s24, s25, s9
	;; [unrolled: 2-line block ×3, first 2 shown]
	v_mov_b32_e32 v56, s24
	ds_read_b64 v[50:51], v50
	ds_read_b64 v[52:53], v52
	;; [unrolled: 1-line block ×4, first 2 shown]
	s_add_i32 s24, s25, s11
	s_waitcnt lgkmcnt(0)
	v_fma_f64 v[34:35], -v[6:7], v[50:51], v[34:35]
	v_mov_b32_e32 v50, s24
	s_add_i32 s24, s25, s12
	v_fma_f64 v[34:35], -v[8:9], v[52:53], v[34:35]
	v_mov_b32_e32 v52, s24
	s_add_i32 s24, s25, s13
	v_fma_f64 v[34:35], -v[10:11], v[54:55], v[34:35]
	v_mov_b32_e32 v54, s24
	ds_read_b64 v[50:51], v50
	ds_read_b64 v[52:53], v52
	;; [unrolled: 1-line block ×3, first 2 shown]
	s_add_i32 s24, s25, s14
	v_fma_f64 v[34:35], -v[12:13], v[56:57], v[34:35]
	v_mov_b32_e32 v56, s24
	s_add_i32 s24, s25, s15
	ds_read_b64 v[56:57], v56
	s_waitcnt lgkmcnt(0)
	v_fma_f64 v[34:35], -v[16:17], v[50:51], v[34:35]
	v_mov_b32_e32 v50, s24
	s_add_i32 s24, s25, s16
	v_fma_f64 v[34:35], -v[18:19], v[52:53], v[34:35]
	v_mov_b32_e32 v52, s24
	s_add_i32 s24, s25, s17
	v_fma_f64 v[34:35], -v[20:21], v[54:55], v[34:35]
	v_mov_b32_e32 v54, s24
	s_add_i32 s24, s25, s18
	v_mov_b32_e32 v58, s24
	ds_read_b64 v[50:51], v50
	ds_read_b64 v[52:53], v52
	;; [unrolled: 1-line block ×4, first 2 shown]
	v_fma_f64 v[34:35], -v[24:25], v[56:57], v[34:35]
	s_add_i32 s24, s25, s19
	s_waitcnt lgkmcnt(0)
	v_fma_f64 v[34:35], -v[26:27], v[50:51], v[34:35]
	v_mov_b32_e32 v50, s24
	ds_read_b64 v[50:51], v50
	s_add_i32 s24, s25, s20
	v_fma_f64 v[34:35], -v[30:31], v[52:53], v[34:35]
	v_mov_b32_e32 v52, s24
	s_add_i32 s24, s25, s21
	v_fma_f64 v[34:35], -v[32:33], v[54:55], v[34:35]
	v_mov_b32_e32 v54, s24
	s_add_i32 s24, s25, s23
	v_mov_b32_e32 v56, s24
	s_add_i32 s24, s6, 0xfffff200
	v_fma_f64 v[34:35], -v[36:37], v[58:59], v[34:35]
	s_add_i32 s25, s25, s24
	ds_read_b64 v[52:53], v52
	ds_read_b64 v[54:55], v54
	ds_read_b64 v[56:57], v56
	s_waitcnt lgkmcnt(0)
	v_fma_f64 v[34:35], -v[40:41], v[50:51], v[34:35]
	v_mov_b32_e32 v50, s25
	s_add_i32 s25, s1, 0xfffff098
	v_mov_b32_e32 v58, s25
	ds_read_b64 v[50:51], v50
	ds_read_b64 v[58:59], v58
	v_fma_f64 v[34:35], -v[42:43], v[52:53], v[34:35]
	v_fma_f64 v[34:35], -v[46:47], v[54:55], v[34:35]
	;; [unrolled: 1-line block ×3, first 2 shown]
	s_waitcnt lgkmcnt(0)
	v_fma_f64 v[34:35], -v[38:39], v[50:51], v[34:35]
	v_lshl_add_u64 v[50:51], s[2:3], 3, v[48:49]
	s_sub_i32 s2, s0, 18
	s_lshl_b32 s26, s2, 3
	v_mul_f64 v[34:35], v[58:59], v[34:35]
	s_add_i32 s25, s26, s6
	flat_store_dwordx2 v[50:51], v[34:35]
	v_mov_b32_e32 v50, s25
	s_add_i32 s25, s26, s7
	v_mov_b32_e32 v52, s25
	s_add_i32 s25, s26, s9
	;; [unrolled: 2-line block ×3, first 2 shown]
	v_mov_b32_e32 v56, s25
	ds_read_b64 v[50:51], v50
	ds_read_b64 v[52:53], v52
	;; [unrolled: 1-line block ×4, first 2 shown]
	s_add_i32 s25, s26, s11
	s_waitcnt lgkmcnt(0)
	v_fma_f64 v[28:29], -v[6:7], v[50:51], v[28:29]
	v_mov_b32_e32 v50, s25
	s_add_i32 s25, s26, s12
	v_fma_f64 v[28:29], -v[8:9], v[52:53], v[28:29]
	v_mov_b32_e32 v52, s25
	s_add_i32 s25, s26, s13
	v_fma_f64 v[28:29], -v[10:11], v[54:55], v[28:29]
	v_mov_b32_e32 v54, s25
	ds_read_b64 v[50:51], v50
	ds_read_b64 v[52:53], v52
	;; [unrolled: 1-line block ×3, first 2 shown]
	s_add_i32 s25, s26, s14
	v_fma_f64 v[28:29], -v[12:13], v[56:57], v[28:29]
	v_mov_b32_e32 v56, s25
	s_add_i32 s25, s26, s15
	ds_read_b64 v[56:57], v56
	s_waitcnt lgkmcnt(0)
	v_fma_f64 v[28:29], -v[16:17], v[50:51], v[28:29]
	v_mov_b32_e32 v50, s25
	s_add_i32 s25, s26, s16
	v_fma_f64 v[28:29], -v[18:19], v[52:53], v[28:29]
	v_mov_b32_e32 v52, s25
	s_add_i32 s25, s26, s17
	v_fma_f64 v[28:29], -v[20:21], v[54:55], v[28:29]
	v_mov_b32_e32 v54, s25
	s_add_i32 s25, s26, s18
	v_mov_b32_e32 v58, s25
	ds_read_b64 v[50:51], v50
	ds_read_b64 v[52:53], v52
	;; [unrolled: 1-line block ×4, first 2 shown]
	v_fma_f64 v[28:29], -v[24:25], v[56:57], v[28:29]
	s_add_i32 s25, s26, s19
	s_waitcnt lgkmcnt(0)
	v_fma_f64 v[28:29], -v[26:27], v[50:51], v[28:29]
	v_mov_b32_e32 v50, s25
	s_add_i32 s25, s26, s20
	v_fma_f64 v[28:29], -v[30:31], v[52:53], v[28:29]
	v_mov_b32_e32 v52, s25
	ds_read_b64 v[50:51], v50
	ds_read_b64 v[52:53], v52
	s_add_i32 s25, s26, s21
	v_fma_f64 v[28:29], -v[32:33], v[54:55], v[28:29]
	v_mov_b32_e32 v54, s25
	s_add_i32 s25, s26, s23
	v_fma_f64 v[28:29], -v[36:37], v[58:59], v[28:29]
	v_mov_b32_e32 v56, s25
	s_add_i32 s25, s26, s24
	s_waitcnt lgkmcnt(0)
	v_fma_f64 v[28:29], -v[40:41], v[50:51], v[28:29]
	v_mov_b32_e32 v50, s25
	s_add_i32 s25, s6, 0xfffff120
	ds_read_b64 v[54:55], v54
	ds_read_b64 v[56:57], v56
	s_add_i32 s26, s26, s25
	v_fma_f64 v[28:29], -v[42:43], v[52:53], v[28:29]
	v_mov_b32_e32 v52, s26
	s_add_i32 s26, s1, 0xffffefb0
	v_mov_b32_e32 v58, s26
	ds_read_b64 v[50:51], v50
	ds_read_b64 v[52:53], v52
	;; [unrolled: 1-line block ×3, first 2 shown]
	s_waitcnt lgkmcnt(0)
	v_fma_f64 v[28:29], -v[46:47], v[54:55], v[28:29]
	v_fma_f64 v[28:29], -v[44:45], v[56:57], v[28:29]
	;; [unrolled: 1-line block ×3, first 2 shown]
	v_lshl_add_u64 v[50:51], s[2:3], 3, v[48:49]
	s_sub_i32 s2, s0, 19
	v_fma_f64 v[28:29], -v[34:35], v[52:53], v[28:29]
	s_lshl_b32 s27, s2, 3
	v_mul_f64 v[28:29], v[58:59], v[28:29]
	s_add_i32 s26, s27, s6
	flat_store_dwordx2 v[50:51], v[28:29]
	v_mov_b32_e32 v50, s26
	s_add_i32 s26, s27, s7
	v_mov_b32_e32 v52, s26
	s_add_i32 s26, s27, s9
	;; [unrolled: 2-line block ×3, first 2 shown]
	v_mov_b32_e32 v56, s26
	ds_read_b64 v[50:51], v50
	ds_read_b64 v[52:53], v52
	ds_read_b64 v[54:55], v54
	ds_read_b64 v[56:57], v56
	s_add_i32 s26, s27, s11
	s_waitcnt lgkmcnt(0)
	v_fma_f64 v[22:23], -v[6:7], v[50:51], v[22:23]
	v_mov_b32_e32 v50, s26
	s_add_i32 s26, s27, s12
	v_fma_f64 v[22:23], -v[8:9], v[52:53], v[22:23]
	v_mov_b32_e32 v52, s26
	s_add_i32 s26, s27, s13
	v_fma_f64 v[22:23], -v[10:11], v[54:55], v[22:23]
	v_mov_b32_e32 v54, s26
	ds_read_b64 v[50:51], v50
	ds_read_b64 v[52:53], v52
	;; [unrolled: 1-line block ×3, first 2 shown]
	s_add_i32 s26, s27, s14
	v_fma_f64 v[22:23], -v[12:13], v[56:57], v[22:23]
	v_mov_b32_e32 v56, s26
	s_add_i32 s26, s27, s15
	ds_read_b64 v[56:57], v56
	s_waitcnt lgkmcnt(0)
	v_fma_f64 v[22:23], -v[16:17], v[50:51], v[22:23]
	v_mov_b32_e32 v50, s26
	s_add_i32 s26, s27, s16
	v_fma_f64 v[22:23], -v[18:19], v[52:53], v[22:23]
	v_mov_b32_e32 v52, s26
	s_add_i32 s26, s27, s17
	;; [unrolled: 3-line block ×3, first 2 shown]
	v_mov_b32_e32 v58, s26
	ds_read_b64 v[50:51], v50
	ds_read_b64 v[52:53], v52
	;; [unrolled: 1-line block ×4, first 2 shown]
	v_fma_f64 v[22:23], -v[24:25], v[56:57], v[22:23]
	s_add_i32 s26, s27, s19
	s_waitcnt lgkmcnt(0)
	v_fma_f64 v[22:23], -v[26:27], v[50:51], v[22:23]
	v_mov_b32_e32 v50, s26
	s_add_i32 s26, s27, s20
	v_fma_f64 v[22:23], -v[30:31], v[52:53], v[22:23]
	v_mov_b32_e32 v52, s26
	s_add_i32 s26, s27, s21
	v_fma_f64 v[22:23], -v[32:33], v[54:55], v[22:23]
	v_mov_b32_e32 v54, s26
	ds_read_b64 v[50:51], v50
	ds_read_b64 v[52:53], v52
	;; [unrolled: 1-line block ×3, first 2 shown]
	s_add_i32 s26, s27, s23
	v_fma_f64 v[22:23], -v[36:37], v[58:59], v[22:23]
	v_mov_b32_e32 v56, s26
	s_add_i32 s26, s27, s24
	s_waitcnt lgkmcnt(0)
	v_fma_f64 v[22:23], -v[40:41], v[50:51], v[22:23]
	v_mov_b32_e32 v50, s26
	s_add_i32 s26, s27, s25
	ds_read_b64 v[56:57], v56
	v_fma_f64 v[22:23], -v[42:43], v[52:53], v[22:23]
	v_mov_b32_e32 v52, s26
	s_add_i32 s26, s6, 0xfffff040
	s_add_i32 s27, s27, s26
	v_fma_f64 v[22:23], -v[46:47], v[54:55], v[22:23]
	v_mov_b32_e32 v54, s27
	s_add_i32 s27, s1, 0xffffeec8
	v_mov_b32_e32 v58, s27
	ds_read_b64 v[50:51], v50
	ds_read_b64 v[52:53], v52
	;; [unrolled: 1-line block ×4, first 2 shown]
	s_waitcnt lgkmcnt(0)
	v_fma_f64 v[22:23], -v[44:45], v[56:57], v[22:23]
	v_fma_f64 v[22:23], -v[38:39], v[50:51], v[22:23]
	;; [unrolled: 1-line block ×3, first 2 shown]
	v_lshl_add_u64 v[50:51], s[2:3], 3, v[48:49]
	s_sub_i32 s2, s0, 20
	v_fma_f64 v[22:23], -v[28:29], v[54:55], v[22:23]
	s_lshl_b32 s28, s2, 3
	v_mul_f64 v[22:23], v[58:59], v[22:23]
	s_add_i32 s27, s28, s6
	flat_store_dwordx2 v[50:51], v[22:23]
	v_mov_b32_e32 v50, s27
	s_add_i32 s27, s28, s7
	v_mov_b32_e32 v52, s27
	s_add_i32 s27, s28, s9
	v_mov_b32_e32 v54, s27
	ds_read_b64 v[50:51], v50
	ds_read_b64 v[52:53], v52
	;; [unrolled: 1-line block ×3, first 2 shown]
	s_add_i32 s27, s28, s10
	v_mov_b32_e32 v56, s27
	s_add_i32 s27, s28, s11
	ds_read_b64 v[56:57], v56
	s_waitcnt lgkmcnt(0)
	v_fma_f64 v[14:15], -v[6:7], v[50:51], v[14:15]
	v_mov_b32_e32 v50, s27
	s_add_i32 s27, s28, s12
	v_fma_f64 v[14:15], -v[8:9], v[52:53], v[14:15]
	v_mov_b32_e32 v52, s27
	s_add_i32 s27, s28, s13
	;; [unrolled: 3-line block ×3, first 2 shown]
	v_mov_b32_e32 v58, s27
	ds_read_b64 v[50:51], v50
	ds_read_b64 v[52:53], v52
	;; [unrolled: 1-line block ×4, first 2 shown]
	v_fma_f64 v[14:15], -v[12:13], v[56:57], v[14:15]
	s_add_i32 s27, s28, s15
	s_waitcnt lgkmcnt(0)
	v_fma_f64 v[14:15], -v[16:17], v[50:51], v[14:15]
	v_mov_b32_e32 v50, s27
	s_add_i32 s27, s28, s16
	v_fma_f64 v[14:15], -v[18:19], v[52:53], v[14:15]
	v_mov_b32_e32 v52, s27
	s_add_i32 s27, s28, s17
	v_fma_f64 v[14:15], -v[20:21], v[54:55], v[14:15]
	v_mov_b32_e32 v54, s27
	ds_read_b64 v[50:51], v50
	ds_read_b64 v[52:53], v52
	;; [unrolled: 1-line block ×3, first 2 shown]
	s_add_i32 s27, s28, s18
	v_fma_f64 v[14:15], -v[24:25], v[58:59], v[14:15]
	v_mov_b32_e32 v56, s27
	s_add_i32 s27, s28, s19
	ds_read_b64 v[56:57], v56
	s_waitcnt lgkmcnt(0)
	v_fma_f64 v[14:15], -v[26:27], v[50:51], v[14:15]
	v_mov_b32_e32 v50, s27
	s_add_i32 s27, s28, s20
	v_fma_f64 v[14:15], -v[30:31], v[52:53], v[14:15]
	v_mov_b32_e32 v52, s27
	s_add_i32 s27, s28, s21
	;; [unrolled: 3-line block ×3, first 2 shown]
	v_mov_b32_e32 v58, s27
	ds_read_b64 v[50:51], v50
	ds_read_b64 v[52:53], v52
	;; [unrolled: 1-line block ×4, first 2 shown]
	v_fma_f64 v[14:15], -v[36:37], v[56:57], v[14:15]
	s_add_i32 s27, s28, s24
	s_waitcnt lgkmcnt(0)
	v_fma_f64 v[14:15], -v[40:41], v[50:51], v[14:15]
	v_mov_b32_e32 v50, s27
	s_add_i32 s27, s28, s25
	v_fma_f64 v[14:15], -v[42:43], v[52:53], v[14:15]
	v_mov_b32_e32 v52, s27
	s_add_i32 s27, s28, s26
	v_fma_f64 v[14:15], -v[46:47], v[54:55], v[14:15]
	v_mov_b32_e32 v54, s27
	s_add_i32 s27, s6, 0xffffef60
	s_add_i32 s28, s28, s27
	v_mov_b32_e32 v56, s28
	s_add_i32 s28, s1, 0xffffede0
	v_fma_f64 v[14:15], -v[44:45], v[58:59], v[14:15]
	ds_read_b64 v[50:51], v50
	ds_read_b64 v[52:53], v52
	;; [unrolled: 1-line block ×4, first 2 shown]
	v_mov_b32_e32 v58, s28
	ds_read_b64 v[58:59], v58
	s_waitcnt lgkmcnt(0)
	v_fma_f64 v[14:15], -v[38:39], v[50:51], v[14:15]
	v_fma_f64 v[14:15], -v[34:35], v[52:53], v[14:15]
	;; [unrolled: 1-line block ×3, first 2 shown]
	v_lshl_add_u64 v[50:51], s[2:3], 3, v[48:49]
	s_sub_i32 s2, s0, 21
	v_fma_f64 v[14:15], -v[22:23], v[56:57], v[14:15]
	s_lshl_b32 s29, s2, 3
	v_mul_f64 v[14:15], v[58:59], v[14:15]
	s_add_i32 s28, s29, s6
	flat_store_dwordx2 v[50:51], v[14:15]
	v_mov_b32_e32 v50, s28
	s_add_i32 s28, s29, s7
	v_mov_b32_e32 v52, s28
	s_add_i32 s28, s29, s9
	v_mov_b32_e32 v54, s28
	ds_read_b64 v[50:51], v50
	ds_read_b64 v[52:53], v52
	;; [unrolled: 1-line block ×3, first 2 shown]
	s_add_i32 s28, s29, s10
	v_mov_b32_e32 v56, s28
	s_add_i32 s28, s29, s11
	ds_read_b64 v[56:57], v56
	s_waitcnt lgkmcnt(0)
	v_fma_f64 v[4:5], -v[6:7], v[50:51], v[4:5]
	v_mov_b32_e32 v50, s28
	s_add_i32 s28, s29, s12
	v_fma_f64 v[4:5], -v[8:9], v[52:53], v[4:5]
	v_mov_b32_e32 v52, s28
	s_add_i32 s28, s29, s13
	;; [unrolled: 3-line block ×3, first 2 shown]
	v_mov_b32_e32 v58, s28
	ds_read_b64 v[50:51], v50
	ds_read_b64 v[52:53], v52
	;; [unrolled: 1-line block ×4, first 2 shown]
	v_fma_f64 v[4:5], -v[12:13], v[56:57], v[4:5]
	s_add_i32 s28, s29, s15
	s_waitcnt lgkmcnt(0)
	v_fma_f64 v[4:5], -v[16:17], v[50:51], v[4:5]
	v_mov_b32_e32 v50, s28
	s_add_i32 s28, s29, s16
	v_fma_f64 v[4:5], -v[18:19], v[52:53], v[4:5]
	v_mov_b32_e32 v52, s28
	s_add_i32 s28, s29, s17
	v_fma_f64 v[4:5], -v[20:21], v[54:55], v[4:5]
	v_mov_b32_e32 v54, s28
	ds_read_b64 v[50:51], v50
	ds_read_b64 v[52:53], v52
	;; [unrolled: 1-line block ×3, first 2 shown]
	s_add_i32 s28, s29, s18
	v_fma_f64 v[4:5], -v[24:25], v[58:59], v[4:5]
	v_mov_b32_e32 v56, s28
	s_add_i32 s28, s29, s19
	ds_read_b64 v[56:57], v56
	s_waitcnt lgkmcnt(0)
	v_fma_f64 v[4:5], -v[26:27], v[50:51], v[4:5]
	v_mov_b32_e32 v50, s28
	s_add_i32 s28, s29, s20
	v_fma_f64 v[4:5], -v[30:31], v[52:53], v[4:5]
	v_mov_b32_e32 v52, s28
	s_add_i32 s28, s29, s21
	;; [unrolled: 3-line block ×3, first 2 shown]
	v_mov_b32_e32 v58, s28
	ds_read_b64 v[50:51], v50
	ds_read_b64 v[52:53], v52
	;; [unrolled: 1-line block ×4, first 2 shown]
	v_fma_f64 v[4:5], -v[36:37], v[56:57], v[4:5]
	s_add_i32 s28, s29, s24
	s_waitcnt lgkmcnt(0)
	v_fma_f64 v[4:5], -v[40:41], v[50:51], v[4:5]
	v_mov_b32_e32 v50, s28
	ds_read_b64 v[50:51], v50
	s_add_i32 s28, s29, s25
	v_fma_f64 v[4:5], -v[42:43], v[52:53], v[4:5]
	v_mov_b32_e32 v52, s28
	s_add_i32 s28, s29, s26
	v_fma_f64 v[4:5], -v[46:47], v[54:55], v[4:5]
	v_mov_b32_e32 v54, s28
	s_add_i32 s28, s29, s27
	v_mov_b32_e32 v56, s28
	s_add_i32 s28, s6, 0xffffee80
	v_fma_f64 v[4:5], -v[44:45], v[58:59], v[4:5]
	s_add_i32 s29, s29, s28
	ds_read_b64 v[52:53], v52
	ds_read_b64 v[54:55], v54
	;; [unrolled: 1-line block ×3, first 2 shown]
	s_waitcnt lgkmcnt(0)
	v_fma_f64 v[4:5], -v[38:39], v[50:51], v[4:5]
	v_mov_b32_e32 v50, s29
	s_add_i32 s29, s1, 0xffffecf8
	v_mov_b32_e32 v58, s29
	ds_read_b64 v[50:51], v50
	ds_read_b64 v[58:59], v58
	v_fma_f64 v[4:5], -v[34:35], v[52:53], v[4:5]
	v_fma_f64 v[4:5], -v[28:29], v[54:55], v[4:5]
	;; [unrolled: 1-line block ×3, first 2 shown]
	s_waitcnt lgkmcnt(0)
	v_fma_f64 v[4:5], -v[14:15], v[50:51], v[4:5]
	v_lshl_add_u64 v[50:51], s[2:3], 3, v[48:49]
	s_sub_i32 s2, s0, 22
	s_lshl_b32 s29, s2, 3
	v_mul_f64 v[4:5], v[58:59], v[4:5]
	s_add_i32 s30, s29, s6
	flat_store_dwordx2 v[50:51], v[4:5]
	v_mov_b32_e32 v50, s30
	s_add_i32 s30, s29, s7
	v_mov_b32_e32 v52, s30
	s_add_i32 s30, s29, s9
	v_mov_b32_e32 v54, s30
	ds_read_b64 v[50:51], v50
	ds_read_b64 v[52:53], v52
	;; [unrolled: 1-line block ×3, first 2 shown]
	s_add_i32 s30, s29, s10
	v_mov_b32_e32 v56, s30
	s_add_i32 s30, s29, s11
	ds_read_b64 v[56:57], v56
	s_waitcnt lgkmcnt(0)
	v_fma_f64 v[2:3], -v[6:7], v[50:51], v[2:3]
	v_mov_b32_e32 v50, s30
	s_add_i32 s30, s29, s12
	v_fma_f64 v[2:3], -v[8:9], v[52:53], v[2:3]
	v_mov_b32_e32 v52, s30
	s_add_i32 s30, s29, s13
	;; [unrolled: 3-line block ×3, first 2 shown]
	v_mov_b32_e32 v58, s30
	ds_read_b64 v[50:51], v50
	ds_read_b64 v[52:53], v52
	;; [unrolled: 1-line block ×4, first 2 shown]
	v_fma_f64 v[2:3], -v[12:13], v[56:57], v[2:3]
	s_add_i32 s30, s29, s15
	s_waitcnt lgkmcnt(0)
	v_fma_f64 v[2:3], -v[16:17], v[50:51], v[2:3]
	v_mov_b32_e32 v50, s30
	s_add_i32 s30, s29, s16
	v_fma_f64 v[2:3], -v[18:19], v[52:53], v[2:3]
	v_mov_b32_e32 v52, s30
	s_add_i32 s30, s29, s17
	v_fma_f64 v[2:3], -v[20:21], v[54:55], v[2:3]
	v_mov_b32_e32 v54, s30
	ds_read_b64 v[50:51], v50
	ds_read_b64 v[52:53], v52
	;; [unrolled: 1-line block ×3, first 2 shown]
	s_add_i32 s30, s29, s18
	v_fma_f64 v[2:3], -v[24:25], v[58:59], v[2:3]
	v_mov_b32_e32 v56, s30
	s_add_i32 s30, s29, s19
	ds_read_b64 v[56:57], v56
	s_waitcnt lgkmcnt(0)
	v_fma_f64 v[2:3], -v[26:27], v[50:51], v[2:3]
	v_mov_b32_e32 v50, s30
	s_add_i32 s30, s29, s20
	v_fma_f64 v[2:3], -v[30:31], v[52:53], v[2:3]
	v_mov_b32_e32 v52, s30
	s_add_i32 s30, s29, s21
	;; [unrolled: 3-line block ×3, first 2 shown]
	v_mov_b32_e32 v58, s30
	ds_read_b64 v[50:51], v50
	ds_read_b64 v[52:53], v52
	;; [unrolled: 1-line block ×4, first 2 shown]
	v_fma_f64 v[2:3], -v[36:37], v[56:57], v[2:3]
	s_add_i32 s30, s29, s24
	s_waitcnt lgkmcnt(0)
	v_fma_f64 v[2:3], -v[40:41], v[50:51], v[2:3]
	v_mov_b32_e32 v50, s30
	s_add_i32 s30, s29, s25
	v_fma_f64 v[2:3], -v[42:43], v[52:53], v[2:3]
	v_mov_b32_e32 v52, s30
	ds_read_b64 v[50:51], v50
	ds_read_b64 v[52:53], v52
	s_add_i32 s30, s29, s26
	v_fma_f64 v[2:3], -v[46:47], v[54:55], v[2:3]
	v_mov_b32_e32 v54, s30
	s_add_i32 s30, s29, s27
	v_fma_f64 v[2:3], -v[44:45], v[58:59], v[2:3]
	v_mov_b32_e32 v56, s30
	s_add_i32 s30, s29, s28
	s_waitcnt lgkmcnt(0)
	v_fma_f64 v[2:3], -v[38:39], v[50:51], v[2:3]
	v_mov_b32_e32 v50, s30
	s_add_i32 s30, s6, 0xffffeda0
	ds_read_b64 v[54:55], v54
	ds_read_b64 v[56:57], v56
	s_add_i32 s29, s29, s30
	v_fma_f64 v[2:3], -v[34:35], v[52:53], v[2:3]
	v_mov_b32_e32 v52, s29
	s_add_i32 s29, s1, 0xffffec10
	v_mov_b32_e32 v58, s29
	ds_read_b64 v[50:51], v50
	ds_read_b64 v[52:53], v52
	;; [unrolled: 1-line block ×3, first 2 shown]
	s_waitcnt lgkmcnt(0)
	v_fma_f64 v[2:3], -v[28:29], v[54:55], v[2:3]
	v_fma_f64 v[2:3], -v[22:23], v[56:57], v[2:3]
	v_fma_f64 v[2:3], -v[14:15], v[50:51], v[2:3]
	v_lshl_add_u64 v[50:51], s[2:3], 3, v[48:49]
	s_sub_i32 s2, s0, 23
	v_fma_f64 v[2:3], -v[4:5], v[52:53], v[2:3]
	s_lshl_b32 s29, s2, 3
	v_mul_f64 v[2:3], v[58:59], v[2:3]
	s_add_i32 s6, s29, s6
	flat_store_dwordx2 v[50:51], v[2:3]
	v_mov_b32_e32 v50, s6
	s_add_i32 s6, s29, s7
	v_mov_b32_e32 v52, s6
	s_add_i32 s6, s29, s9
	v_mov_b32_e32 v54, s6
	ds_read_b64 v[50:51], v50
	ds_read_b64 v[52:53], v52
	ds_read_b64 v[54:55], v54
	s_add_i32 s6, s29, s10
	v_mov_b32_e32 v56, s6
	s_add_i32 s6, s29, s11
	ds_read_b64 v[56:57], v56
	s_waitcnt lgkmcnt(0)
	v_fma_f64 v[0:1], -v[6:7], v[50:51], v[0:1]
	v_mov_b32_e32 v6, s6
	s_add_i32 s6, s29, s12
	v_fma_f64 v[0:1], -v[8:9], v[52:53], v[0:1]
	v_mov_b32_e32 v8, s6
	s_add_i32 s6, s29, s13
	;; [unrolled: 3-line block ×3, first 2 shown]
	v_mov_b32_e32 v50, s6
	ds_read_b64 v[6:7], v6
	ds_read_b64 v[8:9], v8
	;; [unrolled: 1-line block ×4, first 2 shown]
	v_fma_f64 v[0:1], -v[12:13], v[56:57], v[0:1]
	s_add_i32 s6, s29, s15
	s_waitcnt lgkmcnt(0)
	v_fma_f64 v[0:1], -v[16:17], v[6:7], v[0:1]
	v_mov_b32_e32 v6, s6
	s_add_i32 s6, s29, s16
	v_fma_f64 v[0:1], -v[18:19], v[8:9], v[0:1]
	v_mov_b32_e32 v8, s6
	s_add_i32 s6, s29, s17
	v_fma_f64 v[0:1], -v[20:21], v[10:11], v[0:1]
	v_mov_b32_e32 v10, s6
	ds_read_b64 v[6:7], v6
	ds_read_b64 v[8:9], v8
	;; [unrolled: 1-line block ×3, first 2 shown]
	s_add_i32 s6, s29, s18
	v_fma_f64 v[0:1], -v[24:25], v[50:51], v[0:1]
	v_mov_b32_e32 v12, s6
	s_add_i32 s6, s29, s19
	ds_read_b64 v[12:13], v12
	s_waitcnt lgkmcnt(0)
	v_fma_f64 v[0:1], -v[26:27], v[6:7], v[0:1]
	v_mov_b32_e32 v6, s6
	s_add_i32 s6, s29, s20
	v_fma_f64 v[0:1], -v[30:31], v[8:9], v[0:1]
	v_mov_b32_e32 v8, s6
	s_add_i32 s6, s29, s21
	;; [unrolled: 3-line block ×3, first 2 shown]
	v_mov_b32_e32 v16, s6
	ds_read_b64 v[6:7], v6
	ds_read_b64 v[8:9], v8
	;; [unrolled: 1-line block ×4, first 2 shown]
	v_fma_f64 v[0:1], -v[36:37], v[12:13], v[0:1]
	s_add_i32 s6, s29, s24
	s_waitcnt lgkmcnt(0)
	v_fma_f64 v[0:1], -v[40:41], v[6:7], v[0:1]
	v_mov_b32_e32 v6, s6
	s_add_i32 s6, s29, s25
	v_fma_f64 v[0:1], -v[42:43], v[8:9], v[0:1]
	v_mov_b32_e32 v8, s6
	s_add_i32 s6, s29, s26
	v_fma_f64 v[0:1], -v[46:47], v[10:11], v[0:1]
	v_mov_b32_e32 v10, s6
	ds_read_b64 v[6:7], v6
	ds_read_b64 v[8:9], v8
	;; [unrolled: 1-line block ×3, first 2 shown]
	s_add_i32 s6, s29, s27
	v_mov_b32_e32 v12, s6
	v_fma_f64 v[0:1], -v[44:45], v[16:17], v[0:1]
	ds_read_b64 v[12:13], v12
	s_add_i32 s6, s29, s28
	s_waitcnt lgkmcnt(0)
	v_fma_f64 v[0:1], -v[38:39], v[6:7], v[0:1]
	v_mov_b32_e32 v6, s6
	s_add_i32 s6, s29, s30
	v_fma_f64 v[0:1], -v[34:35], v[8:9], v[0:1]
	v_mov_b32_e32 v8, s6
	s_addk_i32 s6, 0xff20
	s_addk_i32 s1, 0xeb28
	v_fma_f64 v[0:1], -v[28:29], v[10:11], v[0:1]
	v_mov_b32_e32 v10, s6
	v_mov_b32_e32 v16, s1
	ds_read_b64 v[6:7], v6
	ds_read_b64 v[8:9], v8
	;; [unrolled: 1-line block ×4, first 2 shown]
	v_fma_f64 v[0:1], -v[22:23], v[12:13], v[0:1]
	s_waitcnt lgkmcnt(0)
	v_fma_f64 v[0:1], -v[14:15], v[6:7], v[0:1]
	v_fma_f64 v[0:1], -v[4:5], v[8:9], v[0:1]
	v_fma_f64 v[0:1], -v[2:3], v[10:11], v[0:1]
	v_mul_f64 v[0:1], v[16:17], v[0:1]
	v_lshl_add_u64 v[2:3], s[2:3], 3, v[48:49]
	s_sub_i32 s0, s0, 24
	flat_store_dwordx2 v[2:3], v[0:1]
.LBB98_34:
	s_cmp_lt_i32 s0, 0
	s_cbranch_scc1 .LBB98_51
; %bb.35:
	s_and_b32 s1, s0, 3
	s_cmp_eq_u32 s1, 3
	s_mul_i32 s1, s22, 0xe0
	s_mov_b32 s2, s0
	s_cbranch_scc1 .LBB98_40
; %bb.36:
	s_add_i32 s2, s0, 1
	s_and_b32 s9, s2, 3
	s_lshl_b32 s2, s0, 3
	s_add_i32 s2, s1, s2
	s_add_i32 s10, s2, 0xffffff20
	s_mov_b32 s7, 0
	s_mov_b32 s2, s0
	;; [unrolled: 1-line block ×3, first 2 shown]
	s_branch .LBB98_38
.LBB98_37:                              ;   in Loop: Header=BB98_38 Depth=1
	s_mul_i32 s3, s2, 0xe8
	v_mov_b32_e32 v4, s3
	ds_read_b64 v[4:5], v4
	s_add_i32 s2, s2, -1
	s_add_i32 s11, s11, 1
	s_add_i32 s10, s10, -8
	s_cmp_lg_u32 s11, s9
	s_waitcnt lgkmcnt(0)
	v_mul_f64 v[2:3], v[4:5], v[2:3]
	flat_store_dwordx2 v[0:1], v[2:3]
	s_cbranch_scc0 .LBB98_40
.LBB98_38:                              ; =>This Loop Header: Depth=1
                                        ;     Child Loop BB98_39 Depth 2
	s_mov_b32 s3, s7
	v_lshl_add_u64 v[0:1], s[2:3], 3, v[48:49]
	flat_load_dwordx2 v[2:3], v[0:1]
	s_cmp_le_i32 s8, s2
	s_mov_b32 s3, s10
	s_mov_b32 s6, s8
	s_waitcnt vmcnt(0) lgkmcnt(0)
	v_mul_f64 v[2:3], s[4:5], v[2:3]
	s_cbranch_scc1 .LBB98_37
.LBB98_39:                              ;   Parent Loop BB98_38 Depth=1
                                        ; =>  This Inner Loop Header: Depth=2
	v_lshl_add_u64 v[4:5], s[6:7], 3, v[48:49]
	flat_load_dwordx2 v[4:5], v[4:5]
	v_mov_b32_e32 v6, s3
	ds_read_b64 v[6:7], v6
	s_add_i32 s6, s6, -1
	s_addk_i32 s3, 0xff20
	s_cmp_gt_i32 s6, s2
	s_waitcnt vmcnt(0) lgkmcnt(0)
	v_fma_f64 v[2:3], -v[4:5], v[6:7], v[2:3]
	s_cbranch_scc1 .LBB98_39
	s_branch .LBB98_37
.LBB98_40:
	s_cmp_lt_u32 s0, 3
	s_cbranch_scc1 .LBB98_51
; %bb.41:
	s_lshl_b32 s0, s2, 3
	s_add_i32 s0, s1, s0
	s_add_i32 s9, s0, 0xffffff20
	s_add_i32 s10, s0, 0xffffff18
	s_add_i32 s11, s0, 0xffffff10
	s_add_i32 s12, s0, 0xffffff08
	s_mov_b32 s1, 0
	s_branch .LBB98_43
.LBB98_42:                              ;   in Loop: Header=BB98_43 Depth=1
	s_add_i32 s0, s3, 0xffffff18
	v_mov_b32_e32 v4, s0
	ds_read_b64 v[4:5], v4
	s_add_i32 s0, s2, -4
	s_sub_i32 s9, s9, 32
	s_sub_i32 s10, s10, 32
	;; [unrolled: 1-line block ×4, first 2 shown]
	s_waitcnt lgkmcnt(0)
	v_mul_f64 v[2:3], v[4:5], v[2:3]
	s_cmp_lt_i32 s2, 4
	s_mov_b32 s2, s0
	flat_store_dwordx2 v[0:1], v[2:3]
	s_cbranch_scc1 .LBB98_51
.LBB98_43:                              ; =>This Loop Header: Depth=1
                                        ;     Child Loop BB98_44 Depth 2
                                        ;     Child Loop BB98_46 Depth 2
	;; [unrolled: 1-line block ×4, first 2 shown]
	s_mov_b32 s3, s1
	v_lshl_add_u64 v[2:3], s[2:3], 3, v[48:49]
	flat_load_dwordx2 v[0:1], v[2:3]
	s_cmp_le_i32 s8, s2
	s_mov_b32 s3, s9
	s_mov_b32 s0, s8
	s_waitcnt vmcnt(0) lgkmcnt(0)
	v_mul_f64 v[4:5], s[4:5], v[0:1]
	s_cbranch_scc1 .LBB98_45
.LBB98_44:                              ;   Parent Loop BB98_43 Depth=1
                                        ; =>  This Inner Loop Header: Depth=2
	v_lshl_add_u64 v[0:1], s[0:1], 3, v[48:49]
	flat_load_dwordx2 v[0:1], v[0:1]
	v_mov_b32_e32 v6, s3
	ds_read_b64 v[6:7], v6
	s_add_i32 s0, s0, -1
	s_addk_i32 s3, 0xff20
	s_cmp_gt_i32 s0, s2
	s_waitcnt vmcnt(0) lgkmcnt(0)
	v_fma_f64 v[4:5], -v[0:1], v[6:7], v[4:5]
	s_cbranch_scc1 .LBB98_44
.LBB98_45:                              ;   in Loop: Header=BB98_43 Depth=1
	s_add_i32 s0, s2, -1
	v_lshl_add_u64 v[0:1], s[0:1], 3, v[48:49]
	flat_load_dwordx2 v[6:7], v[0:1]
	s_mul_i32 s3, s2, 0xe8
	v_mov_b32_e32 v8, s3
	ds_read_b64 v[8:9], v8
	s_mov_b32 s6, s10
	s_cmp_le_i32 s22, s2
	s_mov_b32 s0, s22
	s_waitcnt lgkmcnt(0)
	v_mul_f64 v[4:5], v[8:9], v[4:5]
	flat_store_dwordx2 v[2:3], v[4:5]
	s_waitcnt vmcnt(0)
	v_mul_f64 v[4:5], s[4:5], v[6:7]
	s_cbranch_scc1 .LBB98_47
.LBB98_46:                              ;   Parent Loop BB98_43 Depth=1
                                        ; =>  This Inner Loop Header: Depth=2
	s_add_i32 s0, s0, -1
	v_lshl_add_u64 v[2:3], s[0:1], 3, v[48:49]
	flat_load_dwordx2 v[2:3], v[2:3]
	v_mov_b32_e32 v6, s6
	ds_read_b64 v[6:7], v6
	s_addk_i32 s6, 0xff20
	s_cmp_gt_i32 s0, s2
	s_waitcnt vmcnt(0) lgkmcnt(0)
	v_fma_f64 v[4:5], -v[2:3], v[6:7], v[4:5]
	s_cbranch_scc1 .LBB98_46
.LBB98_47:                              ;   in Loop: Header=BB98_43 Depth=1
	s_add_i32 s6, s2, -2
	s_mov_b32 s7, s1
	v_lshl_add_u64 v[2:3], s[6:7], 3, v[48:49]
	flat_load_dwordx2 v[6:7], v[2:3]
	s_addk_i32 s3, 0xff18
	v_mov_b32_e32 v8, s3
	ds_read_b64 v[8:9], v8
	s_mov_b32 s7, s11
	s_cmp_le_i32 s8, s6
	s_mov_b32 s0, s8
	s_waitcnt lgkmcnt(0)
	v_mul_f64 v[4:5], v[8:9], v[4:5]
	flat_store_dwordx2 v[0:1], v[4:5]
	s_waitcnt vmcnt(0)
	v_mul_f64 v[4:5], s[4:5], v[6:7]
	s_cbranch_scc1 .LBB98_49
.LBB98_48:                              ;   Parent Loop BB98_43 Depth=1
                                        ; =>  This Inner Loop Header: Depth=2
	v_lshl_add_u64 v[0:1], s[0:1], 3, v[48:49]
	flat_load_dwordx2 v[0:1], v[0:1]
	v_mov_b32_e32 v6, s7
	ds_read_b64 v[6:7], v6
	s_add_i32 s0, s0, -1
	s_addk_i32 s7, 0xff20
	s_cmp_gt_i32 s0, s6
	s_waitcnt vmcnt(0) lgkmcnt(0)
	v_fma_f64 v[4:5], -v[0:1], v[6:7], v[4:5]
	s_cbranch_scc1 .LBB98_48
.LBB98_49:                              ;   in Loop: Header=BB98_43 Depth=1
	s_add_i32 s6, s2, -3
	s_mov_b32 s7, s1
	v_lshl_add_u64 v[0:1], s[6:7], 3, v[48:49]
	flat_load_dwordx2 v[6:7], v[0:1]
	s_addk_i32 s3, 0xff18
	v_mov_b32_e32 v8, s3
	ds_read_b64 v[8:9], v8
	s_mov_b32 s7, s12
	s_cmp_le_i32 s8, s6
	s_mov_b32 s0, s8
	s_waitcnt lgkmcnt(0)
	v_mul_f64 v[4:5], v[8:9], v[4:5]
	flat_store_dwordx2 v[2:3], v[4:5]
	s_waitcnt vmcnt(0)
	v_mul_f64 v[2:3], s[4:5], v[6:7]
	s_cbranch_scc1 .LBB98_42
.LBB98_50:                              ;   Parent Loop BB98_43 Depth=1
                                        ; =>  This Inner Loop Header: Depth=2
	v_lshl_add_u64 v[4:5], s[0:1], 3, v[48:49]
	flat_load_dwordx2 v[4:5], v[4:5]
	v_mov_b32_e32 v6, s7
	ds_read_b64 v[6:7], v6
	s_add_i32 s0, s0, -1
	s_addk_i32 s7, 0xff20
	s_cmp_gt_i32 s0, s6
	s_waitcnt vmcnt(0) lgkmcnt(0)
	v_fma_f64 v[2:3], -v[4:5], v[6:7], v[2:3]
	s_cbranch_scc1 .LBB98_50
	s_branch .LBB98_42
.LBB98_51:
	s_endpgm
	.section	.rodata,"a",@progbits
	.p2align	6, 0x0
	.amdhsa_kernel _ZL30rocblas_trsm_small_left_deviceILi28ELi28ELb0EddPKPKdPKPdEv13rocblas_fill_18rocblas_operation_17rocblas_diagonal_iiT3_T4_lilT5_lili
		.amdhsa_group_segment_fixed_size 6272
		.amdhsa_private_segment_fixed_size 0
		.amdhsa_kernarg_size 360
		.amdhsa_user_sgpr_count 2
		.amdhsa_user_sgpr_dispatch_ptr 0
		.amdhsa_user_sgpr_queue_ptr 0
		.amdhsa_user_sgpr_kernarg_segment_ptr 1
		.amdhsa_user_sgpr_dispatch_id 0
		.amdhsa_user_sgpr_kernarg_preload_length 0
		.amdhsa_user_sgpr_kernarg_preload_offset 0
		.amdhsa_user_sgpr_private_segment_size 0
		.amdhsa_uses_dynamic_stack 0
		.amdhsa_enable_private_segment 0
		.amdhsa_system_sgpr_workgroup_id_x 1
		.amdhsa_system_sgpr_workgroup_id_y 0
		.amdhsa_system_sgpr_workgroup_id_z 1
		.amdhsa_system_sgpr_workgroup_info 0
		.amdhsa_system_vgpr_workitem_id 0
		.amdhsa_next_free_vgpr 86
		.amdhsa_next_free_sgpr 75
		.amdhsa_accum_offset 88
		.amdhsa_reserve_vcc 1
		.amdhsa_float_round_mode_32 0
		.amdhsa_float_round_mode_16_64 0
		.amdhsa_float_denorm_mode_32 3
		.amdhsa_float_denorm_mode_16_64 3
		.amdhsa_dx10_clamp 1
		.amdhsa_ieee_mode 1
		.amdhsa_fp16_overflow 0
		.amdhsa_tg_split 0
		.amdhsa_exception_fp_ieee_invalid_op 0
		.amdhsa_exception_fp_denorm_src 0
		.amdhsa_exception_fp_ieee_div_zero 0
		.amdhsa_exception_fp_ieee_overflow 0
		.amdhsa_exception_fp_ieee_underflow 0
		.amdhsa_exception_fp_ieee_inexact 0
		.amdhsa_exception_int_div_zero 0
	.end_amdhsa_kernel
	.section	.text._ZL30rocblas_trsm_small_left_deviceILi28ELi28ELb0EddPKPKdPKPdEv13rocblas_fill_18rocblas_operation_17rocblas_diagonal_iiT3_T4_lilT5_lili,"axG",@progbits,_ZL30rocblas_trsm_small_left_deviceILi28ELi28ELb0EddPKPKdPKPdEv13rocblas_fill_18rocblas_operation_17rocblas_diagonal_iiT3_T4_lilT5_lili,comdat
.Lfunc_end98:
	.size	_ZL30rocblas_trsm_small_left_deviceILi28ELi28ELb0EddPKPKdPKPdEv13rocblas_fill_18rocblas_operation_17rocblas_diagonal_iiT3_T4_lilT5_lili, .Lfunc_end98-_ZL30rocblas_trsm_small_left_deviceILi28ELi28ELb0EddPKPKdPKPdEv13rocblas_fill_18rocblas_operation_17rocblas_diagonal_iiT3_T4_lilT5_lili
                                        ; -- End function
	.set _ZL30rocblas_trsm_small_left_deviceILi28ELi28ELb0EddPKPKdPKPdEv13rocblas_fill_18rocblas_operation_17rocblas_diagonal_iiT3_T4_lilT5_lili.num_vgpr, 86
	.set _ZL30rocblas_trsm_small_left_deviceILi28ELi28ELb0EddPKPKdPKPdEv13rocblas_fill_18rocblas_operation_17rocblas_diagonal_iiT3_T4_lilT5_lili.num_agpr, 0
	.set _ZL30rocblas_trsm_small_left_deviceILi28ELi28ELb0EddPKPKdPKPdEv13rocblas_fill_18rocblas_operation_17rocblas_diagonal_iiT3_T4_lilT5_lili.numbered_sgpr, 31
	.set _ZL30rocblas_trsm_small_left_deviceILi28ELi28ELb0EddPKPKdPKPdEv13rocblas_fill_18rocblas_operation_17rocblas_diagonal_iiT3_T4_lilT5_lili.num_named_barrier, 0
	.set _ZL30rocblas_trsm_small_left_deviceILi28ELi28ELb0EddPKPKdPKPdEv13rocblas_fill_18rocblas_operation_17rocblas_diagonal_iiT3_T4_lilT5_lili.private_seg_size, 0
	.set _ZL30rocblas_trsm_small_left_deviceILi28ELi28ELb0EddPKPKdPKPdEv13rocblas_fill_18rocblas_operation_17rocblas_diagonal_iiT3_T4_lilT5_lili.uses_vcc, 1
	.set _ZL30rocblas_trsm_small_left_deviceILi28ELi28ELb0EddPKPKdPKPdEv13rocblas_fill_18rocblas_operation_17rocblas_diagonal_iiT3_T4_lilT5_lili.uses_flat_scratch, 0
	.set _ZL30rocblas_trsm_small_left_deviceILi28ELi28ELb0EddPKPKdPKPdEv13rocblas_fill_18rocblas_operation_17rocblas_diagonal_iiT3_T4_lilT5_lili.has_dyn_sized_stack, 0
	.set _ZL30rocblas_trsm_small_left_deviceILi28ELi28ELb0EddPKPKdPKPdEv13rocblas_fill_18rocblas_operation_17rocblas_diagonal_iiT3_T4_lilT5_lili.has_recursion, 0
	.set _ZL30rocblas_trsm_small_left_deviceILi28ELi28ELb0EddPKPKdPKPdEv13rocblas_fill_18rocblas_operation_17rocblas_diagonal_iiT3_T4_lilT5_lili.has_indirect_call, 0
	.section	.AMDGPU.csdata,"",@progbits
; Kernel info:
; codeLenInByte = 29352
; TotalNumSgprs: 37
; NumVgprs: 86
; NumAgprs: 0
; TotalNumVgprs: 86
; ScratchSize: 0
; MemoryBound: 1
; FloatMode: 240
; IeeeMode: 1
; LDSByteSize: 6272 bytes/workgroup (compile time only)
; SGPRBlocks: 10
; VGPRBlocks: 10
; NumSGPRsForWavesPerEU: 81
; NumVGPRsForWavesPerEU: 86
; AccumOffset: 88
; Occupancy: 5
; WaveLimiterHint : 1
; COMPUTE_PGM_RSRC2:SCRATCH_EN: 0
; COMPUTE_PGM_RSRC2:USER_SGPR: 2
; COMPUTE_PGM_RSRC2:TRAP_HANDLER: 0
; COMPUTE_PGM_RSRC2:TGID_X_EN: 1
; COMPUTE_PGM_RSRC2:TGID_Y_EN: 0
; COMPUTE_PGM_RSRC2:TGID_Z_EN: 1
; COMPUTE_PGM_RSRC2:TIDIG_COMP_CNT: 0
; COMPUTE_PGM_RSRC3_GFX90A:ACCUM_OFFSET: 21
; COMPUTE_PGM_RSRC3_GFX90A:TG_SPLIT: 0
	.section	.text._ZL38rocblas_trsm_small_left_device_sharedBILi28ELi28ELb1EddPKPKdPKPdEv13rocblas_fill_18rocblas_operation_17rocblas_diagonal_iiT3_T4_lilT5_lili,"axG",@progbits,_ZL38rocblas_trsm_small_left_device_sharedBILi28ELi28ELb1EddPKPKdPKPdEv13rocblas_fill_18rocblas_operation_17rocblas_diagonal_iiT3_T4_lilT5_lili,comdat
	.globl	_ZL38rocblas_trsm_small_left_device_sharedBILi28ELi28ELb1EddPKPKdPKPdEv13rocblas_fill_18rocblas_operation_17rocblas_diagonal_iiT3_T4_lilT5_lili ; -- Begin function _ZL38rocblas_trsm_small_left_device_sharedBILi28ELi28ELb1EddPKPKdPKPdEv13rocblas_fill_18rocblas_operation_17rocblas_diagonal_iiT3_T4_lilT5_lili
	.p2align	8
	.type	_ZL38rocblas_trsm_small_left_device_sharedBILi28ELi28ELb1EddPKPKdPKPdEv13rocblas_fill_18rocblas_operation_17rocblas_diagonal_iiT3_T4_lilT5_lili,@function
_ZL38rocblas_trsm_small_left_device_sharedBILi28ELi28ELb1EddPKPKdPKPdEv13rocblas_fill_18rocblas_operation_17rocblas_diagonal_iiT3_T4_lilT5_lili: ; @_ZL38rocblas_trsm_small_left_device_sharedBILi28ELi28ELb1EddPKPKdPKPdEv13rocblas_fill_18rocblas_operation_17rocblas_diagonal_iiT3_T4_lilT5_lili
; %bb.0:
	s_load_dwordx2 s[18:19], s[0:1], 0x28
	s_load_dwordx4 s[12:15], s[0:1], 0x40
	s_load_dwordx4 s[4:7], s[0:1], 0x4
	;; [unrolled: 1-line block ×3, first 2 shown]
	s_mov_b32 s16, s3
	s_mov_b32 s17, 0
	s_lshl_b64 s[20:21], s[16:17], 3
	s_waitcnt lgkmcnt(0)
	s_add_u32 s12, s12, s20
	s_addc_u32 s13, s13, s21
	s_load_dwordx2 s[12:13], s[12:13], 0x0
	s_min_i32 s22, s6, 28
	v_cmp_gt_i32_e32 vcc, s22, v0
	s_and_saveexec_b64 s[16:17], vcc
	s_cbranch_execz .LBB99_6
; %bb.1:
	s_load_dword s24, s[0:1], 0x30
	v_lshlrev_b32_e32 v2, 3, v0
	v_mov_b32_e32 v3, 0
	v_mov_b32_e32 v1, v2
	s_mov_b32 s3, s22
	s_waitcnt lgkmcnt(0)
	s_ashr_i32 s25, s24, 31
	s_add_u32 s10, s10, s20
	s_addc_u32 s11, s11, s21
	s_load_dwordx2 s[10:11], s[10:11], 0x0
	s_lshl_b64 s[18:19], s[18:19], 3
	s_waitcnt lgkmcnt(0)
	s_add_u32 s18, s10, s18
	s_addc_u32 s19, s11, s19
	s_lshl_b64 s[10:11], s[24:25], 3
	v_lshl_add_u64 v[4:5], s[18:19], 0, v[2:3]
.LBB99_2:                               ; =>This Inner Loop Header: Depth=1
	flat_load_dwordx2 v[6:7], v[4:5]
	s_add_i32 s3, s3, -1
	v_lshl_add_u64 v[4:5], v[4:5], 0, s[10:11]
	s_cmp_eq_u32 s3, 0
	s_waitcnt vmcnt(0) lgkmcnt(0)
	ds_write_b64 v1, v[6:7]
	v_add_u32_e32 v1, 0xe0, v1
	s_cbranch_scc0 .LBB99_2
; %bb.3:
	v_mul_u32_u24_e32 v1, 0xe0, v0
	s_cmpk_lg_i32 s5, 0x84
	v_mov_b64_e32 v[4:5], 1.0
	v_add_u32_e32 v1, v2, v1
	s_cbranch_scc0 .LBB99_5
; %bb.4:
	ds_read_b64 v[2:3], v1
	s_waitcnt lgkmcnt(0)
	v_div_scale_f64 v[4:5], s[10:11], v[2:3], v[2:3], 1.0
	v_rcp_f64_e32 v[6:7], v[4:5]
	v_div_scale_f64 v[8:9], vcc, 1.0, v[2:3], 1.0
	v_fma_f64 v[10:11], -v[4:5], v[6:7], 1.0
	v_fmac_f64_e32 v[6:7], v[6:7], v[10:11]
	v_fma_f64 v[10:11], -v[4:5], v[6:7], 1.0
	v_fmac_f64_e32 v[6:7], v[6:7], v[10:11]
	v_mul_f64 v[10:11], v[8:9], v[6:7]
	v_fma_f64 v[4:5], -v[4:5], v[10:11], v[8:9]
	v_div_fmas_f64 v[4:5], v[4:5], v[6:7], v[10:11]
	v_div_fixup_f64 v[4:5], v[4:5], v[2:3], 1.0
.LBB99_5:
	ds_write_b64 v1, v[4:5]
.LBB99_6:
	s_or_b64 exec, exec, s[16:17]
	s_load_dword s3, s[0:1], 0x68
	s_load_dword s16, s[0:1], 0x50
	s_lshl_b64 s[0:1], s[14:15], 3
	s_waitcnt lgkmcnt(0)
	s_add_u32 s5, s12, s0
	s_mul_i32 s0, s2, 0xffffffe4
	s_addc_u32 s10, s13, s1
	s_add_i32 s3, s3, -1
	s_add_i32 s0, s7, s0
	s_cmp_ge_u32 s2, s3
	s_mul_i32 s2, s2, 28
	s_cselect_b32 s7, s0, 28
	s_mul_hi_i32 s1, s16, s2
	s_mul_i32 s0, s16, s2
	s_lshl_b64 s[0:1], s[0:1], 3
	s_add_u32 s2, s5, s0
	s_addc_u32 s3, s10, s1
	s_cmp_gt_i32 s6, 0
	v_cmp_gt_i32_e64 s[0:1], s7, v0
	s_cselect_b64 s[10:11], -1, 0
	s_and_b64 s[14:15], s[0:1], s[10:11]
	s_and_saveexec_b64 s[12:13], s[14:15]
	s_cbranch_execz .LBB99_9
; %bb.7:
	v_mad_i64_i32 v[2:3], s[14:15], s16, v0, 0
	v_mov_b32_e32 v1, 0x1880
	v_lshl_add_u64 v[2:3], v[2:3], 3, s[2:3]
	v_lshl_add_u32 v1, v0, 3, v1
	s_mov_b32 s5, s22
.LBB99_8:                               ; =>This Inner Loop Header: Depth=1
	flat_load_dwordx2 v[4:5], v[2:3]
	s_add_i32 s5, s5, -1
	v_lshl_add_u64 v[2:3], v[2:3], 0, 8
	s_cmp_lg_u32 s5, 0
	s_waitcnt vmcnt(0) lgkmcnt(0)
	v_mul_f64 v[4:5], s[8:9], v[4:5]
	ds_write_b64 v1, v[4:5]
	v_add_u32_e32 v1, 0xe0, v1
	s_cbranch_scc1 .LBB99_8
.LBB99_9:
	s_or_b64 exec, exec, s[12:13]
	v_mov_b32_e32 v1, 0x1880
	s_cmpk_eq_i32 s4, 0x6f
	v_lshl_add_u32 v1, v0, 3, v1
	s_mov_b64 s[4:5], -1
	s_waitcnt lgkmcnt(0)
	; wave barrier
	s_cbranch_scc1 .LBB99_32
; %bb.10:
	s_add_i32 s4, s22, -1
	s_cmp_gt_i32 s6, 27
	s_mov_b32 s5, s4
	s_cbranch_scc0 .LBB99_12
; %bb.11:
	s_movk_i32 s9, 0x1400
	v_add_u32_e32 v80, 0x1000, v1
	v_add_u32_e32 v86, 0xc00, v1
	;; [unrolled: 1-line block ×3, first 2 shown]
	v_add_u32_e64 v2, s9, 0
	ds_read2_b64 v[44:47], v80 offset0:216 offset1:244
	ds_read2_b64 v[48:51], v80 offset0:160 offset1:188
	;; [unrolled: 1-line block ×14, first 2 shown]
	v_mov_b32_e32 v58, 0
	ds_read_b128 v[68:71], v58 offset:6032
	ds_read2_b64 v[2:5], v1 offset1:28
	s_movk_i32 s7, 0x1000
	s_waitcnt lgkmcnt(3)
	v_mul_f64 v[42:43], v[66:67], v[46:47]
	v_mov_b32_e32 v46, 0x16a8
	s_waitcnt lgkmcnt(1)
	v_fma_f64 v[44:45], -v[42:43], v[70:71], v[44:45]
	v_mul_f64 v[44:45], v[68:69], v[44:45]
	ds_read_b128 v[66:69], v58 offset:5584
	ds_read2_b64 v[72:75], v46 offset1:1
	ds_read_b128 v[76:79], v58 offset:5568
	v_fma_f64 v[46:47], -v[42:43], v[64:65], v[50:51]
	v_add_u32_e64 v50, s7, 0
	s_waitcnt lgkmcnt(2)
	v_fma_f64 v[48:49], -v[42:43], v[68:69], v[48:49]
	v_fma_f64 v[48:49], -v[44:45], v[66:67], v[48:49]
	ds_read2_b64 v[64:67], v50 offset0:103 offset1:159
	v_mov_b32_e32 v50, 0x14e8
	s_waitcnt lgkmcnt(2)
	v_fma_f64 v[46:47], -v[44:45], v[74:75], v[46:47]
	ds_read2_b64 v[68:71], v50 offset1:1
	v_mul_f64 v[46:47], v[72:73], v[46:47]
	s_waitcnt lgkmcnt(2)
	v_fma_f64 v[48:49], -v[46:47], v[78:79], v[48:49]
	s_waitcnt lgkmcnt(1)
	v_fma_f64 v[50:51], -v[42:43], v[66:67], v[54:55]
	v_mov_b32_e32 v54, 0x14d8
	v_mul_f64 v[48:49], v[76:77], v[48:49]
	ds_read2_b64 v[54:57], v54 offset1:1
	ds_write2_b64 v80, v[44:45], v[42:43] offset0:216 offset1:244
	ds_write2_b64 v80, v[48:49], v[46:47] offset0:160 offset1:188
	s_waitcnt lgkmcnt(3)
	v_fma_f64 v[50:51], -v[44:45], v[70:71], v[50:51]
	ds_read_b128 v[70:73], v58 offset:5120
	ds_read_b128 v[74:77], v58 offset:5136
	v_fma_f64 v[50:51], -v[46:47], v[68:69], v[50:51]
	s_waitcnt lgkmcnt(4)
	v_fma_f64 v[50:51], -v[48:49], v[56:57], v[50:51]
	v_mul_f64 v[50:51], v[54:55], v[50:51]
	ds_read_b128 v[54:57], v58 offset:5104
	s_waitcnt lgkmcnt(1)
	v_fma_f64 v[52:53], -v[42:43], v[76:77], v[52:53]
	v_fma_f64 v[52:53], -v[44:45], v[74:75], v[52:53]
	;; [unrolled: 1-line block ×5, first 2 shown]
	v_mov_b32_e32 v62, 0x1318
	ds_read2_b64 v[62:65], v62 offset1:1
	s_waitcnt lgkmcnt(1)
	v_fma_f64 v[52:53], -v[50:51], v[56:57], v[52:53]
	v_mul_f64 v[52:53], v[54:55], v[52:53]
	v_mov_b32_e32 v54, 0x1328
	ds_read2_b64 v[54:57], v54 offset1:1
	ds_read_b128 v[74:77], v58 offset:4656
	ds_read_b128 v[66:69], v58 offset:4688
	s_movk_i32 s8, 0xc00
	ds_write2_b64 v80, v[52:53], v[50:51] offset0:104 offset1:132
	s_waitcnt lgkmcnt(3)
	v_fma_f64 v[56:57], -v[44:45], v[56:57], v[70:71]
	v_fma_f64 v[70:71], -v[46:47], v[54:55], v[56:57]
	v_mov_b32_e32 v54, 0x1308
	ds_read2_b64 v[54:57], v54 offset1:1
	v_fma_f64 v[64:65], -v[48:49], v[64:65], v[70:71]
	v_fma_f64 v[70:71], -v[50:51], v[62:63], v[64:65]
	v_mov_b32_e32 v62, 0x1168
	ds_read2_b64 v[62:65], v62 offset1:1
	s_waitcnt lgkmcnt(1)
	v_fma_f64 v[56:57], -v[52:53], v[56:57], v[70:71]
	ds_read_b128 v[70:73], v58 offset:4672
	v_mul_f64 v[54:55], v[54:55], v[56:57]
	v_fma_f64 v[56:57], -v[42:43], v[68:69], v[60:61]
	v_fma_f64 v[56:57], -v[44:45], v[66:67], v[56:57]
	ds_read_b128 v[66:69], v58 offset:4640
	s_waitcnt lgkmcnt(1)
	v_fma_f64 v[56:57], -v[46:47], v[72:73], v[56:57]
	v_fma_f64 v[56:57], -v[48:49], v[70:71], v[56:57]
	;; [unrolled: 1-line block ×3, first 2 shown]
	v_add_u32_e64 v60, s8, 0
	v_fma_f64 v[56:57], -v[52:53], v[74:75], v[56:57]
	ds_read2_b64 v[70:73], v60 offset0:119 offset1:175
	ds_read_b128 v[74:77], v58 offset:4240
	s_waitcnt lgkmcnt(2)
	v_fma_f64 v[56:57], -v[54:55], v[68:69], v[56:57]
	v_mov_b32_e32 v60, 0x1158
	v_mul_f64 v[56:57], v[66:67], v[56:57]
	ds_read2_b64 v[66:69], v60 offset1:1
	s_waitcnt lgkmcnt(2)
	v_fma_f64 v[40:41], -v[42:43], v[72:73], v[40:41]
	v_fma_f64 v[40:41], -v[44:45], v[64:65], v[40:41]
	v_mov_b32_e32 v60, 0x1148
	v_fma_f64 v[40:41], -v[46:47], v[62:63], v[40:41]
	ds_read2_b64 v[60:63], v60 offset1:1
	s_waitcnt lgkmcnt(1)
	v_fma_f64 v[40:41], -v[48:49], v[68:69], v[40:41]
	v_mov_b32_e32 v64, 0x1138
	v_fma_f64 v[40:41], -v[50:51], v[66:67], v[40:41]
	ds_read2_b64 v[64:67], v64 offset1:1
	s_waitcnt lgkmcnt(1)
	v_fma_f64 v[40:41], -v[52:53], v[62:63], v[40:41]
	v_fma_f64 v[40:41], -v[54:55], v[60:61], v[40:41]
	ds_write2_b64 v80, v[56:57], v[54:55] offset0:48 offset1:76
	v_mov_b32_e32 v60, 0xfa8
	s_waitcnt lgkmcnt(1)
	v_fma_f64 v[40:41], -v[56:57], v[66:67], v[40:41]
	ds_read2_b64 v[60:63], v60 offset1:1
	v_mul_f64 v[40:41], v[64:65], v[40:41]
	ds_read_b128 v[64:67], v58 offset:4208
	ds_read_b128 v[78:81], v58 offset:4224
	v_fma_f64 v[38:39], -v[42:43], v[76:77], v[38:39]
	v_fma_f64 v[38:39], -v[44:45], v[74:75], v[38:39]
	ds_read_b128 v[72:75], v58 offset:4176
	ds_read_b128 v[82:85], v58 offset:4192
	v_fma_f64 v[36:37], -v[42:43], v[70:71], v[36:37]
	s_waitcnt lgkmcnt(2)
	v_fma_f64 v[38:39], -v[46:47], v[80:81], v[38:39]
	v_fma_f64 v[38:39], -v[48:49], v[78:79], v[38:39]
	;; [unrolled: 1-line block ×4, first 2 shown]
	v_mov_b32_e32 v64, 0xf98
	ds_read2_b64 v[64:67], v64 offset1:1
	v_fma_f64 v[36:37], -v[44:45], v[62:63], v[36:37]
	v_fma_f64 v[36:37], -v[46:47], v[60:61], v[36:37]
	v_mov_b32_e32 v60, 0xf88
	ds_read2_b64 v[60:63], v60 offset1:1
	s_waitcnt lgkmcnt(1)
	v_fma_f64 v[36:37], -v[48:49], v[66:67], v[36:37]
	v_fma_f64 v[36:37], -v[50:51], v[64:65], v[36:37]
	v_mov_b32_e32 v64, 0xf78
	ds_read2_b64 v[64:67], v64 offset1:1
	s_waitcnt lgkmcnt(1)
	v_fma_f64 v[36:37], -v[52:53], v[62:63], v[36:37]
	v_mov_b32_e32 v62, 0xf68
	ds_read2_b64 v[68:71], v62 offset1:1
	v_fma_f64 v[38:39], -v[54:55], v[84:85], v[38:39]
	v_fma_f64 v[38:39], -v[56:57], v[82:83], v[38:39]
	;; [unrolled: 1-line block ×3, first 2 shown]
	ds_read_b128 v[60:63], v58 offset:3792
	v_fma_f64 v[38:39], -v[40:41], v[74:75], v[38:39]
	s_waitcnt lgkmcnt(2)
	v_fma_f64 v[36:37], -v[56:57], v[66:67], v[36:37]
	v_mul_f64 v[38:39], v[72:73], v[38:39]
	v_fma_f64 v[36:37], -v[40:41], v[64:65], v[36:37]
	ds_read_b128 v[64:67], v58 offset:3776
	s_waitcnt lgkmcnt(2)
	v_fma_f64 v[36:37], -v[38:39], v[70:71], v[36:37]
	v_mul_f64 v[36:37], v[68:69], v[36:37]
	ds_read_b128 v[68:71], v58 offset:3760
	s_waitcnt lgkmcnt(2)
	v_fma_f64 v[34:35], -v[42:43], v[62:63], v[34:35]
	v_fma_f64 v[34:35], -v[44:45], v[60:61], v[34:35]
	ds_read_b128 v[60:63], v58 offset:3744
	s_waitcnt lgkmcnt(2)
	v_fma_f64 v[34:35], -v[46:47], v[66:67], v[34:35]
	v_fma_f64 v[34:35], -v[48:49], v[64:65], v[34:35]
	;; [unrolled: 4-line block ×3, first 2 shown]
	s_movk_i32 s5, 0x800
	s_waitcnt lgkmcnt(1)
	v_fma_f64 v[34:35], -v[54:55], v[62:63], v[34:35]
	v_fma_f64 v[34:35], -v[56:57], v[60:61], v[34:35]
	v_add_u32_e64 v82, s5, 0
	ds_read_b128 v[68:71], v58 offset:3712
	s_waitcnt lgkmcnt(1)
	v_fma_f64 v[34:35], -v[40:41], v[66:67], v[34:35]
	ds_read2_b64 v[60:63], v82 offset0:135 offset1:191
	v_fma_f64 v[34:35], -v[38:39], v[64:65], v[34:35]
	v_mov_b32_e32 v64, 0xde8
	ds_read2_b64 v[64:67], v64 offset1:1
	s_waitcnt lgkmcnt(2)
	v_fma_f64 v[34:35], -v[36:37], v[70:71], v[34:35]
	s_waitcnt lgkmcnt(1)
	v_fma_f64 v[32:33], -v[42:43], v[62:63], v[32:33]
	v_mov_b32_e32 v62, 0xdd8
	v_mul_f64 v[34:35], v[68:69], v[34:35]
	ds_read2_b64 v[68:71], v62 offset1:1
	s_waitcnt lgkmcnt(1)
	v_fma_f64 v[32:33], -v[44:45], v[66:67], v[32:33]
	v_mov_b32_e32 v62, 0xdc8
	v_fma_f64 v[32:33], -v[46:47], v[64:65], v[32:33]
	ds_read2_b64 v[62:65], v62 offset1:1
	s_waitcnt lgkmcnt(1)
	v_fma_f64 v[32:33], -v[48:49], v[70:71], v[32:33]
	v_mov_b32_e32 v66, 0xdb8
	v_fma_f64 v[32:33], -v[50:51], v[68:69], v[32:33]
	ds_read2_b64 v[66:69], v66 offset1:1
	s_waitcnt lgkmcnt(1)
	v_fma_f64 v[32:33], -v[52:53], v[64:65], v[32:33]
	v_fma_f64 v[32:33], -v[54:55], v[62:63], v[32:33]
	v_mov_b32_e32 v62, 0xda8
	ds_read2_b64 v[62:65], v62 offset1:1
	s_waitcnt lgkmcnt(1)
	v_fma_f64 v[32:33], -v[56:57], v[68:69], v[32:33]
	v_mov_b32_e32 v68, 0xd98
	ds_read2_b64 v[68:71], v68 offset1:1
	v_fma_f64 v[32:33], -v[40:41], v[66:67], v[32:33]
	s_waitcnt lgkmcnt(1)
	v_fma_f64 v[32:33], -v[38:39], v[64:65], v[32:33]
	ds_read_b128 v[64:67], v58 offset:3344
	v_fma_f64 v[32:33], -v[36:37], v[62:63], v[32:33]
	s_waitcnt lgkmcnt(1)
	v_fma_f64 v[32:33], -v[34:35], v[70:71], v[32:33]
	ds_read_b128 v[70:73], v58 offset:3328
	v_mul_f64 v[32:33], v[68:69], v[32:33]
	s_waitcnt lgkmcnt(1)
	v_fma_f64 v[30:31], -v[42:43], v[66:67], v[30:31]
	ds_read_b128 v[66:69], v58 offset:3312
	v_fma_f64 v[30:31], -v[44:45], v[64:65], v[30:31]
	s_waitcnt lgkmcnt(1)
	v_fma_f64 v[30:31], -v[46:47], v[72:73], v[30:31]
	ds_read_b128 v[62:65], v58 offset:3296
	ds_write2_b64 v86, v[38:39], v[40:41] offset0:120 offset1:148
	ds_write2_b64 v59, v[34:35], v[36:37] offset0:192 offset1:220
	v_fma_f64 v[30:31], -v[48:49], v[70:71], v[30:31]
	s_waitcnt lgkmcnt(3)
	v_fma_f64 v[30:31], -v[50:51], v[68:69], v[30:31]
	ds_read_b128 v[68:71], v58 offset:3264
	ds_read_b128 v[72:75], v58 offset:3280
	v_fma_f64 v[30:31], -v[52:53], v[66:67], v[30:31]
	s_waitcnt lgkmcnt(4)
	v_fma_f64 v[30:31], -v[54:55], v[64:65], v[30:31]
	v_fma_f64 v[30:31], -v[56:57], v[62:63], v[30:31]
	v_mov_b32_e32 v66, 0xc28
	s_waitcnt lgkmcnt(0)
	v_fma_f64 v[30:31], -v[40:41], v[74:75], v[30:31]
	v_fma_f64 v[30:31], -v[38:39], v[72:73], v[30:31]
	v_fma_f64 v[30:31], -v[36:37], v[70:71], v[30:31]
	v_fma_f64 v[30:31], -v[34:35], v[68:69], v[30:31]
	ds_read2_b64 v[66:69], v66 offset1:1
	v_fma_f64 v[28:29], -v[42:43], v[60:61], v[28:29]
	v_mov_b32_e32 v60, 0xc18
	ds_read2_b64 v[70:73], v60 offset1:1
	v_mov_b32_e32 v60, 0xc08
	s_waitcnt lgkmcnt(1)
	v_fma_f64 v[28:29], -v[44:45], v[68:69], v[28:29]
	v_fma_f64 v[28:29], -v[46:47], v[66:67], v[28:29]
	ds_read2_b64 v[66:69], v60 offset1:1
	s_waitcnt lgkmcnt(1)
	v_fma_f64 v[28:29], -v[48:49], v[72:73], v[28:29]
	v_mov_b32_e32 v60, 0xbf8
	v_fma_f64 v[28:29], -v[50:51], v[70:71], v[28:29]
	ds_read2_b64 v[70:73], v60 offset1:1
	s_waitcnt lgkmcnt(1)
	v_fma_f64 v[28:29], -v[52:53], v[68:69], v[28:29]
	v_mov_b32_e32 v60, 0xbe8
	;; [unrolled: 5-line block ×3, first 2 shown]
	ds_read_b128 v[76:79], v58 offset:3248
	ds_read_b128 v[62:65], v58 offset:2896
	v_fma_f64 v[28:29], -v[40:41], v[70:71], v[28:29]
	ds_read2_b64 v[70:73], v60 offset1:1
	s_waitcnt lgkmcnt(3)
	v_fma_f64 v[28:29], -v[38:39], v[68:69], v[28:29]
	v_mov_b32_e32 v60, 0xbc8
	v_fma_f64 v[28:29], -v[36:37], v[66:67], v[28:29]
	ds_read2_b64 v[66:69], v60 offset1:1
	s_waitcnt lgkmcnt(3)
	v_fma_f64 v[30:31], -v[32:33], v[78:79], v[30:31]
	s_waitcnt lgkmcnt(1)
	v_fma_f64 v[28:29], -v[34:35], v[72:73], v[28:29]
	v_mul_f64 v[30:31], v[76:77], v[30:31]
	v_fma_f64 v[28:29], -v[32:33], v[70:71], v[28:29]
	ds_read_b128 v[74:77], v58 offset:2880
	s_waitcnt lgkmcnt(1)
	v_fma_f64 v[28:29], -v[30:31], v[68:69], v[28:29]
	v_mul_f64 v[28:29], v[66:67], v[28:29]
	v_fma_f64 v[26:27], -v[42:43], v[64:65], v[26:27]
	ds_read_b128 v[64:67], v58 offset:2864
	v_fma_f64 v[26:27], -v[44:45], v[62:63], v[26:27]
	v_mov_b32_e32 v60, 0xa68
	s_waitcnt lgkmcnt(1)
	v_fma_f64 v[26:27], -v[46:47], v[76:77], v[26:27]
	ds_read2_b64 v[70:73], v60 offset1:1
	ds_read_b128 v[60:63], v58 offset:2848
	v_fma_f64 v[26:27], -v[48:49], v[74:75], v[26:27]
	s_waitcnt lgkmcnt(2)
	v_fma_f64 v[26:27], -v[50:51], v[66:67], v[26:27]
	v_fma_f64 v[26:27], -v[52:53], v[64:65], v[26:27]
	ds_read_b128 v[64:67], v58 offset:2832
	ds_write2_b64 v59, v[30:31], v[32:33] offset0:136 offset1:164
	ds_read_b128 v[74:77], v58 offset:2800
	ds_read_b128 v[78:81], v58 offset:2816
	s_waitcnt lgkmcnt(4)
	v_fma_f64 v[26:27], -v[54:55], v[62:63], v[26:27]
	v_fma_f64 v[26:27], -v[56:57], v[60:61], v[26:27]
	s_waitcnt lgkmcnt(3)
	v_fma_f64 v[26:27], -v[40:41], v[66:67], v[26:27]
	ds_read_b128 v[60:63], v58 offset:2784
	v_fma_f64 v[26:27], -v[38:39], v[64:65], v[26:27]
	s_waitcnt lgkmcnt(1)
	v_fma_f64 v[26:27], -v[36:37], v[80:81], v[26:27]
	v_fma_f64 v[26:27], -v[34:35], v[78:79], v[26:27]
	;; [unrolled: 1-line block ×4, first 2 shown]
	ds_read2_b64 v[64:67], v82 offset0:23 offset1:79
	ds_read_b128 v[74:77], v58 offset:2448
	s_waitcnt lgkmcnt(2)
	v_fma_f64 v[26:27], -v[28:29], v[62:63], v[26:27]
	v_mul_f64 v[26:27], v[60:61], v[26:27]
	v_mov_b32_e32 v60, 0xa58
	ds_read2_b64 v[60:63], v60 offset1:1
	s_waitcnt lgkmcnt(2)
	v_fma_f64 v[24:25], -v[42:43], v[66:67], v[24:25]
	v_fma_f64 v[24:25], -v[44:45], v[72:73], v[24:25]
	;; [unrolled: 1-line block ×3, first 2 shown]
	v_mov_b32_e32 v66, 0xa48
	ds_read2_b64 v[66:69], v66 offset1:1
	s_waitcnt lgkmcnt(1)
	v_fma_f64 v[24:25], -v[48:49], v[62:63], v[24:25]
	v_fma_f64 v[24:25], -v[50:51], v[60:61], v[24:25]
	v_mov_b32_e32 v60, 0xa38
	ds_read2_b64 v[60:63], v60 offset1:1
	s_waitcnt lgkmcnt(1)
	v_fma_f64 v[24:25], -v[52:53], v[68:69], v[24:25]
	v_fma_f64 v[24:25], -v[54:55], v[66:67], v[24:25]
	;; [unrolled: 5-line block ×5, first 2 shown]
	v_mov_b32_e32 v60, 0x9f8
	ds_read2_b64 v[60:63], v60 offset1:1
	s_waitcnt lgkmcnt(1)
	v_fma_f64 v[24:25], -v[30:31], v[68:69], v[24:25]
	ds_read_b128 v[70:73], v58 offset:2432
	v_fma_f64 v[24:25], -v[28:29], v[66:67], v[24:25]
	v_mov_b32_e32 v66, 0x8a8
	ds_read2_b64 v[66:69], v66 offset1:1
	s_waitcnt lgkmcnt(2)
	v_fma_f64 v[24:25], -v[26:27], v[62:63], v[24:25]
	v_mul_f64 v[24:25], v[60:61], v[24:25]
	v_fma_f64 v[22:23], -v[42:43], v[76:77], v[22:23]
	ds_read_b128 v[60:63], v58 offset:2416
	v_fma_f64 v[22:23], -v[44:45], v[74:75], v[22:23]
	s_waitcnt lgkmcnt(2)
	v_fma_f64 v[22:23], -v[46:47], v[72:73], v[22:23]
	ds_read_b128 v[72:75], v58 offset:2400
	v_fma_f64 v[22:23], -v[48:49], v[70:71], v[22:23]
	s_waitcnt lgkmcnt(1)
	v_fma_f64 v[22:23], -v[50:51], v[62:63], v[22:23]
	v_fma_f64 v[22:23], -v[52:53], v[60:61], v[22:23]
	ds_read_b128 v[60:63], v58 offset:2384
	ds_write2_b64 v59, v[26:27], v[28:29] offset0:80 offset1:108
	s_waitcnt lgkmcnt(2)
	v_fma_f64 v[22:23], -v[54:55], v[74:75], v[22:23]
	v_fma_f64 v[22:23], -v[56:57], v[72:73], v[22:23]
	ds_read_b128 v[70:73], v58 offset:2352
	ds_read_b128 v[74:77], v58 offset:2368
	s_waitcnt lgkmcnt(3)
	v_fma_f64 v[22:23], -v[40:41], v[62:63], v[22:23]
	v_fma_f64 v[22:23], -v[38:39], v[60:61], v[22:23]
	ds_read_b128 v[60:63], v58 offset:2320
	ds_read_b128 v[78:81], v58 offset:2336
	v_fma_f64 v[20:21], -v[42:43], v[64:65], v[20:21]
	s_waitcnt lgkmcnt(2)
	v_fma_f64 v[22:23], -v[36:37], v[76:77], v[22:23]
	v_fma_f64 v[22:23], -v[34:35], v[74:75], v[22:23]
	;; [unrolled: 1-line block ×4, first 2 shown]
	s_waitcnt lgkmcnt(0)
	v_fma_f64 v[22:23], -v[28:29], v[80:81], v[22:23]
	v_fma_f64 v[22:23], -v[26:27], v[78:79], v[22:23]
	v_fma_f64 v[22:23], -v[24:25], v[62:63], v[22:23]
	v_mul_f64 v[22:23], v[60:61], v[22:23]
	ds_write2_b64 v59, v[22:23], v[24:25] offset0:24 offset1:52
	v_mov_b32_e32 v59, 0x898
	ds_read2_b64 v[60:63], v59 offset1:1
	v_fma_f64 v[20:21], -v[44:45], v[68:69], v[20:21]
	v_mov_b32_e32 v59, 0x888
	v_fma_f64 v[20:21], -v[46:47], v[66:67], v[20:21]
	ds_read2_b64 v[64:67], v59 offset1:1
	s_waitcnt lgkmcnt(1)
	v_fma_f64 v[20:21], -v[48:49], v[62:63], v[20:21]
	v_mov_b32_e32 v59, 0x878
	v_fma_f64 v[20:21], -v[50:51], v[60:61], v[20:21]
	ds_read2_b64 v[60:63], v59 offset1:1
	s_waitcnt lgkmcnt(1)
	;; [unrolled: 5-line block ×5, first 2 shown]
	v_fma_f64 v[20:21], -v[34:35], v[62:63], v[20:21]
	v_mov_b32_e32 v59, 0x838
	v_fma_f64 v[20:21], -v[32:33], v[60:61], v[20:21]
	ds_read2_b64 v[60:63], v59 offset1:1
	v_mov_b32_e32 v59, 0x828
	s_waitcnt lgkmcnt(1)
	v_fma_f64 v[20:21], -v[30:31], v[66:67], v[20:21]
	ds_read2_b64 v[66:69], v59 offset1:1
	v_fma_f64 v[20:21], -v[28:29], v[64:65], v[20:21]
	s_waitcnt lgkmcnt(1)
	v_fma_f64 v[20:21], -v[26:27], v[62:63], v[20:21]
	ds_read_b128 v[62:65], v58 offset:2000
	v_fma_f64 v[20:21], -v[24:25], v[60:61], v[20:21]
	s_waitcnt lgkmcnt(1)
	v_fma_f64 v[20:21], -v[22:23], v[68:69], v[20:21]
	ds_read_b128 v[68:71], v58 offset:1984
	v_mul_f64 v[20:21], v[66:67], v[20:21]
	s_waitcnt lgkmcnt(1)
	v_fma_f64 v[18:19], -v[42:43], v[64:65], v[18:19]
	ds_read_b128 v[64:67], v58 offset:1968
	v_fma_f64 v[18:19], -v[44:45], v[62:63], v[18:19]
	s_waitcnt lgkmcnt(1)
	v_fma_f64 v[18:19], -v[46:47], v[70:71], v[18:19]
	ds_read_b128 v[60:63], v58 offset:1952
	v_fma_f64 v[18:19], -v[48:49], v[68:69], v[18:19]
	s_waitcnt lgkmcnt(1)
	v_fma_f64 v[18:19], -v[50:51], v[66:67], v[18:19]
	ds_read_b128 v[66:69], v58 offset:1936
	v_fma_f64 v[18:19], -v[52:53], v[64:65], v[18:19]
	s_waitcnt lgkmcnt(1)
	v_fma_f64 v[18:19], -v[54:55], v[62:63], v[18:19]
	v_fma_f64 v[18:19], -v[56:57], v[60:61], v[18:19]
	ds_read_b128 v[60:63], v58 offset:1920
	s_waitcnt lgkmcnt(1)
	v_fma_f64 v[18:19], -v[40:41], v[68:69], v[18:19]
	v_fma_f64 v[18:19], -v[38:39], v[66:67], v[18:19]
	ds_read_b128 v[64:67], v58 offset:1888
	ds_read_b128 v[68:71], v58 offset:1904
	s_mov_b32 s5, -1
	s_waitcnt lgkmcnt(2)
	v_fma_f64 v[18:19], -v[36:37], v[62:63], v[18:19]
	v_fma_f64 v[18:19], -v[34:35], v[60:61], v[18:19]
	ds_read_b128 v[60:63], v58 offset:1856
	ds_read_b128 v[72:75], v58 offset:1872
	s_waitcnt lgkmcnt(2)
	v_fma_f64 v[18:19], -v[32:33], v[70:71], v[18:19]
	v_fma_f64 v[18:19], -v[30:31], v[68:69], v[18:19]
	;; [unrolled: 1-line block ×4, first 2 shown]
	s_waitcnt lgkmcnt(0)
	v_fma_f64 v[18:19], -v[24:25], v[74:75], v[18:19]
	v_fma_f64 v[18:19], -v[22:23], v[72:73], v[18:19]
	;; [unrolled: 1-line block ×3, first 2 shown]
	ds_read2_b64 v[62:65], v58 offset0:167 offset1:223
	ds_read2_b64 v[66:69], v58 offset0:221 offset1:222
	;; [unrolled: 1-line block ×4, first 2 shown]
	v_mul_f64 v[18:19], v[60:61], v[18:19]
	s_waitcnt lgkmcnt(3)
	v_fma_f64 v[16:17], -v[42:43], v[64:65], v[16:17]
	s_waitcnt lgkmcnt(2)
	v_fma_f64 v[16:17], -v[44:45], v[68:69], v[16:17]
	v_fma_f64 v[16:17], -v[46:47], v[66:67], v[16:17]
	ds_read2_b64 v[64:67], v58 offset0:215 offset1:216
	s_waitcnt lgkmcnt(2)
	v_fma_f64 v[16:17], -v[48:49], v[72:73], v[16:17]
	v_fma_f64 v[16:17], -v[50:51], v[70:71], v[16:17]
	ds_read2_b64 v[68:71], v58 offset0:213 offset1:214
	s_waitcnt lgkmcnt(2)
	v_fma_f64 v[16:17], -v[52:53], v[76:77], v[16:17]
	v_fma_f64 v[16:17], -v[54:55], v[74:75], v[16:17]
	ds_read2_b64 v[72:75], v58 offset0:211 offset1:212
	s_waitcnt lgkmcnt(2)
	v_fma_f64 v[16:17], -v[56:57], v[66:67], v[16:17]
	v_fma_f64 v[16:17], -v[40:41], v[64:65], v[16:17]
	ds_read2_b64 v[64:67], v58 offset0:209 offset1:210
	s_waitcnt lgkmcnt(2)
	v_fma_f64 v[16:17], -v[38:39], v[70:71], v[16:17]
	v_fma_f64 v[16:17], -v[36:37], v[68:69], v[16:17]
	ds_read2_b64 v[68:71], v58 offset0:207 offset1:208
	s_waitcnt lgkmcnt(2)
	v_fma_f64 v[16:17], -v[34:35], v[74:75], v[16:17]
	v_fma_f64 v[16:17], -v[32:33], v[72:73], v[16:17]
	ds_read2_b64 v[72:75], v58 offset0:205 offset1:206
	s_waitcnt lgkmcnt(2)
	v_fma_f64 v[16:17], -v[30:31], v[66:67], v[16:17]
	v_fma_f64 v[16:17], -v[28:29], v[64:65], v[16:17]
	ds_read2_b64 v[64:67], v58 offset0:203 offset1:204
	s_waitcnt lgkmcnt(2)
	v_fma_f64 v[16:17], -v[26:27], v[70:71], v[16:17]
	v_fma_f64 v[16:17], -v[24:25], v[68:69], v[16:17]
	ds_read_b128 v[68:71], v58 offset:1552
	s_waitcnt lgkmcnt(2)
	v_fma_f64 v[16:17], -v[22:23], v[74:75], v[16:17]
	v_fma_f64 v[16:17], -v[20:21], v[72:73], v[16:17]
	ds_read_b128 v[72:75], v58 offset:1536
	s_waitcnt lgkmcnt(2)
	v_fma_f64 v[16:17], -v[18:19], v[66:67], v[16:17]
	v_mul_f64 v[16:17], v[64:65], v[16:17]
	ds_read_b128 v[64:67], v58 offset:1520
	s_waitcnt lgkmcnt(2)
	v_fma_f64 v[14:15], -v[42:43], v[70:71], v[14:15]
	v_fma_f64 v[14:15], -v[44:45], v[68:69], v[14:15]
	ds_read_b128 v[68:71], v58 offset:1504
	s_waitcnt lgkmcnt(2)
	v_fma_f64 v[14:15], -v[46:47], v[74:75], v[14:15]
	v_fma_f64 v[14:15], -v[48:49], v[72:73], v[14:15]
	;; [unrolled: 4-line block ×4, first 2 shown]
	s_waitcnt lgkmcnt(1)
	v_fma_f64 v[14:15], -v[40:41], v[74:75], v[14:15]
	ds_read_b128 v[68:71], v58 offset:1456
	v_fma_f64 v[14:15], -v[38:39], v[72:73], v[14:15]
	s_waitcnt lgkmcnt(1)
	v_fma_f64 v[14:15], -v[36:37], v[66:67], v[14:15]
	v_fma_f64 v[14:15], -v[34:35], v[64:65], v[14:15]
	ds_read_b128 v[64:67], v58 offset:1440
	ds_write2_b64 v1, v[18:19], v[20:21] offset0:224 offset1:252
	s_waitcnt lgkmcnt(2)
	v_fma_f64 v[14:15], -v[32:33], v[70:71], v[14:15]
	ds_read_b128 v[70:73], v58 offset:1408
	ds_read_b128 v[74:77], v58 offset:1424
	v_fma_f64 v[14:15], -v[30:31], v[68:69], v[14:15]
	s_waitcnt lgkmcnt(3)
	v_fma_f64 v[14:15], -v[28:29], v[66:67], v[14:15]
	v_fma_f64 v[14:15], -v[26:27], v[64:65], v[14:15]
	ds_read_b128 v[78:81], v58 offset:1392
	ds_read2_b64 v[64:67], v58 offset0:165 offset1:166
	s_waitcnt lgkmcnt(2)
	v_fma_f64 v[14:15], -v[24:25], v[76:77], v[14:15]
	v_fma_f64 v[14:15], -v[22:23], v[74:75], v[14:15]
	;; [unrolled: 1-line block ×4, first 2 shown]
	ds_read2_b64 v[68:71], v58 offset0:163 offset1:164
	v_fma_f64 v[12:13], -v[42:43], v[62:63], v[12:13]
	ds_read2_b64 v[60:63], v58 offset0:161 offset1:162
	s_waitcnt lgkmcnt(2)
	v_fma_f64 v[12:13], -v[44:45], v[66:67], v[12:13]
	v_fma_f64 v[12:13], -v[46:47], v[64:65], v[12:13]
	ds_read2_b64 v[64:67], v58 offset0:159 offset1:160
	s_waitcnt lgkmcnt(2)
	v_fma_f64 v[12:13], -v[48:49], v[70:71], v[12:13]
	;; [unrolled: 4-line block ×9, first 2 shown]
	v_fma_f64 v[12:13], -v[20:21], v[60:61], v[12:13]
	ds_read_b128 v[60:63], v58 offset:1104
	v_fma_f64 v[14:15], -v[16:17], v[80:81], v[14:15]
	s_waitcnt lgkmcnt(2)
	v_fma_f64 v[12:13], -v[18:19], v[66:67], v[12:13]
	v_mul_f64 v[14:15], v[78:79], v[14:15]
	v_fma_f64 v[12:13], -v[16:17], v[64:65], v[12:13]
	ds_read_b128 v[64:67], v58 offset:1088
	s_waitcnt lgkmcnt(2)
	v_fma_f64 v[12:13], -v[14:15], v[70:71], v[12:13]
	v_mul_f64 v[12:13], v[68:69], v[12:13]
	ds_read_b128 v[68:71], v58 offset:1072
	s_waitcnt lgkmcnt(2)
	v_fma_f64 v[10:11], -v[42:43], v[62:63], v[10:11]
	v_fma_f64 v[10:11], -v[44:45], v[60:61], v[10:11]
	ds_read_b128 v[60:63], v58 offset:1056
	s_waitcnt lgkmcnt(2)
	v_fma_f64 v[10:11], -v[46:47], v[66:67], v[10:11]
	v_fma_f64 v[10:11], -v[48:49], v[64:65], v[10:11]
	;; [unrolled: 4-line block ×5, first 2 shown]
	s_waitcnt lgkmcnt(1)
	v_fma_f64 v[10:11], -v[36:37], v[70:71], v[10:11]
	v_fma_f64 v[10:11], -v[34:35], v[68:69], v[10:11]
	ds_read_b128 v[64:67], v58 offset:992
	ds_write2_b64 v1, v[14:15], v[16:17] offset0:168 offset1:196
	s_waitcnt lgkmcnt(2)
	v_fma_f64 v[10:11], -v[32:33], v[62:63], v[10:11]
	v_fma_f64 v[10:11], -v[30:31], v[60:61], v[10:11]
	ds_read_b128 v[60:63], v58 offset:960
	ds_read_b128 v[68:71], v58 offset:976
	s_waitcnt lgkmcnt(3)
	v_fma_f64 v[10:11], -v[28:29], v[66:67], v[10:11]
	v_fma_f64 v[10:11], -v[26:27], v[64:65], v[10:11]
	ds_read_b128 v[64:67], v58 offset:928
	ds_read_b128 v[72:75], v58 offset:944
	s_waitcnt lgkmcnt(2)
	v_fma_f64 v[10:11], -v[24:25], v[70:71], v[10:11]
	v_fma_f64 v[10:11], -v[22:23], v[68:69], v[10:11]
	;; [unrolled: 1-line block ×4, first 2 shown]
	s_waitcnt lgkmcnt(0)
	v_fma_f64 v[10:11], -v[16:17], v[74:75], v[10:11]
	v_fma_f64 v[10:11], -v[14:15], v[72:73], v[10:11]
	;; [unrolled: 1-line block ×3, first 2 shown]
	ds_read2_b64 v[60:63], v58 offset0:55 offset1:111
	ds_read2_b64 v[66:69], v58 offset0:109 offset1:110
	;; [unrolled: 1-line block ×3, first 2 shown]
	v_mul_f64 v[10:11], v[64:65], v[10:11]
	ds_write2_b64 v1, v[10:11], v[12:13] offset0:112 offset1:140
	s_waitcnt lgkmcnt(3)
	v_fma_f64 v[8:9], -v[42:43], v[62:63], v[8:9]
	ds_read2_b64 v[62:65], v58 offset0:105 offset1:106
	s_waitcnt lgkmcnt(3)
	v_fma_f64 v[8:9], -v[44:45], v[68:69], v[8:9]
	v_fma_f64 v[8:9], -v[46:47], v[66:67], v[8:9]
	ds_read2_b64 v[66:69], v58 offset0:103 offset1:104
	s_waitcnt lgkmcnt(3)
	v_fma_f64 v[8:9], -v[48:49], v[72:73], v[8:9]
	;; [unrolled: 4-line block ×10, first 2 shown]
	v_fma_f64 v[8:9], -v[16:17], v[66:67], v[8:9]
	ds_read_b128 v[66:69], v58 offset:656
	s_waitcnt lgkmcnt(2)
	v_fma_f64 v[8:9], -v[14:15], v[72:73], v[8:9]
	v_fma_f64 v[8:9], -v[12:13], v[70:71], v[8:9]
	ds_read_b128 v[70:73], v58 offset:640
	s_waitcnt lgkmcnt(2)
	v_fma_f64 v[8:9], -v[10:11], v[64:65], v[8:9]
	v_mul_f64 v[8:9], v[62:63], v[8:9]
	ds_read_b128 v[62:65], v58 offset:624
	s_waitcnt lgkmcnt(2)
	v_fma_f64 v[6:7], -v[42:43], v[68:69], v[6:7]
	v_fma_f64 v[6:7], -v[44:45], v[66:67], v[6:7]
	ds_read_b128 v[66:69], v58 offset:608
	s_waitcnt lgkmcnt(2)
	v_fma_f64 v[6:7], -v[46:47], v[72:73], v[6:7]
	v_fma_f64 v[6:7], -v[48:49], v[70:71], v[6:7]
	;; [unrolled: 4-line block ×8, first 2 shown]
	ds_read_b128 v[70:73], v58 offset:480
	ds_read_b128 v[74:77], v58 offset:496
	s_waitcnt lgkmcnt(3)
	v_fma_f64 v[6:7], -v[24:25], v[64:65], v[6:7]
	v_fma_f64 v[6:7], -v[22:23], v[62:63], v[6:7]
	s_waitcnt lgkmcnt(2)
	v_fma_f64 v[6:7], -v[20:21], v[68:69], v[6:7]
	ds_read_b128 v[62:65], v58 offset:464
	v_fma_f64 v[6:7], -v[18:19], v[66:67], v[6:7]
	s_waitcnt lgkmcnt(1)
	v_fma_f64 v[6:7], -v[16:17], v[76:77], v[6:7]
	v_fma_f64 v[6:7], -v[14:15], v[74:75], v[6:7]
	;; [unrolled: 1-line block ×3, first 2 shown]
	ds_read2_b64 v[66:69], v58 offset0:53 offset1:54
	v_fma_f64 v[6:7], -v[10:11], v[70:71], v[6:7]
	s_waitcnt lgkmcnt(1)
	v_fma_f64 v[6:7], -v[8:9], v[64:65], v[6:7]
	v_mul_f64 v[70:71], v[62:63], v[6:7]
	ds_read2_b64 v[62:65], v58 offset0:51 offset1:52
	v_fma_f64 v[4:5], -v[42:43], v[60:61], v[4:5]
	s_waitcnt lgkmcnt(1)
	v_fma_f64 v[60:61], -v[44:45], v[68:69], v[4:5]
	ds_read2_b64 v[4:7], v58 offset0:49 offset1:50
	v_fma_f64 v[60:61], -v[46:47], v[66:67], v[60:61]
	s_waitcnt lgkmcnt(1)
	v_fma_f64 v[60:61], -v[48:49], v[64:65], v[60:61]
	;; [unrolled: 4-line block ×12, first 2 shown]
	ds_read_b128 v[64:67], v58 offset:208
	v_fma_f64 v[4:5], -v[8:9], v[4:5], v[6:7]
	s_waitcnt lgkmcnt(1)
	v_fma_f64 v[62:63], -v[70:71], v[62:63], v[4:5]
	ds_read_b128 v[4:7], v58 offset:192
	v_mul_f64 v[68:69], v[60:61], v[62:63]
	ds_read_b128 v[60:63], v58 offset:176
	s_waitcnt lgkmcnt(2)
	v_fma_f64 v[2:3], -v[42:43], v[66:67], v[2:3]
	v_fma_f64 v[2:3], -v[44:45], v[64:65], v[2:3]
	s_waitcnt lgkmcnt(1)
	v_fma_f64 v[2:3], -v[46:47], v[6:7], v[2:3]
	ds_read_b128 v[42:45], v58 offset:160
	v_fma_f64 v[2:3], -v[48:49], v[4:5], v[2:3]
	s_waitcnt lgkmcnt(1)
	v_fma_f64 v[6:7], -v[50:51], v[62:63], v[2:3]
	ds_read_b128 v[2:5], v58 offset:144
	;; [unrolled: 4-line block ×6, first 2 shown]
	v_fma_f64 v[2:3], -v[30:31], v[4:5], v[2:3]
	s_waitcnt lgkmcnt(1)
	v_fma_f64 v[2:3], -v[28:29], v[38:39], v[2:3]
	v_fma_f64 v[6:7], -v[26:27], v[36:37], v[2:3]
	ds_read_b128 v[2:5], v58 offset:64
	ds_write2_b64 v1, v[70:71], v[8:9] offset0:56 offset1:84
	s_waitcnt lgkmcnt(2)
	v_fma_f64 v[6:7], -v[24:25], v[34:35], v[6:7]
	v_fma_f64 v[6:7], -v[22:23], v[32:33], v[6:7]
	ds_read_b128 v[22:25], v58 offset:32
	ds_read_b128 v[26:29], v58 offset:48
	s_waitcnt lgkmcnt(3)
	v_fma_f64 v[4:5], -v[20:21], v[4:5], v[6:7]
	v_fma_f64 v[6:7], -v[18:19], v[2:3], v[4:5]
	ds_read_b128 v[2:5], v58
	ds_read_b128 v[18:21], v58 offset:16
	s_waitcnt lgkmcnt(2)
	v_fma_f64 v[6:7], -v[16:17], v[28:29], v[6:7]
	v_fma_f64 v[6:7], -v[14:15], v[26:27], v[6:7]
	;; [unrolled: 1-line block ×4, first 2 shown]
	s_waitcnt lgkmcnt(0)
	v_fma_f64 v[6:7], -v[8:9], v[20:21], v[6:7]
	v_fma_f64 v[6:7], -v[70:71], v[18:19], v[6:7]
	;; [unrolled: 1-line block ×3, first 2 shown]
	v_mul_f64 v[2:3], v[2:3], v[4:5]
	ds_write2_b64 v1, v[2:3], v[68:69] offset1:28
.LBB99_12:
	s_cmp_gt_i32 s5, -1
	s_cbranch_scc0 .LBB99_31
; %bb.13:
	s_cmp_lt_u32 s5, 23
	s_cbranch_scc1 .LBB99_18
; %bb.14:
	s_mul_i32 s7, s5, 0xe0
	v_add_u32_e32 v50, s7, v1
	v_add_u32_e32 v2, 0xffffff20, v50
	v_add_u32_e32 v3, 0xfffffe40, v50
	v_add_u32_e32 v4, 0xfffffd60, v50
	ds_read_b64 v[8:9], v50
	ds_read_b64 v[12:13], v2
	ds_read_b64 v[10:11], v3
	ds_read_b64 v[14:15], v4
	v_add_u32_e32 v2, 0xfffffc80, v50
	v_add_u32_e32 v3, 0xfffffba0, v50
	v_add_u32_e32 v4, 0xfffffac0, v50
	v_add_u32_e32 v5, 0xfffff9e0, v50
	ds_read_b64 v[16:17], v2
	ds_read_b64 v[20:21], v3
	ds_read_b64 v[22:23], v4
	ds_read_b64 v[24:25], v5
	;; [unrolled: 8-line block ×6, first 2 shown]
	s_cmp_le_i32 s4, s5
	s_cbranch_scc1 .LBB99_17
; %bb.15:
	s_mul_i32 s8, s22, 0xe0
	v_lshl_add_u32 v51, v0, 3, s8
	s_lshl_b32 s8, s22, 3
	s_add_i32 s8, s7, s8
	v_add_u32_e32 v51, 0x17a0, v51
	s_addk_i32 s8, 0xebd8
	s_mov_b32 s9, s4
.LBB99_16:                              ; =>This Inner Loop Header: Depth=1
	v_mov_b32_e32 v68, s8
	v_add_u32_e32 v76, 0x1000, v68
	v_add_u32_e32 v80, 0xc00, v68
	;; [unrolled: 1-line block ×3, first 2 shown]
	ds_read_b64 v[100:101], v51
	ds_read2_b64 v[52:55], v68 offset0:224 offset1:252
	ds_read2_b64 v[56:59], v68 offset0:168 offset1:196
	;; [unrolled: 1-line block ×4, first 2 shown]
	ds_read2_b64 v[68:71], v68 offset1:28
	ds_read2_b64 v[72:75], v76 offset0:104 offset1:132
	ds_read2_b64 v[76:79], v76 offset0:48 offset1:76
	;; [unrolled: 1-line block ×7, first 2 shown]
	s_add_i32 s9, s9, -1
	s_add_i32 s8, s8, -8
	v_add_u32_e32 v51, 0xffffff20, v51
	s_cmp_gt_i32 s9, s5
	s_waitcnt lgkmcnt(11)
	v_fma_f64 v[48:49], -v[100:101], v[54:55], v[48:49]
	v_fma_f64 v[46:47], -v[100:101], v[52:53], v[46:47]
	s_waitcnt lgkmcnt(10)
	v_fma_f64 v[42:43], -v[100:101], v[58:59], v[42:43]
	v_fma_f64 v[38:39], -v[100:101], v[56:57], v[38:39]
	;; [unrolled: 3-line block ×12, first 2 shown]
	s_cbranch_scc1 .LBB99_16
.LBB99_17:
	s_mul_i32 s8, s5, 0xe8
	v_mov_b32_e32 v51, s8
	s_add_i32 s8, s7, 0xffffff20
	s_lshl_b32 s7, s5, 3
	s_add_i32 s7, s8, s7
	ds_read_b64 v[56:57], v51
	s_add_i32 s9, s7, -8
	v_mov_b32_e32 v51, s9
	ds_read2_b64 v[52:55], v51 offset1:1
	s_add_i32 s9, s7, 0xffffff20
	s_waitcnt lgkmcnt(1)
	v_mul_f64 v[8:9], v[56:57], v[8:9]
	ds_write_b64 v50, v[8:9]
	v_mov_b32_e32 v50, s9
	s_add_i32 s9, s7, 0xffffff10
	s_waitcnt lgkmcnt(1)
	v_fma_f64 v[12:13], -v[8:9], v[54:55], v[12:13]
	v_mov_b32_e32 v51, s9
	ds_read_b64 v[58:59], v50
	ds_read2_b64 v[54:57], v51 offset1:1
	v_mul_f64 v[12:13], v[52:53], v[12:13]
	v_add_u32_e32 v50, s8, v1
	s_add_i32 s8, s7, 0xfffffe38
	s_waitcnt lgkmcnt(1)
	v_fma_f64 v[10:11], -v[8:9], v[58:59], v[10:11]
	s_waitcnt lgkmcnt(0)
	v_fma_f64 v[10:11], -v[12:13], v[56:57], v[10:11]
	v_mov_b32_e32 v51, s8
	v_mul_f64 v[10:11], v[54:55], v[10:11]
	ds_read2_b64 v[52:55], v51 offset1:1
	s_add_i32 s8, s7, 0xfffffe28
	v_mov_b32_e32 v51, s8
	ds_read2_b64 v[56:59], v51 offset1:1
	v_add_u32_e32 v51, 0xffffff20, v50
	s_add_i32 s8, s7, 0xfffffd60
	ds_write_b64 v51, v[10:11]
	s_waitcnt lgkmcnt(2)
	v_fma_f64 v[14:15], -v[8:9], v[54:55], v[14:15]
	v_mov_b32_e32 v51, s8
	s_add_i32 s8, s7, 0xfffffd50
	ds_write_b64 v50, v[12:13]
	v_fma_f64 v[14:15], -v[12:13], v[52:53], v[14:15]
	v_mov_b32_e32 v52, s8
	s_waitcnt lgkmcnt(2)
	v_fma_f64 v[14:15], -v[10:11], v[58:59], v[14:15]
	ds_read_b64 v[58:59], v51
	ds_read2_b64 v[52:55], v52 offset1:1
	v_mul_f64 v[14:15], v[56:57], v[14:15]
	v_add_u32_e32 v51, 0xfffffe40, v50
	s_add_i32 s8, s7, 0xfffffd40
	ds_write_b64 v51, v[14:15]
	s_waitcnt lgkmcnt(2)
	v_fma_f64 v[16:17], -v[8:9], v[58:59], v[16:17]
	v_mov_b32_e32 v51, s8
	s_waitcnt lgkmcnt(1)
	v_fma_f64 v[16:17], -v[12:13], v[54:55], v[16:17]
	ds_read2_b64 v[54:57], v51 offset1:1
	v_fma_f64 v[16:17], -v[10:11], v[52:53], v[16:17]
	s_add_i32 s8, s7, 0xfffffc78
	v_mov_b32_e32 v51, s8
	ds_read2_b64 v[58:61], v51 offset1:1
	s_waitcnt lgkmcnt(1)
	v_fma_f64 v[16:17], -v[14:15], v[56:57], v[16:17]
	v_mul_f64 v[16:17], v[54:55], v[16:17]
	v_add_u32_e32 v51, 0xfffffd60, v50
	s_add_i32 s8, s7, 0xfffffc68
	ds_write_b64 v51, v[16:17]
	v_mov_b32_e32 v51, s8
	ds_read2_b64 v[52:55], v51 offset1:1
	s_add_i32 s8, s7, 0xfffffc58
	v_mov_b32_e32 v51, s8
	ds_read2_b64 v[62:65], v51 offset1:1
	s_waitcnt lgkmcnt(3)
	v_fma_f64 v[20:21], -v[8:9], v[60:61], v[20:21]
	v_fma_f64 v[20:21], -v[12:13], v[58:59], v[20:21]
	s_waitcnt lgkmcnt(1)
	v_fma_f64 v[20:21], -v[10:11], v[54:55], v[20:21]
	s_add_i32 s8, s7, 0xfffffba0
	v_fma_f64 v[20:21], -v[14:15], v[52:53], v[20:21]
	v_mov_b32_e32 v52, s8
	ds_read_b64 v[56:57], v52
	s_waitcnt lgkmcnt(1)
	v_fma_f64 v[20:21], -v[16:17], v[64:65], v[20:21]
	v_mul_f64 v[20:21], v[62:63], v[20:21]
	v_add_u32_e32 v51, 0xfffffc80, v50
	s_add_i32 s8, s7, 0xfffffb90
	ds_write_b64 v51, v[20:21]
	v_mov_b32_e32 v51, s8
	ds_read2_b64 v[52:55], v51 offset1:1
	s_add_i32 s8, s7, 0xfffffb80
	v_mov_b32_e32 v51, s8
	s_waitcnt lgkmcnt(2)
	v_fma_f64 v[22:23], -v[8:9], v[56:57], v[22:23]
	ds_read2_b64 v[56:59], v51 offset1:1
	s_add_i32 s8, s7, 0xfffffb70
	v_mov_b32_e32 v51, s8
	ds_read2_b64 v[60:63], v51 offset1:1
	s_waitcnt lgkmcnt(2)
	v_fma_f64 v[22:23], -v[12:13], v[54:55], v[22:23]
	v_fma_f64 v[22:23], -v[10:11], v[52:53], v[22:23]
	s_add_i32 s8, s7, 0xfffffab8
	s_waitcnt lgkmcnt(1)
	v_fma_f64 v[22:23], -v[14:15], v[58:59], v[22:23]
	v_mov_b32_e32 v52, s8
	v_fma_f64 v[22:23], -v[16:17], v[56:57], v[22:23]
	ds_read2_b64 v[52:55], v52 offset1:1
	s_waitcnt lgkmcnt(1)
	v_fma_f64 v[22:23], -v[20:21], v[62:63], v[22:23]
	v_mul_f64 v[22:23], v[60:61], v[22:23]
	v_add_u32_e32 v51, 0xfffffba0, v50
	s_add_i32 s8, s7, 0xfffffaa8
	ds_write_b64 v51, v[22:23]
	v_mov_b32_e32 v51, s8
	ds_read2_b64 v[56:59], v51 offset1:1
	s_add_i32 s8, s7, 0xfffffa98
	s_waitcnt lgkmcnt(2)
	v_fma_f64 v[24:25], -v[8:9], v[54:55], v[24:25]
	v_mov_b32_e32 v51, s8
	v_fma_f64 v[24:25], -v[12:13], v[52:53], v[24:25]
	ds_read2_b64 v[52:55], v51 offset1:1
	s_add_i32 s8, s7, 0xfffffa88
	v_mov_b32_e32 v51, s8
	s_waitcnt lgkmcnt(1)
	v_fma_f64 v[24:25], -v[10:11], v[58:59], v[24:25]
	ds_read2_b64 v[60:63], v51 offset1:1
	v_fma_f64 v[24:25], -v[14:15], v[56:57], v[24:25]
	s_add_i32 s8, s7, 0xfffff9e0
	s_waitcnt lgkmcnt(1)
	v_fma_f64 v[24:25], -v[16:17], v[54:55], v[24:25]
	v_mov_b32_e32 v51, s8
	s_add_i32 s8, s7, 0xfffff9d0
	v_fma_f64 v[24:25], -v[20:21], v[52:53], v[24:25]
	v_mov_b32_e32 v52, s8
	ds_read_b64 v[56:57], v51
	ds_read2_b64 v[52:55], v52 offset1:1
	s_waitcnt lgkmcnt(2)
	v_fma_f64 v[24:25], -v[22:23], v[62:63], v[24:25]
	v_mul_f64 v[24:25], v[60:61], v[24:25]
	v_add_u32_e32 v51, 0xfffffac0, v50
	s_add_i32 s8, s7, 0xfffff9c0
	ds_write_b64 v51, v[24:25]
	s_waitcnt lgkmcnt(2)
	v_fma_f64 v[28:29], -v[8:9], v[56:57], v[28:29]
	v_mov_b32_e32 v51, s8
	s_add_i32 s8, s7, 0xfffff9b0
	s_waitcnt lgkmcnt(1)
	v_fma_f64 v[28:29], -v[12:13], v[54:55], v[28:29]
	v_mov_b32_e32 v56, s8
	v_fma_f64 v[28:29], -v[10:11], v[52:53], v[28:29]
	ds_read2_b64 v[52:55], v51 offset1:1
	ds_read2_b64 v[56:59], v56 offset1:1
	s_add_i32 s8, s7, 0xfffff9a0
	v_mov_b32_e32 v51, s8
	s_add_i32 s8, s7, 0xfffff8f8
	ds_read2_b64 v[60:63], v51 offset1:1
	s_waitcnt lgkmcnt(2)
	v_fma_f64 v[28:29], -v[14:15], v[54:55], v[28:29]
	v_mov_b32_e32 v51, s8
	v_fma_f64 v[28:29], -v[16:17], v[52:53], v[28:29]
	ds_read2_b64 v[52:55], v51 offset1:1
	s_add_i32 s8, s7, 0xfffff8e8
	s_waitcnt lgkmcnt(2)
	v_fma_f64 v[28:29], -v[20:21], v[58:59], v[28:29]
	v_mov_b32_e32 v51, s8
	v_fma_f64 v[28:29], -v[22:23], v[56:57], v[28:29]
	ds_read2_b64 v[56:59], v51 offset1:1
	s_waitcnt lgkmcnt(2)
	v_fma_f64 v[28:29], -v[24:25], v[62:63], v[28:29]
	s_waitcnt lgkmcnt(1)
	v_fma_f64 v[30:31], -v[8:9], v[54:55], v[30:31]
	v_mul_f64 v[28:29], v[60:61], v[28:29]
	v_add_u32_e32 v51, 0xfffff9e0, v50
	v_fma_f64 v[30:31], -v[12:13], v[52:53], v[30:31]
	s_add_i32 s8, s7, 0xfffff8d8
	ds_write_b64 v51, v[28:29]
	s_waitcnt lgkmcnt(1)
	v_fma_f64 v[30:31], -v[10:11], v[58:59], v[30:31]
	v_mov_b32_e32 v51, s8
	s_add_i32 s8, s7, 0xfffff8c8
	v_fma_f64 v[30:31], -v[14:15], v[56:57], v[30:31]
	v_mov_b32_e32 v56, s8
	ds_read2_b64 v[52:55], v51 offset1:1
	ds_read2_b64 v[56:59], v56 offset1:1
	s_add_i32 s8, s7, 0xfffff8b8
	v_mov_b32_e32 v51, s8
	ds_read2_b64 v[60:63], v51 offset1:1
	s_waitcnt lgkmcnt(2)
	v_fma_f64 v[30:31], -v[16:17], v[54:55], v[30:31]
	v_fma_f64 v[30:31], -v[20:21], v[52:53], v[30:31]
	s_waitcnt lgkmcnt(1)
	v_fma_f64 v[30:31], -v[22:23], v[58:59], v[30:31]
	v_fma_f64 v[30:31], -v[24:25], v[56:57], v[30:31]
	s_add_i32 s8, s7, 0xfffff820
	s_waitcnt lgkmcnt(0)
	v_fma_f64 v[30:31], -v[28:29], v[62:63], v[30:31]
	v_mov_b32_e32 v52, s8
	s_add_i32 s8, s7, 0xfffff810
	v_mul_f64 v[30:31], v[60:61], v[30:31]
	ds_read_b64 v[60:61], v52
	v_mov_b32_e32 v52, s8
	ds_read2_b64 v[52:55], v52 offset1:1
	s_add_i32 s8, s7, 0xfffff800
	v_mov_b32_e32 v56, s8
	ds_read2_b64 v[56:59], v56 offset1:1
	s_waitcnt lgkmcnt(2)
	v_fma_f64 v[34:35], -v[8:9], v[60:61], v[34:35]
	s_waitcnt lgkmcnt(1)
	v_fma_f64 v[34:35], -v[12:13], v[54:55], v[34:35]
	v_add_u32_e32 v51, 0xfffff900, v50
	v_fma_f64 v[34:35], -v[10:11], v[52:53], v[34:35]
	s_add_i32 s8, s7, 0xfffff7f0
	ds_write_b64 v51, v[30:31]
	s_waitcnt lgkmcnt(1)
	v_fma_f64 v[34:35], -v[14:15], v[58:59], v[34:35]
	v_mov_b32_e32 v51, s8
	s_add_i32 s8, s7, 0xfffff7e0
	v_fma_f64 v[34:35], -v[16:17], v[56:57], v[34:35]
	v_mov_b32_e32 v56, s8
	ds_read2_b64 v[52:55], v51 offset1:1
	ds_read2_b64 v[56:59], v56 offset1:1
	s_add_i32 s8, s7, 0xfffff7d0
	v_mov_b32_e32 v51, s8
	ds_read2_b64 v[60:63], v51 offset1:1
	s_add_i32 s8, s7, 0xfffff738
	s_waitcnt lgkmcnt(2)
	v_fma_f64 v[34:35], -v[20:21], v[54:55], v[34:35]
	v_mov_b32_e32 v51, s8
	v_fma_f64 v[34:35], -v[22:23], v[52:53], v[34:35]
	ds_read2_b64 v[52:55], v51 offset1:1
	s_waitcnt lgkmcnt(2)
	v_fma_f64 v[34:35], -v[24:25], v[58:59], v[34:35]
	v_fma_f64 v[34:35], -v[28:29], v[56:57], v[34:35]
	s_add_i32 s8, s7, 0xfffff728
	s_waitcnt lgkmcnt(1)
	v_fma_f64 v[34:35], -v[30:31], v[62:63], v[34:35]
	v_mov_b32_e32 v51, s8
	v_mul_f64 v[34:35], v[60:61], v[34:35]
	ds_read2_b64 v[56:59], v51 offset1:1
	v_add_u32_e32 v51, 0xfffff820, v50
	s_add_i32 s8, s7, 0xfffff718
	ds_write_b64 v51, v[34:35]
	s_waitcnt lgkmcnt(2)
	v_fma_f64 v[36:37], -v[8:9], v[54:55], v[36:37]
	v_mov_b32_e32 v51, s8
	v_fma_f64 v[36:37], -v[12:13], v[52:53], v[36:37]
	ds_read2_b64 v[52:55], v51 offset1:1
	s_add_i32 s8, s7, 0xfffff708
	s_waitcnt lgkmcnt(2)
	v_fma_f64 v[36:37], -v[10:11], v[58:59], v[36:37]
	v_mov_b32_e32 v51, s8
	v_fma_f64 v[36:37], -v[14:15], v[56:57], v[36:37]
	ds_read2_b64 v[56:59], v51 offset1:1
	s_add_i32 s8, s7, 0xfffff6f8
	;; [unrolled: 6-line block ×3, first 2 shown]
	v_mov_b32_e32 v51, s8
	ds_read2_b64 v[60:63], v51 offset1:1
	s_waitcnt lgkmcnt(2)
	v_fma_f64 v[36:37], -v[22:23], v[58:59], v[36:37]
	v_fma_f64 v[36:37], -v[24:25], v[56:57], v[36:37]
	s_waitcnt lgkmcnt(1)
	v_fma_f64 v[36:37], -v[28:29], v[54:55], v[36:37]
	v_fma_f64 v[36:37], -v[30:31], v[52:53], v[36:37]
	s_add_i32 s8, s7, 0xfffff660
	s_waitcnt lgkmcnt(0)
	v_fma_f64 v[36:37], -v[34:35], v[62:63], v[36:37]
	v_mov_b32_e32 v52, s8
	s_add_i32 s8, s7, 0xfffff650
	v_mul_f64 v[36:37], v[60:61], v[36:37]
	ds_read_b64 v[60:61], v52
	v_mov_b32_e32 v52, s8
	ds_read2_b64 v[52:55], v52 offset1:1
	s_add_i32 s8, s7, 0xfffff640
	v_mov_b32_e32 v56, s8
	v_add_u32_e32 v51, 0xfffff740, v50
	ds_read2_b64 v[56:59], v56 offset1:1
	s_waitcnt lgkmcnt(2)
	v_fma_f64 v[40:41], -v[8:9], v[60:61], v[40:41]
	s_add_i32 s8, s7, 0xfffff630
	ds_write_b64 v51, v[36:37]
	s_waitcnt lgkmcnt(2)
	v_fma_f64 v[40:41], -v[12:13], v[54:55], v[40:41]
	v_mov_b32_e32 v51, s8
	v_fma_f64 v[40:41], -v[10:11], v[52:53], v[40:41]
	ds_read2_b64 v[52:55], v51 offset1:1
	s_add_i32 s8, s7, 0xfffff620
	s_waitcnt lgkmcnt(2)
	v_fma_f64 v[40:41], -v[14:15], v[58:59], v[40:41]
	v_mov_b32_e32 v51, s8
	v_fma_f64 v[40:41], -v[16:17], v[56:57], v[40:41]
	ds_read2_b64 v[56:59], v51 offset1:1
	s_add_i32 s8, s7, 0xfffff610
	;; [unrolled: 6-line block ×3, first 2 shown]
	v_mov_b32_e32 v51, s8
	ds_read2_b64 v[60:63], v51 offset1:1
	s_waitcnt lgkmcnt(2)
	v_fma_f64 v[40:41], -v[24:25], v[58:59], v[40:41]
	v_fma_f64 v[40:41], -v[28:29], v[56:57], v[40:41]
	s_waitcnt lgkmcnt(1)
	v_fma_f64 v[40:41], -v[30:31], v[54:55], v[40:41]
	s_add_i32 s8, s7, 0xfffff578
	v_fma_f64 v[40:41], -v[34:35], v[52:53], v[40:41]
	v_mov_b32_e32 v52, s8
	ds_read2_b64 v[52:55], v52 offset1:1
	s_waitcnt lgkmcnt(1)
	v_fma_f64 v[40:41], -v[36:37], v[62:63], v[40:41]
	v_mul_f64 v[40:41], v[60:61], v[40:41]
	v_add_u32_e32 v51, 0xfffff660, v50
	s_add_i32 s8, s7, 0xfffff568
	ds_write_b64 v51, v[40:41]
	v_mov_b32_e32 v51, s8
	ds_read2_b64 v[56:59], v51 offset1:1
	s_add_i32 s8, s7, 0xfffff558
	s_waitcnt lgkmcnt(2)
	v_fma_f64 v[44:45], -v[8:9], v[54:55], v[44:45]
	v_mov_b32_e32 v51, s8
	v_fma_f64 v[44:45], -v[12:13], v[52:53], v[44:45]
	ds_read2_b64 v[52:55], v51 offset1:1
	s_add_i32 s8, s7, 0xfffff548
	v_mov_b32_e32 v51, s8
	ds_read2_b64 v[60:63], v51 offset1:1
	s_waitcnt lgkmcnt(2)
	v_fma_f64 v[44:45], -v[10:11], v[58:59], v[44:45]
	s_add_i32 s8, s7, 0xfffff538
	v_fma_f64 v[44:45], -v[14:15], v[56:57], v[44:45]
	v_mov_b32_e32 v51, s8
	s_add_i32 s8, s7, 0xfffff528
	s_waitcnt lgkmcnt(1)
	v_fma_f64 v[44:45], -v[16:17], v[54:55], v[44:45]
	v_mov_b32_e32 v56, s8
	v_fma_f64 v[44:45], -v[20:21], v[52:53], v[44:45]
	ds_read2_b64 v[52:55], v51 offset1:1
	ds_read2_b64 v[56:59], v56 offset1:1
	s_add_i32 s8, s7, 0xfffff518
	s_waitcnt lgkmcnt(2)
	v_fma_f64 v[44:45], -v[22:23], v[62:63], v[44:45]
	v_mov_b32_e32 v51, s8
	v_fma_f64 v[44:45], -v[24:25], v[60:61], v[44:45]
	ds_read2_b64 v[60:63], v51 offset1:1
	s_waitcnt lgkmcnt(2)
	v_fma_f64 v[44:45], -v[28:29], v[54:55], v[44:45]
	v_fma_f64 v[44:45], -v[30:31], v[52:53], v[44:45]
	s_waitcnt lgkmcnt(1)
	v_fma_f64 v[44:45], -v[34:35], v[58:59], v[44:45]
	v_fma_f64 v[44:45], -v[36:37], v[56:57], v[44:45]
	s_waitcnt lgkmcnt(0)
	v_fma_f64 v[44:45], -v[40:41], v[62:63], v[44:45]
	s_add_i32 s8, s7, 0xfffff4a0
	v_mul_f64 v[44:45], v[60:61], v[44:45]
	v_add_u32_e32 v51, 0xfffff580, v50
	v_mov_b32_e32 v52, s8
	s_add_i32 s8, s7, 0xfffff490
	ds_read_b64 v[56:57], v52
	ds_write_b64 v51, v[44:45]
	v_mov_b32_e32 v51, s8
	ds_read2_b64 v[52:55], v51 offset1:1
	s_add_i32 s8, s7, 0xfffff480
	v_mov_b32_e32 v51, s8
	s_waitcnt lgkmcnt(2)
	v_fma_f64 v[48:49], -v[8:9], v[56:57], v[48:49]
	ds_read2_b64 v[56:59], v51 offset1:1
	s_add_i32 s8, s7, 0xfffff470
	s_waitcnt lgkmcnt(1)
	v_fma_f64 v[48:49], -v[12:13], v[54:55], v[48:49]
	v_mov_b32_e32 v51, s8
	v_fma_f64 v[48:49], -v[10:11], v[52:53], v[48:49]
	ds_read2_b64 v[52:55], v51 offset1:1
	s_add_i32 s8, s7, 0xfffff460
	v_mov_b32_e32 v51, s8
	ds_read2_b64 v[60:63], v51 offset1:1
	s_waitcnt lgkmcnt(2)
	v_fma_f64 v[48:49], -v[14:15], v[58:59], v[48:49]
	s_add_i32 s8, s7, 0xfffff450
	v_fma_f64 v[48:49], -v[16:17], v[56:57], v[48:49]
	v_mov_b32_e32 v51, s8
	s_add_i32 s8, s7, 0xfffff440
	s_waitcnt lgkmcnt(1)
	v_fma_f64 v[48:49], -v[20:21], v[54:55], v[48:49]
	v_mov_b32_e32 v56, s8
	v_fma_f64 v[48:49], -v[22:23], v[52:53], v[48:49]
	ds_read2_b64 v[52:55], v51 offset1:1
	ds_read2_b64 v[56:59], v56 offset1:1
	s_add_i32 s8, s7, 0xfffff430
	s_waitcnt lgkmcnt(2)
	v_fma_f64 v[48:49], -v[24:25], v[62:63], v[48:49]
	v_mov_b32_e32 v51, s8
	v_fma_f64 v[48:49], -v[28:29], v[60:61], v[48:49]
	ds_read2_b64 v[60:63], v51 offset1:1
	s_waitcnt lgkmcnt(2)
	v_fma_f64 v[48:49], -v[30:31], v[54:55], v[48:49]
	v_fma_f64 v[48:49], -v[34:35], v[52:53], v[48:49]
	s_add_i32 s8, s7, 0xfffff3b8
	s_waitcnt lgkmcnt(1)
	v_fma_f64 v[48:49], -v[36:37], v[58:59], v[48:49]
	v_mov_b32_e32 v52, s8
	v_fma_f64 v[48:49], -v[40:41], v[56:57], v[48:49]
	ds_read2_b64 v[52:55], v52 offset1:1
	s_waitcnt lgkmcnt(1)
	v_fma_f64 v[48:49], -v[44:45], v[62:63], v[48:49]
	v_mul_f64 v[48:49], v[60:61], v[48:49]
	v_add_u32_e32 v51, 0xfffff4a0, v50
	s_add_i32 s8, s7, 0xfffff3a8
	ds_write_b64 v51, v[48:49]
	v_mov_b32_e32 v51, s8
	ds_read2_b64 v[56:59], v51 offset1:1
	s_add_i32 s8, s7, 0xfffff398
	s_waitcnt lgkmcnt(2)
	v_fma_f64 v[46:47], -v[8:9], v[54:55], v[46:47]
	v_mov_b32_e32 v51, s8
	v_fma_f64 v[46:47], -v[12:13], v[52:53], v[46:47]
	ds_read2_b64 v[52:55], v51 offset1:1
	s_add_i32 s8, s7, 0xfffff388
	v_mov_b32_e32 v51, s8
	s_waitcnt lgkmcnt(1)
	v_fma_f64 v[46:47], -v[10:11], v[58:59], v[46:47]
	ds_read2_b64 v[60:63], v51 offset1:1
	v_fma_f64 v[46:47], -v[14:15], v[56:57], v[46:47]
	s_add_i32 s8, s7, 0xfffff378
	s_waitcnt lgkmcnt(1)
	v_fma_f64 v[46:47], -v[16:17], v[54:55], v[46:47]
	v_mov_b32_e32 v51, s8
	v_fma_f64 v[46:47], -v[20:21], v[52:53], v[46:47]
	ds_read2_b64 v[52:55], v51 offset1:1
	s_add_i32 s8, s7, 0xfffff368
	s_waitcnt lgkmcnt(1)
	v_fma_f64 v[46:47], -v[22:23], v[62:63], v[46:47]
	v_mov_b32_e32 v51, s8
	v_fma_f64 v[46:47], -v[24:25], v[60:61], v[46:47]
	ds_read2_b64 v[56:59], v51 offset1:1
	;; [unrolled: 6-line block ×3, first 2 shown]
	s_add_i32 s8, s7, 0xfffff348
	v_mov_b32_e32 v51, s8
	ds_read2_b64 v[60:63], v51 offset1:1
	s_waitcnt lgkmcnt(2)
	v_fma_f64 v[46:47], -v[34:35], v[58:59], v[46:47]
	v_fma_f64 v[46:47], -v[36:37], v[56:57], v[46:47]
	s_waitcnt lgkmcnt(1)
	v_fma_f64 v[46:47], -v[40:41], v[54:55], v[46:47]
	v_fma_f64 v[46:47], -v[44:45], v[52:53], v[46:47]
	s_waitcnt lgkmcnt(0)
	v_fma_f64 v[46:47], -v[48:49], v[62:63], v[46:47]
	s_add_i32 s8, s7, 0xfffff2e0
	v_mul_f64 v[46:47], v[60:61], v[46:47]
	v_add_u32_e32 v51, 0xfffff3c0, v50
	v_mov_b32_e32 v52, s8
	s_add_i32 s8, s7, 0xfffff2d0
	ds_read_b64 v[56:57], v52
	ds_write_b64 v51, v[46:47]
	v_mov_b32_e32 v51, s8
	ds_read2_b64 v[52:55], v51 offset1:1
	s_add_i32 s8, s7, 0xfffff2c0
	v_mov_b32_e32 v51, s8
	s_waitcnt lgkmcnt(2)
	v_fma_f64 v[42:43], -v[8:9], v[56:57], v[42:43]
	ds_read2_b64 v[56:59], v51 offset1:1
	s_add_i32 s8, s7, 0xfffff2b0
	s_waitcnt lgkmcnt(1)
	v_fma_f64 v[42:43], -v[12:13], v[54:55], v[42:43]
	v_mov_b32_e32 v51, s8
	v_fma_f64 v[42:43], -v[10:11], v[52:53], v[42:43]
	ds_read2_b64 v[52:55], v51 offset1:1
	s_add_i32 s8, s7, 0xfffff2a0
	v_mov_b32_e32 v51, s8
	s_waitcnt lgkmcnt(1)
	v_fma_f64 v[42:43], -v[14:15], v[58:59], v[42:43]
	ds_read2_b64 v[60:63], v51 offset1:1
	v_fma_f64 v[42:43], -v[16:17], v[56:57], v[42:43]
	s_add_i32 s8, s7, 0xfffff290
	s_waitcnt lgkmcnt(1)
	v_fma_f64 v[42:43], -v[20:21], v[54:55], v[42:43]
	v_mov_b32_e32 v51, s8
	v_fma_f64 v[42:43], -v[22:23], v[52:53], v[42:43]
	ds_read2_b64 v[52:55], v51 offset1:1
	s_add_i32 s8, s7, 0xfffff280
	s_waitcnt lgkmcnt(1)
	v_fma_f64 v[42:43], -v[24:25], v[62:63], v[42:43]
	v_mov_b32_e32 v51, s8
	v_fma_f64 v[42:43], -v[28:29], v[60:61], v[42:43]
	ds_read2_b64 v[56:59], v51 offset1:1
	;; [unrolled: 6-line block ×3, first 2 shown]
	s_add_i32 s8, s7, 0xfffff260
	v_mov_b32_e32 v51, s8
	s_waitcnt lgkmcnt(1)
	v_fma_f64 v[42:43], -v[36:37], v[58:59], v[42:43]
	ds_read2_b64 v[60:63], v51 offset1:1
	v_fma_f64 v[42:43], -v[40:41], v[56:57], v[42:43]
	s_add_i32 s8, s7, 0xfffff1f8
	s_waitcnt lgkmcnt(1)
	v_fma_f64 v[42:43], -v[44:45], v[54:55], v[42:43]
	v_mov_b32_e32 v51, s8
	v_fma_f64 v[42:43], -v[48:49], v[52:53], v[42:43]
	ds_read2_b64 v[52:55], v51 offset1:1
	s_add_i32 s8, s7, 0xfffff1e8
	s_waitcnt lgkmcnt(1)
	v_fma_f64 v[42:43], -v[46:47], v[62:63], v[42:43]
	v_mov_b32_e32 v51, s8
	v_mul_f64 v[42:43], v[60:61], v[42:43]
	ds_read2_b64 v[56:59], v51 offset1:1
	v_add_u32_e32 v51, 0xfffff2e0, v50
	s_add_i32 s8, s7, 0xfffff1d8
	ds_write_b64 v51, v[42:43]
	s_waitcnt lgkmcnt(2)
	v_fma_f64 v[38:39], -v[8:9], v[54:55], v[38:39]
	v_mov_b32_e32 v51, s8
	v_fma_f64 v[38:39], -v[12:13], v[52:53], v[38:39]
	ds_read2_b64 v[52:55], v51 offset1:1
	s_add_i32 s8, s7, 0xfffff1c8
	s_waitcnt lgkmcnt(2)
	v_fma_f64 v[38:39], -v[10:11], v[58:59], v[38:39]
	v_mov_b32_e32 v51, s8
	v_fma_f64 v[38:39], -v[14:15], v[56:57], v[38:39]
	ds_read2_b64 v[56:59], v51 offset1:1
	s_add_i32 s8, s7, 0xfffff1b8
	s_waitcnt lgkmcnt(1)
	v_fma_f64 v[38:39], -v[16:17], v[54:55], v[38:39]
	v_mov_b32_e32 v51, s8
	v_fma_f64 v[38:39], -v[20:21], v[52:53], v[38:39]
	ds_read2_b64 v[52:55], v51 offset1:1
	s_add_i32 s8, s7, 0xfffff1a8
	v_mov_b32_e32 v51, s8
	ds_read2_b64 v[60:63], v51 offset1:1
	s_waitcnt lgkmcnt(2)
	v_fma_f64 v[38:39], -v[22:23], v[58:59], v[38:39]
	s_add_i32 s8, s7, 0xfffff198
	v_fma_f64 v[38:39], -v[24:25], v[56:57], v[38:39]
	v_mov_b32_e32 v51, s8
	s_add_i32 s8, s7, 0xfffff188
	s_waitcnt lgkmcnt(1)
	v_fma_f64 v[38:39], -v[28:29], v[54:55], v[38:39]
	v_mov_b32_e32 v56, s8
	v_fma_f64 v[38:39], -v[30:31], v[52:53], v[38:39]
	ds_read2_b64 v[52:55], v51 offset1:1
	ds_read2_b64 v[56:59], v56 offset1:1
	s_add_i32 s8, s7, 0xfffff178
	s_waitcnt lgkmcnt(2)
	v_fma_f64 v[38:39], -v[34:35], v[62:63], v[38:39]
	v_mov_b32_e32 v51, s8
	v_fma_f64 v[38:39], -v[36:37], v[60:61], v[38:39]
	ds_read2_b64 v[60:63], v51 offset1:1
	s_waitcnt lgkmcnt(2)
	v_fma_f64 v[38:39], -v[40:41], v[54:55], v[38:39]
	v_fma_f64 v[38:39], -v[44:45], v[52:53], v[38:39]
	s_waitcnt lgkmcnt(1)
	v_fma_f64 v[38:39], -v[48:49], v[58:59], v[38:39]
	v_fma_f64 v[38:39], -v[46:47], v[56:57], v[38:39]
	s_add_i32 s8, s7, 0xfffff120
	s_waitcnt lgkmcnt(0)
	v_fma_f64 v[38:39], -v[42:43], v[62:63], v[38:39]
	v_mov_b32_e32 v52, s8
	s_add_i32 s8, s7, 0xfffff110
	v_mul_f64 v[38:39], v[60:61], v[38:39]
	ds_read_b64 v[60:61], v52
	v_mov_b32_e32 v52, s8
	ds_read2_b64 v[52:55], v52 offset1:1
	s_add_i32 s8, s7, 0xfffff100
	v_mov_b32_e32 v56, s8
	v_add_u32_e32 v51, 0xfffff200, v50
	ds_read2_b64 v[56:59], v56 offset1:1
	s_waitcnt lgkmcnt(2)
	v_fma_f64 v[32:33], -v[8:9], v[60:61], v[32:33]
	s_add_i32 s8, s7, 0xfffff0f0
	ds_write_b64 v51, v[38:39]
	s_waitcnt lgkmcnt(2)
	v_fma_f64 v[32:33], -v[12:13], v[54:55], v[32:33]
	v_mov_b32_e32 v51, s8
	v_fma_f64 v[32:33], -v[10:11], v[52:53], v[32:33]
	ds_read2_b64 v[52:55], v51 offset1:1
	s_add_i32 s8, s7, 0xfffff0e0
	s_waitcnt lgkmcnt(2)
	v_fma_f64 v[32:33], -v[14:15], v[58:59], v[32:33]
	v_mov_b32_e32 v51, s8
	v_fma_f64 v[32:33], -v[16:17], v[56:57], v[32:33]
	ds_read2_b64 v[56:59], v51 offset1:1
	s_add_i32 s8, s7, 0xfffff0d0
	;; [unrolled: 6-line block ×3, first 2 shown]
	v_mov_b32_e32 v51, s8
	ds_read2_b64 v[60:63], v51 offset1:1
	s_waitcnt lgkmcnt(2)
	v_fma_f64 v[32:33], -v[24:25], v[58:59], v[32:33]
	s_add_i32 s8, s7, 0xfffff0b0
	v_fma_f64 v[32:33], -v[28:29], v[56:57], v[32:33]
	v_mov_b32_e32 v51, s8
	s_add_i32 s8, s7, 0xfffff0a0
	s_waitcnt lgkmcnt(1)
	v_fma_f64 v[32:33], -v[30:31], v[54:55], v[32:33]
	v_mov_b32_e32 v56, s8
	v_fma_f64 v[32:33], -v[34:35], v[52:53], v[32:33]
	ds_read2_b64 v[52:55], v51 offset1:1
	ds_read2_b64 v[56:59], v56 offset1:1
	s_add_i32 s8, s7, 0xfffff090
	s_waitcnt lgkmcnt(2)
	v_fma_f64 v[32:33], -v[36:37], v[62:63], v[32:33]
	v_mov_b32_e32 v51, s8
	v_fma_f64 v[32:33], -v[40:41], v[60:61], v[32:33]
	ds_read2_b64 v[60:63], v51 offset1:1
	s_add_i32 s8, s7, 0xfffff038
	s_waitcnt lgkmcnt(2)
	v_fma_f64 v[32:33], -v[44:45], v[54:55], v[32:33]
	v_mov_b32_e32 v51, s8
	v_fma_f64 v[32:33], -v[48:49], v[52:53], v[32:33]
	ds_read2_b64 v[52:55], v51 offset1:1
	s_waitcnt lgkmcnt(2)
	v_fma_f64 v[32:33], -v[46:47], v[58:59], v[32:33]
	v_fma_f64 v[32:33], -v[42:43], v[56:57], v[32:33]
	s_add_i32 s8, s7, 0xfffff028
	s_waitcnt lgkmcnt(1)
	v_fma_f64 v[32:33], -v[38:39], v[62:63], v[32:33]
	v_mov_b32_e32 v51, s8
	v_mul_f64 v[32:33], v[60:61], v[32:33]
	ds_read2_b64 v[56:59], v51 offset1:1
	v_add_u32_e32 v51, 0xfffff120, v50
	s_add_i32 s8, s7, 0xfffff018
	ds_write_b64 v51, v[32:33]
	s_waitcnt lgkmcnt(2)
	v_fma_f64 v[26:27], -v[8:9], v[54:55], v[26:27]
	v_mov_b32_e32 v51, s8
	v_fma_f64 v[26:27], -v[12:13], v[52:53], v[26:27]
	ds_read2_b64 v[52:55], v51 offset1:1
	s_add_i32 s8, s7, 0xfffff008
	s_waitcnt lgkmcnt(2)
	v_fma_f64 v[26:27], -v[10:11], v[58:59], v[26:27]
	v_mov_b32_e32 v51, s8
	v_fma_f64 v[26:27], -v[14:15], v[56:57], v[26:27]
	ds_read2_b64 v[56:59], v51 offset1:1
	s_add_i32 s8, s7, 0xffffeff8
	;; [unrolled: 6-line block ×3, first 2 shown]
	v_mov_b32_e32 v51, s8
	s_waitcnt lgkmcnt(1)
	v_fma_f64 v[26:27], -v[22:23], v[58:59], v[26:27]
	ds_read2_b64 v[60:63], v51 offset1:1
	v_fma_f64 v[26:27], -v[24:25], v[56:57], v[26:27]
	s_add_i32 s8, s7, 0xffffefd8
	s_waitcnt lgkmcnt(1)
	v_fma_f64 v[26:27], -v[28:29], v[54:55], v[26:27]
	v_mov_b32_e32 v51, s8
	v_fma_f64 v[26:27], -v[30:31], v[52:53], v[26:27]
	ds_read2_b64 v[52:55], v51 offset1:1
	s_add_i32 s8, s7, 0xffffefc8
	s_waitcnt lgkmcnt(1)
	v_fma_f64 v[26:27], -v[34:35], v[62:63], v[26:27]
	v_mov_b32_e32 v51, s8
	v_fma_f64 v[26:27], -v[36:37], v[60:61], v[26:27]
	ds_read2_b64 v[56:59], v51 offset1:1
	;; [unrolled: 6-line block ×3, first 2 shown]
	s_add_i32 s8, s7, 0xffffefa8
	v_mov_b32_e32 v51, s8
	ds_read2_b64 v[60:63], v51 offset1:1
	s_waitcnt lgkmcnt(2)
	v_fma_f64 v[26:27], -v[48:49], v[58:59], v[26:27]
	v_fma_f64 v[26:27], -v[46:47], v[56:57], v[26:27]
	s_waitcnt lgkmcnt(1)
	v_fma_f64 v[26:27], -v[42:43], v[54:55], v[26:27]
	v_fma_f64 v[26:27], -v[38:39], v[52:53], v[26:27]
	s_add_i32 s8, s7, 0xffffef60
	s_waitcnt lgkmcnt(0)
	v_fma_f64 v[26:27], -v[32:33], v[62:63], v[26:27]
	v_mov_b32_e32 v52, s8
	s_add_i32 s8, s7, 0xffffef50
	v_mul_f64 v[26:27], v[60:61], v[26:27]
	ds_read_b64 v[60:61], v52
	v_mov_b32_e32 v52, s8
	ds_read2_b64 v[52:55], v52 offset1:1
	s_add_i32 s8, s7, 0xffffef40
	v_mov_b32_e32 v56, s8
	v_add_u32_e32 v51, 0xfffff040, v50
	ds_read2_b64 v[56:59], v56 offset1:1
	s_waitcnt lgkmcnt(2)
	v_fma_f64 v[18:19], -v[8:9], v[60:61], v[18:19]
	s_add_i32 s8, s7, 0xffffef30
	ds_write_b64 v51, v[26:27]
	s_waitcnt lgkmcnt(2)
	v_fma_f64 v[18:19], -v[12:13], v[54:55], v[18:19]
	v_mov_b32_e32 v51, s8
	v_fma_f64 v[18:19], -v[10:11], v[52:53], v[18:19]
	ds_read2_b64 v[52:55], v51 offset1:1
	s_add_i32 s8, s7, 0xffffef20
	s_waitcnt lgkmcnt(2)
	v_fma_f64 v[18:19], -v[14:15], v[58:59], v[18:19]
	v_mov_b32_e32 v51, s8
	v_fma_f64 v[18:19], -v[16:17], v[56:57], v[18:19]
	ds_read2_b64 v[56:59], v51 offset1:1
	s_add_i32 s8, s7, 0xffffef10
	;; [unrolled: 6-line block ×3, first 2 shown]
	v_mov_b32_e32 v51, s8
	s_waitcnt lgkmcnt(1)
	v_fma_f64 v[18:19], -v[24:25], v[58:59], v[18:19]
	ds_read2_b64 v[60:63], v51 offset1:1
	v_fma_f64 v[18:19], -v[28:29], v[56:57], v[18:19]
	s_add_i32 s8, s7, 0xffffeef0
	s_waitcnt lgkmcnt(1)
	v_fma_f64 v[18:19], -v[30:31], v[54:55], v[18:19]
	v_mov_b32_e32 v51, s8
	v_fma_f64 v[18:19], -v[34:35], v[52:53], v[18:19]
	ds_read2_b64 v[52:55], v51 offset1:1
	s_add_i32 s8, s7, 0xffffeee0
	s_waitcnt lgkmcnt(1)
	v_fma_f64 v[18:19], -v[36:37], v[62:63], v[18:19]
	v_mov_b32_e32 v51, s8
	v_fma_f64 v[18:19], -v[40:41], v[60:61], v[18:19]
	ds_read2_b64 v[56:59], v51 offset1:1
	;; [unrolled: 6-line block ×3, first 2 shown]
	s_add_i32 s8, s7, 0xffffeec0
	v_mov_b32_e32 v51, s8
	ds_read2_b64 v[60:63], v51 offset1:1
	s_waitcnt lgkmcnt(2)
	v_fma_f64 v[18:19], -v[46:47], v[58:59], v[18:19]
	v_fma_f64 v[18:19], -v[42:43], v[56:57], v[18:19]
	s_waitcnt lgkmcnt(1)
	v_fma_f64 v[18:19], -v[38:39], v[54:55], v[18:19]
	s_add_i32 s8, s7, 0xffffee78
	v_fma_f64 v[18:19], -v[32:33], v[52:53], v[18:19]
	v_mov_b32_e32 v52, s8
	ds_read2_b64 v[52:55], v52 offset1:1
	s_waitcnt lgkmcnt(1)
	v_fma_f64 v[18:19], -v[26:27], v[62:63], v[18:19]
	v_mul_f64 v[18:19], v[60:61], v[18:19]
	v_add_u32_e32 v51, 0xffffef60, v50
	s_add_i32 s8, s7, 0xffffee68
	ds_write_b64 v51, v[18:19]
	v_mov_b32_e32 v51, s8
	ds_read2_b64 v[56:59], v51 offset1:1
	s_add_i32 s8, s7, 0xffffee58
	s_waitcnt lgkmcnt(2)
	v_fma_f64 v[6:7], -v[8:9], v[54:55], v[6:7]
	v_mov_b32_e32 v51, s8
	v_fma_f64 v[6:7], -v[12:13], v[52:53], v[6:7]
	ds_read2_b64 v[52:55], v51 offset1:1
	s_add_i32 s8, s7, 0xffffee48
	v_mov_b32_e32 v51, s8
	s_waitcnt lgkmcnt(1)
	v_fma_f64 v[6:7], -v[10:11], v[58:59], v[6:7]
	ds_read2_b64 v[60:63], v51 offset1:1
	v_fma_f64 v[6:7], -v[14:15], v[56:57], v[6:7]
	s_add_i32 s8, s7, 0xffffee38
	s_waitcnt lgkmcnt(1)
	v_fma_f64 v[6:7], -v[16:17], v[54:55], v[6:7]
	v_mov_b32_e32 v51, s8
	v_fma_f64 v[6:7], -v[20:21], v[52:53], v[6:7]
	ds_read2_b64 v[52:55], v51 offset1:1
	s_add_i32 s8, s7, 0xffffee28
	s_waitcnt lgkmcnt(1)
	v_fma_f64 v[6:7], -v[22:23], v[62:63], v[6:7]
	v_mov_b32_e32 v51, s8
	v_fma_f64 v[6:7], -v[24:25], v[60:61], v[6:7]
	ds_read2_b64 v[56:59], v51 offset1:1
	;; [unrolled: 6-line block ×3, first 2 shown]
	s_add_i32 s8, s7, 0xffffee08
	v_mov_b32_e32 v51, s8
	ds_read2_b64 v[60:63], v51 offset1:1
	s_waitcnt lgkmcnt(2)
	v_fma_f64 v[6:7], -v[34:35], v[58:59], v[6:7]
	s_add_i32 s8, s7, 0xffffedf8
	v_fma_f64 v[6:7], -v[36:37], v[56:57], v[6:7]
	v_mov_b32_e32 v51, s8
	s_add_i32 s8, s7, 0xffffede8
	s_waitcnt lgkmcnt(1)
	v_fma_f64 v[6:7], -v[40:41], v[54:55], v[6:7]
	v_mov_b32_e32 v56, s8
	v_fma_f64 v[6:7], -v[44:45], v[52:53], v[6:7]
	ds_read2_b64 v[52:55], v51 offset1:1
	ds_read2_b64 v[56:59], v56 offset1:1
	s_add_i32 s8, s7, 0xffffedd8
	s_waitcnt lgkmcnt(2)
	v_fma_f64 v[6:7], -v[48:49], v[62:63], v[6:7]
	v_mov_b32_e32 v51, s8
	v_fma_f64 v[6:7], -v[46:47], v[60:61], v[6:7]
	ds_read2_b64 v[60:63], v51 offset1:1
	s_waitcnt lgkmcnt(2)
	v_fma_f64 v[6:7], -v[42:43], v[54:55], v[6:7]
	v_fma_f64 v[6:7], -v[38:39], v[52:53], v[6:7]
	s_waitcnt lgkmcnt(1)
	v_fma_f64 v[6:7], -v[32:33], v[58:59], v[6:7]
	v_fma_f64 v[6:7], -v[26:27], v[56:57], v[6:7]
	s_waitcnt lgkmcnt(0)
	v_fma_f64 v[6:7], -v[18:19], v[62:63], v[6:7]
	s_add_i32 s8, s7, 0xffffeda0
	v_mul_f64 v[60:61], v[60:61], v[6:7]
	v_mov_b32_e32 v6, s8
	v_add_u32_e32 v51, 0xffffee80, v50
	ds_read_b64 v[6:7], v6
	s_add_i32 s8, s7, 0xffffed90
	ds_write_b64 v51, v[60:61]
	v_mov_b32_e32 v51, s8
	ds_read2_b64 v[52:55], v51 offset1:1
	s_add_i32 s8, s7, 0xffffed80
	s_waitcnt lgkmcnt(2)
	v_fma_f64 v[56:57], -v[8:9], v[6:7], v[4:5]
	v_mov_b32_e32 v4, s8
	ds_read2_b64 v[4:7], v4 offset1:1
	s_add_i32 s8, s7, 0xffffed70
	s_waitcnt lgkmcnt(1)
	v_fma_f64 v[54:55], -v[12:13], v[54:55], v[56:57]
	v_mov_b32_e32 v51, s8
	v_fma_f64 v[62:63], -v[10:11], v[52:53], v[54:55]
	ds_read2_b64 v[52:55], v51 offset1:1
	s_add_i32 s8, s7, 0xffffed60
	v_mov_b32_e32 v51, s8
	ds_read2_b64 v[56:59], v51 offset1:1
	s_waitcnt lgkmcnt(2)
	v_fma_f64 v[6:7], -v[14:15], v[6:7], v[62:63]
	v_fma_f64 v[4:5], -v[16:17], v[4:5], v[6:7]
	s_waitcnt lgkmcnt(1)
	v_fma_f64 v[4:5], -v[20:21], v[54:55], v[4:5]
	v_fma_f64 v[4:5], -v[22:23], v[52:53], v[4:5]
	s_add_i32 s8, s7, 0xffffed50
	s_waitcnt lgkmcnt(0)
	v_fma_f64 v[52:53], -v[24:25], v[58:59], v[4:5]
	v_mov_b32_e32 v4, s8
	ds_read2_b64 v[4:7], v4 offset1:1
	s_add_i32 s8, s7, 0xffffed40
	v_fma_f64 v[56:57], -v[28:29], v[56:57], v[52:53]
	v_mov_b32_e32 v51, s8
	ds_read2_b64 v[52:55], v51 offset1:1
	s_waitcnt lgkmcnt(1)
	v_fma_f64 v[6:7], -v[30:31], v[6:7], v[56:57]
	s_add_i32 s8, s7, 0xffffed30
	v_fma_f64 v[62:63], -v[34:35], v[4:5], v[6:7]
	v_mov_b32_e32 v4, s8
	ds_read2_b64 v[4:7], v4 offset1:1
	s_add_i32 s8, s7, 0xffffed20
	v_mov_b32_e32 v51, s8
	ds_read2_b64 v[56:59], v51 offset1:1
	s_waitcnt lgkmcnt(2)
	v_fma_f64 v[54:55], -v[36:37], v[54:55], v[62:63]
	v_fma_f64 v[52:53], -v[40:41], v[52:53], v[54:55]
	s_waitcnt lgkmcnt(1)
	v_fma_f64 v[6:7], -v[44:45], v[6:7], v[52:53]
	v_fma_f64 v[4:5], -v[48:49], v[4:5], v[6:7]
	s_waitcnt lgkmcnt(0)
	v_fma_f64 v[4:5], -v[46:47], v[58:59], v[4:5]
	s_add_i32 s8, s7, 0xffffed10
	v_fma_f64 v[62:63], -v[42:43], v[56:57], v[4:5]
	v_mov_b32_e32 v4, s8
	s_add_i32 s8, s7, 0xffffed00
	v_mov_b32_e32 v51, s8
	ds_read2_b64 v[4:7], v4 offset1:1
	ds_read2_b64 v[52:55], v51 offset1:1
	s_add_i32 s8, s7, 0xffffecf0
	v_mov_b32_e32 v51, s8
	ds_read2_b64 v[56:59], v51 offset1:1
	s_waitcnt lgkmcnt(2)
	v_fma_f64 v[6:7], -v[38:39], v[6:7], v[62:63]
	v_fma_f64 v[4:5], -v[32:33], v[4:5], v[6:7]
	s_waitcnt lgkmcnt(1)
	v_fma_f64 v[4:5], -v[26:27], v[54:55], v[4:5]
	v_fma_f64 v[4:5], -v[18:19], v[52:53], v[4:5]
	s_waitcnt lgkmcnt(0)
	v_fma_f64 v[4:5], -v[60:61], v[58:59], v[4:5]
	s_add_i32 s8, s7, 0xffffecb8
	v_mul_f64 v[56:57], v[56:57], v[4:5]
	v_mov_b32_e32 v4, s8
	ds_read2_b64 v[4:7], v4 offset1:1
	v_add_u32_e32 v51, 0xffffeda0, v50
	s_add_i32 s8, s7, 0xffffeca8
	ds_write_b64 v51, v[56:57]
	v_mov_b32_e32 v51, s8
	ds_read2_b64 v[52:55], v51 offset1:1
	s_waitcnt lgkmcnt(2)
	v_fma_f64 v[2:3], -v[8:9], v[6:7], v[2:3]
	s_add_i32 s8, s7, 0xffffec98
	v_fma_f64 v[12:13], -v[12:13], v[4:5], v[2:3]
	v_mov_b32_e32 v2, s8
	ds_read2_b64 v[2:5], v2 offset1:1
	s_add_i32 s8, s7, 0xffffec88
	v_mov_b32_e32 v6, s8
	ds_read2_b64 v[6:9], v6 offset1:1
	s_waitcnt lgkmcnt(2)
	v_fma_f64 v[10:11], -v[10:11], v[54:55], v[12:13]
	v_fma_f64 v[10:11], -v[14:15], v[52:53], v[10:11]
	s_waitcnt lgkmcnt(1)
	v_fma_f64 v[4:5], -v[16:17], v[4:5], v[10:11]
	v_fma_f64 v[2:3], -v[20:21], v[2:3], v[4:5]
	s_add_i32 s8, s7, 0xffffec78
	s_waitcnt lgkmcnt(0)
	v_fma_f64 v[8:9], -v[22:23], v[8:9], v[2:3]
	v_mov_b32_e32 v2, s8
	ds_read2_b64 v[2:5], v2 offset1:1
	s_add_i32 s8, s7, 0xffffec68
	v_fma_f64 v[10:11], -v[24:25], v[6:7], v[8:9]
	v_mov_b32_e32 v6, s8
	ds_read2_b64 v[6:9], v6 offset1:1
	s_waitcnt lgkmcnt(1)
	v_fma_f64 v[4:5], -v[28:29], v[4:5], v[10:11]
	s_add_i32 s8, s7, 0xffffec58
	v_fma_f64 v[14:15], -v[30:31], v[2:3], v[4:5]
	v_mov_b32_e32 v2, s8
	ds_read2_b64 v[2:5], v2 offset1:1
	s_add_i32 s8, s7, 0xffffec48
	v_mov_b32_e32 v10, s8
	ds_read2_b64 v[10:13], v10 offset1:1
	s_waitcnt lgkmcnt(2)
	v_fma_f64 v[8:9], -v[34:35], v[8:9], v[14:15]
	v_fma_f64 v[6:7], -v[36:37], v[6:7], v[8:9]
	s_waitcnt lgkmcnt(1)
	v_fma_f64 v[4:5], -v[40:41], v[4:5], v[6:7]
	v_fma_f64 v[2:3], -v[44:45], v[2:3], v[4:5]
	s_add_i32 s8, s7, 0xffffec38
	s_waitcnt lgkmcnt(0)
	v_fma_f64 v[6:7], -v[48:49], v[12:13], v[2:3]
	v_mov_b32_e32 v2, s8
	ds_read2_b64 v[2:5], v2 offset1:1
	s_add_i32 s8, s7, 0xffffec28
	v_fma_f64 v[10:11], -v[46:47], v[10:11], v[6:7]
	v_mov_b32_e32 v6, s8
	ds_read2_b64 v[6:9], v6 offset1:1
	s_waitcnt lgkmcnt(1)
	v_fma_f64 v[4:5], -v[42:43], v[4:5], v[10:11]
	s_add_i32 s8, s7, 0xffffec18
	v_fma_f64 v[14:15], -v[38:39], v[2:3], v[4:5]
	v_mov_b32_e32 v2, s8
	ds_read2_b64 v[2:5], v2 offset1:1
	s_addk_i32 s7, 0xec08
	v_mov_b32_e32 v10, s7
	ds_read2_b64 v[10:13], v10 offset1:1
	s_waitcnt lgkmcnt(2)
	v_fma_f64 v[8:9], -v[32:33], v[8:9], v[14:15]
	v_fma_f64 v[6:7], -v[26:27], v[6:7], v[8:9]
	s_waitcnt lgkmcnt(1)
	v_fma_f64 v[4:5], -v[18:19], v[4:5], v[6:7]
	v_fma_f64 v[2:3], -v[60:61], v[2:3], v[4:5]
	s_waitcnt lgkmcnt(0)
	v_fma_f64 v[2:3], -v[56:57], v[12:13], v[2:3]
	v_mul_f64 v[2:3], v[10:11], v[2:3]
	v_add_u32_e32 v4, 0xffffecc0, v50
	s_sub_i32 s5, s5, 24
	ds_write_b64 v4, v[2:3]
.LBB99_18:
	s_cmp_lt_i32 s5, 0
	s_cbranch_scc1 .LBB99_31
; %bb.19:
	s_bitcmp1_b32 s5, 0
	s_cselect_b64 s[8:9], -1, 0
	s_and_b64 vcc, exec, s[8:9]
	s_mov_b32 s7, s5
	s_cbranch_vccnz .LBB99_24
; %bb.20:
	s_mul_i32 s7, s5, 0xe0
	v_add_u32_e32 v4, s7, v1
	ds_read_b64 v[2:3], v4
	s_cmp_le_i32 s4, s5
	s_cbranch_scc1 .LBB99_23
; %bb.21:
	s_lshl_b32 s8, s22, 3
	s_add_i32 s7, s7, s8
	s_mul_i32 s8, s22, 0xe0
	v_lshl_add_u32 v5, v0, 3, s8
	s_add_i32 s7, s7, -8
	v_add_u32_e32 v5, 0x17a0, v5
	s_mov_b32 s8, s4
.LBB99_22:                              ; =>This Inner Loop Header: Depth=1
	v_mov_b32_e32 v8, s7
	ds_read_b64 v[6:7], v5
	ds_read_b64 v[8:9], v8
	s_add_i32 s8, s8, -1
	s_add_i32 s7, s7, -8
	v_add_u32_e32 v5, 0xffffff20, v5
	s_cmp_gt_i32 s8, s5
	s_waitcnt lgkmcnt(0)
	v_fma_f64 v[2:3], -v[6:7], v[8:9], v[2:3]
	s_cbranch_scc1 .LBB99_22
.LBB99_23:
	s_mul_i32 s7, s5, 0xe8
	v_mov_b32_e32 v5, s7
	ds_read_b64 v[6:7], v5
	s_add_i32 s7, s5, -1
	s_waitcnt lgkmcnt(0)
	v_mul_f64 v[2:3], v[6:7], v[2:3]
	ds_write_b64 v4, v[2:3]
.LBB99_24:
	s_cmp_eq_u32 s5, 0
	s_cbranch_scc1 .LBB99_31
; %bb.25:
	s_mul_i32 s5, s7, 0xe0
	s_lshl_b32 s8, s22, 3
	s_mul_i32 s9, s22, 0xe0
	s_add_i32 s8, s5, s8
	v_lshl_add_u32 v2, v0, 3, s9
	s_add_i32 s5, s8, -8
	v_add_u32_e32 v6, 0x17a0, v2
	s_addk_i32 s8, 0xff18
	s_branch .LBB99_27
.LBB99_26:                              ;   in Loop: Header=BB99_27 Depth=1
	s_addk_i32 s9, 0xff18
	v_mov_b32_e32 v2, s9
	ds_read_b64 v[2:3], v2
	s_add_i32 s9, s7, -2
	s_addk_i32 s5, 0xfe40
	s_addk_i32 s8, 0xfe40
	s_cmp_lt_i32 s7, 2
	s_waitcnt lgkmcnt(0)
	v_mul_f64 v[2:3], v[2:3], v[4:5]
	s_mov_b32 s7, s9
	ds_write_b64 v7, v[2:3]
	s_cbranch_scc1 .LBB99_31
.LBB99_27:                              ; =>This Loop Header: Depth=1
                                        ;     Child Loop BB99_28 Depth 2
                                        ;     Child Loop BB99_30 Depth 2
	s_mul_i32 s12, s7, 0xe0
	v_add_u32_e32 v8, s12, v1
	ds_read_b64 v[2:3], v8
	s_cmp_le_i32 s4, s7
	v_mov_b32_e32 v4, v6
	s_mov_b32 s9, s5
	s_mov_b32 s13, s4
	s_cbranch_scc1 .LBB99_29
.LBB99_28:                              ;   Parent Loop BB99_27 Depth=1
                                        ; =>  This Inner Loop Header: Depth=2
	v_mov_b32_e32 v5, s9
	ds_read_b64 v[10:11], v4
	ds_read_b64 v[12:13], v5
	s_add_i32 s13, s13, -1
	s_add_i32 s9, s9, -8
	v_add_u32_e32 v4, 0xffffff20, v4
	s_cmp_gt_i32 s13, s7
	s_waitcnt lgkmcnt(0)
	v_fma_f64 v[2:3], -v[10:11], v[12:13], v[2:3]
	s_cbranch_scc1 .LBB99_28
.LBB99_29:                              ;   in Loop: Header=BB99_27 Depth=1
	s_mul_i32 s9, s7, 0xe8
	v_mov_b32_e32 v4, s9
	ds_read_b64 v[10:11], v4
	s_addk_i32 s12, 0xff20
	v_add_u32_e32 v7, s12, v1
	ds_read_b64 v[4:5], v7
	s_cmp_le_i32 s22, s7
	s_waitcnt lgkmcnt(1)
	v_mul_f64 v[2:3], v[10:11], v[2:3]
	ds_write_b64 v8, v[2:3]
	v_mov_b32_e32 v2, v6
	s_mov_b32 s12, s8
	s_mov_b32 s13, s22
	s_cbranch_scc1 .LBB99_26
.LBB99_30:                              ;   Parent Loop BB99_27 Depth=1
                                        ; =>  This Inner Loop Header: Depth=2
	v_mov_b32_e32 v3, s12
	ds_read_b64 v[8:9], v2
	ds_read_b64 v[10:11], v3
	s_add_i32 s13, s13, -1
	s_add_i32 s12, s12, -8
	v_add_u32_e32 v2, 0xffffff20, v2
	s_cmp_gt_i32 s13, s7
	s_waitcnt lgkmcnt(0)
	v_fma_f64 v[4:5], -v[8:9], v[10:11], v[4:5]
	s_cbranch_scc1 .LBB99_30
	s_branch .LBB99_26
.LBB99_31:
	s_mov_b64 s[4:5], 0
.LBB99_32:
	s_and_b64 vcc, exec, s[4:5]
	s_cbranch_vccz .LBB99_46
; %bb.33:
	s_cmp_gt_i32 s6, 27
	s_cselect_b64 s[4:5], -1, 0
	s_mov_b32 s8, 0
	s_and_b64 vcc, exec, s[4:5]
	s_cbranch_vccz .LBB99_35
; %bb.34:
	v_add_u32_e32 v90, 0x800, v1
	v_add_u32_e32 v94, 0xc00, v1
	;; [unrolled: 1-line block ×3, first 2 shown]
	v_mov_b32_e32 v97, 0
	ds_read2_b64 v[22:25], v1 offset1:28
	ds_read2_b64 v[26:29], v1 offset0:56 offset1:84
	ds_read2_b64 v[30:33], v1 offset0:112 offset1:140
	;; [unrolled: 1-line block ×13, first 2 shown]
	ds_read_b128 v[42:45], v97
	s_movk_i32 s8, 0x800
	s_movk_i32 s7, 0xc00
	;; [unrolled: 1-line block ×3, first 2 shown]
	s_waitcnt lgkmcnt(0)
	v_mul_f64 v[92:93], v[42:43], v[22:23]
	v_fma_f64 v[42:43], -v[92:93], v[44:45], v[24:25]
	ds_read2_b64 v[22:25], v97 offset0:29 offset1:30
	s_waitcnt lgkmcnt(0)
	v_mul_f64 v[44:45], v[22:23], v[42:43]
	ds_write2_b64 v1, v[92:93], v[44:45] offset1:28
	ds_read_b128 v[46:49], v97 offset:16
	ds_read_b128 v[50:53], v97 offset:32
	s_waitcnt lgkmcnt(1)
	v_fma_f64 v[22:23], -v[92:93], v[46:47], v[26:27]
	v_fma_f64 v[26:27], -v[44:45], v[24:25], v[22:23]
	ds_read_b128 v[22:25], v97 offset:464
	s_waitcnt lgkmcnt(0)
	v_mul_f64 v[46:47], v[22:23], v[26:27]
	v_fma_f64 v[22:23], -v[92:93], v[48:49], v[28:29]
	ds_read2_b64 v[26:29], v97 offset0:31 offset1:32
	s_waitcnt lgkmcnt(0)
	v_fma_f64 v[22:23], -v[44:45], v[26:27], v[22:23]
	v_fma_f64 v[26:27], -v[46:47], v[24:25], v[22:23]
	ds_read2_b64 v[22:25], v97 offset0:87 offset1:88
	s_waitcnt lgkmcnt(0)
	v_mul_f64 v[48:49], v[22:23], v[26:27]
	v_fma_f64 v[22:23], -v[92:93], v[50:51], v[30:31]
	v_fma_f64 v[22:23], -v[44:45], v[28:29], v[22:23]
	ds_read_b128 v[26:29], v97 offset:480
	ds_write2_b64 v1, v[46:47], v[48:49] offset0:56 offset1:84
	s_waitcnt lgkmcnt(1)
	v_fma_f64 v[22:23], -v[46:47], v[26:27], v[22:23]
	v_fma_f64 v[26:27], -v[48:49], v[24:25], v[22:23]
	ds_read_b128 v[22:25], v97 offset:928
	s_waitcnt lgkmcnt(0)
	v_mul_f64 v[50:51], v[22:23], v[26:27]
	v_fma_f64 v[22:23], -v[92:93], v[52:53], v[32:33]
	ds_read2_b64 v[30:33], v97 offset0:33 offset1:34
	s_waitcnt lgkmcnt(0)
	v_fma_f64 v[22:23], -v[44:45], v[30:31], v[22:23]
	v_fma_f64 v[22:23], -v[46:47], v[28:29], v[22:23]
	ds_read2_b64 v[26:29], v97 offset0:89 offset1:90
	s_waitcnt lgkmcnt(0)
	v_fma_f64 v[22:23], -v[48:49], v[26:27], v[22:23]
	v_fma_f64 v[26:27], -v[50:51], v[24:25], v[22:23]
	ds_read2_b64 v[22:25], v97 offset0:145 offset1:146
	s_waitcnt lgkmcnt(0)
	v_mul_f64 v[52:53], v[22:23], v[26:27]
	ds_write2_b64 v1, v[50:51], v[52:53] offset0:112 offset1:140
	ds_read_b128 v[54:57], v97 offset:48
	ds_read_b128 v[74:77], v97 offset:64
	s_waitcnt lgkmcnt(1)
	v_fma_f64 v[22:23], -v[92:93], v[54:55], v[38:39]
	v_fma_f64 v[22:23], -v[44:45], v[32:33], v[22:23]
	ds_read_b128 v[30:33], v97 offset:496
	s_waitcnt lgkmcnt(0)
	v_fma_f64 v[22:23], -v[46:47], v[30:31], v[22:23]
	v_fma_f64 v[22:23], -v[48:49], v[28:29], v[22:23]
	;; [unrolled: 4-line block ×3, first 2 shown]
	ds_read_b128 v[22:25], v97 offset:1392
	s_waitcnt lgkmcnt(0)
	v_mul_f64 v[54:55], v[22:23], v[26:27]
	v_fma_f64 v[22:23], -v[92:93], v[56:57], v[40:41]
	ds_read2_b64 v[38:41], v97 offset0:35 offset1:36
	s_waitcnt lgkmcnt(0)
	v_fma_f64 v[22:23], -v[44:45], v[38:39], v[22:23]
	v_fma_f64 v[22:23], -v[46:47], v[32:33], v[22:23]
	ds_read2_b64 v[30:33], v97 offset0:91 offset1:92
	s_waitcnt lgkmcnt(0)
	v_fma_f64 v[22:23], -v[48:49], v[30:31], v[22:23]
	;; [unrolled: 4-line block ×3, first 2 shown]
	v_fma_f64 v[26:27], -v[54:55], v[24:25], v[22:23]
	ds_read2_b64 v[22:25], v97 offset0:203 offset1:204
	s_waitcnt lgkmcnt(0)
	v_mul_f64 v[56:57], v[22:23], v[26:27]
	v_fma_f64 v[22:23], -v[92:93], v[74:75], v[58:59]
	v_fma_f64 v[22:23], -v[44:45], v[40:41], v[22:23]
	ds_read_b128 v[38:41], v97 offset:512
	ds_write2_b64 v1, v[54:55], v[56:57] offset0:168 offset1:196
	s_waitcnt lgkmcnt(1)
	v_fma_f64 v[22:23], -v[46:47], v[38:39], v[22:23]
	v_fma_f64 v[22:23], -v[48:49], v[32:33], v[22:23]
	ds_read_b128 v[30:33], v97 offset:960
	s_waitcnt lgkmcnt(0)
	v_fma_f64 v[22:23], -v[50:51], v[30:31], v[22:23]
	v_fma_f64 v[22:23], -v[52:53], v[28:29], v[22:23]
	ds_read_b128 v[26:29], v97 offset:1408
	;; [unrolled: 4-line block ×3, first 2 shown]
	s_waitcnt lgkmcnt(0)
	v_mul_f64 v[58:59], v[22:23], v[26:27]
	v_fma_f64 v[22:23], -v[92:93], v[76:77], v[60:61]
	ds_read2_b64 v[74:77], v97 offset0:37 offset1:38
	s_waitcnt lgkmcnt(0)
	v_fma_f64 v[22:23], -v[44:45], v[74:75], v[22:23]
	v_fma_f64 v[22:23], -v[46:47], v[40:41], v[22:23]
	ds_read2_b64 v[38:41], v97 offset0:93 offset1:94
	s_waitcnt lgkmcnt(0)
	v_fma_f64 v[22:23], -v[48:49], v[38:39], v[22:23]
	;; [unrolled: 4-line block ×4, first 2 shown]
	v_fma_f64 v[26:27], -v[58:59], v[24:25], v[22:23]
	v_mov_b32_e32 v22, 0x828
	ds_read2_b64 v[22:25], v22 offset1:1
	s_waitcnt lgkmcnt(0)
	v_mul_f64 v[60:61], v[22:23], v[26:27]
	ds_write2_b64 v1, v[58:59], v[60:61] offset0:224 offset1:252
	ds_read_b128 v[78:81], v97 offset:80
	ds_read_b128 v[82:85], v97 offset:96
	;; [unrolled: 1-line block ×5, first 2 shown]
	s_waitcnt lgkmcnt(4)
	v_fma_f64 v[22:23], -v[92:93], v[78:79], v[62:63]
	v_fma_f64 v[22:23], -v[44:45], v[76:77], v[22:23]
	ds_read_b128 v[74:77], v97 offset:528
	s_waitcnt lgkmcnt(2)
	v_fma_f64 v[10:11], -v[92:93], v[98:99], v[10:11]
	ds_read_b128 v[106:109], v97 offset:176
	ds_read_b128 v[110:113], v97 offset:3312
	ds_read_b128 v[122:125], v97 offset:192
	s_waitcnt lgkmcnt(3)
	v_fma_f64 v[22:23], -v[46:47], v[74:75], v[22:23]
	v_fma_f64 v[22:23], -v[48:49], v[40:41], v[22:23]
	ds_read_b128 v[38:41], v97 offset:976
	s_waitcnt lgkmcnt(3)
	v_fma_f64 v[6:7], -v[92:93], v[106:107], v[6:7]
	s_waitcnt lgkmcnt(0)
	v_fma_f64 v[22:23], -v[50:51], v[38:39], v[22:23]
	v_fma_f64 v[22:23], -v[52:53], v[32:33], v[22:23]
	ds_read_b128 v[30:33], v97 offset:1424
	s_waitcnt lgkmcnt(0)
	v_fma_f64 v[22:23], -v[54:55], v[30:31], v[22:23]
	v_fma_f64 v[22:23], -v[56:57], v[28:29], v[22:23]
	ds_read_b128 v[26:29], v97 offset:1872
	;; [unrolled: 4-line block ×3, first 2 shown]
	s_waitcnt lgkmcnt(0)
	v_mul_f64 v[62:63], v[22:23], v[26:27]
	v_fma_f64 v[22:23], -v[92:93], v[80:81], v[64:65]
	ds_read2_b64 v[78:81], v97 offset0:39 offset1:40
	v_mov_b32_e32 v26, 0x838
	s_waitcnt lgkmcnt(0)
	v_fma_f64 v[22:23], -v[44:45], v[78:79], v[22:23]
	v_fma_f64 v[22:23], -v[46:47], v[76:77], v[22:23]
	ds_read2_b64 v[74:77], v97 offset0:95 offset1:96
	s_waitcnt lgkmcnt(0)
	v_fma_f64 v[22:23], -v[48:49], v[74:75], v[22:23]
	v_fma_f64 v[22:23], -v[50:51], v[40:41], v[22:23]
	ds_read2_b64 v[38:41], v97 offset0:151 offset1:152
	;; [unrolled: 4-line block ×3, first 2 shown]
	s_waitcnt lgkmcnt(0)
	v_fma_f64 v[22:23], -v[56:57], v[30:31], v[22:23]
	v_fma_f64 v[22:23], -v[58:59], v[28:29], v[22:23]
	ds_read2_b64 v[26:29], v26 offset1:1
	s_waitcnt lgkmcnt(0)
	v_fma_f64 v[22:23], -v[60:61], v[26:27], v[22:23]
	v_fma_f64 v[26:27], -v[62:63], v[24:25], v[22:23]
	v_mov_b32_e32 v22, 0x9f8
	ds_read2_b64 v[22:25], v22 offset1:1
	s_waitcnt lgkmcnt(0)
	v_mul_f64 v[64:65], v[22:23], v[26:27]
	v_fma_f64 v[22:23], -v[92:93], v[82:83], v[66:67]
	v_fma_f64 v[22:23], -v[44:45], v[80:81], v[22:23]
	ds_read_b128 v[78:81], v97 offset:544
	ds_write2_b64 v90, v[62:63], v[64:65] offset0:24 offset1:52
	s_waitcnt lgkmcnt(1)
	v_fma_f64 v[22:23], -v[46:47], v[78:79], v[22:23]
	v_fma_f64 v[22:23], -v[48:49], v[76:77], v[22:23]
	ds_read_b128 v[74:77], v97 offset:992
	s_waitcnt lgkmcnt(0)
	v_fma_f64 v[22:23], -v[50:51], v[74:75], v[22:23]
	v_fma_f64 v[22:23], -v[52:53], v[40:41], v[22:23]
	ds_read_b128 v[38:41], v97 offset:1440
	;; [unrolled: 4-line block ×5, first 2 shown]
	s_waitcnt lgkmcnt(0)
	v_mul_f64 v[66:67], v[22:23], v[26:27]
	v_fma_f64 v[22:23], -v[92:93], v[84:85], v[68:69]
	ds_read2_b64 v[82:85], v97 offset0:41 offset1:42
	v_mov_b32_e32 v26, 0x848
	s_waitcnt lgkmcnt(0)
	v_fma_f64 v[22:23], -v[44:45], v[82:83], v[22:23]
	v_fma_f64 v[22:23], -v[46:47], v[80:81], v[22:23]
	ds_read2_b64 v[78:81], v97 offset0:97 offset1:98
	s_waitcnt lgkmcnt(0)
	v_fma_f64 v[22:23], -v[48:49], v[78:79], v[22:23]
	v_fma_f64 v[22:23], -v[50:51], v[76:77], v[22:23]
	ds_read2_b64 v[74:77], v97 offset0:153 offset1:154
	;; [unrolled: 4-line block ×3, first 2 shown]
	s_waitcnt lgkmcnt(0)
	v_fma_f64 v[22:23], -v[56:57], v[38:39], v[22:23]
	v_fma_f64 v[22:23], -v[58:59], v[32:33], v[22:23]
	ds_read2_b64 v[30:33], v26 offset1:1
	v_mov_b32_e32 v26, 0xa08
	s_waitcnt lgkmcnt(0)
	v_fma_f64 v[22:23], -v[60:61], v[30:31], v[22:23]
	v_fma_f64 v[22:23], -v[62:63], v[28:29], v[22:23]
	ds_read2_b64 v[26:29], v26 offset1:1
	s_waitcnt lgkmcnt(0)
	v_fma_f64 v[22:23], -v[64:65], v[26:27], v[22:23]
	v_fma_f64 v[26:27], -v[66:67], v[24:25], v[22:23]
	v_mov_b32_e32 v22, 0xbc8
	ds_read2_b64 v[22:25], v22 offset1:1
	s_waitcnt lgkmcnt(0)
	v_mul_f64 v[68:69], v[22:23], v[26:27]
	v_fma_f64 v[22:23], -v[92:93], v[86:87], v[70:71]
	v_fma_f64 v[22:23], -v[44:45], v[84:85], v[22:23]
	ds_read_b128 v[82:85], v97 offset:560
	ds_write2_b64 v90, v[66:67], v[68:69] offset0:80 offset1:108
	s_waitcnt lgkmcnt(1)
	v_fma_f64 v[22:23], -v[46:47], v[82:83], v[22:23]
	v_fma_f64 v[22:23], -v[48:49], v[80:81], v[22:23]
	ds_read_b128 v[78:81], v97 offset:1008
	s_waitcnt lgkmcnt(0)
	v_fma_f64 v[22:23], -v[50:51], v[78:79], v[22:23]
	v_fma_f64 v[22:23], -v[52:53], v[76:77], v[22:23]
	ds_read_b128 v[74:77], v97 offset:1456
	;; [unrolled: 4-line block ×6, first 2 shown]
	s_waitcnt lgkmcnt(0)
	v_mul_f64 v[70:71], v[22:23], v[26:27]
	v_fma_f64 v[22:23], -v[92:93], v[88:89], v[72:73]
	ds_read2_b64 v[72:75], v97 offset0:43 offset1:44
	v_mov_b32_e32 v26, 0x858
	ds_read_b128 v[86:89], v97 offset:128
	s_waitcnt lgkmcnt(1)
	v_fma_f64 v[22:23], -v[44:45], v[72:73], v[22:23]
	v_fma_f64 v[22:23], -v[46:47], v[84:85], v[22:23]
	ds_read2_b64 v[82:85], v97 offset0:99 offset1:100
	s_waitcnt lgkmcnt(1)
	v_fma_f64 v[18:19], -v[92:93], v[86:87], v[18:19]
	v_fma_f64 v[18:19], -v[44:45], v[74:75], v[18:19]
	s_waitcnt lgkmcnt(0)
	v_fma_f64 v[22:23], -v[48:49], v[82:83], v[22:23]
	v_fma_f64 v[22:23], -v[50:51], v[80:81], v[22:23]
	ds_read2_b64 v[78:81], v97 offset0:155 offset1:156
	s_waitcnt lgkmcnt(0)
	v_fma_f64 v[22:23], -v[52:53], v[78:79], v[22:23]
	v_fma_f64 v[22:23], -v[54:55], v[76:77], v[22:23]
	ds_read2_b64 v[76:79], v97 offset0:211 offset1:212
	s_waitcnt lgkmcnt(0)
	v_fma_f64 v[22:23], -v[56:57], v[76:77], v[22:23]
	v_fma_f64 v[22:23], -v[58:59], v[40:41], v[22:23]
	ds_read2_b64 v[38:41], v26 offset1:1
	v_mov_b32_e32 v26, 0xa18
	ds_read_b128 v[74:77], v97 offset:576
	s_waitcnt lgkmcnt(1)
	v_fma_f64 v[22:23], -v[60:61], v[38:39], v[22:23]
	v_fma_f64 v[22:23], -v[62:63], v[32:33], v[22:23]
	ds_read2_b64 v[30:33], v26 offset1:1
	v_mov_b32_e32 v26, 0xbd8
	s_waitcnt lgkmcnt(1)
	v_fma_f64 v[18:19], -v[46:47], v[74:75], v[18:19]
	v_fma_f64 v[18:19], -v[48:49], v[84:85], v[18:19]
	ds_read_b128 v[82:85], v97 offset:1024
	s_waitcnt lgkmcnt(1)
	v_fma_f64 v[22:23], -v[64:65], v[30:31], v[22:23]
	v_fma_f64 v[22:23], -v[66:67], v[28:29], v[22:23]
	ds_read2_b64 v[26:29], v26 offset1:1
	s_waitcnt lgkmcnt(1)
	v_fma_f64 v[18:19], -v[50:51], v[82:83], v[18:19]
	v_fma_f64 v[18:19], -v[52:53], v[80:81], v[18:19]
	ds_read_b128 v[80:83], v97 offset:1472
	s_waitcnt lgkmcnt(1)
	v_fma_f64 v[22:23], -v[68:69], v[26:27], v[22:23]
	v_fma_f64 v[26:27], -v[70:71], v[24:25], v[22:23]
	v_mov_b32_e32 v22, 0xd98
	ds_read2_b64 v[22:25], v22 offset1:1
	s_waitcnt lgkmcnt(1)
	v_fma_f64 v[18:19], -v[54:55], v[80:81], v[18:19]
	v_fma_f64 v[18:19], -v[56:57], v[78:79], v[18:19]
	ds_read_b128 v[78:81], v97 offset:1920
	s_waitcnt lgkmcnt(1)
	v_mul_f64 v[72:73], v[22:23], v[26:27]
	ds_write2_b64 v90, v[70:71], v[72:73] offset0:136 offset1:164
	s_waitcnt lgkmcnt(1)
	v_fma_f64 v[18:19], -v[58:59], v[78:79], v[18:19]
	v_fma_f64 v[18:19], -v[60:61], v[40:41], v[18:19]
	ds_read_b128 v[38:41], v97 offset:2368
	s_waitcnt lgkmcnt(0)
	v_fma_f64 v[18:19], -v[62:63], v[38:39], v[18:19]
	v_fma_f64 v[18:19], -v[64:65], v[32:33], v[18:19]
	ds_read_b128 v[30:33], v97 offset:2816
	;; [unrolled: 4-line block ×4, first 2 shown]
	s_waitcnt lgkmcnt(0)
	v_mul_f64 v[74:75], v[22:23], v[18:19]
	v_fma_f64 v[22:23], -v[92:93], v[88:89], v[20:21]
	ds_read2_b64 v[18:21], v97 offset0:45 offset1:46
	s_waitcnt lgkmcnt(0)
	v_fma_f64 v[18:19], -v[44:45], v[18:19], v[22:23]
	v_fma_f64 v[18:19], -v[46:47], v[76:77], v[18:19]
	ds_read2_b64 v[76:79], v97 offset0:101 offset1:102
	v_mov_b32_e32 v22, 0x868
	s_waitcnt lgkmcnt(0)
	v_fma_f64 v[18:19], -v[48:49], v[76:77], v[18:19]
	v_fma_f64 v[18:19], -v[50:51], v[84:85], v[18:19]
	ds_read2_b64 v[84:87], v97 offset0:157 offset1:158
	s_waitcnt lgkmcnt(0)
	v_fma_f64 v[18:19], -v[52:53], v[84:85], v[18:19]
	v_fma_f64 v[18:19], -v[54:55], v[82:83], v[18:19]
	ds_read2_b64 v[82:85], v97 offset0:213 offset1:214
	s_waitcnt lgkmcnt(0)
	v_fma_f64 v[18:19], -v[56:57], v[82:83], v[18:19]
	v_fma_f64 v[18:19], -v[58:59], v[80:81], v[18:19]
	ds_read2_b64 v[80:83], v22 offset1:1
	v_mov_b32_e32 v22, 0xa28
	s_waitcnt lgkmcnt(0)
	v_fma_f64 v[18:19], -v[60:61], v[80:81], v[18:19]
	v_fma_f64 v[18:19], -v[62:63], v[40:41], v[18:19]
	ds_read2_b64 v[38:41], v22 offset1:1
	v_mov_b32_e32 v22, 0xbe8
	;; [unrolled: 5-line block ×4, first 2 shown]
	s_waitcnt lgkmcnt(0)
	v_fma_f64 v[18:19], -v[72:73], v[26:27], v[18:19]
	v_fma_f64 v[18:19], -v[74:75], v[24:25], v[18:19]
	ds_read2_b64 v[22:25], v22 offset1:1
	s_waitcnt lgkmcnt(0)
	v_mul_f64 v[76:77], v[22:23], v[18:19]
	ds_write2_b64 v90, v[74:75], v[76:77] offset0:192 offset1:220
	ds_read_b128 v[88:91], v97 offset:144
	s_waitcnt lgkmcnt(0)
	v_fma_f64 v[14:15], -v[92:93], v[88:89], v[14:15]
	v_fma_f64 v[14:15], -v[44:45], v[20:21], v[14:15]
	ds_read_b128 v[18:21], v97 offset:592
	s_waitcnt lgkmcnt(0)
	v_fma_f64 v[14:15], -v[46:47], v[18:19], v[14:15]
	v_fma_f64 v[14:15], -v[48:49], v[78:79], v[14:15]
	ds_read_b128 v[78:81], v97 offset:1040
	v_fma_f64 v[18:19], -v[92:93], v[90:91], v[16:17]
	s_waitcnt lgkmcnt(0)
	v_fma_f64 v[14:15], -v[50:51], v[78:79], v[14:15]
	v_fma_f64 v[14:15], -v[52:53], v[86:87], v[14:15]
	ds_read_b128 v[86:89], v97 offset:1488
	s_waitcnt lgkmcnt(0)
	v_fma_f64 v[14:15], -v[54:55], v[86:87], v[14:15]
	v_fma_f64 v[14:15], -v[56:57], v[84:85], v[14:15]
	ds_read_b128 v[84:87], v97 offset:1936
	s_waitcnt lgkmcnt(0)
	v_fma_f64 v[14:15], -v[58:59], v[84:85], v[14:15]
	v_fma_f64 v[14:15], -v[60:61], v[82:83], v[14:15]
	ds_read_b128 v[82:85], v97 offset:2384
	s_waitcnt lgkmcnt(0)
	v_fma_f64 v[14:15], -v[62:63], v[82:83], v[14:15]
	v_fma_f64 v[14:15], -v[64:65], v[40:41], v[14:15]
	ds_read_b128 v[38:41], v97 offset:2832
	s_waitcnt lgkmcnt(0)
	v_fma_f64 v[14:15], -v[66:67], v[38:39], v[14:15]
	v_fma_f64 v[14:15], -v[68:69], v[32:33], v[14:15]
	ds_read_b128 v[30:33], v97 offset:3280
	s_waitcnt lgkmcnt(0)
	v_fma_f64 v[14:15], -v[70:71], v[30:31], v[14:15]
	v_fma_f64 v[14:15], -v[72:73], v[28:29], v[14:15]
	ds_read_b128 v[26:29], v97 offset:3728
	s_waitcnt lgkmcnt(0)
	v_fma_f64 v[14:15], -v[74:75], v[26:27], v[14:15]
	v_fma_f64 v[14:15], -v[76:77], v[24:25], v[14:15]
	ds_read_b128 v[22:25], v97 offset:4176
	s_waitcnt lgkmcnt(0)
	v_mul_f64 v[78:79], v[22:23], v[14:15]
	ds_read2_b64 v[14:17], v97 offset0:47 offset1:48
	s_waitcnt lgkmcnt(0)
	v_fma_f64 v[14:15], -v[44:45], v[14:15], v[18:19]
	v_fma_f64 v[14:15], -v[46:47], v[20:21], v[14:15]
	ds_read2_b64 v[18:21], v97 offset0:103 offset1:104
	v_fma_f64 v[10:11], -v[44:45], v[16:17], v[10:11]
	s_waitcnt lgkmcnt(0)
	v_fma_f64 v[14:15], -v[48:49], v[18:19], v[14:15]
	v_fma_f64 v[14:15], -v[50:51], v[80:81], v[14:15]
	ds_read2_b64 v[80:83], v97 offset0:159 offset1:160
	v_mov_b32_e32 v18, 0x878
	s_waitcnt lgkmcnt(0)
	v_fma_f64 v[14:15], -v[52:53], v[80:81], v[14:15]
	v_fma_f64 v[14:15], -v[54:55], v[88:89], v[14:15]
	ds_read2_b64 v[88:91], v97 offset0:215 offset1:216
	s_waitcnt lgkmcnt(0)
	v_fma_f64 v[14:15], -v[56:57], v[88:89], v[14:15]
	v_fma_f64 v[14:15], -v[58:59], v[86:87], v[14:15]
	ds_read2_b64 v[86:89], v18 offset1:1
	v_mov_b32_e32 v18, 0xa38
	s_waitcnt lgkmcnt(0)
	v_fma_f64 v[14:15], -v[60:61], v[86:87], v[14:15]
	v_fma_f64 v[14:15], -v[62:63], v[84:85], v[14:15]
	ds_read2_b64 v[84:87], v18 offset1:1
	v_mov_b32_e32 v18, 0xbf8
	;; [unrolled: 5-line block ×5, first 2 shown]
	s_waitcnt lgkmcnt(0)
	v_fma_f64 v[14:15], -v[76:77], v[26:27], v[14:15]
	v_fma_f64 v[14:15], -v[78:79], v[24:25], v[14:15]
	ds_read2_b64 v[22:25], v18 offset1:1
	s_waitcnt lgkmcnt(0)
	v_mul_f64 v[80:81], v[22:23], v[14:15]
	ds_read_b128 v[14:17], v97 offset:608
	ds_write2_b64 v94, v[78:79], v[80:81] offset0:120 offset1:148
	s_waitcnt lgkmcnt(1)
	v_fma_f64 v[10:11], -v[46:47], v[14:15], v[10:11]
	v_fma_f64 v[10:11], -v[48:49], v[20:21], v[10:11]
	ds_read_b128 v[18:21], v97 offset:1056
	v_fma_f64 v[14:15], -v[92:93], v[100:101], v[12:13]
	s_waitcnt lgkmcnt(0)
	v_fma_f64 v[10:11], -v[50:51], v[18:19], v[10:11]
	v_fma_f64 v[10:11], -v[52:53], v[82:83], v[10:11]
	ds_read_b128 v[82:85], v97 offset:1504
	s_waitcnt lgkmcnt(0)
	v_fma_f64 v[10:11], -v[54:55], v[82:83], v[10:11]
	v_fma_f64 v[10:11], -v[56:57], v[90:91], v[10:11]
	v_fma_f64 v[10:11], -v[58:59], v[102:103], v[10:11]
	v_fma_f64 v[10:11], -v[60:61], v[88:89], v[10:11]
	ds_read_b128 v[88:91], v97 offset:2400
	s_waitcnt lgkmcnt(0)
	v_fma_f64 v[10:11], -v[62:63], v[88:89], v[10:11]
	v_fma_f64 v[10:11], -v[64:65], v[86:87], v[10:11]
	ds_read_b128 v[86:89], v97 offset:2848
	s_waitcnt lgkmcnt(0)
	v_fma_f64 v[10:11], -v[66:67], v[86:87], v[10:11]
	v_fma_f64 v[10:11], -v[68:69], v[40:41], v[10:11]
	;; [unrolled: 4-line block ×5, first 2 shown]
	ds_read_b128 v[22:25], v97 offset:4640
	s_waitcnt lgkmcnt(0)
	v_mul_f64 v[82:83], v[22:23], v[10:11]
	ds_read2_b64 v[10:13], v97 offset0:49 offset1:50
	s_waitcnt lgkmcnt(0)
	v_fma_f64 v[10:11], -v[44:45], v[10:11], v[14:15]
	v_fma_f64 v[10:11], -v[46:47], v[16:17], v[10:11]
	ds_read2_b64 v[14:17], v97 offset0:105 offset1:106
	v_fma_f64 v[6:7], -v[44:45], v[12:13], v[6:7]
	s_waitcnt lgkmcnt(0)
	v_fma_f64 v[10:11], -v[48:49], v[14:15], v[10:11]
	v_fma_f64 v[10:11], -v[50:51], v[20:21], v[10:11]
	ds_read2_b64 v[18:21], v97 offset0:161 offset1:162
	v_mov_b32_e32 v14, 0x888
	ds_read2_b64 v[98:101], v14 offset1:1
	v_mov_b32_e32 v14, 0xa48
	s_waitcnt lgkmcnt(1)
	v_fma_f64 v[10:11], -v[52:53], v[18:19], v[10:11]
	v_fma_f64 v[10:11], -v[54:55], v[84:85], v[10:11]
	ds_read2_b64 v[84:87], v97 offset0:217 offset1:218
	s_waitcnt lgkmcnt(0)
	v_fma_f64 v[10:11], -v[56:57], v[84:85], v[10:11]
	v_fma_f64 v[10:11], -v[58:59], v[104:105], v[10:11]
	ds_read2_b64 v[102:105], v14 offset1:1
	v_fma_f64 v[10:11], -v[60:61], v[98:99], v[10:11]
	v_fma_f64 v[10:11], -v[62:63], v[90:91], v[10:11]
	v_mov_b32_e32 v14, 0xc08
	s_waitcnt lgkmcnt(0)
	v_fma_f64 v[10:11], -v[64:65], v[102:103], v[10:11]
	v_fma_f64 v[10:11], -v[66:67], v[88:89], v[10:11]
	ds_read2_b64 v[88:91], v14 offset1:1
	v_mov_b32_e32 v14, 0xdc8
	s_waitcnt lgkmcnt(0)
	v_fma_f64 v[10:11], -v[68:69], v[88:89], v[10:11]
	v_fma_f64 v[10:11], -v[70:71], v[40:41], v[10:11]
	ds_read2_b64 v[38:41], v14 offset1:1
	;; [unrolled: 5-line block ×5, first 2 shown]
	s_waitcnt lgkmcnt(0)
	v_mul_f64 v[84:85], v[22:23], v[10:11]
	ds_read_b128 v[10:13], v97 offset:624
	ds_write2_b64 v96, v[82:83], v[84:85] offset0:48 offset1:76
	s_waitcnt lgkmcnt(1)
	v_fma_f64 v[6:7], -v[46:47], v[10:11], v[6:7]
	v_fma_f64 v[6:7], -v[48:49], v[16:17], v[6:7]
	ds_read_b128 v[14:17], v97 offset:1072
	v_fma_f64 v[10:11], -v[92:93], v[108:109], v[8:9]
	s_waitcnt lgkmcnt(0)
	v_fma_f64 v[6:7], -v[50:51], v[14:15], v[6:7]
	v_fma_f64 v[6:7], -v[52:53], v[20:21], v[6:7]
	ds_read_b128 v[18:21], v97 offset:1520
	s_waitcnt lgkmcnt(0)
	v_fma_f64 v[6:7], -v[54:55], v[18:19], v[6:7]
	v_fma_f64 v[6:7], -v[56:57], v[86:87], v[6:7]
	ds_read_b128 v[86:89], v97 offset:1968
	;; [unrolled: 4-line block ×4, first 2 shown]
	s_waitcnt lgkmcnt(0)
	v_fma_f64 v[6:7], -v[66:67], v[102:103], v[6:7]
	v_fma_f64 v[6:7], -v[68:69], v[90:91], v[6:7]
	;; [unrolled: 1-line block ×4, first 2 shown]
	ds_read_b128 v[38:41], v97 offset:3760
	s_waitcnt lgkmcnt(0)
	v_fma_f64 v[6:7], -v[74:75], v[38:39], v[6:7]
	v_fma_f64 v[6:7], -v[76:77], v[32:33], v[6:7]
	ds_read_b128 v[30:33], v97 offset:4208
	s_waitcnt lgkmcnt(0)
	v_fma_f64 v[6:7], -v[78:79], v[30:31], v[6:7]
	v_fma_f64 v[6:7], -v[80:81], v[28:29], v[6:7]
	;; [unrolled: 4-line block ×3, first 2 shown]
	ds_read_b128 v[22:25], v97 offset:5104
	s_waitcnt lgkmcnt(0)
	v_mul_f64 v[86:87], v[22:23], v[6:7]
	ds_read2_b64 v[6:9], v97 offset0:51 offset1:52
	s_waitcnt lgkmcnt(0)
	v_fma_f64 v[6:7], -v[44:45], v[6:7], v[10:11]
	v_fma_f64 v[6:7], -v[46:47], v[12:13], v[6:7]
	ds_read2_b64 v[10:13], v97 offset0:107 offset1:108
	s_waitcnt lgkmcnt(0)
	v_fma_f64 v[6:7], -v[48:49], v[10:11], v[6:7]
	v_fma_f64 v[6:7], -v[50:51], v[16:17], v[6:7]
	ds_read2_b64 v[14:17], v97 offset0:163 offset1:164
	v_mov_b32_e32 v10, 0x898
	s_waitcnt lgkmcnt(0)
	v_fma_f64 v[6:7], -v[52:53], v[14:15], v[6:7]
	v_fma_f64 v[6:7], -v[54:55], v[20:21], v[6:7]
	ds_read2_b64 v[18:21], v97 offset0:219 offset1:220
	s_waitcnt lgkmcnt(0)
	v_fma_f64 v[6:7], -v[56:57], v[18:19], v[6:7]
	v_fma_f64 v[6:7], -v[58:59], v[88:89], v[6:7]
	ds_read2_b64 v[88:91], v10 offset1:1
	v_mov_b32_e32 v10, 0xa58
	s_waitcnt lgkmcnt(0)
	v_fma_f64 v[6:7], -v[60:61], v[88:89], v[6:7]
	v_fma_f64 v[6:7], -v[62:63], v[100:101], v[6:7]
	ds_read2_b64 v[98:101], v10 offset1:1
	v_mov_b32_e32 v10, 0xc18
	;; [unrolled: 5-line block ×3, first 2 shown]
	ds_read2_b64 v[106:109], v10 offset1:1
	v_mov_b32_e32 v10, 0xf98
	s_waitcnt lgkmcnt(1)
	v_fma_f64 v[6:7], -v[68:69], v[102:103], v[6:7]
	v_fma_f64 v[6:7], -v[70:71], v[112:113], v[6:7]
	s_waitcnt lgkmcnt(0)
	v_fma_f64 v[6:7], -v[72:73], v[106:107], v[6:7]
	v_fma_f64 v[6:7], -v[74:75], v[40:41], v[6:7]
	ds_read2_b64 v[38:41], v10 offset1:1
	v_mov_b32_e32 v10, 0x1158
	ds_read2_b64 v[110:113], v10 offset1:1
	v_mov_b32_e32 v10, 0x1318
	ds_read2_b64 v[114:117], v10 offset1:1
	s_waitcnt lgkmcnt(2)
	v_fma_f64 v[6:7], -v[76:77], v[38:39], v[6:7]
	v_fma_f64 v[6:7], -v[78:79], v[32:33], v[6:7]
	s_waitcnt lgkmcnt(1)
	v_fma_f64 v[6:7], -v[80:81], v[110:111], v[6:7]
	v_fma_f64 v[6:7], -v[82:83], v[28:29], v[6:7]
	ds_read_b128 v[28:31], v97 offset:640
	v_mov_b32_e32 v10, 0x14d8
	ds_read2_b64 v[118:121], v10 offset1:1
	s_waitcnt lgkmcnt(2)
	v_fma_f64 v[6:7], -v[84:85], v[114:115], v[6:7]
	v_fma_f64 v[6:7], -v[86:87], v[24:25], v[6:7]
	ds_read_b128 v[22:25], v97 offset:1536
	s_waitcnt lgkmcnt(1)
	v_mul_f64 v[88:89], v[118:119], v[6:7]
	v_fma_f64 v[6:7], -v[92:93], v[122:123], v[34:35]
	ds_read_b128 v[32:35], v97 offset:1088
	v_fma_f64 v[6:7], -v[44:45], v[8:9], v[6:7]
	v_fma_f64 v[6:7], -v[46:47], v[28:29], v[6:7]
	;; [unrolled: 1-line block ×3, first 2 shown]
	ds_read_b128 v[26:29], v97 offset:1984
	s_waitcnt lgkmcnt(1)
	v_fma_f64 v[6:7], -v[50:51], v[32:33], v[6:7]
	v_fma_f64 v[6:7], -v[52:53], v[16:17], v[6:7]
	;; [unrolled: 1-line block ×4, first 2 shown]
	ds_read_b128 v[20:23], v97 offset:2432
	s_waitcnt lgkmcnt(1)
	v_fma_f64 v[6:7], -v[58:59], v[26:27], v[6:7]
	v_fma_f64 v[6:7], -v[60:61], v[90:91], v[6:7]
	ds_write2_b64 v96, v[86:87], v[88:89] offset0:104 offset1:132
	s_waitcnt lgkmcnt(1)
	v_fma_f64 v[6:7], -v[62:63], v[20:21], v[6:7]
	ds_read_b128 v[18:21], v97 offset:2880
	v_fma_f64 v[6:7], -v[64:65], v[100:101], v[6:7]
	ds_read2_b64 v[98:101], v97 offset0:165 offset1:166
	s_waitcnt lgkmcnt(1)
	v_fma_f64 v[6:7], -v[66:67], v[18:19], v[6:7]
	ds_read_b128 v[16:19], v97 offset:3328
	v_fma_f64 v[6:7], -v[68:69], v[104:105], v[6:7]
	ds_read2_b64 v[102:105], v97 offset0:221 offset1:222
	s_waitcnt lgkmcnt(1)
	v_fma_f64 v[6:7], -v[70:71], v[16:17], v[6:7]
	ds_read_b128 v[14:17], v97 offset:3776
	v_fma_f64 v[6:7], -v[72:73], v[108:109], v[6:7]
	s_waitcnt lgkmcnt(0)
	v_fma_f64 v[6:7], -v[74:75], v[14:15], v[6:7]
	ds_read_b128 v[12:15], v97 offset:4224
	v_fma_f64 v[6:7], -v[76:77], v[40:41], v[6:7]
	ds_read_b128 v[40:43], v97 offset:208
	s_waitcnt lgkmcnt(1)
	v_fma_f64 v[6:7], -v[78:79], v[12:13], v[6:7]
	ds_read_b128 v[10:13], v97 offset:4672
	v_fma_f64 v[6:7], -v[80:81], v[112:113], v[6:7]
	s_waitcnt lgkmcnt(1)
	v_fma_f64 v[2:3], -v[92:93], v[40:41], v[2:3]
	v_fma_f64 v[4:5], -v[92:93], v[42:43], v[4:5]
	s_waitcnt lgkmcnt(0)
	v_fma_f64 v[6:7], -v[82:83], v[10:11], v[6:7]
	ds_read_b128 v[8:11], v97 offset:5120
	v_fma_f64 v[6:7], -v[84:85], v[116:117], v[6:7]
	s_waitcnt lgkmcnt(0)
	v_fma_f64 v[6:7], -v[86:87], v[8:9], v[6:7]
	v_fma_f64 v[26:27], -v[88:89], v[120:121], v[6:7]
	ds_read_b128 v[6:9], v97 offset:5568
	s_waitcnt lgkmcnt(0)
	v_mul_f64 v[90:91], v[6:7], v[26:27]
	v_fma_f64 v[6:7], -v[92:93], v[124:125], v[36:37]
	ds_read2_b64 v[36:39], v97 offset0:53 offset1:54
	s_waitcnt lgkmcnt(0)
	v_fma_f64 v[6:7], -v[44:45], v[36:37], v[6:7]
	v_fma_f64 v[6:7], -v[46:47], v[30:31], v[6:7]
	ds_read2_b64 v[30:33], v97 offset0:109 offset1:110
	v_fma_f64 v[2:3], -v[44:45], v[38:39], v[2:3]
	ds_read_b128 v[38:41], v97 offset:6032
	s_waitcnt lgkmcnt(1)
	v_fma_f64 v[6:7], -v[48:49], v[30:31], v[6:7]
	v_fma_f64 v[6:7], -v[50:51], v[34:35], v[6:7]
	;; [unrolled: 1-line block ×4, first 2 shown]
	v_mov_b32_e32 v24, 0x8a8
	ds_read2_b64 v[106:109], v24 offset1:1
	v_fma_f64 v[6:7], -v[56:57], v[102:103], v[6:7]
	v_fma_f64 v[6:7], -v[58:59], v[28:29], v[6:7]
	ds_read_b128 v[34:37], v97 offset:1104
	ds_read_b128 v[28:31], v97 offset:656
	s_waitcnt lgkmcnt(2)
	v_fma_f64 v[6:7], -v[60:61], v[106:107], v[6:7]
	v_fma_f64 v[6:7], -v[62:63], v[22:23], v[6:7]
	v_mov_b32_e32 v22, 0xa68
	ds_read2_b64 v[22:25], v22 offset1:1
	s_waitcnt lgkmcnt(1)
	v_fma_f64 v[2:3], -v[46:47], v[28:29], v[2:3]
	ds_read_b128 v[26:29], v97 offset:1552
	v_fma_f64 v[2:3], -v[48:49], v[32:33], v[2:3]
	v_fma_f64 v[2:3], -v[50:51], v[34:35], v[2:3]
	s_waitcnt lgkmcnt(1)
	v_fma_f64 v[6:7], -v[64:65], v[22:23], v[6:7]
	v_fma_f64 v[6:7], -v[66:67], v[20:21], v[6:7]
	v_mov_b32_e32 v20, 0xc28
	ds_read2_b64 v[20:23], v20 offset1:1
	ds_read_b128 v[32:35], v97 offset:2000
	v_fma_f64 v[2:3], -v[52:53], v[100:101], v[2:3]
	s_waitcnt lgkmcnt(2)
	v_fma_f64 v[2:3], -v[54:55], v[26:27], v[2:3]
	v_fma_f64 v[2:3], -v[56:57], v[104:105], v[2:3]
	s_waitcnt lgkmcnt(1)
	v_fma_f64 v[6:7], -v[68:69], v[20:21], v[6:7]
	v_fma_f64 v[6:7], -v[70:71], v[18:19], v[6:7]
	v_mov_b32_e32 v18, 0xde8
	ds_read2_b64 v[110:113], v18 offset1:1
	ds_read_b128 v[18:21], v97 offset:2448
	s_waitcnt lgkmcnt(2)
	v_fma_f64 v[2:3], -v[58:59], v[32:33], v[2:3]
	v_fma_f64 v[2:3], -v[60:61], v[108:109], v[2:3]
	ds_read2_b64 v[98:101], v97 offset0:55 offset1:111
	s_waitcnt lgkmcnt(2)
	v_fma_f64 v[6:7], -v[72:73], v[110:111], v[6:7]
	v_fma_f64 v[6:7], -v[74:75], v[16:17], v[6:7]
	v_mov_b32_e32 v16, 0xfa8
	ds_read2_b64 v[114:117], v16 offset1:1
	s_waitcnt lgkmcnt(2)
	v_fma_f64 v[2:3], -v[62:63], v[18:19], v[2:3]
	v_fma_f64 v[2:3], -v[64:65], v[24:25], v[2:3]
	ds_read_b128 v[24:27], v97 offset:2896
	ds_read_b128 v[16:19], v97 offset:3344
	s_waitcnt lgkmcnt(2)
	v_fma_f64 v[6:7], -v[76:77], v[114:115], v[6:7]
	v_fma_f64 v[6:7], -v[78:79], v[14:15], v[6:7]
	v_mov_b32_e32 v14, 0x1168
	ds_read2_b64 v[118:121], v14 offset1:1
	s_waitcnt lgkmcnt(2)
	v_fma_f64 v[2:3], -v[66:67], v[24:25], v[2:3]
	v_fma_f64 v[2:3], -v[68:69], v[22:23], v[2:3]
	ds_read_b128 v[22:25], v97 offset:3792
	s_waitcnt lgkmcnt(2)
	v_fma_f64 v[2:3], -v[70:71], v[16:17], v[2:3]
	s_waitcnt lgkmcnt(1)
	v_fma_f64 v[6:7], -v[80:81], v[118:119], v[6:7]
	v_fma_f64 v[6:7], -v[82:83], v[12:13], v[6:7]
	v_mov_b32_e32 v12, 0x1328
	ds_read2_b64 v[122:125], v12 offset1:1
	v_fma_f64 v[2:3], -v[72:73], v[112:113], v[2:3]
	ds_read_b128 v[14:17], v97 offset:4688
	v_fma_f64 v[4:5], -v[44:45], v[98:99], v[4:5]
	v_fma_f64 v[4:5], -v[46:47], v[30:31], v[4:5]
	s_waitcnt lgkmcnt(1)
	v_fma_f64 v[6:7], -v[84:85], v[122:123], v[6:7]
	v_fma_f64 v[6:7], -v[86:87], v[10:11], v[6:7]
	v_mov_b32_e32 v10, 0x14e8
	ds_read2_b64 v[10:13], v10 offset1:1
	v_fma_f64 v[4:5], -v[48:49], v[100:101], v[4:5]
	s_waitcnt lgkmcnt(0)
	v_fma_f64 v[6:7], -v[88:89], v[10:11], v[6:7]
	v_fma_f64 v[6:7], -v[90:91], v[8:9], v[6:7]
	v_mov_b32_e32 v8, 0x16a8
	ds_read2_b64 v[126:129], v8 offset1:1
	ds_read_b128 v[8:11], v97 offset:4240
	v_fma_f64 v[2:3], -v[74:75], v[22:23], v[2:3]
	v_fma_f64 v[2:3], -v[76:77], v[116:117], v[2:3]
	v_add_u32_e64 v22, s8, 0
	s_waitcnt lgkmcnt(1)
	v_mul_f64 v[94:95], v[126:127], v[6:7]
	s_waitcnt lgkmcnt(0)
	v_fma_f64 v[2:3], -v[78:79], v[8:9], v[2:3]
	ds_read_b128 v[6:9], v97 offset:5136
	v_fma_f64 v[2:3], -v[80:81], v[120:121], v[2:3]
	v_fma_f64 v[2:3], -v[82:83], v[14:15], v[2:3]
	;; [unrolled: 1-line block ×3, first 2 shown]
	s_mov_b32 s8, 28
	s_waitcnt lgkmcnt(0)
	v_fma_f64 v[2:3], -v[86:87], v[6:7], v[2:3]
	v_fma_f64 v[2:3], -v[88:89], v[12:13], v[2:3]
	ds_read_b128 v[12:15], v97 offset:5584
	ds_write2_b64 v96, v[90:91], v[94:95] offset0:160 offset1:188
	s_waitcnt lgkmcnt(1)
	v_fma_f64 v[2:3], -v[90:91], v[12:13], v[2:3]
	v_fma_f64 v[12:13], -v[50:51], v[36:37], v[4:5]
	ds_read2_b64 v[4:7], v97 offset0:167 offset1:223
	v_fma_f64 v[2:3], -v[94:95], v[128:129], v[2:3]
	v_mul_f64 v[2:3], v[38:39], v[2:3]
	s_waitcnt lgkmcnt(0)
	v_fma_f64 v[4:5], -v[52:53], v[4:5], v[12:13]
	v_fma_f64 v[4:5], -v[54:55], v[28:29], v[4:5]
	;; [unrolled: 1-line block ×4, first 2 shown]
	ds_read2_b64 v[4:7], v22 offset0:23 offset1:79
	s_waitcnt lgkmcnt(0)
	v_fma_f64 v[4:5], -v[60:61], v[4:5], v[12:13]
	v_fma_f64 v[4:5], -v[62:63], v[20:21], v[4:5]
	;; [unrolled: 1-line block ×4, first 2 shown]
	ds_read2_b64 v[4:7], v22 offset0:135 offset1:191
	s_waitcnt lgkmcnt(0)
	v_fma_f64 v[4:5], -v[68:69], v[4:5], v[12:13]
	v_fma_f64 v[4:5], -v[70:71], v[18:19], v[4:5]
	;; [unrolled: 1-line block ×4, first 2 shown]
	v_add_u32_e64 v4, s7, 0
	ds_read2_b64 v[4:7], v4 offset0:119 offset1:175
	s_waitcnt lgkmcnt(0)
	v_fma_f64 v[4:5], -v[76:77], v[4:5], v[12:13]
	v_fma_f64 v[4:5], -v[78:79], v[10:11], v[4:5]
	;; [unrolled: 1-line block ×4, first 2 shown]
	v_add_u32_e64 v4, s6, 0
	ds_read2_b64 v[4:7], v4 offset0:103 offset1:159
	s_movk_i32 s6, 0x1400
	s_waitcnt lgkmcnt(0)
	v_fma_f64 v[4:5], -v[84:85], v[4:5], v[10:11]
	v_fma_f64 v[4:5], -v[86:87], v[8:9], v[4:5]
	;; [unrolled: 1-line block ×4, first 2 shown]
	v_add_u32_e64 v4, s6, 0
	ds_read2_b64 v[4:7], v4 offset0:87 offset1:143
	s_waitcnt lgkmcnt(0)
	v_fma_f64 v[4:5], -v[94:95], v[4:5], v[8:9]
	v_fma_f64 v[4:5], -v[2:3], v[40:41], v[4:5]
	v_mul_f64 v[4:5], v[6:7], v[4:5]
	ds_write2_b64 v96, v[2:3], v[4:5] offset0:216 offset1:244
.LBB99_35:
	s_cmp_lt_i32 s8, s22
	s_cbranch_scc0 .LBB99_46
; %bb.36:
	s_add_i32 s6, s8, 23
	s_cmp_ge_u32 s6, s22
	s_cbranch_scc1 .LBB99_41
; %bb.37:
	s_mul_i32 s7, s8, 0xe0
	v_add_u32_e32 v90, s7, v1
	ds_read2_b64 v[48:51], v90 offset1:28
	ds_read2_b64 v[44:47], v90 offset0:56 offset1:84
	ds_read2_b64 v[40:43], v90 offset0:112 offset1:140
	;; [unrolled: 1-line block ×4, first 2 shown]
	v_add_u32_e32 v2, 0x800, v90
	ds_read2_b64 v[22:25], v2 offset0:24 offset1:52
	ds_read2_b64 v[18:21], v2 offset0:80 offset1:108
	ds_read2_b64 v[14:17], v2 offset0:136 offset1:164
	ds_read2_b64 v[10:13], v2 offset0:192 offset1:220
	v_add_u32_e32 v2, 0xc00, v90
	v_add_u32_e32 v30, 0x1000, v90
	ds_read2_b64 v[6:9], v2 offset0:120 offset1:148
	ds_read2_b64 v[2:5], v30 offset0:48 offset1:76
	;; [unrolled: 1-line block ×3, first 2 shown]
	s_andn2_b64 vcc, exec, s[4:5]
	s_lshl_b32 s5, s8, 3
	s_cbranch_vccnz .LBB99_40
; %bb.38:
	v_mov_b32_e32 v30, 0x1880
	v_lshl_add_u32 v30, v0, 3, v30
	s_mov_b32 s4, s5
	s_mov_b32 s9, s8
.LBB99_39:                              ; =>This Inner Loop Header: Depth=1
	v_mov_b32_e32 v31, s4
	ds_read_b64 v[88:89], v30
	ds_read_b128 v[52:55], v31
	ds_read_b128 v[56:59], v31 offset:16
	ds_read_b128 v[60:63], v31 offset:32
	;; [unrolled: 1-line block ×11, first 2 shown]
	s_add_i32 s9, s9, -1
	s_addk_i32 s4, 0xe0
	v_add_u32_e32 v30, 0xe0, v30
	s_cmp_lg_u32 s9, 0
	s_waitcnt lgkmcnt(11)
	v_fma_f64 v[48:49], -v[88:89], v[52:53], v[48:49]
	v_fma_f64 v[50:51], -v[88:89], v[54:55], v[50:51]
	s_waitcnt lgkmcnt(10)
	v_fma_f64 v[44:45], -v[88:89], v[56:57], v[44:45]
	v_fma_f64 v[46:47], -v[88:89], v[58:59], v[46:47]
	;; [unrolled: 3-line block ×12, first 2 shown]
	s_cbranch_scc1 .LBB99_39
.LBB99_40:
	s_add_i32 s9, s5, s7
	v_mov_b32_e32 v30, s9
	ds_read_b128 v[52:55], v30
	ds_read_b128 v[56:59], v30 offset:16
	ds_read_b128 v[60:63], v30 offset:32
	s_add_i32 s12, s7, 0xe0
	v_add_u32_e32 v31, s12, v1
	s_waitcnt lgkmcnt(2)
	v_mul_f64 v[78:79], v[52:53], v[48:49]
	v_fma_f64 v[52:53], -v[78:79], v[54:55], v[50:51]
	ds_read2_b64 v[48:51], v30 offset0:29 offset1:30
	s_waitcnt lgkmcnt(2)
	v_fma_f64 v[44:45], -v[78:79], v[56:57], v[44:45]
	s_add_i32 s12, s5, s12
	v_mov_b32_e32 v80, s12
	v_fma_f64 v[54:55], -v[78:79], v[58:59], v[46:47]
	s_waitcnt lgkmcnt(0)
	v_mul_f64 v[48:49], v[48:49], v[52:53]
	v_fma_f64 v[44:45], -v[48:49], v[50:51], v[44:45]
	ds_read_b128 v[50:53], v30 offset:464
	s_add_i32 s13, s7, 0x1c0
	ds_write_b64 v31, v[48:49]
	v_add_u32_e32 v31, s13, v1
	s_add_i32 s12, s5, s13
	s_waitcnt lgkmcnt(1)
	v_mul_f64 v[50:51], v[50:51], v[44:45]
	ds_read2_b64 v[44:47], v80 offset0:3 offset1:4
	s_add_i32 s13, s7, 0x2a0
	ds_write_b64 v31, v[50:51]
	v_add_u32_e32 v31, s13, v1
	v_fma_f64 v[40:41], -v[78:79], v[60:61], v[40:41]
	s_waitcnt lgkmcnt(1)
	v_fma_f64 v[44:45], -v[48:49], v[44:45], v[54:55]
	v_fma_f64 v[44:45], -v[50:51], v[52:53], v[44:45]
	ds_read2_b64 v[52:55], v30 offset0:87 offset1:88
	v_fma_f64 v[40:41], -v[48:49], v[46:47], v[40:41]
	ds_write_b64 v90, v[78:79]
	s_add_i32 s4, s8, 24
	s_mulk_i32 s8, 0xe8
	s_waitcnt lgkmcnt(1)
	v_mul_f64 v[44:45], v[52:53], v[44:45]
	ds_write_b64 v31, v[44:45]
	v_mov_b32_e32 v31, s12
	ds_read_b128 v[56:59], v31 offset:32
	s_add_i32 s12, s5, s13
	s_add_i32 s13, s7, 0x380
	v_mov_b32_e32 v83, s12
	s_add_i32 s12, s5, s13
	s_waitcnt lgkmcnt(0)
	v_fma_f64 v[40:41], -v[50:51], v[56:57], v[40:41]
	v_fma_f64 v[40:41], -v[44:45], v[54:55], v[40:41]
	ds_read_b128 v[52:55], v30 offset:928
	v_mov_b32_e32 v91, s12
	v_mov_b32_e32 v120, s8
	s_waitcnt lgkmcnt(0)
	v_mul_f64 v[46:47], v[52:53], v[40:41]
	v_add_u32_e32 v40, s13, v1
	ds_write_b64 v40, v[46:47]
	v_fma_f64 v[52:53], -v[78:79], v[62:63], v[42:43]
	ds_read2_b64 v[40:43], v80 offset0:5 offset1:6
	s_add_i32 s13, s7, 0x460
	s_add_i32 s12, s5, s13
	v_mov_b32_e32 v85, s12
	s_waitcnt lgkmcnt(0)
	v_fma_f64 v[40:41], -v[48:49], v[40:41], v[52:53]
	v_fma_f64 v[40:41], -v[50:51], v[58:59], v[40:41]
	ds_read2_b64 v[56:59], v83 offset0:5 offset1:6
	s_waitcnt lgkmcnt(0)
	v_fma_f64 v[40:41], -v[44:45], v[56:57], v[40:41]
	v_fma_f64 v[40:41], -v[46:47], v[54:55], v[40:41]
	ds_read2_b64 v[54:57], v30 offset0:145 offset1:146
	s_waitcnt lgkmcnt(0)
	v_mul_f64 v[54:55], v[54:55], v[40:41]
	v_add_u32_e32 v40, s13, v1
	ds_write_b64 v40, v[54:55]
	ds_read_b128 v[62:65], v30 offset:48
	ds_read_b128 v[68:71], v30 offset:64
	s_add_i32 s13, s7, 0x540
	s_add_i32 s12, s5, s13
	v_mov_b32_e32 v116, s12
	s_waitcnt lgkmcnt(1)
	v_fma_f64 v[36:37], -v[78:79], v[62:63], v[36:37]
	v_fma_f64 v[36:37], -v[48:49], v[42:43], v[36:37]
	ds_read_b128 v[40:43], v31 offset:48
	ds_read_b128 v[72:75], v31 offset:64
	s_waitcnt lgkmcnt(2)
	v_fma_f64 v[26:27], -v[78:79], v[68:69], v[26:27]
	s_waitcnt lgkmcnt(1)
	v_fma_f64 v[36:37], -v[50:51], v[40:41], v[36:37]
	v_fma_f64 v[36:37], -v[44:45], v[58:59], v[36:37]
	ds_read_b128 v[58:61], v91 offset:48
	ds_read_b128 v[86:89], v91 offset:64
	v_fma_f64 v[40:41], -v[78:79], v[64:65], v[38:39]
	ds_read2_b64 v[64:67], v85 offset0:7 offset1:8
	ds_read_b128 v[92:95], v30 offset:96
	s_waitcnt lgkmcnt(3)
	v_fma_f64 v[36:37], -v[46:47], v[58:59], v[36:37]
	v_fma_f64 v[36:37], -v[54:55], v[56:57], v[36:37]
	ds_read_b128 v[56:59], v30 offset:1392
	ds_read_b128 v[100:103], v120 offset:3248
	s_waitcnt lgkmcnt(2)
	v_fma_f64 v[18:19], -v[78:79], v[92:93], v[18:19]
	ds_read_b128 v[104:107], v30 offset:128
	ds_read_b128 v[108:111], v30 offset:144
	s_waitcnt lgkmcnt(3)
	v_mul_f64 v[62:63], v[56:57], v[36:37]
	v_add_u32_e32 v36, s13, v1
	ds_write_b64 v36, v[62:63]
	ds_read2_b64 v[36:39], v80 offset0:7 offset1:8
	s_add_i32 s13, s7, 0x620
	s_add_i32 s12, s5, s13
	s_waitcnt lgkmcnt(3)
	v_fma_f64 v[10:11], -v[78:79], v[104:105], v[10:11]
	s_waitcnt lgkmcnt(2)
	v_fma_f64 v[6:7], -v[78:79], v[108:109], v[6:7]
	;; [unrolled: 2-line block ×3, first 2 shown]
	v_fma_f64 v[36:37], -v[50:51], v[42:43], v[36:37]
	ds_read2_b64 v[40:43], v83 offset0:7 offset1:8
	v_fma_f64 v[26:27], -v[48:49], v[38:39], v[26:27]
	v_fma_f64 v[26:27], -v[50:51], v[72:73], v[26:27]
	ds_read_b128 v[112:115], v30 offset:176
	s_waitcnt lgkmcnt(1)
	v_fma_f64 v[36:37], -v[44:45], v[40:41], v[36:37]
	v_fma_f64 v[36:37], -v[46:47], v[60:61], v[36:37]
	;; [unrolled: 1-line block ×4, first 2 shown]
	ds_read2_b64 v[56:59], v30 offset0:203 offset1:204
	v_fma_f64 v[26:27], -v[44:45], v[42:43], v[26:27]
	ds_read_b128 v[40:43], v30 offset:1856
	v_fma_f64 v[26:27], -v[46:47], v[86:87], v[26:27]
	v_fma_f64 v[26:27], -v[54:55], v[66:67], v[26:27]
	s_waitcnt lgkmcnt(1)
	v_mul_f64 v[64:65], v[56:57], v[36:37]
	v_add_u32_e32 v36, s13, v1
	ds_write_b64 v36, v[64:65]
	ds_read_b128 v[36:39], v116 offset:64
	s_add_i32 s13, s7, 0x700
	v_mov_b32_e32 v87, s12
	s_add_i32 s12, s5, s13
	v_mov_b32_e32 v117, s12
	s_waitcnt lgkmcnt(0)
	v_fma_f64 v[26:27], -v[62:63], v[36:37], v[26:27]
	v_fma_f64 v[26:27], -v[64:65], v[58:59], v[26:27]
	v_mul_f64 v[68:69], v[40:41], v[26:27]
	v_add_u32_e32 v26, s13, v1
	ds_write_b64 v26, v[68:69]
	v_fma_f64 v[36:37], -v[78:79], v[70:71], v[28:29]
	ds_read2_b64 v[26:29], v80 offset0:9 offset1:10
	ds_read2_b64 v[56:59], v83 offset0:9 offset1:10
	;; [unrolled: 1-line block ×3, first 2 shown]
	s_add_i32 s13, s9, 0x828
	ds_read_b128 v[96:99], v117 offset:96
	s_waitcnt lgkmcnt(3)
	v_fma_f64 v[26:27], -v[48:49], v[26:27], v[36:37]
	v_fma_f64 v[26:27], -v[50:51], v[74:75], v[26:27]
	s_waitcnt lgkmcnt(2)
	v_fma_f64 v[26:27], -v[44:45], v[56:57], v[26:27]
	v_fma_f64 v[26:27], -v[46:47], v[88:89], v[26:27]
	s_waitcnt lgkmcnt(1)
	v_fma_f64 v[26:27], -v[54:55], v[70:71], v[26:27]
	v_fma_f64 v[26:27], -v[62:63], v[38:39], v[26:27]
	ds_read2_b64 v[36:39], v87 offset0:9 offset1:10
	ds_read_b128 v[74:77], v30 offset:80
	s_waitcnt lgkmcnt(1)
	v_fma_f64 v[26:27], -v[64:65], v[36:37], v[26:27]
	v_mov_b32_e32 v36, s13
	v_fma_f64 v[26:27], -v[68:69], v[42:43], v[26:27]
	ds_read2_b64 v[40:43], v36 offset1:1
	s_add_i32 s13, s7, 0x7e0
	s_waitcnt lgkmcnt(1)
	v_fma_f64 v[22:23], -v[78:79], v[74:75], v[22:23]
	v_fma_f64 v[22:23], -v[48:49], v[28:29], v[22:23]
	s_add_i32 s12, s5, s13
	s_waitcnt lgkmcnt(0)
	v_mul_f64 v[70:71], v[40:41], v[26:27]
	v_add_u32_e32 v26, s13, v1
	ds_write_b64 v26, v[70:71]
	ds_read_b128 v[26:29], v31 offset:80
	s_add_i32 s13, s7, 0x8c0
	v_mov_b32_e32 v88, s12
	s_add_i32 s12, s5, s13
	v_mov_b32_e32 v118, s12
	s_waitcnt lgkmcnt(0)
	v_fma_f64 v[22:23], -v[50:51], v[26:27], v[22:23]
	v_fma_f64 v[22:23], -v[44:45], v[58:59], v[22:23]
	ds_read_b128 v[56:59], v91 offset:80
	v_fma_f64 v[26:27], -v[78:79], v[76:77], v[24:25]
	s_waitcnt lgkmcnt(0)
	v_fma_f64 v[22:23], -v[46:47], v[56:57], v[22:23]
	v_fma_f64 v[22:23], -v[54:55], v[72:73], v[22:23]
	ds_read_b128 v[72:75], v116 offset:80
	s_waitcnt lgkmcnt(0)
	v_fma_f64 v[22:23], -v[62:63], v[72:73], v[22:23]
	v_fma_f64 v[22:23], -v[64:65], v[38:39], v[22:23]
	ds_read_b128 v[36:39], v117 offset:80
	;; [unrolled: 4-line block ×3, first 2 shown]
	s_waitcnt lgkmcnt(0)
	v_mul_f64 v[72:73], v[40:41], v[22:23]
	v_add_u32_e32 v22, s13, v1
	ds_write_b64 v22, v[72:73]
	ds_read2_b64 v[22:25], v80 offset0:11 offset1:12
	s_add_i32 s13, s9, 0x9f8
	s_addk_i32 s9, 0xbc8
	s_waitcnt lgkmcnt(0)
	v_fma_f64 v[22:23], -v[48:49], v[22:23], v[26:27]
	v_fma_f64 v[22:23], -v[50:51], v[28:29], v[22:23]
	ds_read2_b64 v[26:29], v83 offset0:11 offset1:12
	v_fma_f64 v[18:19], -v[48:49], v[24:25], v[18:19]
	s_waitcnt lgkmcnt(0)
	v_fma_f64 v[22:23], -v[44:45], v[26:27], v[22:23]
	v_fma_f64 v[22:23], -v[46:47], v[58:59], v[22:23]
	ds_read2_b64 v[56:59], v85 offset0:11 offset1:12
	v_mov_b32_e32 v26, s13
	s_add_i32 s13, s7, 0x9a0
	s_add_i32 s12, s5, s13
	v_mov_b32_e32 v89, s12
	s_waitcnt lgkmcnt(0)
	v_fma_f64 v[22:23], -v[54:55], v[56:57], v[22:23]
	v_fma_f64 v[22:23], -v[62:63], v[74:75], v[22:23]
	ds_read2_b64 v[74:77], v87 offset0:11 offset1:12
	s_waitcnt lgkmcnt(0)
	v_fma_f64 v[22:23], -v[64:65], v[74:75], v[22:23]
	v_fma_f64 v[22:23], -v[68:69], v[38:39], v[22:23]
	ds_read2_b64 v[36:39], v88 offset0:11 offset1:12
	s_waitcnt lgkmcnt(0)
	v_fma_f64 v[22:23], -v[70:71], v[36:37], v[22:23]
	v_fma_f64 v[22:23], -v[72:73], v[42:43], v[22:23]
	ds_read2_b64 v[40:43], v26 offset1:1
	s_waitcnt lgkmcnt(0)
	v_mul_f64 v[74:75], v[40:41], v[22:23]
	v_add_u32_e32 v22, s13, v1
	ds_write_b64 v22, v[74:75]
	ds_read_b128 v[22:25], v31 offset:96
	s_add_i32 s13, s7, 0xa80
	s_add_i32 s12, s5, s13
	v_mov_b32_e32 v119, s12
	s_add_i32 s12, s7, 0xc40
	s_waitcnt lgkmcnt(0)
	v_fma_f64 v[18:19], -v[50:51], v[22:23], v[18:19]
	v_fma_f64 v[18:19], -v[44:45], v[28:29], v[18:19]
	ds_read_b128 v[26:29], v91 offset:96
	v_fma_f64 v[22:23], -v[78:79], v[94:95], v[20:21]
	ds_read2_b64 v[92:95], v88 offset0:13 offset1:14
	s_waitcnt lgkmcnt(1)
	v_fma_f64 v[18:19], -v[46:47], v[26:27], v[18:19]
	v_fma_f64 v[18:19], -v[54:55], v[58:59], v[18:19]
	ds_read_b128 v[56:59], v116 offset:96
	s_waitcnt lgkmcnt(0)
	v_fma_f64 v[18:19], -v[62:63], v[56:57], v[18:19]
	v_fma_f64 v[18:19], -v[64:65], v[76:77], v[18:19]
	;; [unrolled: 1-line block ×4, first 2 shown]
	ds_read_b128 v[36:39], v118 offset:96
	s_waitcnt lgkmcnt(0)
	v_fma_f64 v[18:19], -v[72:73], v[36:37], v[18:19]
	v_fma_f64 v[18:19], -v[74:75], v[42:43], v[18:19]
	ds_read_b128 v[40:43], v30 offset:2784
	s_waitcnt lgkmcnt(0)
	v_mul_f64 v[76:77], v[40:41], v[18:19]
	v_add_u32_e32 v18, s13, v1
	ds_write_b64 v18, v[76:77]
	ds_read2_b64 v[18:21], v80 offset0:13 offset1:14
	s_waitcnt lgkmcnt(0)
	v_fma_f64 v[18:19], -v[48:49], v[18:19], v[22:23]
	v_fma_f64 v[18:19], -v[50:51], v[24:25], v[18:19]
	ds_read2_b64 v[22:25], v83 offset0:13 offset1:14
	s_waitcnt lgkmcnt(0)
	v_fma_f64 v[18:19], -v[44:45], v[22:23], v[18:19]
	v_fma_f64 v[18:19], -v[46:47], v[28:29], v[18:19]
	ds_read2_b64 v[26:29], v85 offset0:13 offset1:14
	v_mov_b32_e32 v22, s9
	s_add_i32 s9, s7, 0xb60
	s_waitcnt lgkmcnt(0)
	v_fma_f64 v[18:19], -v[54:55], v[26:27], v[18:19]
	v_fma_f64 v[18:19], -v[62:63], v[58:59], v[18:19]
	ds_read2_b64 v[56:59], v87 offset0:13 offset1:14
	s_waitcnt lgkmcnt(0)
	v_fma_f64 v[18:19], -v[64:65], v[56:57], v[18:19]
	v_fma_f64 v[18:19], -v[68:69], v[98:99], v[18:19]
	ds_read_b128 v[96:99], v30 offset:112
	v_fma_f64 v[18:19], -v[70:71], v[92:93], v[18:19]
	v_fma_f64 v[18:19], -v[72:73], v[38:39], v[18:19]
	ds_read2_b64 v[36:39], v89 offset0:13 offset1:14
	s_waitcnt lgkmcnt(1)
	v_fma_f64 v[14:15], -v[78:79], v[96:97], v[14:15]
	v_fma_f64 v[14:15], -v[48:49], v[20:21], v[14:15]
	s_waitcnt lgkmcnt(0)
	v_fma_f64 v[18:19], -v[74:75], v[36:37], v[18:19]
	v_fma_f64 v[18:19], -v[76:77], v[42:43], v[18:19]
	ds_read2_b64 v[40:43], v22 offset1:1
	s_waitcnt lgkmcnt(0)
	v_mul_f64 v[40:41], v[40:41], v[18:19]
	v_add_u32_e32 v18, s9, v1
	ds_write_b64 v18, v[40:41]
	ds_read_b128 v[18:21], v31 offset:112
	s_add_i32 s9, s5, s9
	v_mov_b32_e32 v82, s9
	s_add_i32 s9, s5, s12
	v_mov_b32_e32 v121, s9
	s_waitcnt lgkmcnt(0)
	v_fma_f64 v[14:15], -v[50:51], v[18:19], v[14:15]
	v_fma_f64 v[14:15], -v[44:45], v[24:25], v[14:15]
	ds_read_b128 v[22:25], v91 offset:112
	v_fma_f64 v[18:19], -v[78:79], v[98:99], v[16:17]
	ds_read2_b64 v[96:99], v88 offset0:15 offset1:16
	s_waitcnt lgkmcnt(1)
	v_fma_f64 v[14:15], -v[46:47], v[22:23], v[14:15]
	v_fma_f64 v[14:15], -v[54:55], v[28:29], v[14:15]
	ds_read_b128 v[26:29], v116 offset:112
	s_waitcnt lgkmcnt(0)
	v_fma_f64 v[14:15], -v[62:63], v[26:27], v[14:15]
	v_fma_f64 v[14:15], -v[64:65], v[58:59], v[14:15]
	ds_read_b128 v[56:59], v117 offset:112
	;; [unrolled: 4-line block ×4, first 2 shown]
	s_waitcnt lgkmcnt(0)
	v_fma_f64 v[14:15], -v[76:77], v[36:37], v[14:15]
	v_fma_f64 v[14:15], -v[40:41], v[42:43], v[14:15]
	v_mul_f64 v[56:57], v[100:101], v[14:15]
	v_add_u32_e32 v14, s12, v1
	ds_write_b64 v14, v[56:57]
	ds_read2_b64 v[14:17], v80 offset0:15 offset1:16
	s_add_i32 s12, s8, 0xd98
	s_waitcnt lgkmcnt(0)
	v_fma_f64 v[14:15], -v[48:49], v[14:15], v[18:19]
	v_fma_f64 v[14:15], -v[50:51], v[20:21], v[14:15]
	ds_read2_b64 v[18:21], v83 offset0:15 offset1:16
	v_fma_f64 v[10:11], -v[48:49], v[16:17], v[10:11]
	s_waitcnt lgkmcnt(0)
	v_fma_f64 v[14:15], -v[44:45], v[18:19], v[14:15]
	v_fma_f64 v[14:15], -v[46:47], v[24:25], v[14:15]
	ds_read2_b64 v[22:25], v85 offset0:15 offset1:16
	v_mov_b32_e32 v18, s12
	s_add_i32 s12, s7, 0xd20
	s_add_i32 s9, s5, s12
	v_mov_b32_e32 v86, s9
	s_waitcnt lgkmcnt(0)
	v_fma_f64 v[14:15], -v[54:55], v[22:23], v[14:15]
	v_fma_f64 v[14:15], -v[62:63], v[28:29], v[14:15]
	ds_read2_b64 v[26:29], v87 offset0:15 offset1:16
	s_waitcnt lgkmcnt(0)
	v_fma_f64 v[14:15], -v[64:65], v[26:27], v[14:15]
	v_fma_f64 v[14:15], -v[68:69], v[58:59], v[14:15]
	;; [unrolled: 1-line block ×4, first 2 shown]
	ds_read2_b64 v[92:95], v89 offset0:15 offset1:16
	s_waitcnt lgkmcnt(0)
	v_fma_f64 v[14:15], -v[74:75], v[92:93], v[14:15]
	v_fma_f64 v[14:15], -v[76:77], v[38:39], v[14:15]
	ds_read2_b64 v[36:39], v82 offset0:15 offset1:16
	s_waitcnt lgkmcnt(0)
	v_fma_f64 v[14:15], -v[40:41], v[36:37], v[14:15]
	v_fma_f64 v[14:15], -v[56:57], v[102:103], v[14:15]
	ds_read2_b64 v[100:103], v18 offset1:1
	s_waitcnt lgkmcnt(0)
	v_mul_f64 v[60:61], v[100:101], v[14:15]
	v_add_u32_e32 v14, s12, v1
	ds_write_b64 v14, v[60:61]
	ds_read_b128 v[14:17], v31 offset:128
	s_add_i32 s12, s7, 0xe00
	s_add_i32 s9, s5, s12
	v_mov_b32_e32 v122, s9
	s_waitcnt lgkmcnt(0)
	v_fma_f64 v[10:11], -v[50:51], v[14:15], v[10:11]
	v_fma_f64 v[10:11], -v[44:45], v[20:21], v[10:11]
	ds_read_b128 v[18:21], v91 offset:128
	v_fma_f64 v[14:15], -v[78:79], v[106:107], v[12:13]
	ds_read2_b64 v[104:107], v86 offset0:17 offset1:18
	s_waitcnt lgkmcnt(1)
	v_fma_f64 v[10:11], -v[46:47], v[18:19], v[10:11]
	v_fma_f64 v[10:11], -v[54:55], v[24:25], v[10:11]
	ds_read_b128 v[22:25], v116 offset:128
	s_waitcnt lgkmcnt(0)
	v_fma_f64 v[10:11], -v[62:63], v[22:23], v[10:11]
	v_fma_f64 v[10:11], -v[64:65], v[28:29], v[10:11]
	ds_read_b128 v[26:29], v117 offset:128
	s_waitcnt lgkmcnt(0)
	v_fma_f64 v[10:11], -v[68:69], v[26:27], v[10:11]
	v_fma_f64 v[10:11], -v[70:71], v[98:99], v[10:11]
	ds_read_b128 v[96:99], v118 offset:128
	s_waitcnt lgkmcnt(0)
	v_fma_f64 v[10:11], -v[72:73], v[96:97], v[10:11]
	v_fma_f64 v[10:11], -v[74:75], v[94:95], v[10:11]
	ds_read_b128 v[92:95], v119 offset:128
	s_waitcnt lgkmcnt(0)
	v_fma_f64 v[10:11], -v[76:77], v[92:93], v[10:11]
	v_fma_f64 v[10:11], -v[40:41], v[38:39], v[10:11]
	ds_read_b128 v[36:39], v121 offset:128
	s_waitcnt lgkmcnt(0)
	v_fma_f64 v[10:11], -v[56:57], v[36:37], v[10:11]
	v_fma_f64 v[10:11], -v[60:61], v[102:103], v[10:11]
	ds_read_b128 v[100:103], v120 offset:3712
	s_waitcnt lgkmcnt(0)
	v_mul_f64 v[66:67], v[100:101], v[10:11]
	v_add_u32_e32 v10, s12, v1
	ds_write_b64 v10, v[66:67]
	ds_read2_b64 v[10:13], v80 offset0:17 offset1:18
	s_add_i32 s12, s8, 0xf68
	s_waitcnt lgkmcnt(0)
	v_fma_f64 v[10:11], -v[48:49], v[10:11], v[14:15]
	v_fma_f64 v[10:11], -v[50:51], v[16:17], v[10:11]
	ds_read2_b64 v[14:17], v83 offset0:17 offset1:18
	v_fma_f64 v[6:7], -v[48:49], v[12:13], v[6:7]
	s_waitcnt lgkmcnt(0)
	v_fma_f64 v[10:11], -v[44:45], v[14:15], v[10:11]
	v_fma_f64 v[10:11], -v[46:47], v[20:21], v[10:11]
	ds_read2_b64 v[18:21], v85 offset0:17 offset1:18
	v_mov_b32_e32 v14, s12
	s_add_i32 s12, s7, 0xee0
	s_add_i32 s9, s5, s12
	v_mov_b32_e32 v81, s9
	s_waitcnt lgkmcnt(0)
	v_fma_f64 v[10:11], -v[54:55], v[18:19], v[10:11]
	v_fma_f64 v[10:11], -v[62:63], v[24:25], v[10:11]
	ds_read2_b64 v[22:25], v87 offset0:17 offset1:18
	s_waitcnt lgkmcnt(0)
	v_fma_f64 v[10:11], -v[64:65], v[22:23], v[10:11]
	v_fma_f64 v[10:11], -v[68:69], v[28:29], v[10:11]
	ds_read2_b64 v[26:29], v88 offset0:17 offset1:18
	;; [unrolled: 4-line block ×4, first 2 shown]
	s_waitcnt lgkmcnt(0)
	v_fma_f64 v[10:11], -v[40:41], v[92:93], v[10:11]
	v_fma_f64 v[10:11], -v[56:57], v[38:39], v[10:11]
	;; [unrolled: 1-line block ×4, first 2 shown]
	ds_read2_b64 v[100:103], v14 offset1:1
	s_waitcnt lgkmcnt(0)
	v_mul_f64 v[38:39], v[100:101], v[10:11]
	v_add_u32_e32 v10, s12, v1
	ds_write_b64 v10, v[38:39]
	ds_read_b128 v[10:13], v31 offset:144
	s_add_i32 s12, s7, 0xfc0
	s_add_i32 s9, s5, s12
	v_mov_b32_e32 v123, s9
	s_waitcnt lgkmcnt(0)
	v_fma_f64 v[6:7], -v[50:51], v[10:11], v[6:7]
	v_fma_f64 v[6:7], -v[44:45], v[16:17], v[6:7]
	ds_read_b128 v[14:17], v91 offset:144
	v_fma_f64 v[10:11], -v[78:79], v[110:111], v[8:9]
	ds_read_b128 v[108:111], v30 offset:160
	s_waitcnt lgkmcnt(1)
	v_fma_f64 v[6:7], -v[46:47], v[14:15], v[6:7]
	v_fma_f64 v[6:7], -v[54:55], v[20:21], v[6:7]
	ds_read_b128 v[18:21], v116 offset:144
	s_waitcnt lgkmcnt(1)
	v_fma_f64 v[2:3], -v[78:79], v[108:109], v[2:3]
	s_waitcnt lgkmcnt(0)
	v_fma_f64 v[6:7], -v[62:63], v[18:19], v[6:7]
	v_fma_f64 v[6:7], -v[64:65], v[24:25], v[6:7]
	ds_read_b128 v[22:25], v117 offset:144
	s_waitcnt lgkmcnt(0)
	v_fma_f64 v[6:7], -v[68:69], v[22:23], v[6:7]
	v_fma_f64 v[6:7], -v[70:71], v[28:29], v[6:7]
	ds_read_b128 v[26:29], v118 offset:144
	;; [unrolled: 4-line block ×6, first 2 shown]
	s_waitcnt lgkmcnt(0)
	v_mul_f64 v[52:53], v[100:101], v[6:7]
	v_add_u32_e32 v6, s12, v1
	ds_write_b64 v6, v[52:53]
	ds_read2_b64 v[6:9], v80 offset0:19 offset1:20
	s_add_i32 s12, s8, 0x1138
	s_addk_i32 s8, 0x1308
	s_waitcnt lgkmcnt(0)
	v_fma_f64 v[6:7], -v[48:49], v[6:7], v[10:11]
	v_fma_f64 v[6:7], -v[50:51], v[12:13], v[6:7]
	ds_read2_b64 v[10:13], v83 offset0:19 offset1:20
	v_fma_f64 v[2:3], -v[48:49], v[8:9], v[2:3]
	s_waitcnt lgkmcnt(0)
	v_fma_f64 v[6:7], -v[44:45], v[10:11], v[6:7]
	v_fma_f64 v[6:7], -v[46:47], v[16:17], v[6:7]
	ds_read2_b64 v[14:17], v85 offset0:19 offset1:20
	v_mov_b32_e32 v10, s12
	s_add_i32 s12, s7, 0x10a0
	s_add_i32 s9, s5, s12
	v_mov_b32_e32 v84, s9
	s_waitcnt lgkmcnt(0)
	v_fma_f64 v[6:7], -v[54:55], v[14:15], v[6:7]
	v_fma_f64 v[6:7], -v[62:63], v[20:21], v[6:7]
	ds_read2_b64 v[18:21], v87 offset0:19 offset1:20
	s_waitcnt lgkmcnt(0)
	v_fma_f64 v[6:7], -v[64:65], v[18:19], v[6:7]
	v_fma_f64 v[6:7], -v[68:69], v[24:25], v[6:7]
	ds_read2_b64 v[22:25], v88 offset0:19 offset1:20
	;; [unrolled: 4-line block ×6, first 2 shown]
	s_waitcnt lgkmcnt(0)
	v_fma_f64 v[6:7], -v[38:39], v[104:105], v[6:7]
	v_fma_f64 v[6:7], -v[52:53], v[102:103], v[6:7]
	ds_read2_b64 v[100:103], v10 offset1:1
	s_waitcnt lgkmcnt(0)
	v_mul_f64 v[42:43], v[100:101], v[6:7]
	v_add_u32_e32 v6, s12, v1
	ds_write_b64 v6, v[42:43]
	ds_read_b128 v[6:9], v31 offset:160
	s_add_i32 s12, s7, 0x1180
	s_addk_i32 s7, 0x1260
	s_add_i32 s9, s5, s12
	s_add_i32 s5, s5, s7
	s_waitcnt lgkmcnt(0)
	v_fma_f64 v[2:3], -v[50:51], v[6:7], v[2:3]
	v_fma_f64 v[2:3], -v[44:45], v[12:13], v[2:3]
	ds_read_b128 v[10:13], v91 offset:160
	v_fma_f64 v[6:7], -v[78:79], v[110:111], v[4:5]
	ds_read2_b64 v[108:111], v82 offset0:21 offset1:22
	s_waitcnt lgkmcnt(1)
	v_fma_f64 v[2:3], -v[46:47], v[10:11], v[2:3]
	v_fma_f64 v[2:3], -v[54:55], v[16:17], v[2:3]
	ds_read_b128 v[14:17], v116 offset:160
	s_waitcnt lgkmcnt(0)
	v_fma_f64 v[2:3], -v[62:63], v[14:15], v[2:3]
	v_fma_f64 v[2:3], -v[64:65], v[20:21], v[2:3]
	ds_read_b128 v[18:21], v117 offset:160
	;; [unrolled: 4-line block ×8, first 2 shown]
	s_waitcnt lgkmcnt(0)
	v_mul_f64 v[58:59], v[100:101], v[2:3]
	v_add_u32_e32 v2, s12, v1
	ds_write_b64 v2, v[58:59]
	ds_read2_b64 v[2:5], v80 offset0:21 offset1:22
	s_waitcnt lgkmcnt(0)
	v_fma_f64 v[2:3], -v[48:49], v[2:3], v[6:7]
	v_fma_f64 v[2:3], -v[50:51], v[8:9], v[2:3]
	ds_read2_b64 v[6:9], v83 offset0:21 offset1:22
	s_waitcnt lgkmcnt(0)
	v_fma_f64 v[2:3], -v[44:45], v[6:7], v[2:3]
	v_fma_f64 v[2:3], -v[46:47], v[12:13], v[2:3]
	ds_read2_b64 v[10:13], v85 offset0:21 offset1:22
	v_mov_b32_e32 v6, s8
	s_mov_b32 s8, s4
	s_waitcnt lgkmcnt(0)
	v_fma_f64 v[2:3], -v[54:55], v[10:11], v[2:3]
	v_fma_f64 v[2:3], -v[62:63], v[16:17], v[2:3]
	ds_read2_b64 v[16:19], v87 offset0:21 offset1:22
	s_waitcnt lgkmcnt(0)
	v_fma_f64 v[2:3], -v[64:65], v[16:17], v[2:3]
	v_fma_f64 v[2:3], -v[68:69], v[20:21], v[2:3]
	ds_read2_b64 v[20:23], v88 offset0:21 offset1:22
	ds_read_b128 v[14:17], v116 offset:176
	s_waitcnt lgkmcnt(1)
	v_fma_f64 v[2:3], -v[70:71], v[20:21], v[2:3]
	v_fma_f64 v[2:3], -v[72:73], v[24:25], v[2:3]
	ds_read2_b64 v[24:27], v89 offset0:21 offset1:22
	s_waitcnt lgkmcnt(0)
	v_fma_f64 v[2:3], -v[74:75], v[24:25], v[2:3]
	v_fma_f64 v[2:3], -v[76:77], v[28:29], v[2:3]
	;; [unrolled: 1-line block ×4, first 2 shown]
	ds_read2_b64 v[96:99], v86 offset0:21 offset1:22
	s_waitcnt lgkmcnt(0)
	v_fma_f64 v[2:3], -v[60:61], v[96:97], v[2:3]
	v_fma_f64 v[2:3], -v[66:67], v[94:95], v[2:3]
	ds_read2_b64 v[92:95], v81 offset0:21 offset1:22
	s_waitcnt lgkmcnt(0)
	v_fma_f64 v[2:3], -v[38:39], v[92:93], v[2:3]
	v_fma_f64 v[2:3], -v[52:53], v[106:107], v[2:3]
	;; [unrolled: 4-line block ×3, first 2 shown]
	ds_read2_b64 v[100:103], v6 offset1:1
	s_waitcnt lgkmcnt(0)
	v_mul_f64 v[36:37], v[100:101], v[2:3]
	v_add_u32_e32 v2, s7, v1
	ds_write_b64 v2, v[36:37]
	v_fma_f64 v[2:3], -v[78:79], v[112:113], v[32:33]
	ds_read_b128 v[30:33], v31 offset:176
	v_fma_f64 v[2:3], -v[48:49], v[4:5], v[2:3]
	v_mov_b32_e32 v4, s9
	s_waitcnt lgkmcnt(0)
	v_fma_f64 v[2:3], -v[50:51], v[30:31], v[2:3]
	ds_read_b128 v[28:31], v91 offset:176
	v_fma_f64 v[2:3], -v[44:45], v[8:9], v[2:3]
	ds_read_b128 v[8:11], v121 offset:176
	s_waitcnt lgkmcnt(1)
	v_fma_f64 v[2:3], -v[46:47], v[28:29], v[2:3]
	v_fma_f64 v[2:3], -v[54:55], v[12:13], v[2:3]
	;; [unrolled: 1-line block ×4, first 2 shown]
	ds_read_b128 v[18:21], v117 offset:176
	ds_read_b128 v[12:15], v122 offset:176
	s_waitcnt lgkmcnt(1)
	v_fma_f64 v[2:3], -v[68:69], v[18:19], v[2:3]
	v_fma_f64 v[2:3], -v[70:71], v[22:23], v[2:3]
	ds_read_b128 v[22:25], v118 offset:176
	ds_read_b64 v[18:19], v80 offset:184
	s_waitcnt lgkmcnt(1)
	v_fma_f64 v[2:3], -v[72:73], v[22:23], v[2:3]
	v_fma_f64 v[2:3], -v[74:75], v[26:27], v[2:3]
	ds_read_b128 v[26:29], v119 offset:176
	s_waitcnt lgkmcnt(0)
	v_fma_f64 v[2:3], -v[76:77], v[26:27], v[2:3]
	v_fma_f64 v[2:3], -v[40:41], v[110:111], v[2:3]
	;; [unrolled: 1-line block ×3, first 2 shown]
	ds_read_b128 v[6:9], v123 offset:176
	v_fma_f64 v[2:3], -v[60:61], v[98:99], v[2:3]
	v_fma_f64 v[2:3], -v[66:67], v[12:13], v[2:3]
	;; [unrolled: 1-line block ×3, first 2 shown]
	s_waitcnt lgkmcnt(0)
	v_fma_f64 v[2:3], -v[52:53], v[6:7], v[2:3]
	ds_read_b128 v[4:7], v4 offset:176
	v_fma_f64 v[2:3], -v[42:43], v[106:107], v[2:3]
	s_waitcnt lgkmcnt(0)
	v_fma_f64 v[2:3], -v[58:59], v[4:5], v[2:3]
	v_fma_f64 v[12:13], -v[36:37], v[102:103], v[2:3]
	ds_read_b128 v[2:5], v120 offset:5104
	s_waitcnt lgkmcnt(0)
	v_mul_f64 v[2:3], v[2:3], v[12:13]
	v_fma_f64 v[12:13], -v[78:79], v[114:115], v[34:35]
	v_fma_f64 v[12:13], -v[48:49], v[18:19], v[12:13]
	ds_read_b64 v[18:19], v83 offset:184
	v_fma_f64 v[12:13], -v[50:51], v[32:33], v[12:13]
	ds_write_b64 v90, v[2:3] offset:4928
	s_waitcnt lgkmcnt(1)
	v_fma_f64 v[12:13], -v[44:45], v[18:19], v[12:13]
	ds_read_b64 v[18:19], v85 offset:184
	v_fma_f64 v[12:13], -v[46:47], v[30:31], v[12:13]
	s_waitcnt lgkmcnt(0)
	v_fma_f64 v[12:13], -v[54:55], v[18:19], v[12:13]
	v_fma_f64 v[12:13], -v[62:63], v[16:17], v[12:13]
	ds_read_b64 v[16:17], v87 offset:184
	s_waitcnt lgkmcnt(0)
	v_fma_f64 v[12:13], -v[64:65], v[16:17], v[12:13]
	ds_read_b64 v[16:17], v88 offset:184
	v_fma_f64 v[12:13], -v[68:69], v[20:21], v[12:13]
	s_waitcnt lgkmcnt(0)
	v_fma_f64 v[12:13], -v[70:71], v[16:17], v[12:13]
	ds_read_b64 v[16:17], v89 offset:184
	v_fma_f64 v[12:13], -v[72:73], v[24:25], v[12:13]
	;; [unrolled: 4-line block ×3, first 2 shown]
	s_waitcnt lgkmcnt(0)
	v_fma_f64 v[12:13], -v[40:41], v[16:17], v[12:13]
	v_fma_f64 v[10:11], -v[56:57], v[10:11], v[12:13]
	ds_read_b64 v[12:13], v86 offset:184
	s_waitcnt lgkmcnt(0)
	v_fma_f64 v[10:11], -v[60:61], v[12:13], v[10:11]
	ds_read_b64 v[12:13], v81 offset:184
	v_fma_f64 v[10:11], -v[66:67], v[14:15], v[10:11]
	s_waitcnt lgkmcnt(0)
	v_fma_f64 v[10:11], -v[38:39], v[12:13], v[10:11]
	v_fma_f64 v[8:9], -v[52:53], v[8:9], v[10:11]
	ds_read_b64 v[10:11], v84 offset:184
	s_waitcnt lgkmcnt(0)
	v_fma_f64 v[8:9], -v[42:43], v[10:11], v[8:9]
	v_fma_f64 v[6:7], -v[58:59], v[6:7], v[8:9]
	v_mov_b32_e32 v8, s5
	ds_read_b64 v[8:9], v8 offset:184
	s_mul_i32 s5, s6, 0xe8
	s_mulk_i32 s6, 0xe0
	s_waitcnt lgkmcnt(0)
	v_fma_f64 v[6:7], -v[36:37], v[8:9], v[6:7]
	v_fma_f64 v[2:3], -v[2:3], v[4:5], v[6:7]
	v_mov_b32_e32 v4, s5
	ds_read_b64 v[4:5], v4
	s_waitcnt lgkmcnt(0)
	v_mul_f64 v[2:3], v[4:5], v[2:3]
	v_add_u32_e32 v4, s6, v1
	ds_write_b64 v4, v[2:3]
.LBB99_41:
	s_cmp_ge_i32 s8, s22
	s_cbranch_scc1 .LBB99_46
; %bb.42:
	v_mov_b32_e32 v2, 0x1880
	s_lshl_b32 s4, s8, 3
	v_lshl_add_u32 v4, v0, 3, v2
	s_branch .LBB99_44
.LBB99_43:                              ;   in Loop: Header=BB99_44 Depth=1
	s_lshl_b32 s6, s8, 3
	s_add_i32 s5, s6, s5
	v_mov_b32_e32 v6, s5
	ds_read_b64 v[6:7], v6
	s_add_i32 s8, s8, 1
	s_add_i32 s4, s4, 8
	s_cmp_ge_i32 s8, s22
	s_waitcnt lgkmcnt(0)
	v_mul_f64 v[2:3], v[6:7], v[2:3]
	ds_write_b64 v5, v[2:3]
	s_cbranch_scc1 .LBB99_46
.LBB99_44:                              ; =>This Loop Header: Depth=1
                                        ;     Child Loop BB99_45 Depth 2
	s_mul_i32 s5, s8, 0xe0
	v_add_u32_e32 v5, s5, v1
	ds_read_b64 v[2:3], v5
	s_cmp_eq_u32 s8, 0
	v_mov_b32_e32 v6, v4
	s_mov_b32 s6, s4
	s_mov_b32 s7, s8
	s_cbranch_scc1 .LBB99_43
.LBB99_45:                              ;   Parent Loop BB99_44 Depth=1
                                        ; =>  This Inner Loop Header: Depth=2
	v_mov_b32_e32 v7, s6
	ds_read_b64 v[8:9], v6
	ds_read_b64 v[10:11], v7
	s_add_i32 s7, s7, -1
	s_addk_i32 s6, 0xe0
	v_add_u32_e32 v6, 0xe0, v6
	s_cmp_lg_u32 s7, 0
	s_waitcnt lgkmcnt(0)
	v_fma_f64 v[2:3], -v[8:9], v[10:11], v[2:3]
	s_cbranch_scc1 .LBB99_45
	s_branch .LBB99_43
.LBB99_46:
	s_waitcnt lgkmcnt(0)
	; wave barrier
	s_and_saveexec_b64 s[4:5], s[0:1]
	s_cbranch_execz .LBB99_50
; %bb.47:
	s_andn2_b64 vcc, exec, s[10:11]
	s_cbranch_vccnz .LBB99_50
; %bb.48:
	v_mad_i64_i32 v[2:3], s[0:1], s16, v0, 0
	v_mov_b32_e32 v1, 0x1880
	v_lshl_add_u64 v[2:3], v[2:3], 3, s[2:3]
	v_lshl_add_u32 v0, v0, 3, v1
.LBB99_49:                              ; =>This Inner Loop Header: Depth=1
	ds_read_b64 v[4:5], v0
	s_add_i32 s22, s22, -1
	v_add_u32_e32 v0, 0xe0, v0
	s_cmp_lg_u32 s22, 0
	s_waitcnt lgkmcnt(0)
	flat_store_dwordx2 v[2:3], v[4:5]
	v_lshl_add_u64 v[2:3], v[2:3], 0, 8
	s_cbranch_scc1 .LBB99_49
.LBB99_50:
	s_endpgm
	.section	.rodata,"a",@progbits
	.p2align	6, 0x0
	.amdhsa_kernel _ZL38rocblas_trsm_small_left_device_sharedBILi28ELi28ELb1EddPKPKdPKPdEv13rocblas_fill_18rocblas_operation_17rocblas_diagonal_iiT3_T4_lilT5_lili
		.amdhsa_group_segment_fixed_size 12544
		.amdhsa_private_segment_fixed_size 0
		.amdhsa_kernarg_size 360
		.amdhsa_user_sgpr_count 2
		.amdhsa_user_sgpr_dispatch_ptr 0
		.amdhsa_user_sgpr_queue_ptr 0
		.amdhsa_user_sgpr_kernarg_segment_ptr 1
		.amdhsa_user_sgpr_dispatch_id 0
		.amdhsa_user_sgpr_kernarg_preload_length 0
		.amdhsa_user_sgpr_kernarg_preload_offset 0
		.amdhsa_user_sgpr_private_segment_size 0
		.amdhsa_uses_dynamic_stack 0
		.amdhsa_enable_private_segment 0
		.amdhsa_system_sgpr_workgroup_id_x 1
		.amdhsa_system_sgpr_workgroup_id_y 0
		.amdhsa_system_sgpr_workgroup_id_z 1
		.amdhsa_system_sgpr_workgroup_info 0
		.amdhsa_system_vgpr_workitem_id 0
		.amdhsa_next_free_vgpr 130
		.amdhsa_next_free_sgpr 96
		.amdhsa_accum_offset 132
		.amdhsa_reserve_vcc 1
		.amdhsa_float_round_mode_32 0
		.amdhsa_float_round_mode_16_64 0
		.amdhsa_float_denorm_mode_32 3
		.amdhsa_float_denorm_mode_16_64 3
		.amdhsa_dx10_clamp 1
		.amdhsa_ieee_mode 1
		.amdhsa_fp16_overflow 0
		.amdhsa_tg_split 0
		.amdhsa_exception_fp_ieee_invalid_op 0
		.amdhsa_exception_fp_denorm_src 0
		.amdhsa_exception_fp_ieee_div_zero 0
		.amdhsa_exception_fp_ieee_overflow 0
		.amdhsa_exception_fp_ieee_underflow 0
		.amdhsa_exception_fp_ieee_inexact 0
		.amdhsa_exception_int_div_zero 0
	.end_amdhsa_kernel
	.section	.text._ZL38rocblas_trsm_small_left_device_sharedBILi28ELi28ELb1EddPKPKdPKPdEv13rocblas_fill_18rocblas_operation_17rocblas_diagonal_iiT3_T4_lilT5_lili,"axG",@progbits,_ZL38rocblas_trsm_small_left_device_sharedBILi28ELi28ELb1EddPKPKdPKPdEv13rocblas_fill_18rocblas_operation_17rocblas_diagonal_iiT3_T4_lilT5_lili,comdat
.Lfunc_end99:
	.size	_ZL38rocblas_trsm_small_left_device_sharedBILi28ELi28ELb1EddPKPKdPKPdEv13rocblas_fill_18rocblas_operation_17rocblas_diagonal_iiT3_T4_lilT5_lili, .Lfunc_end99-_ZL38rocblas_trsm_small_left_device_sharedBILi28ELi28ELb1EddPKPKdPKPdEv13rocblas_fill_18rocblas_operation_17rocblas_diagonal_iiT3_T4_lilT5_lili
                                        ; -- End function
	.set _ZL38rocblas_trsm_small_left_device_sharedBILi28ELi28ELb1EddPKPKdPKPdEv13rocblas_fill_18rocblas_operation_17rocblas_diagonal_iiT3_T4_lilT5_lili.num_vgpr, 130
	.set _ZL38rocblas_trsm_small_left_device_sharedBILi28ELi28ELb1EddPKPKdPKPdEv13rocblas_fill_18rocblas_operation_17rocblas_diagonal_iiT3_T4_lilT5_lili.num_agpr, 0
	.set _ZL38rocblas_trsm_small_left_device_sharedBILi28ELi28ELb1EddPKPKdPKPdEv13rocblas_fill_18rocblas_operation_17rocblas_diagonal_iiT3_T4_lilT5_lili.numbered_sgpr, 26
	.set _ZL38rocblas_trsm_small_left_device_sharedBILi28ELi28ELb1EddPKPKdPKPdEv13rocblas_fill_18rocblas_operation_17rocblas_diagonal_iiT3_T4_lilT5_lili.num_named_barrier, 0
	.set _ZL38rocblas_trsm_small_left_device_sharedBILi28ELi28ELb1EddPKPKdPKPdEv13rocblas_fill_18rocblas_operation_17rocblas_diagonal_iiT3_T4_lilT5_lili.private_seg_size, 0
	.set _ZL38rocblas_trsm_small_left_device_sharedBILi28ELi28ELb1EddPKPKdPKPdEv13rocblas_fill_18rocblas_operation_17rocblas_diagonal_iiT3_T4_lilT5_lili.uses_vcc, 1
	.set _ZL38rocblas_trsm_small_left_device_sharedBILi28ELi28ELb1EddPKPKdPKPdEv13rocblas_fill_18rocblas_operation_17rocblas_diagonal_iiT3_T4_lilT5_lili.uses_flat_scratch, 0
	.set _ZL38rocblas_trsm_small_left_device_sharedBILi28ELi28ELb1EddPKPKdPKPdEv13rocblas_fill_18rocblas_operation_17rocblas_diagonal_iiT3_T4_lilT5_lili.has_dyn_sized_stack, 0
	.set _ZL38rocblas_trsm_small_left_device_sharedBILi28ELi28ELb1EddPKPKdPKPdEv13rocblas_fill_18rocblas_operation_17rocblas_diagonal_iiT3_T4_lilT5_lili.has_recursion, 0
	.set _ZL38rocblas_trsm_small_left_device_sharedBILi28ELi28ELb1EddPKPKdPKPdEv13rocblas_fill_18rocblas_operation_17rocblas_diagonal_iiT3_T4_lilT5_lili.has_indirect_call, 0
	.section	.AMDGPU.csdata,"",@progbits
; Kernel info:
; codeLenInByte = 26844
; TotalNumSgprs: 32
; NumVgprs: 130
; NumAgprs: 0
; TotalNumVgprs: 130
; ScratchSize: 0
; MemoryBound: 0
; FloatMode: 240
; IeeeMode: 1
; LDSByteSize: 12544 bytes/workgroup (compile time only)
; SGPRBlocks: 12
; VGPRBlocks: 16
; NumSGPRsForWavesPerEU: 102
; NumVGPRsForWavesPerEU: 130
; AccumOffset: 132
; Occupancy: 3
; WaveLimiterHint : 0
; COMPUTE_PGM_RSRC2:SCRATCH_EN: 0
; COMPUTE_PGM_RSRC2:USER_SGPR: 2
; COMPUTE_PGM_RSRC2:TRAP_HANDLER: 0
; COMPUTE_PGM_RSRC2:TGID_X_EN: 1
; COMPUTE_PGM_RSRC2:TGID_Y_EN: 0
; COMPUTE_PGM_RSRC2:TGID_Z_EN: 1
; COMPUTE_PGM_RSRC2:TIDIG_COMP_CNT: 0
; COMPUTE_PGM_RSRC3_GFX90A:ACCUM_OFFSET: 32
; COMPUTE_PGM_RSRC3_GFX90A:TG_SPLIT: 0
	.section	.text._ZL30rocblas_trsm_small_left_deviceILi28ELi28ELb1EddPKPKdPKPdEv13rocblas_fill_18rocblas_operation_17rocblas_diagonal_iiT3_T4_lilT5_lili,"axG",@progbits,_ZL30rocblas_trsm_small_left_deviceILi28ELi28ELb1EddPKPKdPKPdEv13rocblas_fill_18rocblas_operation_17rocblas_diagonal_iiT3_T4_lilT5_lili,comdat
	.globl	_ZL30rocblas_trsm_small_left_deviceILi28ELi28ELb1EddPKPKdPKPdEv13rocblas_fill_18rocblas_operation_17rocblas_diagonal_iiT3_T4_lilT5_lili ; -- Begin function _ZL30rocblas_trsm_small_left_deviceILi28ELi28ELb1EddPKPKdPKPdEv13rocblas_fill_18rocblas_operation_17rocblas_diagonal_iiT3_T4_lilT5_lili
	.p2align	8
	.type	_ZL30rocblas_trsm_small_left_deviceILi28ELi28ELb1EddPKPKdPKPdEv13rocblas_fill_18rocblas_operation_17rocblas_diagonal_iiT3_T4_lilT5_lili,@function
_ZL30rocblas_trsm_small_left_deviceILi28ELi28ELb1EddPKPKdPKPdEv13rocblas_fill_18rocblas_operation_17rocblas_diagonal_iiT3_T4_lilT5_lili: ; @_ZL30rocblas_trsm_small_left_deviceILi28ELi28ELb1EddPKPKdPKPdEv13rocblas_fill_18rocblas_operation_17rocblas_diagonal_iiT3_T4_lilT5_lili
; %bb.0:
	s_load_dwordx2 s[18:19], s[0:1], 0x28
	s_load_dwordx4 s[12:15], s[0:1], 0x40
	s_load_dwordx4 s[8:11], s[0:1], 0x4
	;; [unrolled: 1-line block ×3, first 2 shown]
	s_mov_b32 s16, s3
	s_mov_b32 s17, 0
	s_lshl_b64 s[20:21], s[16:17], 3
	s_waitcnt lgkmcnt(0)
	s_add_u32 s12, s12, s20
	s_addc_u32 s13, s13, s21
	s_load_dwordx2 s[12:13], s[12:13], 0x0
	s_min_i32 s22, s10, 28
	v_cmp_gt_i32_e32 vcc, s22, v0
	s_and_saveexec_b64 s[16:17], vcc
	s_cbranch_execz .LBB100_6
; %bb.1:
	s_load_dword s24, s[0:1], 0x30
	v_lshlrev_b32_e32 v2, 3, v0
	v_mov_b32_e32 v3, 0
	v_mov_b32_e32 v1, v2
	s_mov_b32 s3, s22
	s_waitcnt lgkmcnt(0)
	s_ashr_i32 s25, s24, 31
	s_add_u32 s6, s6, s20
	s_addc_u32 s7, s7, s21
	s_load_dwordx2 s[6:7], s[6:7], 0x0
	s_lshl_b64 s[18:19], s[18:19], 3
	s_waitcnt lgkmcnt(0)
	s_add_u32 s18, s6, s18
	s_addc_u32 s19, s7, s19
	s_lshl_b64 s[6:7], s[24:25], 3
	v_lshl_add_u64 v[4:5], s[18:19], 0, v[2:3]
.LBB100_2:                              ; =>This Inner Loop Header: Depth=1
	flat_load_dwordx2 v[6:7], v[4:5]
	s_add_i32 s3, s3, -1
	v_lshl_add_u64 v[4:5], v[4:5], 0, s[6:7]
	s_cmp_eq_u32 s3, 0
	s_waitcnt vmcnt(0) lgkmcnt(0)
	ds_write_b64 v1, v[6:7]
	v_add_u32_e32 v1, 0xe0, v1
	s_cbranch_scc0 .LBB100_2
; %bb.3:
	v_mul_u32_u24_e32 v1, 0xe0, v0
	s_cmpk_lg_i32 s9, 0x84
	v_mov_b64_e32 v[4:5], 1.0
	v_add_u32_e32 v1, v2, v1
	s_cbranch_scc0 .LBB100_5
; %bb.4:
	ds_read_b64 v[2:3], v1
	s_waitcnt lgkmcnt(0)
	v_div_scale_f64 v[4:5], s[6:7], v[2:3], v[2:3], 1.0
	v_rcp_f64_e32 v[6:7], v[4:5]
	v_div_scale_f64 v[8:9], vcc, 1.0, v[2:3], 1.0
	v_fma_f64 v[10:11], -v[4:5], v[6:7], 1.0
	v_fmac_f64_e32 v[6:7], v[6:7], v[10:11]
	v_fma_f64 v[10:11], -v[4:5], v[6:7], 1.0
	v_fmac_f64_e32 v[6:7], v[6:7], v[10:11]
	v_mul_f64 v[10:11], v[8:9], v[6:7]
	v_fma_f64 v[4:5], -v[4:5], v[10:11], v[8:9]
	v_div_fmas_f64 v[4:5], v[4:5], v[6:7], v[10:11]
	v_div_fixup_f64 v[4:5], v[4:5], v[2:3], 1.0
.LBB100_5:
	ds_write_b64 v1, v[4:5]
.LBB100_6:
	s_or_b64 exec, exec, s[16:17]
	s_load_dword s3, s[0:1], 0x68
	s_mul_i32 s6, s2, 0xffffffe4
	s_add_i32 s6, s11, s6
	s_waitcnt lgkmcnt(0)
	; wave barrier
	s_add_i32 s3, s3, -1
	s_cmp_ge_u32 s2, s3
	s_cselect_b32 s3, s6, 28
	v_cmp_gt_i32_e32 vcc, s3, v0
	s_and_saveexec_b64 s[6:7], vcc
	s_cbranch_execz .LBB100_48
; %bb.7:
	s_load_dword s6, s[0:1], 0x50
	s_lshl_b64 s[0:1], s[14:15], 3
	s_add_u32 s0, s12, s0
	v_mad_u64_u32 v[0:1], s[2:3], s2, 28, v[0:1]
	s_addc_u32 s1, s13, s1
	s_waitcnt lgkmcnt(0)
	v_mad_i64_i32 v[0:1], s[2:3], s6, v0, 0
	v_lshl_add_u64 v[40:41], v[0:1], 3, s[0:1]
	s_cmpk_eq_i32 s8, 0x6f
	s_mov_b64 s[0:1], -1
	s_cbranch_scc1 .LBB100_34
; %bb.8:
	s_add_i32 s8, s22, -1
	s_cmp_gt_i32 s10, 27
	s_mov_b32 s0, s8
	s_cbranch_scc0 .LBB100_10
; %bb.9:
	flat_load_dwordx4 v[44:47], v[40:41] offset:208
	flat_load_dwordx4 v[36:39], v[40:41] offset:192
	;; [unrolled: 1-line block ×6, first 2 shown]
	v_mov_b32_e32 v58, 0
	ds_read_b64 v[0:1], v58 offset:6264
	flat_load_dwordx4 v[16:19], v[40:41] offset:112
	flat_load_dwordx4 v[12:15], v[40:41] offset:96
	;; [unrolled: 1-line block ×4, first 2 shown]
	v_mov_b32_e32 v52, 0x16a8
	v_mov_b32_e32 v56, 0x14e8
	v_mov_b32_e32 v57, 0x14d8
	v_mov_b32_e32 v59, 0x1328
	v_mov_b32_e32 v62, 0x1318
	v_mov_b32_e32 v63, 0x1308
	v_mov_b32_e32 v66, 0x1168
	v_mov_b32_e32 v67, 0x1158
	v_mov_b32_e32 v68, 0x1148
	v_mov_b32_e32 v69, 0x1138
	v_mov_b32_e32 v70, 0xfa8
	v_mov_b32_e32 v71, 0xf98
	v_mov_b32_e32 v72, 0xf88
	v_mov_b32_e32 v73, 0xf78
	v_mov_b32_e32 v74, 0xf68
	v_mov_b32_e32 v75, 0xdd8
	v_mov_b32_e32 v76, 0xdc8
	v_mov_b32_e32 v77, 0xdb8
	v_mov_b32_e32 v78, 0xda8
	v_mov_b32_e32 v79, 0xd98
	v_mov_b32_e32 v80, 0x858
	v_mov_b32_e32 v81, 0x848
	s_mov_b32 s0, -1
	s_waitcnt vmcnt(0) lgkmcnt(0)
	v_mul_f64 v[2:3], s[4:5], v[46:47]
	v_mul_f64 v[42:43], v[0:1], v[2:3]
	flat_store_dwordx2 v[40:41], v[42:43] offset:216
	ds_read_b128 v[46:49], v58 offset:6032
	flat_load_dwordx4 v[0:3], v[40:41] offset:48
	s_waitcnt lgkmcnt(0)
	v_mul_f64 v[48:49], v[42:43], v[48:49]
	v_fma_f64 v[44:45], s[4:5], v[44:45], -v[48:49]
	v_mul_f64 v[44:45], v[46:47], v[44:45]
	flat_store_dwordx2 v[40:41], v[44:45] offset:208
	ds_read_b64 v[50:51], v58 offset:5816
	ds_read2_b64 v[46:49], v52 offset1:1
	s_waitcnt lgkmcnt(0)
	v_mul_f64 v[50:51], v[42:43], v[50:51]
	v_fma_f64 v[38:39], s[4:5], v[38:39], -v[50:51]
	v_fma_f64 v[38:39], -v[44:45], v[48:49], v[38:39]
	v_mul_f64 v[38:39], v[46:47], v[38:39]
	flat_store_dwordx2 v[40:41], v[38:39] offset:200
	ds_read_b128 v[46:49], v58 offset:5568
	ds_read_b128 v[50:53], v58 offset:5584
	s_waitcnt lgkmcnt(0)
	v_mul_f64 v[52:53], v[42:43], v[52:53]
	v_fma_f64 v[36:37], s[4:5], v[36:37], -v[52:53]
	v_fma_f64 v[36:37], -v[44:45], v[50:51], v[36:37]
	v_fma_f64 v[36:37], -v[38:39], v[48:49], v[36:37]
	v_mul_f64 v[36:37], v[46:47], v[36:37]
	flat_store_dwordx2 v[40:41], v[36:37] offset:192
	ds_read_b64 v[54:55], v58 offset:5368
	ds_read2_b64 v[46:49], v56 offset1:1
	ds_read2_b64 v[50:53], v57 offset1:1
	s_waitcnt lgkmcnt(0)
	v_mul_f64 v[54:55], v[42:43], v[54:55]
	v_fma_f64 v[34:35], s[4:5], v[34:35], -v[54:55]
	v_fma_f64 v[34:35], -v[44:45], v[48:49], v[34:35]
	v_fma_f64 v[34:35], -v[38:39], v[46:47], v[34:35]
	;; [unrolled: 1-line block ×3, first 2 shown]
	v_mul_f64 v[34:35], v[50:51], v[34:35]
	flat_store_dwordx2 v[40:41], v[34:35] offset:184
	ds_read_b128 v[46:49], v58 offset:5136
	ds_read_b128 v[50:53], v58 offset:5104
	;; [unrolled: 1-line block ×3, first 2 shown]
	s_waitcnt lgkmcnt(0)
	v_mul_f64 v[48:49], v[42:43], v[48:49]
	v_fma_f64 v[32:33], s[4:5], v[32:33], -v[48:49]
	v_fma_f64 v[32:33], -v[44:45], v[46:47], v[32:33]
	v_fma_f64 v[32:33], -v[38:39], v[56:57], v[32:33]
	;; [unrolled: 1-line block ×4, first 2 shown]
	v_mul_f64 v[32:33], v[50:51], v[32:33]
	flat_store_dwordx2 v[40:41], v[32:33] offset:176
	ds_read_b64 v[60:61], v58 offset:4920
	ds_read2_b64 v[46:49], v59 offset1:1
	ds_read2_b64 v[50:53], v62 offset1:1
	;; [unrolled: 1-line block ×3, first 2 shown]
	v_mov_b32_e32 v59, 0xde8
	s_waitcnt lgkmcnt(0)
	v_mul_f64 v[60:61], v[42:43], v[60:61]
	v_fma_f64 v[30:31], s[4:5], v[30:31], -v[60:61]
	v_fma_f64 v[30:31], -v[44:45], v[48:49], v[30:31]
	v_fma_f64 v[30:31], -v[38:39], v[46:47], v[30:31]
	;; [unrolled: 1-line block ×5, first 2 shown]
	v_mul_f64 v[30:31], v[54:55], v[30:31]
	flat_store_dwordx2 v[40:41], v[30:31] offset:168
	ds_read_b128 v[46:49], v58 offset:4672
	ds_read_b128 v[50:53], v58 offset:4688
	s_waitcnt lgkmcnt(0)
	v_mul_f64 v[52:53], v[42:43], v[52:53]
	v_fma_f64 v[28:29], s[4:5], v[28:29], -v[52:53]
	ds_read_b128 v[52:55], v58 offset:4640
	ds_read_b128 v[60:63], v58 offset:4656
	v_fma_f64 v[28:29], -v[44:45], v[50:51], v[28:29]
	v_fma_f64 v[28:29], -v[38:39], v[48:49], v[28:29]
	;; [unrolled: 1-line block ×3, first 2 shown]
	s_waitcnt lgkmcnt(0)
	v_fma_f64 v[28:29], -v[34:35], v[62:63], v[28:29]
	v_fma_f64 v[28:29], -v[32:33], v[60:61], v[28:29]
	;; [unrolled: 1-line block ×3, first 2 shown]
	v_mul_f64 v[28:29], v[52:53], v[28:29]
	flat_store_dwordx2 v[40:41], v[28:29] offset:160
	ds_read_b64 v[64:65], v58 offset:4472
	ds_read2_b64 v[46:49], v66 offset1:1
	ds_read2_b64 v[50:53], v67 offset1:1
	;; [unrolled: 1-line block ×4, first 2 shown]
	s_waitcnt lgkmcnt(0)
	v_mul_f64 v[64:65], v[42:43], v[64:65]
	v_fma_f64 v[26:27], s[4:5], v[26:27], -v[64:65]
	v_fma_f64 v[26:27], -v[44:45], v[48:49], v[26:27]
	v_fma_f64 v[26:27], -v[38:39], v[46:47], v[26:27]
	;; [unrolled: 1-line block ×7, first 2 shown]
	v_mul_f64 v[26:27], v[60:61], v[26:27]
	flat_store_dwordx2 v[40:41], v[26:27] offset:152
	ds_read_b128 v[46:49], v58 offset:4240
	ds_read_b128 v[50:53], v58 offset:4208
	;; [unrolled: 1-line block ×3, first 2 shown]
	v_mov_b32_e32 v64, 0xc28
	v_mov_b32_e32 v65, 0xc18
	;; [unrolled: 1-line block ×3, first 2 shown]
	s_waitcnt lgkmcnt(0)
	v_mul_f64 v[48:49], v[42:43], v[48:49]
	v_fma_f64 v[24:25], s[4:5], v[24:25], -v[48:49]
	v_fma_f64 v[24:25], -v[44:45], v[46:47], v[24:25]
	ds_read_b128 v[46:49], v58 offset:4176
	ds_read_b128 v[60:63], v58 offset:4192
	v_fma_f64 v[24:25], -v[38:39], v[56:57], v[24:25]
	v_fma_f64 v[24:25], -v[36:37], v[54:55], v[24:25]
	;; [unrolled: 1-line block ×4, first 2 shown]
	s_waitcnt lgkmcnt(0)
	v_fma_f64 v[24:25], -v[30:31], v[62:63], v[24:25]
	v_fma_f64 v[24:25], -v[28:29], v[60:61], v[24:25]
	;; [unrolled: 1-line block ×3, first 2 shown]
	v_mul_f64 v[24:25], v[46:47], v[24:25]
	flat_store_dwordx2 v[40:41], v[24:25] offset:144
	ds_read_b64 v[60:61], v58 offset:4024
	ds_read2_b64 v[46:49], v70 offset1:1
	ds_read2_b64 v[50:53], v71 offset1:1
	;; [unrolled: 1-line block ×3, first 2 shown]
	v_mov_b32_e32 v67, 0xbf8
	v_mov_b32_e32 v68, 0xbe8
	;; [unrolled: 1-line block ×3, first 2 shown]
	s_waitcnt lgkmcnt(0)
	v_mul_f64 v[60:61], v[42:43], v[60:61]
	v_fma_f64 v[22:23], s[4:5], v[22:23], -v[60:61]
	v_fma_f64 v[22:23], -v[44:45], v[48:49], v[22:23]
	v_fma_f64 v[22:23], -v[38:39], v[46:47], v[22:23]
	ds_read2_b64 v[46:49], v73 offset1:1
	ds_read2_b64 v[60:63], v74 offset1:1
	v_fma_f64 v[22:23], -v[36:37], v[52:53], v[22:23]
	v_fma_f64 v[22:23], -v[34:35], v[50:51], v[22:23]
	;; [unrolled: 1-line block ×4, first 2 shown]
	s_waitcnt lgkmcnt(0)
	v_fma_f64 v[22:23], -v[28:29], v[48:49], v[22:23]
	v_fma_f64 v[22:23], -v[26:27], v[46:47], v[22:23]
	;; [unrolled: 1-line block ×3, first 2 shown]
	v_mul_f64 v[22:23], v[60:61], v[22:23]
	flat_store_dwordx2 v[40:41], v[22:23] offset:136
	ds_read_b128 v[46:49], v58 offset:3792
	ds_read_b128 v[50:53], v58 offset:3776
	;; [unrolled: 1-line block ×4, first 2 shown]
	v_mov_b32_e32 v70, 0xbc8
	v_mov_b32_e32 v71, 0xa68
	s_waitcnt lgkmcnt(0)
	v_mul_f64 v[48:49], v[42:43], v[48:49]
	v_fma_f64 v[20:21], s[4:5], v[20:21], -v[48:49]
	v_fma_f64 v[20:21], -v[44:45], v[46:47], v[20:21]
	v_fma_f64 v[20:21], -v[38:39], v[52:53], v[20:21]
	;; [unrolled: 1-line block ×3, first 2 shown]
	ds_read_b128 v[46:49], v58 offset:3712
	ds_read_b128 v[50:53], v58 offset:3728
	v_fma_f64 v[20:21], -v[34:35], v[62:63], v[20:21]
	v_fma_f64 v[20:21], -v[32:33], v[60:61], v[20:21]
	;; [unrolled: 1-line block ×4, first 2 shown]
	s_waitcnt lgkmcnt(0)
	v_fma_f64 v[20:21], -v[26:27], v[52:53], v[20:21]
	v_fma_f64 v[20:21], -v[24:25], v[50:51], v[20:21]
	;; [unrolled: 1-line block ×3, first 2 shown]
	v_mul_f64 v[20:21], v[46:47], v[20:21]
	flat_store_dwordx2 v[40:41], v[20:21] offset:128
	ds_read_b64 v[60:61], v58 offset:3576
	ds_read2_b64 v[46:49], v59 offset1:1
	ds_read2_b64 v[50:53], v75 offset1:1
	;; [unrolled: 1-line block ×3, first 2 shown]
	v_mov_b32_e32 v72, 0xa58
	v_mov_b32_e32 v73, 0xa48
	;; [unrolled: 1-line block ×3, first 2 shown]
	s_waitcnt lgkmcnt(0)
	v_mul_f64 v[60:61], v[42:43], v[60:61]
	v_fma_f64 v[18:19], s[4:5], v[18:19], -v[60:61]
	v_fma_f64 v[18:19], -v[44:45], v[48:49], v[18:19]
	v_fma_f64 v[18:19], -v[38:39], v[46:47], v[18:19]
	;; [unrolled: 1-line block ×4, first 2 shown]
	ds_read2_b64 v[46:49], v77 offset1:1
	ds_read2_b64 v[50:53], v78 offset1:1
	;; [unrolled: 1-line block ×3, first 2 shown]
	v_fma_f64 v[18:19], -v[32:33], v[56:57], v[18:19]
	v_fma_f64 v[18:19], -v[30:31], v[54:55], v[18:19]
	s_waitcnt lgkmcnt(0)
	v_fma_f64 v[18:19], -v[28:29], v[48:49], v[18:19]
	v_fma_f64 v[18:19], -v[26:27], v[46:47], v[18:19]
	v_fma_f64 v[18:19], -v[24:25], v[52:53], v[18:19]
	v_fma_f64 v[18:19], -v[22:23], v[50:51], v[18:19]
	v_fma_f64 v[18:19], -v[20:21], v[62:63], v[18:19]
	v_mul_f64 v[18:19], v[60:61], v[18:19]
	flat_store_dwordx2 v[40:41], v[18:19] offset:120
	ds_read_b128 v[46:49], v58 offset:3344
	ds_read_b128 v[50:53], v58 offset:3328
	;; [unrolled: 1-line block ×3, first 2 shown]
	v_mov_b32_e32 v59, 0xa28
	v_mov_b32_e32 v75, 0xa18
	;; [unrolled: 1-line block ×3, first 2 shown]
	s_waitcnt lgkmcnt(0)
	v_mul_f64 v[48:49], v[42:43], v[48:49]
	v_fma_f64 v[16:17], s[4:5], v[16:17], -v[48:49]
	v_fma_f64 v[16:17], -v[44:45], v[46:47], v[16:17]
	ds_read_b128 v[46:49], v58 offset:3280
	ds_read_b128 v[60:63], v58 offset:3296
	v_fma_f64 v[16:17], -v[38:39], v[52:53], v[16:17]
	v_fma_f64 v[16:17], -v[36:37], v[50:51], v[16:17]
	;; [unrolled: 1-line block ×4, first 2 shown]
	ds_read_b128 v[50:53], v58 offset:3248
	ds_read_b128 v[54:57], v58 offset:3264
	s_waitcnt lgkmcnt(0)
	v_fma_f64 v[16:17], -v[30:31], v[62:63], v[16:17]
	v_fma_f64 v[16:17], -v[28:29], v[60:61], v[16:17]
	;; [unrolled: 1-line block ×7, first 2 shown]
	v_mul_f64 v[16:17], v[50:51], v[16:17]
	flat_store_dwordx2 v[40:41], v[16:17] offset:112
	ds_read_b64 v[60:61], v58 offset:3128
	ds_read2_b64 v[46:49], v64 offset1:1
	ds_read2_b64 v[50:53], v65 offset1:1
	;; [unrolled: 1-line block ×3, first 2 shown]
	v_mov_b32_e32 v77, 0x9f8
	v_mov_b32_e32 v78, 0x8a8
	;; [unrolled: 1-line block ×3, first 2 shown]
	s_waitcnt lgkmcnt(0)
	v_mul_f64 v[60:61], v[42:43], v[60:61]
	v_fma_f64 v[14:15], s[4:5], v[14:15], -v[60:61]
	v_fma_f64 v[14:15], -v[44:45], v[48:49], v[14:15]
	v_fma_f64 v[14:15], -v[38:39], v[46:47], v[14:15]
	;; [unrolled: 1-line block ×4, first 2 shown]
	ds_read2_b64 v[46:49], v67 offset1:1
	ds_read2_b64 v[50:53], v68 offset1:1
	v_fma_f64 v[14:15], -v[32:33], v[56:57], v[14:15]
	v_fma_f64 v[14:15], -v[30:31], v[54:55], v[14:15]
	ds_read2_b64 v[54:57], v69 offset1:1
	ds_read2_b64 v[60:63], v70 offset1:1
	s_waitcnt lgkmcnt(0)
	v_fma_f64 v[14:15], -v[28:29], v[48:49], v[14:15]
	v_fma_f64 v[14:15], -v[26:27], v[46:47], v[14:15]
	;; [unrolled: 1-line block ×7, first 2 shown]
	v_mul_f64 v[14:15], v[60:61], v[14:15]
	flat_store_dwordx2 v[40:41], v[14:15] offset:104
	ds_read_b128 v[46:49], v58 offset:2896
	ds_read_b128 v[50:53], v58 offset:2880
	;; [unrolled: 1-line block ×4, first 2 shown]
	v_mov_b32_e32 v68, 0x888
	v_mov_b32_e32 v69, 0x878
	s_waitcnt lgkmcnt(0)
	v_mul_f64 v[48:49], v[42:43], v[48:49]
	v_fma_f64 v[12:13], s[4:5], v[12:13], -v[48:49]
	v_fma_f64 v[12:13], -v[44:45], v[46:47], v[12:13]
	v_fma_f64 v[12:13], -v[38:39], v[52:53], v[12:13]
	;; [unrolled: 1-line block ×3, first 2 shown]
	ds_read_b128 v[46:49], v58 offset:2816
	ds_read_b128 v[50:53], v58 offset:2832
	v_fma_f64 v[12:13], -v[34:35], v[56:57], v[12:13]
	v_fma_f64 v[12:13], -v[32:33], v[54:55], v[12:13]
	;; [unrolled: 1-line block ×4, first 2 shown]
	ds_read_b128 v[54:57], v58 offset:2784
	ds_read_b128 v[60:63], v58 offset:2800
	s_waitcnt lgkmcnt(0)
	v_fma_f64 v[12:13], -v[26:27], v[52:53], v[12:13]
	v_fma_f64 v[12:13], -v[24:25], v[50:51], v[12:13]
	;; [unrolled: 1-line block ×7, first 2 shown]
	v_mul_f64 v[46:47], v[54:55], v[12:13]
	flat_store_dwordx2 v[40:41], v[46:47] offset:96
	ds_read_b64 v[12:13], v58 offset:2680
	ds_read2_b64 v[48:51], v71 offset1:1
	ds_read2_b64 v[52:55], v72 offset1:1
	;; [unrolled: 1-line block ×3, first 2 shown]
	v_mov_b32_e32 v70, 0x868
	v_mov_b32_e32 v72, 0x828
	s_waitcnt lgkmcnt(0)
	v_mul_f64 v[12:13], v[42:43], v[12:13]
	v_fma_f64 v[10:11], s[4:5], v[10:11], -v[12:13]
	v_fma_f64 v[10:11], -v[44:45], v[50:51], v[10:11]
	v_fma_f64 v[56:57], -v[38:39], v[48:49], v[10:11]
	ds_read2_b64 v[10:13], v74 offset1:1
	ds_read2_b64 v[48:51], v59 offset1:1
	v_fma_f64 v[54:55], -v[36:37], v[54:55], v[56:57]
	v_fma_f64 v[52:53], -v[34:35], v[52:53], v[54:55]
	;; [unrolled: 1-line block ×4, first 2 shown]
	s_waitcnt lgkmcnt(0)
	v_fma_f64 v[12:13], -v[28:29], v[12:13], v[56:57]
	ds_read2_b64 v[52:55], v75 offset1:1
	ds_read2_b64 v[60:63], v76 offset1:1
	;; [unrolled: 1-line block ×3, first 2 shown]
	v_fma_f64 v[10:11], -v[26:27], v[10:11], v[12:13]
	v_fma_f64 v[10:11], -v[24:25], v[50:51], v[10:11]
	;; [unrolled: 1-line block ×3, first 2 shown]
	s_waitcnt lgkmcnt(0)
	v_fma_f64 v[10:11], -v[20:21], v[54:55], v[10:11]
	v_fma_f64 v[10:11], -v[18:19], v[52:53], v[10:11]
	;; [unrolled: 1-line block ×5, first 2 shown]
	v_mul_f64 v[48:49], v[64:65], v[10:11]
	flat_store_dwordx2 v[40:41], v[48:49] offset:88
	ds_read_b128 v[10:13], v58 offset:2448
	ds_read_b128 v[50:53], v58 offset:2432
	;; [unrolled: 1-line block ×5, first 2 shown]
	v_mov_b32_e32 v59, 0x838
	s_waitcnt lgkmcnt(0)
	v_mul_f64 v[12:13], v[42:43], v[12:13]
	v_fma_f64 v[8:9], s[4:5], v[8:9], -v[12:13]
	v_fma_f64 v[8:9], -v[44:45], v[10:11], v[8:9]
	v_fma_f64 v[8:9], -v[38:39], v[52:53], v[8:9]
	;; [unrolled: 1-line block ×4, first 2 shown]
	ds_read_b128 v[8:11], v58 offset:2352
	ds_read_b128 v[50:53], v58 offset:2368
	v_fma_f64 v[12:13], -v[32:33], v[54:55], v[12:13]
	v_fma_f64 v[12:13], -v[30:31], v[62:63], v[12:13]
	;; [unrolled: 1-line block ×4, first 2 shown]
	ds_read_b128 v[54:57], v58 offset:2320
	ds_read_b128 v[60:63], v58 offset:2336
	v_fma_f64 v[12:13], -v[24:25], v[64:65], v[12:13]
	s_waitcnt lgkmcnt(0)
	v_fma_f64 v[12:13], -v[22:23], v[52:53], v[12:13]
	v_fma_f64 v[12:13], -v[20:21], v[50:51], v[12:13]
	;; [unrolled: 1-line block ×7, first 2 shown]
	v_mul_f64 v[50:51], v[54:55], v[8:9]
	flat_store_dwordx2 v[40:41], v[50:51] offset:80
	ds_read_b64 v[12:13], v58 offset:2232
	ds_read2_b64 v[8:11], v78 offset1:1
	ds_read2_b64 v[52:55], v79 offset1:1
	;; [unrolled: 1-line block ×5, first 2 shown]
	s_waitcnt lgkmcnt(0)
	v_mul_f64 v[12:13], v[42:43], v[12:13]
	v_fma_f64 v[6:7], s[4:5], v[6:7], -v[12:13]
	v_fma_f64 v[6:7], -v[44:45], v[10:11], v[6:7]
	v_fma_f64 v[56:57], -v[38:39], v[8:9], v[6:7]
	;; [unrolled: 1-line block ×6, first 2 shown]
	ds_read2_b64 v[6:9], v80 offset1:1
	ds_read2_b64 v[10:13], v81 offset1:1
	v_fma_f64 v[56:57], -v[28:29], v[66:67], v[56:57]
	v_fma_f64 v[56:57], -v[26:27], v[64:65], v[56:57]
	;; [unrolled: 1-line block ×4, first 2 shown]
	ds_read2_b64 v[52:55], v59 offset1:1
	ds_read2_b64 v[60:63], v72 offset1:1
	s_waitcnt lgkmcnt(0)
	v_fma_f64 v[8:9], -v[20:21], v[8:9], v[56:57]
	v_fma_f64 v[6:7], -v[18:19], v[6:7], v[8:9]
	;; [unrolled: 1-line block ×7, first 2 shown]
	v_mul_f64 v[52:53], v[60:61], v[6:7]
	flat_store_dwordx2 v[40:41], v[52:53] offset:72
	ds_read_b128 v[10:13], v58 offset:2000
	flat_load_dwordx4 v[6:9], v[40:41] offset:32
	ds_read_b128 v[54:57], v58 offset:1984
	ds_read_b128 v[60:63], v58 offset:1968
	;; [unrolled: 1-line block ×5, first 2 shown]
	s_waitcnt lgkmcnt(0)
	v_mul_f64 v[12:13], v[42:43], v[12:13]
	v_fma_f64 v[4:5], s[4:5], v[4:5], -v[12:13]
	v_fma_f64 v[4:5], -v[44:45], v[10:11], v[4:5]
	v_fma_f64 v[4:5], -v[38:39], v[56:57], v[4:5]
	v_fma_f64 v[4:5], -v[36:37], v[54:55], v[4:5]
	v_fma_f64 v[4:5], -v[34:35], v[62:63], v[4:5]
	v_fma_f64 v[4:5], -v[32:33], v[60:61], v[4:5]
	v_fma_f64 v[4:5], -v[30:31], v[66:67], v[4:5]
	ds_read_b128 v[10:13], v58 offset:1856
	ds_read_b128 v[54:57], v58 offset:1872
	v_fma_f64 v[4:5], -v[28:29], v[64:65], v[4:5]
	ds_read_b128 v[60:63], v58 offset:1888
	ds_read_b128 v[64:67], v58 offset:1904
	v_fma_f64 v[4:5], -v[26:27], v[70:71], v[4:5]
	v_fma_f64 v[4:5], -v[24:25], v[68:69], v[4:5]
	;; [unrolled: 1-line block ×4, first 2 shown]
	s_waitcnt lgkmcnt(0)
	v_fma_f64 v[4:5], -v[18:19], v[66:67], v[4:5]
	v_fma_f64 v[4:5], -v[16:17], v[64:65], v[4:5]
	;; [unrolled: 1-line block ×7, first 2 shown]
	v_mul_f64 v[4:5], v[10:11], v[4:5]
	flat_store_dwordx2 v[40:41], v[4:5] offset:64
	ds_read_b64 v[68:69], v58 offset:1784
	ds_read2_b64 v[10:13], v58 offset0:221 offset1:222
	ds_read2_b64 v[54:57], v58 offset0:219 offset1:220
	;; [unrolled: 1-line block ×4, first 2 shown]
	s_waitcnt lgkmcnt(0)
	v_mul_f64 v[68:69], v[42:43], v[68:69]
	s_waitcnt vmcnt(0)
	v_fma_f64 v[2:3], s[4:5], v[2:3], -v[68:69]
	v_fma_f64 v[2:3], -v[44:45], v[12:13], v[2:3]
	v_fma_f64 v[2:3], -v[38:39], v[10:11], v[2:3]
	;; [unrolled: 1-line block ×4, first 2 shown]
	ds_read2_b64 v[10:13], v58 offset0:213 offset1:214
	ds_read2_b64 v[68:71], v58 offset0:211 offset1:212
	v_fma_f64 v[2:3], -v[32:33], v[62:63], v[2:3]
	v_fma_f64 v[2:3], -v[30:31], v[60:61], v[2:3]
	;; [unrolled: 1-line block ×4, first 2 shown]
	ds_read2_b64 v[54:57], v58 offset0:209 offset1:210
	ds_read2_b64 v[60:63], v58 offset0:207 offset1:208
	s_waitcnt lgkmcnt(3)
	v_fma_f64 v[2:3], -v[24:25], v[12:13], v[2:3]
	v_fma_f64 v[2:3], -v[22:23], v[10:11], v[2:3]
	s_waitcnt lgkmcnt(2)
	v_fma_f64 v[2:3], -v[20:21], v[70:71], v[2:3]
	v_fma_f64 v[2:3], -v[18:19], v[68:69], v[2:3]
	ds_read2_b64 v[10:13], v58 offset0:205 offset1:206
	ds_read2_b64 v[64:67], v58 offset0:203 offset1:204
	s_waitcnt lgkmcnt(3)
	v_fma_f64 v[2:3], -v[16:17], v[56:57], v[2:3]
	v_fma_f64 v[2:3], -v[14:15], v[54:55], v[2:3]
	s_waitcnt lgkmcnt(2)
	v_fma_f64 v[2:3], -v[46:47], v[62:63], v[2:3]
	v_fma_f64 v[2:3], -v[48:49], v[60:61], v[2:3]
	;; [unrolled: 3-line block ×3, first 2 shown]
	s_waitcnt lgkmcnt(0)
	v_fma_f64 v[2:3], -v[4:5], v[66:67], v[2:3]
	v_mul_f64 v[54:55], v[64:65], v[2:3]
	flat_store_dwordx2 v[40:41], v[54:55] offset:56
	ds_read_b128 v[10:13], v58 offset:1552
	ds_read_b128 v[60:63], v58 offset:1536
	;; [unrolled: 1-line block ×5, first 2 shown]
	s_waitcnt lgkmcnt(0)
	v_mul_f64 v[2:3], v[42:43], v[12:13]
	v_fma_f64 v[12:13], s[4:5], v[0:1], -v[2:3]
	v_fma_f64 v[10:11], -v[44:45], v[10:11], v[12:13]
	v_fma_f64 v[10:11], -v[38:39], v[62:63], v[10:11]
	;; [unrolled: 1-line block ×4, first 2 shown]
	ds_read_b128 v[0:3], v58 offset:1472
	v_fma_f64 v[10:11], -v[32:33], v[64:65], v[10:11]
	v_fma_f64 v[10:11], -v[30:31], v[70:71], v[10:11]
	;; [unrolled: 1-line block ×5, first 2 shown]
	ds_read_b128 v[10:13], v58 offset:1456
	s_waitcnt lgkmcnt(0)
	v_fma_f64 v[2:3], -v[22:23], v[2:3], v[56:57]
	v_fma_f64 v[56:57], -v[20:21], v[0:1], v[2:3]
	ds_read_b128 v[0:3], v58 offset:1424
	ds_read_b128 v[60:63], v58 offset:1440
	v_fma_f64 v[12:13], -v[18:19], v[12:13], v[56:57]
	v_fma_f64 v[56:57], -v[16:17], v[10:11], v[12:13]
	ds_read_b128 v[10:13], v58 offset:1392
	ds_read_b128 v[64:67], v58 offset:1408
	s_waitcnt lgkmcnt(0)
	v_fma_f64 v[56:57], -v[14:15], v[62:63], v[56:57]
	v_fma_f64 v[56:57], -v[46:47], v[60:61], v[56:57]
	;; [unrolled: 1-line block ×7, first 2 shown]
	v_mul_f64 v[56:57], v[10:11], v[0:1]
	flat_store_dwordx2 v[40:41], v[56:57] offset:48
	ds_read_b64 v[60:61], v58 offset:1336
	ds_read2_b64 v[0:3], v58 offset0:165 offset1:166
	flat_load_dwordx4 v[10:13], v[40:41] offset:16
	s_waitcnt lgkmcnt(0)
	v_mul_f64 v[64:65], v[42:43], v[60:61]
	ds_read2_b64 v[60:63], v58 offset0:163 offset1:164
	v_fma_f64 v[8:9], s[4:5], v[8:9], -v[64:65]
	v_fma_f64 v[2:3], -v[44:45], v[2:3], v[8:9]
	ds_read2_b64 v[64:67], v58 offset0:161 offset1:162
	v_fma_f64 v[0:1], -v[38:39], v[0:1], v[2:3]
	s_waitcnt lgkmcnt(0)
	v_fma_f64 v[8:9], -v[36:37], v[62:63], v[0:1]
	ds_read2_b64 v[0:3], v58 offset0:159 offset1:160
	v_fma_f64 v[8:9], -v[34:35], v[60:61], v[8:9]
	ds_read2_b64 v[60:63], v58 offset0:157 offset1:158
	v_fma_f64 v[8:9], -v[32:33], v[66:67], v[8:9]
	v_fma_f64 v[8:9], -v[30:31], v[64:65], v[8:9]
	s_waitcnt lgkmcnt(0)
	v_fma_f64 v[2:3], -v[28:29], v[2:3], v[8:9]
	ds_read2_b64 v[64:67], v58 offset0:155 offset1:156
	v_fma_f64 v[0:1], -v[26:27], v[0:1], v[2:3]
	v_fma_f64 v[8:9], -v[24:25], v[62:63], v[0:1]
	ds_read2_b64 v[0:3], v58 offset0:153 offset1:154
	v_fma_f64 v[8:9], -v[22:23], v[60:61], v[8:9]
	s_waitcnt lgkmcnt(0)
	v_fma_f64 v[8:9], -v[20:21], v[66:67], v[8:9]
	ds_read2_b64 v[60:63], v58 offset0:151 offset1:152
	v_fma_f64 v[8:9], -v[18:19], v[64:65], v[8:9]
	v_fma_f64 v[2:3], -v[16:17], v[2:3], v[8:9]
	;; [unrolled: 1-line block ×3, first 2 shown]
	ds_read2_b64 v[0:3], v58 offset0:149 offset1:150
	s_waitcnt lgkmcnt(0)
	v_fma_f64 v[8:9], -v[46:47], v[62:63], v[8:9]
	ds_read2_b64 v[62:65], v58 offset0:147 offset1:148
	ds_read2_b64 v[66:69], v58 offset0:145 offset1:146
	v_fma_f64 v[8:9], -v[48:49], v[60:61], v[8:9]
	v_fma_f64 v[2:3], -v[50:51], v[2:3], v[8:9]
	;; [unrolled: 1-line block ×3, first 2 shown]
	s_waitcnt lgkmcnt(0)
	v_fma_f64 v[0:1], -v[4:5], v[64:65], v[0:1]
	v_fma_f64 v[0:1], -v[54:55], v[62:63], v[0:1]
	;; [unrolled: 1-line block ×3, first 2 shown]
	v_mul_f64 v[8:9], v[66:67], v[0:1]
	flat_store_dwordx2 v[40:41], v[8:9] offset:40
	ds_read_b128 v[0:3], v58 offset:1104
	ds_read_b128 v[60:63], v58 offset:1088
	;; [unrolled: 1-line block ×3, first 2 shown]
	s_waitcnt lgkmcnt(0)
	v_mul_f64 v[2:3], v[42:43], v[2:3]
	v_fma_f64 v[2:3], s[4:5], v[6:7], -v[2:3]
	v_fma_f64 v[0:1], -v[44:45], v[0:1], v[2:3]
	v_fma_f64 v[6:7], -v[38:39], v[62:63], v[0:1]
	ds_read_b128 v[0:3], v58 offset:1056
	v_fma_f64 v[6:7], -v[36:37], v[60:61], v[6:7]
	ds_read_b128 v[60:63], v58 offset:1040
	v_fma_f64 v[6:7], -v[34:35], v[66:67], v[6:7]
	v_fma_f64 v[6:7], -v[32:33], v[64:65], v[6:7]
	s_waitcnt lgkmcnt(0)
	v_fma_f64 v[2:3], -v[30:31], v[2:3], v[6:7]
	ds_read_b128 v[64:67], v58 offset:1024
	v_fma_f64 v[0:1], -v[28:29], v[0:1], v[2:3]
	v_fma_f64 v[6:7], -v[26:27], v[62:63], v[0:1]
	ds_read_b128 v[0:3], v58 offset:1008
	v_fma_f64 v[6:7], -v[24:25], v[60:61], v[6:7]
	s_waitcnt lgkmcnt(0)
	v_fma_f64 v[6:7], -v[22:23], v[66:67], v[6:7]
	v_fma_f64 v[6:7], -v[20:21], v[64:65], v[6:7]
	ds_read_b128 v[60:63], v58 offset:992
	v_fma_f64 v[2:3], -v[18:19], v[2:3], v[6:7]
	v_fma_f64 v[6:7], -v[16:17], v[0:1], v[2:3]
	ds_read_b128 v[0:3], v58 offset:960
	ds_read_b128 v[64:67], v58 offset:976
	s_waitcnt lgkmcnt(0)
	v_fma_f64 v[6:7], -v[14:15], v[62:63], v[6:7]
	v_fma_f64 v[6:7], -v[46:47], v[60:61], v[6:7]
	ds_read_b128 v[60:63], v58 offset:928
	ds_read_b128 v[68:71], v58 offset:944
	v_fma_f64 v[6:7], -v[48:49], v[66:67], v[6:7]
	v_fma_f64 v[6:7], -v[50:51], v[64:65], v[6:7]
	v_fma_f64 v[2:3], -v[52:53], v[2:3], v[6:7]
	v_fma_f64 v[0:1], -v[4:5], v[0:1], v[2:3]
	s_waitcnt lgkmcnt(0)
	v_fma_f64 v[0:1], -v[54:55], v[70:71], v[0:1]
	v_fma_f64 v[0:1], -v[56:57], v[68:69], v[0:1]
	;; [unrolled: 1-line block ×3, first 2 shown]
	v_mul_f64 v[6:7], v[60:61], v[0:1]
	flat_store_dwordx2 v[40:41], v[6:7] offset:32
	ds_read_b64 v[64:65], v58 offset:888
	ds_read2_b64 v[60:63], v58 offset0:109 offset1:110
	flat_load_dwordx4 v[0:3], v[40:41]
	s_waitcnt lgkmcnt(0)
	v_mul_f64 v[68:69], v[42:43], v[64:65]
	ds_read2_b64 v[64:67], v58 offset0:107 offset1:108
	s_waitcnt vmcnt(0)
	v_fma_f64 v[12:13], s[4:5], v[12:13], -v[68:69]
	ds_read2_b64 v[68:71], v58 offset0:105 offset1:106
	v_fma_f64 v[12:13], -v[44:45], v[62:63], v[12:13]
	v_fma_f64 v[12:13], -v[38:39], v[60:61], v[12:13]
	ds_read2_b64 v[60:63], v58 offset0:103 offset1:104
	s_waitcnt lgkmcnt(2)
	v_fma_f64 v[12:13], -v[36:37], v[66:67], v[12:13]
	v_fma_f64 v[12:13], -v[34:35], v[64:65], v[12:13]
	ds_read2_b64 v[64:67], v58 offset0:101 offset1:102
	s_waitcnt lgkmcnt(2)
	;; [unrolled: 4-line block ×9, first 2 shown]
	v_fma_f64 v[12:13], -v[4:5], v[62:63], v[12:13]
	v_fma_f64 v[12:13], -v[54:55], v[60:61], v[12:13]
	s_waitcnt lgkmcnt(1)
	v_fma_f64 v[12:13], -v[56:57], v[66:67], v[12:13]
	v_fma_f64 v[12:13], -v[8:9], v[64:65], v[12:13]
	s_waitcnt lgkmcnt(0)
	v_fma_f64 v[12:13], -v[6:7], v[70:71], v[12:13]
	v_mul_f64 v[12:13], v[68:69], v[12:13]
	flat_store_dwordx2 v[40:41], v[12:13] offset:24
	ds_read_b128 v[60:63], v58 offset:656
	ds_read_b128 v[64:67], v58 offset:640
	;; [unrolled: 1-line block ×3, first 2 shown]
	s_waitcnt lgkmcnt(0)
	v_mul_f64 v[62:63], v[42:43], v[62:63]
	v_fma_f64 v[10:11], s[4:5], v[10:11], -v[62:63]
	v_fma_f64 v[10:11], -v[44:45], v[60:61], v[10:11]
	ds_read_b128 v[60:63], v58 offset:608
	v_fma_f64 v[10:11], -v[38:39], v[66:67], v[10:11]
	v_fma_f64 v[10:11], -v[36:37], v[64:65], v[10:11]
	ds_read_b128 v[64:67], v58 offset:592
	v_fma_f64 v[10:11], -v[34:35], v[70:71], v[10:11]
	v_fma_f64 v[10:11], -v[32:33], v[68:69], v[10:11]
	ds_read_b128 v[68:71], v58 offset:576
	s_waitcnt lgkmcnt(0)
	v_fma_f64 v[10:11], -v[30:31], v[62:63], v[10:11]
	v_fma_f64 v[10:11], -v[28:29], v[60:61], v[10:11]
	ds_read_b128 v[60:63], v58 offset:560
	v_fma_f64 v[10:11], -v[26:27], v[66:67], v[10:11]
	v_fma_f64 v[10:11], -v[24:25], v[64:65], v[10:11]
	ds_read_b128 v[64:67], v58 offset:544
	v_fma_f64 v[10:11], -v[22:23], v[70:71], v[10:11]
	v_fma_f64 v[10:11], -v[20:21], v[68:69], v[10:11]
	s_waitcnt lgkmcnt(0)
	v_fma_f64 v[10:11], -v[18:19], v[62:63], v[10:11]
	v_fma_f64 v[10:11], -v[16:17], v[60:61], v[10:11]
	ds_read_b128 v[60:63], v58 offset:528
	v_fma_f64 v[10:11], -v[14:15], v[66:67], v[10:11]
	v_fma_f64 v[10:11], -v[46:47], v[64:65], v[10:11]
	ds_read_b128 v[64:67], v58 offset:496
	ds_read_b128 v[68:71], v58 offset:512
	s_waitcnt lgkmcnt(0)
	v_fma_f64 v[10:11], -v[48:49], v[62:63], v[10:11]
	v_fma_f64 v[10:11], -v[50:51], v[60:61], v[10:11]
	ds_read_b128 v[60:63], v58 offset:464
	ds_read_b128 v[72:75], v58 offset:480
	v_fma_f64 v[10:11], -v[52:53], v[70:71], v[10:11]
	v_fma_f64 v[10:11], -v[4:5], v[68:69], v[10:11]
	;; [unrolled: 1-line block ×4, first 2 shown]
	s_waitcnt lgkmcnt(0)
	v_fma_f64 v[10:11], -v[8:9], v[74:75], v[10:11]
	v_fma_f64 v[10:11], -v[6:7], v[72:73], v[10:11]
	;; [unrolled: 1-line block ×3, first 2 shown]
	v_mul_f64 v[10:11], v[60:61], v[10:11]
	flat_store_dwordx2 v[40:41], v[10:11] offset:16
	ds_read_b64 v[64:65], v58 offset:440
	ds_read2_b64 v[60:63], v58 offset0:53 offset1:54
	s_waitcnt lgkmcnt(0)
	v_mul_f64 v[68:69], v[42:43], v[64:65]
	ds_read2_b64 v[64:67], v58 offset0:51 offset1:52
	v_fma_f64 v[2:3], s[4:5], v[2:3], -v[68:69]
	ds_read2_b64 v[68:71], v58 offset0:49 offset1:50
	v_fma_f64 v[2:3], -v[44:45], v[62:63], v[2:3]
	v_fma_f64 v[2:3], -v[38:39], v[60:61], v[2:3]
	ds_read2_b64 v[60:63], v58 offset0:47 offset1:48
	s_waitcnt lgkmcnt(0)
	v_fma_f64 v[2:3], -v[36:37], v[66:67], v[2:3]
	v_fma_f64 v[2:3], -v[34:35], v[64:65], v[2:3]
	ds_read2_b64 v[64:67], v58 offset0:45 offset1:46
	v_fma_f64 v[2:3], -v[32:33], v[70:71], v[2:3]
	v_fma_f64 v[2:3], -v[30:31], v[68:69], v[2:3]
	ds_read2_b64 v[68:71], v58 offset0:43 offset1:44
	v_fma_f64 v[2:3], -v[28:29], v[62:63], v[2:3]
	v_fma_f64 v[2:3], -v[26:27], v[60:61], v[2:3]
	ds_read2_b64 v[60:63], v58 offset0:41 offset1:42
	s_waitcnt lgkmcnt(0)
	v_fma_f64 v[2:3], -v[24:25], v[66:67], v[2:3]
	v_fma_f64 v[2:3], -v[22:23], v[64:65], v[2:3]
	ds_read2_b64 v[64:67], v58 offset0:39 offset1:40
	v_fma_f64 v[2:3], -v[20:21], v[70:71], v[2:3]
	v_fma_f64 v[2:3], -v[18:19], v[68:69], v[2:3]
	;; [unrolled: 10-line block ×3, first 2 shown]
	ds_read2_b64 v[68:71], v58 offset0:31 offset1:32
	v_fma_f64 v[2:3], -v[4:5], v[62:63], v[2:3]
	v_fma_f64 v[2:3], -v[54:55], v[60:61], v[2:3]
	ds_read2_b64 v[60:63], v58 offset0:29 offset1:30
	s_waitcnt lgkmcnt(0)
	v_fma_f64 v[2:3], -v[56:57], v[66:67], v[2:3]
	v_fma_f64 v[2:3], -v[8:9], v[64:65], v[2:3]
	;; [unrolled: 1-line block ×5, first 2 shown]
	v_mul_f64 v[68:69], v[60:61], v[2:3]
	flat_store_dwordx2 v[40:41], v[68:69] offset:8
	ds_read_b128 v[60:63], v58 offset:208
	ds_read_b128 v[64:67], v58 offset:192
	s_waitcnt lgkmcnt(0)
	v_mul_f64 v[2:3], v[42:43], v[62:63]
	v_fma_f64 v[42:43], s[4:5], v[0:1], -v[2:3]
	ds_read_b128 v[0:3], v58 offset:176
	v_fma_f64 v[42:43], -v[44:45], v[60:61], v[42:43]
	v_fma_f64 v[38:39], -v[38:39], v[66:67], v[42:43]
	ds_read_b128 v[42:45], v58 offset:160
	v_fma_f64 v[36:37], -v[36:37], v[64:65], v[38:39]
	s_waitcnt lgkmcnt(0)
	v_fma_f64 v[2:3], -v[34:35], v[2:3], v[36:37]
	ds_read_b128 v[34:37], v58 offset:144
	v_fma_f64 v[0:1], -v[32:33], v[0:1], v[2:3]
	v_fma_f64 v[30:31], -v[30:31], v[44:45], v[0:1]
	ds_read_b128 v[0:3], v58 offset:128
	v_fma_f64 v[28:29], -v[28:29], v[42:43], v[30:31]
	s_waitcnt lgkmcnt(0)
	v_fma_f64 v[30:31], -v[26:27], v[36:37], v[28:29]
	;; [unrolled: 7-line block ×3, first 2 shown]
	ds_read_b128 v[0:3], v58 offset:80
	v_fma_f64 v[16:17], -v[16:17], v[26:27], v[18:19]
	v_fma_f64 v[14:15], -v[14:15], v[24:25], v[16:17]
	;; [unrolled: 1-line block ×3, first 2 shown]
	ds_read_b128 v[14:17], v58 offset:64
	s_waitcnt lgkmcnt(0)
	v_fma_f64 v[2:3], -v[48:49], v[2:3], v[18:19]
	v_fma_f64 v[22:23], -v[50:51], v[0:1], v[2:3]
	ds_read_b128 v[0:3], v58 offset:32
	ds_read_b128 v[18:21], v58 offset:48
	v_fma_f64 v[16:17], -v[52:53], v[16:17], v[22:23]
	v_fma_f64 v[4:5], -v[4:5], v[14:15], v[16:17]
	ds_read_b128 v[14:17], v58
	ds_read_b128 v[22:25], v58 offset:16
	s_waitcnt lgkmcnt(0)
	v_fma_f64 v[4:5], -v[54:55], v[20:21], v[4:5]
	v_fma_f64 v[4:5], -v[56:57], v[18:19], v[4:5]
	;; [unrolled: 1-line block ×7, first 2 shown]
	v_mul_f64 v[0:1], v[14:15], v[0:1]
	flat_store_dwordx2 v[40:41], v[0:1]
.LBB100_10:
	s_cmp_gt_i32 s0, -1
	s_cbranch_scc0 .LBB100_33
; %bb.11:
	s_cmp_lt_u32 s0, 23
	s_cbranch_scc1 .LBB100_16
; %bb.12:
	s_mov_b32 s3, 0
	s_mov_b32 s1, s3
	v_lshl_add_u64 v[8:9], s[0:1], 3, v[40:41]
	v_add_co_u32_e32 v4, vcc, -8, v8
	s_cmp_le_i32 s8, s0
	s_nop 0
	v_addc_co_u32_e32 v5, vcc, -1, v9, vcc
	v_add_co_u32_e32 v6, vcc, 0xffffffe8, v8
	s_nop 1
	v_addc_co_u32_e32 v7, vcc, -1, v9, vcc
	flat_load_dwordx4 v[0:3], v[4:5]
	flat_load_dwordx4 v[12:15], v[6:7]
	v_add_co_u32_e32 v4, vcc, 0xffffffd8, v8
	s_waitcnt vmcnt(0) lgkmcnt(0)
	v_mul_f64 v[50:51], s[4:5], v[0:1]
	v_addc_co_u32_e32 v5, vcc, -1, v9, vcc
	v_add_co_u32_e32 v6, vcc, 0xffffffc8, v8
	v_mul_f64 v[10:11], s[4:5], v[14:15]
	s_nop 0
	v_addc_co_u32_e32 v7, vcc, -1, v9, vcc
	flat_load_dwordx4 v[16:19], v[4:5]
	flat_load_dwordx4 v[22:25], v[6:7]
	v_add_co_u32_e32 v4, vcc, 0xffffffb8, v8
	v_mul_f64 v[12:13], s[4:5], v[12:13]
	s_nop 0
	v_addc_co_u32_e32 v5, vcc, -1, v9, vcc
	v_add_co_u32_e32 v6, vcc, 0xffffffa8, v8
	s_waitcnt vmcnt(0) lgkmcnt(0)
	v_mul_f64 v[14:15], s[4:5], v[18:19]
	v_addc_co_u32_e32 v7, vcc, -1, v9, vcc
	flat_load_dwordx4 v[28:31], v[4:5]
	flat_load_dwordx4 v[34:37], v[6:7]
	v_add_co_u32_e32 v4, vcc, 0xffffff98, v8
	v_mul_f64 v[18:19], s[4:5], v[16:17]
	s_nop 0
	v_addc_co_u32_e32 v5, vcc, -1, v9, vcc
	v_add_co_u32_e32 v6, vcc, 0xffffff88, v8
	v_mul_f64 v[20:21], s[4:5], v[24:25]
	s_nop 0
	v_addc_co_u32_e32 v7, vcc, -1, v9, vcc
	flat_load_dwordx4 v[42:45], v[4:5]
	flat_load_dwordx4 v[46:49], v[6:7]
	v_add_co_u32_e32 v4, vcc, 0xffffff78, v8
	v_mul_f64 v[22:23], s[4:5], v[22:23]
	s_nop 0
	v_addc_co_u32_e32 v5, vcc, -1, v9, vcc
	v_add_co_u32_e32 v6, vcc, 0xffffff68, v8
	s_waitcnt vmcnt(0) lgkmcnt(0)
	v_mul_f64 v[26:27], s[4:5], v[30:31]
	v_addc_co_u32_e32 v7, vcc, -1, v9, vcc
	flat_load_dwordx4 v[52:55], v[4:5]
	flat_load_dwordx4 v[56:59], v[6:7]
	v_add_co_u32_e32 v4, vcc, 0xffffff58, v8
	v_mul_f64 v[6:7], s[4:5], v[2:3]
	s_nop 0
	v_addc_co_u32_e32 v5, vcc, -1, v9, vcc
	flat_load_dwordx4 v[60:63], v[4:5]
	v_add_co_u32_e32 v4, vcc, 0xffffff48, v8
	v_mul_f64 v[28:29], s[4:5], v[28:29]
	s_nop 0
	v_addc_co_u32_e32 v5, vcc, -1, v9, vcc
	flat_load_dwordx4 v[64:67], v[4:5]
	v_mul_f64 v[32:33], s[4:5], v[36:37]
	v_mul_f64 v[34:35], s[4:5], v[34:35]
	;; [unrolled: 1-line block ×6, first 2 shown]
	s_waitcnt vmcnt(0) lgkmcnt(0)
	v_mul_f64 v[42:43], s[4:5], v[54:55]
	v_mul_f64 v[36:37], s[4:5], v[52:53]
	;; [unrolled: 1-line block ×8, first 2 shown]
	s_cbranch_scc1 .LBB100_15
; %bb.13:
	s_mul_i32 s1, s0, 0xe0
	s_lshl_b32 s2, s22, 3
	s_add_i32 s1, s1, s2
	s_addk_i32 s1, 0xebd8
	s_mov_b32 s2, s8
.LBB100_14:                             ; =>This Inner Loop Header: Depth=1
	v_lshl_add_u64 v[52:53], s[2:3], 3, v[40:41]
	flat_load_dwordx2 v[60:61], v[52:53]
	v_mov_b32_e32 v62, s1
	v_add_u32_e32 v56, 0x1000, v62
	ds_read2_b64 v[52:55], v56 offset0:104 offset1:132
	v_add_u32_e32 v57, 0xc00, v62
	v_add_u32_e32 v58, 0x800, v62
	s_add_i32 s2, s2, -1
	s_add_i32 s1, s1, -8
	s_cmp_gt_i32 s2, s0
	s_waitcnt vmcnt(0) lgkmcnt(0)
	v_fma_f64 v[6:7], -v[60:61], v[54:55], v[6:7]
	v_fma_f64 v[50:51], -v[60:61], v[52:53], v[50:51]
	ds_read2_b64 v[52:55], v56 offset0:48 offset1:76
	s_waitcnt lgkmcnt(0)
	v_fma_f64 v[10:11], -v[60:61], v[54:55], v[10:11]
	v_fma_f64 v[12:13], -v[60:61], v[52:53], v[12:13]
	ds_read2_b64 v[52:55], v57 offset0:120 offset1:148
	s_waitcnt lgkmcnt(0)
	v_fma_f64 v[14:15], -v[60:61], v[54:55], v[14:15]
	v_fma_f64 v[18:19], -v[60:61], v[52:53], v[18:19]
	ds_read2_b64 v[52:55], v58 offset0:192 offset1:220
	s_waitcnt lgkmcnt(0)
	v_fma_f64 v[20:21], -v[60:61], v[54:55], v[20:21]
	v_fma_f64 v[22:23], -v[60:61], v[52:53], v[22:23]
	ds_read2_b64 v[52:55], v58 offset0:136 offset1:164
	s_waitcnt lgkmcnt(0)
	v_fma_f64 v[26:27], -v[60:61], v[54:55], v[26:27]
	v_fma_f64 v[28:29], -v[60:61], v[52:53], v[28:29]
	ds_read2_b64 v[52:55], v58 offset0:80 offset1:108
	s_waitcnt lgkmcnt(0)
	v_fma_f64 v[32:33], -v[60:61], v[54:55], v[32:33]
	v_fma_f64 v[34:35], -v[60:61], v[52:53], v[34:35]
	ds_read2_b64 v[52:55], v62 offset0:224 offset1:252
	ds_read2_b64 v[56:59], v58 offset0:24 offset1:52
	s_waitcnt lgkmcnt(1)
	v_fma_f64 v[48:49], -v[60:61], v[54:55], v[48:49]
	s_waitcnt lgkmcnt(0)
	v_fma_f64 v[38:39], -v[60:61], v[58:59], v[38:39]
	v_fma_f64 v[44:45], -v[60:61], v[56:57], v[44:45]
	ds_read2_b64 v[56:59], v62 offset0:168 offset1:196
	v_fma_f64 v[46:47], -v[60:61], v[52:53], v[46:47]
	ds_read2_b64 v[52:55], v62 offset0:112 offset1:140
	s_waitcnt lgkmcnt(1)
	v_fma_f64 v[42:43], -v[60:61], v[58:59], v[42:43]
	v_fma_f64 v[36:37], -v[60:61], v[56:57], v[36:37]
	ds_read2_b64 v[56:59], v62 offset0:56 offset1:84
	s_waitcnt lgkmcnt(1)
	v_fma_f64 v[30:31], -v[60:61], v[54:55], v[30:31]
	v_fma_f64 v[24:25], -v[60:61], v[52:53], v[24:25]
	ds_read2_b64 v[52:55], v62 offset1:28
	s_waitcnt lgkmcnt(1)
	v_fma_f64 v[16:17], -v[60:61], v[58:59], v[16:17]
	v_fma_f64 v[4:5], -v[60:61], v[56:57], v[4:5]
	s_waitcnt lgkmcnt(0)
	v_fma_f64 v[2:3], -v[60:61], v[54:55], v[2:3]
	v_fma_f64 v[0:1], -v[60:61], v[52:53], v[0:1]
	s_cbranch_scc1 .LBB100_14
.LBB100_15:
	s_mul_i32 s1, s0, 0xe8
	v_mov_b32_e32 v52, s1
	ds_read_b64 v[52:53], v52
	s_add_i32 s2, s0, -1
	s_mul_i32 s1, s2, 0xe0
	s_lshl_b32 s3, s2, 3
	s_add_i32 s3, s1, s3
	s_waitcnt lgkmcnt(0)
	v_mul_f64 v[6:7], v[52:53], v[6:7]
	flat_store_dwordx2 v[8:9], v[6:7]
	v_mov_b32_e32 v8, s3
	ds_read2_b64 v[52:55], v8 offset1:1
	s_mov_b32 s3, 0
	s_add_i32 s7, s1, 0xffffff20
	s_lshl_b32 s6, s0, 3
	v_lshl_add_u64 v[56:57], s[2:3], 3, v[40:41]
	s_add_i32 s2, s0, -2
	s_add_i32 s9, s7, s6
	s_waitcnt lgkmcnt(0)
	v_fma_f64 v[8:9], -v[6:7], v[54:55], v[50:51]
	v_mov_b32_e32 v50, s9
	s_lshl_b32 s9, s2, 3
	v_mul_f64 v[8:9], v[52:53], v[8:9]
	s_add_i32 s7, s7, s9
	flat_store_dwordx2 v[56:57], v[8:9]
	v_mov_b32_e32 v51, s7
	ds_read_b64 v[54:55], v50
	ds_read2_b64 v[50:53], v51 offset1:1
	s_add_i32 s7, s1, 0xfffffe40
	s_add_i32 s9, s7, s6
	s_add_i32 s9, s9, -8
	s_waitcnt lgkmcnt(0)
	v_fma_f64 v[10:11], -v[6:7], v[54:55], v[10:11]
	v_fma_f64 v[10:11], -v[8:9], v[52:53], v[10:11]
	v_mul_f64 v[10:11], v[50:51], v[10:11]
	v_lshl_add_u64 v[50:51], s[2:3], 3, v[40:41]
	s_add_i32 s2, s0, -3
	flat_store_dwordx2 v[50:51], v[10:11]
	v_mov_b32_e32 v50, s9
	s_lshl_b32 s9, s2, 3
	ds_read2_b64 v[50:53], v50 offset1:1
	s_add_i32 s7, s7, s9
	v_mov_b32_e32 v54, s7
	ds_read2_b64 v[54:57], v54 offset1:1
	s_add_i32 s7, s1, 0xfffffd60
	s_waitcnt lgkmcnt(0)
	v_fma_f64 v[12:13], -v[6:7], v[52:53], v[12:13]
	v_fma_f64 v[12:13], -v[8:9], v[50:51], v[12:13]
	v_lshl_add_u64 v[50:51], s[2:3], 3, v[40:41]
	v_fma_f64 v[12:13], -v[10:11], v[56:57], v[12:13]
	v_mul_f64 v[12:13], v[54:55], v[12:13]
	s_add_i32 s9, s7, s6
	flat_store_dwordx2 v[50:51], v[12:13]
	s_add_i32 s2, s0, -4
	v_mov_b32_e32 v50, s9
	s_add_i32 s9, s9, -16
	v_mov_b32_e32 v51, s9
	s_lshl_b32 s9, s2, 3
	ds_read_b64 v[58:59], v50
	ds_read2_b64 v[50:53], v51 offset1:1
	s_add_i32 s7, s7, s9
	v_mov_b32_e32 v54, s7
	ds_read2_b64 v[54:57], v54 offset1:1
	s_waitcnt lgkmcnt(0)
	v_fma_f64 v[14:15], -v[6:7], v[58:59], v[14:15]
	v_fma_f64 v[14:15], -v[8:9], v[52:53], v[14:15]
	;; [unrolled: 1-line block ×3, first 2 shown]
	s_add_i32 s7, s1, 0xfffffc80
	v_fma_f64 v[14:15], -v[12:13], v[56:57], v[14:15]
	s_add_i32 s9, s7, s6
	v_mul_f64 v[14:15], v[54:55], v[14:15]
	v_lshl_add_u64 v[50:51], s[2:3], 3, v[40:41]
	s_add_i32 s11, s9, -8
	s_sub_i32 s9, s9, 24
	flat_store_dwordx2 v[50:51], v[14:15]
	s_add_i32 s2, s0, -5
	v_mov_b32_e32 v50, s11
	v_mov_b32_e32 v54, s9
	ds_read2_b64 v[50:53], v50 offset1:1
	ds_read2_b64 v[54:57], v54 offset1:1
	s_lshl_b32 s9, s2, 3
	s_add_i32 s7, s7, s9
	v_mov_b32_e32 v58, s7
	ds_read2_b64 v[58:61], v58 offset1:1
	s_waitcnt lgkmcnt(0)
	v_fma_f64 v[18:19], -v[6:7], v[52:53], v[18:19]
	v_fma_f64 v[18:19], -v[8:9], v[50:51], v[18:19]
	;; [unrolled: 1-line block ×5, first 2 shown]
	s_add_i32 s7, s1, 0xfffffba0
	v_mul_f64 v[18:19], v[58:59], v[18:19]
	v_lshl_add_u64 v[50:51], s[2:3], 3, v[40:41]
	s_add_i32 s9, s7, s6
	flat_store_dwordx2 v[50:51], v[18:19]
	v_mov_b32_e32 v50, s9
	ds_read_b64 v[54:55], v50
	s_add_i32 s11, s9, -16
	v_mov_b32_e32 v50, s11
	s_add_i32 s2, s0, -6
	ds_read2_b64 v[50:53], v50 offset1:1
	s_sub_i32 s9, s9, 32
	s_waitcnt lgkmcnt(0)
	v_fma_f64 v[20:21], -v[6:7], v[54:55], v[20:21]
	v_mov_b32_e32 v54, s9
	s_lshl_b32 s9, s2, 3
	ds_read2_b64 v[54:57], v54 offset1:1
	s_add_i32 s7, s7, s9
	v_mov_b32_e32 v58, s7
	ds_read2_b64 v[58:61], v58 offset1:1
	v_fma_f64 v[20:21], -v[8:9], v[52:53], v[20:21]
	v_fma_f64 v[20:21], -v[10:11], v[50:51], v[20:21]
	s_waitcnt lgkmcnt(0)
	v_fma_f64 v[20:21], -v[12:13], v[56:57], v[20:21]
	v_fma_f64 v[20:21], -v[14:15], v[54:55], v[20:21]
	s_add_i32 s7, s1, 0xfffffac0
	v_fma_f64 v[20:21], -v[18:19], v[60:61], v[20:21]
	s_add_i32 s9, s7, s6
	v_mul_f64 v[20:21], v[58:59], v[20:21]
	v_lshl_add_u64 v[50:51], s[2:3], 3, v[40:41]
	s_add_i32 s2, s9, -8
	flat_store_dwordx2 v[50:51], v[20:21]
	v_mov_b32_e32 v50, s2
	ds_read2_b64 v[50:53], v50 offset1:1
	s_sub_i32 s11, s9, 24
	v_mov_b32_e32 v54, s11
	s_add_i32 s2, s0, -7
	ds_read2_b64 v[54:57], v54 offset1:1
	s_waitcnt lgkmcnt(0)
	v_fma_f64 v[22:23], -v[6:7], v[52:53], v[22:23]
	s_sub_i32 s9, s9, 40
	v_fma_f64 v[22:23], -v[8:9], v[50:51], v[22:23]
	v_mov_b32_e32 v50, s9
	s_lshl_b32 s9, s2, 3
	ds_read2_b64 v[50:53], v50 offset1:1
	s_add_i32 s7, s7, s9
	v_mov_b32_e32 v58, s7
	ds_read2_b64 v[58:61], v58 offset1:1
	v_fma_f64 v[22:23], -v[10:11], v[56:57], v[22:23]
	v_fma_f64 v[22:23], -v[12:13], v[54:55], v[22:23]
	s_waitcnt lgkmcnt(0)
	v_fma_f64 v[22:23], -v[14:15], v[52:53], v[22:23]
	v_fma_f64 v[22:23], -v[18:19], v[50:51], v[22:23]
	s_add_i32 s7, s1, 0xfffff9e0
	v_fma_f64 v[22:23], -v[20:21], v[60:61], v[22:23]
	s_add_i32 s9, s7, s6
	v_mul_f64 v[22:23], v[58:59], v[22:23]
	v_lshl_add_u64 v[50:51], s[2:3], 3, v[40:41]
	s_add_i32 s2, s9, -16
	flat_store_dwordx2 v[50:51], v[22:23]
	v_mov_b32_e32 v50, s9
	v_mov_b32_e32 v51, s2
	ds_read_b64 v[54:55], v50
	ds_read2_b64 v[50:53], v51 offset1:1
	s_sub_i32 s11, s9, 32
	s_sub_i32 s9, s9, 48
	s_add_i32 s2, s0, -8
	s_waitcnt lgkmcnt(0)
	v_fma_f64 v[26:27], -v[6:7], v[54:55], v[26:27]
	v_fma_f64 v[26:27], -v[8:9], v[52:53], v[26:27]
	;; [unrolled: 1-line block ×3, first 2 shown]
	v_mov_b32_e32 v50, s11
	v_mov_b32_e32 v54, s9
	ds_read2_b64 v[50:53], v50 offset1:1
	ds_read2_b64 v[54:57], v54 offset1:1
	s_lshl_b32 s9, s2, 3
	s_add_i32 s7, s7, s9
	v_mov_b32_e32 v58, s7
	ds_read2_b64 v[58:61], v58 offset1:1
	s_waitcnt lgkmcnt(0)
	v_fma_f64 v[26:27], -v[12:13], v[52:53], v[26:27]
	v_fma_f64 v[26:27], -v[14:15], v[50:51], v[26:27]
	;; [unrolled: 1-line block ×4, first 2 shown]
	s_add_i32 s7, s1, 0xfffff900
	v_fma_f64 v[26:27], -v[22:23], v[60:61], v[26:27]
	s_add_i32 s9, s7, s6
	v_mul_f64 v[26:27], v[58:59], v[26:27]
	v_lshl_add_u64 v[50:51], s[2:3], 3, v[40:41]
	s_add_i32 s2, s9, -8
	flat_store_dwordx2 v[50:51], v[26:27]
	v_mov_b32_e32 v50, s2
	ds_read2_b64 v[50:53], v50 offset1:1
	s_sub_i32 s2, s9, 24
	v_mov_b32_e32 v54, s2
	ds_read2_b64 v[54:57], v54 offset1:1
	s_sub_i32 s11, s9, 40
	s_waitcnt lgkmcnt(0)
	v_fma_f64 v[28:29], -v[6:7], v[52:53], v[28:29]
	v_fma_f64 v[28:29], -v[8:9], v[50:51], v[28:29]
	s_sub_i32 s9, s9, 56
	v_fma_f64 v[28:29], -v[10:11], v[56:57], v[28:29]
	s_add_i32 s2, s0, -9
	v_fma_f64 v[28:29], -v[12:13], v[54:55], v[28:29]
	v_mov_b32_e32 v50, s11
	v_mov_b32_e32 v54, s9
	ds_read2_b64 v[50:53], v50 offset1:1
	ds_read2_b64 v[54:57], v54 offset1:1
	s_lshl_b32 s9, s2, 3
	s_add_i32 s7, s7, s9
	v_mov_b32_e32 v58, s7
	ds_read2_b64 v[58:61], v58 offset1:1
	s_waitcnt lgkmcnt(0)
	v_fma_f64 v[28:29], -v[14:15], v[52:53], v[28:29]
	v_fma_f64 v[28:29], -v[18:19], v[50:51], v[28:29]
	;; [unrolled: 1-line block ×5, first 2 shown]
	s_add_i32 s7, s1, 0xfffff820
	v_mul_f64 v[28:29], v[58:59], v[28:29]
	v_lshl_add_u64 v[50:51], s[2:3], 3, v[40:41]
	s_add_i32 s9, s7, s6
	flat_store_dwordx2 v[50:51], v[28:29]
	v_mov_b32_e32 v50, s9
	s_add_i32 s2, s9, -16
	ds_read_b64 v[58:59], v50
	v_mov_b32_e32 v50, s2
	ds_read2_b64 v[50:53], v50 offset1:1
	s_sub_i32 s2, s9, 32
	v_mov_b32_e32 v54, s2
	ds_read2_b64 v[54:57], v54 offset1:1
	s_waitcnt lgkmcnt(0)
	v_fma_f64 v[32:33], -v[6:7], v[58:59], v[32:33]
	v_fma_f64 v[32:33], -v[8:9], v[52:53], v[32:33]
	;; [unrolled: 1-line block ×3, first 2 shown]
	s_sub_i32 s11, s9, 48
	v_fma_f64 v[32:33], -v[12:13], v[56:57], v[32:33]
	s_sub_i32 s9, s9, 64
	s_add_i32 s2, s0, -10
	v_fma_f64 v[32:33], -v[14:15], v[54:55], v[32:33]
	v_mov_b32_e32 v50, s11
	v_mov_b32_e32 v54, s9
	ds_read2_b64 v[50:53], v50 offset1:1
	ds_read2_b64 v[54:57], v54 offset1:1
	s_lshl_b32 s9, s2, 3
	s_add_i32 s7, s7, s9
	v_mov_b32_e32 v58, s7
	ds_read2_b64 v[58:61], v58 offset1:1
	s_waitcnt lgkmcnt(0)
	v_fma_f64 v[32:33], -v[18:19], v[52:53], v[32:33]
	v_fma_f64 v[32:33], -v[20:21], v[50:51], v[32:33]
	;; [unrolled: 1-line block ×4, first 2 shown]
	s_add_i32 s7, s1, 0xfffff740
	v_fma_f64 v[32:33], -v[28:29], v[60:61], v[32:33]
	s_add_i32 s9, s7, s6
	v_mul_f64 v[32:33], v[58:59], v[32:33]
	v_lshl_add_u64 v[50:51], s[2:3], 3, v[40:41]
	s_add_i32 s2, s9, -8
	flat_store_dwordx2 v[50:51], v[32:33]
	v_mov_b32_e32 v50, s2
	ds_read2_b64 v[50:53], v50 offset1:1
	s_sub_i32 s2, s9, 24
	v_mov_b32_e32 v54, s2
	ds_read2_b64 v[54:57], v54 offset1:1
	s_sub_i32 s11, s9, 40
	s_waitcnt lgkmcnt(0)
	v_fma_f64 v[34:35], -v[6:7], v[52:53], v[34:35]
	v_fma_f64 v[34:35], -v[8:9], v[50:51], v[34:35]
	v_mov_b32_e32 v50, s11
	ds_read2_b64 v[50:53], v50 offset1:1
	v_fma_f64 v[34:35], -v[10:11], v[56:57], v[34:35]
	s_sub_i32 s11, s9, 56
	v_fma_f64 v[34:35], -v[12:13], v[54:55], v[34:35]
	v_mov_b32_e32 v54, s11
	s_add_i32 s2, s0, -11
	ds_read2_b64 v[54:57], v54 offset1:1
	s_waitcnt lgkmcnt(0)
	v_fma_f64 v[34:35], -v[14:15], v[52:53], v[34:35]
	s_addk_i32 s9, 0xffb8
	v_fma_f64 v[34:35], -v[18:19], v[50:51], v[34:35]
	v_mov_b32_e32 v50, s9
	s_lshl_b32 s9, s2, 3
	ds_read2_b64 v[50:53], v50 offset1:1
	s_add_i32 s7, s7, s9
	v_mov_b32_e32 v58, s7
	ds_read2_b64 v[58:61], v58 offset1:1
	v_fma_f64 v[34:35], -v[20:21], v[56:57], v[34:35]
	v_fma_f64 v[34:35], -v[22:23], v[54:55], v[34:35]
	s_waitcnt lgkmcnt(0)
	v_fma_f64 v[34:35], -v[26:27], v[52:53], v[34:35]
	v_fma_f64 v[34:35], -v[28:29], v[50:51], v[34:35]
	;; [unrolled: 1-line block ×3, first 2 shown]
	s_add_i32 s7, s1, 0xfffff660
	v_mul_f64 v[34:35], v[58:59], v[34:35]
	v_lshl_add_u64 v[50:51], s[2:3], 3, v[40:41]
	s_add_i32 s9, s7, s6
	flat_store_dwordx2 v[50:51], v[34:35]
	v_mov_b32_e32 v50, s9
	s_add_i32 s2, s9, -16
	ds_read_b64 v[58:59], v50
	v_mov_b32_e32 v50, s2
	ds_read2_b64 v[50:53], v50 offset1:1
	s_sub_i32 s2, s9, 32
	v_mov_b32_e32 v54, s2
	s_waitcnt lgkmcnt(0)
	v_fma_f64 v[38:39], -v[6:7], v[58:59], v[38:39]
	ds_read2_b64 v[54:57], v54 offset1:1
	v_fma_f64 v[38:39], -v[8:9], v[52:53], v[38:39]
	s_sub_i32 s11, s9, 48
	v_fma_f64 v[38:39], -v[10:11], v[50:51], v[38:39]
	v_mov_b32_e32 v50, s11
	ds_read2_b64 v[50:53], v50 offset1:1
	s_waitcnt lgkmcnt(0)
	v_fma_f64 v[38:39], -v[12:13], v[56:57], v[38:39]
	s_sub_i32 s11, s9, 64
	v_fma_f64 v[38:39], -v[14:15], v[54:55], v[38:39]
	v_mov_b32_e32 v54, s11
	s_add_i32 s2, s0, -12
	ds_read2_b64 v[54:57], v54 offset1:1
	v_fma_f64 v[38:39], -v[18:19], v[52:53], v[38:39]
	s_addk_i32 s9, 0xffb0
	v_fma_f64 v[38:39], -v[20:21], v[50:51], v[38:39]
	v_mov_b32_e32 v50, s9
	s_lshl_b32 s9, s2, 3
	ds_read2_b64 v[50:53], v50 offset1:1
	s_add_i32 s7, s7, s9
	v_mov_b32_e32 v58, s7
	ds_read2_b64 v[58:61], v58 offset1:1
	s_waitcnt lgkmcnt(0)
	v_fma_f64 v[38:39], -v[22:23], v[56:57], v[38:39]
	v_fma_f64 v[38:39], -v[26:27], v[54:55], v[38:39]
	;; [unrolled: 1-line block ×4, first 2 shown]
	s_add_i32 s7, s1, 0xfffff580
	v_fma_f64 v[38:39], -v[34:35], v[60:61], v[38:39]
	s_add_i32 s9, s7, s6
	v_mul_f64 v[38:39], v[58:59], v[38:39]
	v_lshl_add_u64 v[50:51], s[2:3], 3, v[40:41]
	s_add_i32 s2, s9, -8
	flat_store_dwordx2 v[50:51], v[38:39]
	v_mov_b32_e32 v50, s2
	ds_read2_b64 v[50:53], v50 offset1:1
	s_sub_i32 s11, s9, 24
	v_mov_b32_e32 v54, s11
	ds_read2_b64 v[54:57], v54 offset1:1
	s_sub_i32 s11, s9, 40
	s_waitcnt lgkmcnt(0)
	v_fma_f64 v[44:45], -v[6:7], v[52:53], v[44:45]
	v_fma_f64 v[44:45], -v[8:9], v[50:51], v[44:45]
	v_mov_b32_e32 v50, s11
	ds_read2_b64 v[50:53], v50 offset1:1
	s_sub_i32 s11, s9, 56
	v_mov_b32_e32 v58, s11
	ds_read2_b64 v[58:61], v58 offset1:1
	v_fma_f64 v[44:45], -v[10:11], v[56:57], v[44:45]
	v_fma_f64 v[44:45], -v[12:13], v[54:55], v[44:45]
	s_waitcnt lgkmcnt(0)
	v_fma_f64 v[44:45], -v[14:15], v[52:53], v[44:45]
	s_add_i32 s11, s9, 0xffffffb8
	s_addk_i32 s9, 0xffa8
	s_add_i32 s2, s0, -13
	v_fma_f64 v[44:45], -v[18:19], v[50:51], v[44:45]
	v_mov_b32_e32 v50, s11
	v_mov_b32_e32 v54, s9
	ds_read2_b64 v[50:53], v50 offset1:1
	ds_read2_b64 v[54:57], v54 offset1:1
	s_lshl_b32 s9, s2, 3
	v_fma_f64 v[44:45], -v[20:21], v[60:61], v[44:45]
	s_add_i32 s7, s7, s9
	v_fma_f64 v[44:45], -v[22:23], v[58:59], v[44:45]
	v_mov_b32_e32 v58, s7
	ds_read2_b64 v[58:61], v58 offset1:1
	s_waitcnt lgkmcnt(0)
	v_fma_f64 v[44:45], -v[26:27], v[52:53], v[44:45]
	v_fma_f64 v[44:45], -v[28:29], v[50:51], v[44:45]
	;; [unrolled: 1-line block ×5, first 2 shown]
	s_add_i32 s7, s1, 0xfffff4a0
	v_mul_f64 v[44:45], v[58:59], v[44:45]
	v_lshl_add_u64 v[50:51], s[2:3], 3, v[40:41]
	s_add_i32 s9, s7, s6
	flat_store_dwordx2 v[50:51], v[44:45]
	v_mov_b32_e32 v50, s9
	s_add_i32 s11, s9, -16
	ds_read_b64 v[54:55], v50
	v_mov_b32_e32 v50, s11
	ds_read2_b64 v[50:53], v50 offset1:1
	s_sub_i32 s11, s9, 32
	s_add_i32 s2, s0, -14
	s_waitcnt lgkmcnt(0)
	v_fma_f64 v[48:49], -v[6:7], v[54:55], v[48:49]
	v_mov_b32_e32 v54, s11
	ds_read2_b64 v[54:57], v54 offset1:1
	v_fma_f64 v[48:49], -v[8:9], v[52:53], v[48:49]
	s_sub_i32 s11, s9, 48
	v_fma_f64 v[52:53], -v[10:11], v[50:51], v[48:49]
	v_mov_b32_e32 v48, s11
	ds_read2_b64 v[48:51], v48 offset1:1
	s_sub_i32 s11, s9, 64
	v_mov_b32_e32 v58, s11
	ds_read2_b64 v[58:61], v58 offset1:1
	s_waitcnt lgkmcnt(0)
	v_fma_f64 v[52:53], -v[12:13], v[56:57], v[52:53]
	v_fma_f64 v[52:53], -v[14:15], v[54:55], v[52:53]
	;; [unrolled: 1-line block ×5, first 2 shown]
	s_add_i32 s11, s9, 0xffffffb0
	s_addk_i32 s9, 0xffa0
	v_fma_f64 v[60:61], -v[26:27], v[58:59], v[48:49]
	v_mov_b32_e32 v48, s11
	v_mov_b32_e32 v52, s9
	ds_read2_b64 v[48:51], v48 offset1:1
	ds_read2_b64 v[52:55], v52 offset1:1
	s_lshl_b32 s9, s2, 3
	s_add_i32 s7, s7, s9
	v_mov_b32_e32 v56, s7
	ds_read2_b64 v[56:59], v56 offset1:1
	s_waitcnt lgkmcnt(0)
	v_fma_f64 v[50:51], -v[28:29], v[50:51], v[60:61]
	v_fma_f64 v[48:49], -v[32:33], v[48:49], v[50:51]
	;; [unrolled: 1-line block ×4, first 2 shown]
	s_add_i32 s7, s1, 0xfffff3c0
	v_fma_f64 v[48:49], -v[44:45], v[58:59], v[48:49]
	s_add_i32 s9, s7, s6
	v_mul_f64 v[48:49], v[56:57], v[48:49]
	v_lshl_add_u64 v[50:51], s[2:3], 3, v[40:41]
	s_add_i32 s2, s9, -8
	flat_store_dwordx2 v[50:51], v[48:49]
	v_mov_b32_e32 v50, s2
	ds_read2_b64 v[50:53], v50 offset1:1
	s_sub_i32 s11, s9, 24
	v_mov_b32_e32 v54, s11
	ds_read2_b64 v[54:57], v54 offset1:1
	s_sub_i32 s11, s9, 40
	s_waitcnt lgkmcnt(0)
	v_fma_f64 v[46:47], -v[6:7], v[52:53], v[46:47]
	v_fma_f64 v[46:47], -v[8:9], v[50:51], v[46:47]
	v_mov_b32_e32 v50, s11
	ds_read2_b64 v[50:53], v50 offset1:1
	s_sub_i32 s11, s9, 56
	v_fma_f64 v[46:47], -v[10:11], v[56:57], v[46:47]
	v_mov_b32_e32 v58, s11
	v_fma_f64 v[46:47], -v[12:13], v[54:55], v[46:47]
	ds_read2_b64 v[58:61], v58 offset1:1
	s_waitcnt lgkmcnt(0)
	v_fma_f64 v[46:47], -v[14:15], v[52:53], v[46:47]
	s_add_i32 s11, s9, 0xffffffb8
	v_fma_f64 v[46:47], -v[18:19], v[50:51], v[46:47]
	v_mov_b32_e32 v50, s11
	ds_read2_b64 v[50:53], v50 offset1:1
	v_fma_f64 v[46:47], -v[20:21], v[60:61], v[46:47]
	s_add_i32 s11, s9, 0xffffffa8
	v_fma_f64 v[46:47], -v[22:23], v[58:59], v[46:47]
	v_mov_b32_e32 v54, s11
	s_add_i32 s2, s0, -15
	ds_read2_b64 v[54:57], v54 offset1:1
	s_waitcnt lgkmcnt(0)
	v_fma_f64 v[46:47], -v[26:27], v[52:53], v[46:47]
	s_addk_i32 s9, 0xff98
	v_fma_f64 v[46:47], -v[28:29], v[50:51], v[46:47]
	v_mov_b32_e32 v50, s9
	s_lshl_b32 s9, s2, 3
	ds_read2_b64 v[50:53], v50 offset1:1
	s_add_i32 s7, s7, s9
	v_mov_b32_e32 v58, s7
	ds_read2_b64 v[58:61], v58 offset1:1
	v_fma_f64 v[46:47], -v[32:33], v[56:57], v[46:47]
	v_fma_f64 v[46:47], -v[34:35], v[54:55], v[46:47]
	s_waitcnt lgkmcnt(0)
	v_fma_f64 v[46:47], -v[38:39], v[52:53], v[46:47]
	v_fma_f64 v[46:47], -v[44:45], v[50:51], v[46:47]
	;; [unrolled: 1-line block ×3, first 2 shown]
	s_add_i32 s7, s1, 0xfffff2e0
	v_mul_f64 v[46:47], v[58:59], v[46:47]
	v_lshl_add_u64 v[50:51], s[2:3], 3, v[40:41]
	s_add_i32 s9, s7, s6
	flat_store_dwordx2 v[50:51], v[46:47]
	v_mov_b32_e32 v50, s9
	s_add_i32 s11, s9, -16
	ds_read_b64 v[54:55], v50
	v_mov_b32_e32 v50, s11
	ds_read2_b64 v[50:53], v50 offset1:1
	s_sub_i32 s11, s9, 32
	s_add_i32 s2, s0, -16
	s_waitcnt lgkmcnt(0)
	v_fma_f64 v[42:43], -v[6:7], v[54:55], v[42:43]
	v_mov_b32_e32 v54, s11
	ds_read2_b64 v[54:57], v54 offset1:1
	v_fma_f64 v[42:43], -v[8:9], v[52:53], v[42:43]
	s_sub_i32 s11, s9, 48
	v_fma_f64 v[42:43], -v[10:11], v[50:51], v[42:43]
	v_mov_b32_e32 v50, s11
	ds_read2_b64 v[50:53], v50 offset1:1
	s_sub_i32 s11, s9, 64
	s_waitcnt lgkmcnt(0)
	v_fma_f64 v[42:43], -v[12:13], v[56:57], v[42:43]
	v_mov_b32_e32 v58, s11
	v_fma_f64 v[42:43], -v[14:15], v[54:55], v[42:43]
	ds_read2_b64 v[58:61], v58 offset1:1
	v_fma_f64 v[42:43], -v[18:19], v[52:53], v[42:43]
	s_add_i32 s11, s9, 0xffffffb0
	v_fma_f64 v[42:43], -v[20:21], v[50:51], v[42:43]
	v_mov_b32_e32 v50, s11
	ds_read2_b64 v[50:53], v50 offset1:1
	s_waitcnt lgkmcnt(0)
	v_fma_f64 v[42:43], -v[22:23], v[60:61], v[42:43]
	s_add_i32 s11, s9, 0xffffffa0
	v_fma_f64 v[42:43], -v[26:27], v[58:59], v[42:43]
	v_mov_b32_e32 v54, s11
	ds_read2_b64 v[54:57], v54 offset1:1
	v_fma_f64 v[42:43], -v[28:29], v[52:53], v[42:43]
	s_addk_i32 s9, 0xff90
	v_fma_f64 v[42:43], -v[32:33], v[50:51], v[42:43]
	v_mov_b32_e32 v50, s9
	s_lshl_b32 s9, s2, 3
	ds_read2_b64 v[50:53], v50 offset1:1
	s_add_i32 s7, s7, s9
	v_mov_b32_e32 v58, s7
	ds_read2_b64 v[58:61], v58 offset1:1
	s_waitcnt lgkmcnt(0)
	v_fma_f64 v[42:43], -v[34:35], v[56:57], v[42:43]
	v_fma_f64 v[42:43], -v[38:39], v[54:55], v[42:43]
	;; [unrolled: 1-line block ×4, first 2 shown]
	s_add_i32 s7, s1, 0xfffff200
	v_fma_f64 v[42:43], -v[46:47], v[60:61], v[42:43]
	s_add_i32 s9, s7, s6
	v_mul_f64 v[42:43], v[58:59], v[42:43]
	v_lshl_add_u64 v[50:51], s[2:3], 3, v[40:41]
	s_add_i32 s2, s9, -8
	flat_store_dwordx2 v[50:51], v[42:43]
	v_mov_b32_e32 v50, s2
	ds_read2_b64 v[50:53], v50 offset1:1
	s_sub_i32 s2, s9, 24
	v_mov_b32_e32 v54, s2
	ds_read2_b64 v[54:57], v54 offset1:1
	s_sub_i32 s11, s9, 40
	s_waitcnt lgkmcnt(0)
	v_fma_f64 v[36:37], -v[6:7], v[52:53], v[36:37]
	v_fma_f64 v[36:37], -v[8:9], v[50:51], v[36:37]
	v_mov_b32_e32 v50, s11
	ds_read2_b64 v[50:53], v50 offset1:1
	v_fma_f64 v[36:37], -v[10:11], v[56:57], v[36:37]
	s_sub_i32 s11, s9, 56
	v_fma_f64 v[36:37], -v[12:13], v[54:55], v[36:37]
	v_mov_b32_e32 v54, s11
	ds_read2_b64 v[54:57], v54 offset1:1
	s_waitcnt lgkmcnt(0)
	v_fma_f64 v[36:37], -v[14:15], v[52:53], v[36:37]
	s_add_i32 s11, s9, 0xffffffb8
	v_fma_f64 v[36:37], -v[18:19], v[50:51], v[36:37]
	v_mov_b32_e32 v50, s11
	ds_read2_b64 v[50:53], v50 offset1:1
	s_add_i32 s11, s9, 0xffffffa8
	v_mov_b32_e32 v58, s11
	ds_read2_b64 v[58:61], v58 offset1:1
	v_fma_f64 v[36:37], -v[20:21], v[56:57], v[36:37]
	v_fma_f64 v[36:37], -v[22:23], v[54:55], v[36:37]
	s_waitcnt lgkmcnt(0)
	v_fma_f64 v[36:37], -v[26:27], v[52:53], v[36:37]
	s_add_i32 s11, s9, 0xffffff98
	s_addk_i32 s9, 0xff88
	s_sub_i32 s2, s0, 17
	v_fma_f64 v[36:37], -v[28:29], v[50:51], v[36:37]
	v_mov_b32_e32 v50, s11
	v_mov_b32_e32 v54, s9
	ds_read2_b64 v[50:53], v50 offset1:1
	ds_read2_b64 v[54:57], v54 offset1:1
	s_lshl_b32 s9, s2, 3
	v_fma_f64 v[36:37], -v[32:33], v[60:61], v[36:37]
	s_add_i32 s7, s7, s9
	v_fma_f64 v[36:37], -v[34:35], v[58:59], v[36:37]
	v_mov_b32_e32 v58, s7
	ds_read2_b64 v[58:61], v58 offset1:1
	s_waitcnt lgkmcnt(0)
	v_fma_f64 v[36:37], -v[38:39], v[52:53], v[36:37]
	v_fma_f64 v[36:37], -v[44:45], v[50:51], v[36:37]
	;; [unrolled: 1-line block ×5, first 2 shown]
	s_add_i32 s7, s1, 0xfffff120
	v_mul_f64 v[36:37], v[58:59], v[36:37]
	v_lshl_add_u64 v[50:51], s[2:3], 3, v[40:41]
	s_add_i32 s9, s7, s6
	flat_store_dwordx2 v[50:51], v[36:37]
	v_mov_b32_e32 v50, s9
	s_add_i32 s2, s9, -16
	ds_read_b64 v[58:59], v50
	v_mov_b32_e32 v50, s2
	ds_read2_b64 v[50:53], v50 offset1:1
	s_sub_i32 s2, s9, 32
	v_mov_b32_e32 v54, s2
	s_waitcnt lgkmcnt(0)
	v_fma_f64 v[30:31], -v[6:7], v[58:59], v[30:31]
	ds_read2_b64 v[54:57], v54 offset1:1
	v_fma_f64 v[30:31], -v[8:9], v[52:53], v[30:31]
	s_sub_i32 s11, s9, 48
	v_fma_f64 v[30:31], -v[10:11], v[50:51], v[30:31]
	v_mov_b32_e32 v50, s11
	ds_read2_b64 v[50:53], v50 offset1:1
	s_waitcnt lgkmcnt(0)
	v_fma_f64 v[30:31], -v[12:13], v[56:57], v[30:31]
	s_sub_i32 s11, s9, 64
	v_fma_f64 v[30:31], -v[14:15], v[54:55], v[30:31]
	v_mov_b32_e32 v54, s11
	ds_read2_b64 v[54:57], v54 offset1:1
	v_fma_f64 v[30:31], -v[18:19], v[52:53], v[30:31]
	s_add_i32 s11, s9, 0xffffffb0
	v_fma_f64 v[30:31], -v[20:21], v[50:51], v[30:31]
	v_mov_b32_e32 v50, s11
	ds_read2_b64 v[50:53], v50 offset1:1
	s_add_i32 s11, s9, 0xffffffa0
	v_mov_b32_e32 v58, s11
	ds_read2_b64 v[58:61], v58 offset1:1
	s_waitcnt lgkmcnt(0)
	v_fma_f64 v[30:31], -v[22:23], v[56:57], v[30:31]
	v_fma_f64 v[30:31], -v[26:27], v[54:55], v[30:31]
	;; [unrolled: 1-line block ×3, first 2 shown]
	s_add_i32 s11, s9, 0xffffff90
	s_addk_i32 s9, 0xff80
	s_sub_i32 s2, s0, 18
	v_fma_f64 v[30:31], -v[32:33], v[50:51], v[30:31]
	v_mov_b32_e32 v50, s11
	v_mov_b32_e32 v54, s9
	ds_read2_b64 v[50:53], v50 offset1:1
	ds_read2_b64 v[54:57], v54 offset1:1
	s_lshl_b32 s9, s2, 3
	v_fma_f64 v[30:31], -v[34:35], v[60:61], v[30:31]
	s_add_i32 s7, s7, s9
	v_fma_f64 v[30:31], -v[38:39], v[58:59], v[30:31]
	v_mov_b32_e32 v58, s7
	ds_read2_b64 v[58:61], v58 offset1:1
	s_waitcnt lgkmcnt(0)
	v_fma_f64 v[30:31], -v[44:45], v[52:53], v[30:31]
	v_fma_f64 v[30:31], -v[48:49], v[50:51], v[30:31]
	;; [unrolled: 1-line block ×4, first 2 shown]
	s_add_i32 s7, s1, 0xfffff040
	v_fma_f64 v[30:31], -v[36:37], v[60:61], v[30:31]
	s_add_i32 s9, s7, s6
	v_mul_f64 v[30:31], v[58:59], v[30:31]
	v_lshl_add_u64 v[50:51], s[2:3], 3, v[40:41]
	s_add_i32 s2, s9, -8
	flat_store_dwordx2 v[50:51], v[30:31]
	v_mov_b32_e32 v50, s2
	ds_read2_b64 v[50:53], v50 offset1:1
	s_sub_i32 s2, s9, 24
	v_mov_b32_e32 v54, s2
	ds_read2_b64 v[54:57], v54 offset1:1
	s_sub_i32 s11, s9, 40
	s_waitcnt lgkmcnt(0)
	v_fma_f64 v[24:25], -v[6:7], v[52:53], v[24:25]
	v_fma_f64 v[24:25], -v[8:9], v[50:51], v[24:25]
	v_mov_b32_e32 v50, s11
	ds_read2_b64 v[50:53], v50 offset1:1
	v_fma_f64 v[24:25], -v[10:11], v[56:57], v[24:25]
	s_sub_i32 s11, s9, 56
	v_fma_f64 v[24:25], -v[12:13], v[54:55], v[24:25]
	v_mov_b32_e32 v54, s11
	ds_read2_b64 v[54:57], v54 offset1:1
	s_waitcnt lgkmcnt(0)
	v_fma_f64 v[24:25], -v[14:15], v[52:53], v[24:25]
	s_add_i32 s11, s9, 0xffffffb8
	v_fma_f64 v[24:25], -v[18:19], v[50:51], v[24:25]
	v_mov_b32_e32 v50, s11
	ds_read2_b64 v[50:53], v50 offset1:1
	s_add_i32 s11, s9, 0xffffffa8
	v_fma_f64 v[24:25], -v[20:21], v[56:57], v[24:25]
	v_mov_b32_e32 v58, s11
	v_fma_f64 v[24:25], -v[22:23], v[54:55], v[24:25]
	ds_read2_b64 v[58:61], v58 offset1:1
	s_waitcnt lgkmcnt(0)
	v_fma_f64 v[24:25], -v[26:27], v[52:53], v[24:25]
	s_add_i32 s11, s9, 0xffffff98
	v_fma_f64 v[24:25], -v[28:29], v[50:51], v[24:25]
	v_mov_b32_e32 v50, s11
	ds_read2_b64 v[50:53], v50 offset1:1
	v_fma_f64 v[24:25], -v[32:33], v[60:61], v[24:25]
	s_add_i32 s11, s9, 0xffffff88
	v_fma_f64 v[24:25], -v[34:35], v[58:59], v[24:25]
	v_mov_b32_e32 v54, s11
	s_sub_i32 s2, s0, 19
	ds_read2_b64 v[54:57], v54 offset1:1
	s_waitcnt lgkmcnt(0)
	v_fma_f64 v[24:25], -v[38:39], v[52:53], v[24:25]
	s_addk_i32 s9, 0xff78
	v_fma_f64 v[24:25], -v[44:45], v[50:51], v[24:25]
	v_mov_b32_e32 v50, s9
	s_lshl_b32 s9, s2, 3
	ds_read2_b64 v[50:53], v50 offset1:1
	s_add_i32 s7, s7, s9
	v_mov_b32_e32 v58, s7
	ds_read2_b64 v[58:61], v58 offset1:1
	v_fma_f64 v[24:25], -v[48:49], v[56:57], v[24:25]
	v_fma_f64 v[24:25], -v[46:47], v[54:55], v[24:25]
	s_waitcnt lgkmcnt(0)
	v_fma_f64 v[24:25], -v[42:43], v[52:53], v[24:25]
	v_fma_f64 v[24:25], -v[36:37], v[50:51], v[24:25]
	;; [unrolled: 1-line block ×3, first 2 shown]
	s_add_i32 s7, s1, 0xffffef60
	v_mul_f64 v[24:25], v[58:59], v[24:25]
	v_lshl_add_u64 v[50:51], s[2:3], 3, v[40:41]
	s_add_i32 s9, s7, s6
	flat_store_dwordx2 v[50:51], v[24:25]
	v_mov_b32_e32 v50, s9
	s_add_i32 s2, s9, -16
	ds_read_b64 v[58:59], v50
	v_mov_b32_e32 v50, s2
	ds_read2_b64 v[50:53], v50 offset1:1
	s_sub_i32 s2, s9, 32
	v_mov_b32_e32 v54, s2
	s_waitcnt lgkmcnt(0)
	v_fma_f64 v[16:17], -v[6:7], v[58:59], v[16:17]
	ds_read2_b64 v[54:57], v54 offset1:1
	v_fma_f64 v[16:17], -v[8:9], v[52:53], v[16:17]
	s_sub_i32 s11, s9, 48
	v_fma_f64 v[16:17], -v[10:11], v[50:51], v[16:17]
	v_mov_b32_e32 v50, s11
	ds_read2_b64 v[50:53], v50 offset1:1
	s_waitcnt lgkmcnt(0)
	v_fma_f64 v[16:17], -v[12:13], v[56:57], v[16:17]
	s_sub_i32 s11, s9, 64
	v_fma_f64 v[16:17], -v[14:15], v[54:55], v[16:17]
	v_mov_b32_e32 v54, s11
	ds_read2_b64 v[54:57], v54 offset1:1
	v_fma_f64 v[16:17], -v[18:19], v[52:53], v[16:17]
	s_add_i32 s11, s9, 0xffffffb0
	v_fma_f64 v[16:17], -v[20:21], v[50:51], v[16:17]
	v_mov_b32_e32 v50, s11
	ds_read2_b64 v[50:53], v50 offset1:1
	s_add_i32 s11, s9, 0xffffffa0
	s_waitcnt lgkmcnt(0)
	v_fma_f64 v[16:17], -v[22:23], v[56:57], v[16:17]
	v_mov_b32_e32 v58, s11
	v_fma_f64 v[16:17], -v[26:27], v[54:55], v[16:17]
	ds_read2_b64 v[58:61], v58 offset1:1
	v_fma_f64 v[16:17], -v[28:29], v[52:53], v[16:17]
	s_add_i32 s11, s9, 0xffffff90
	v_fma_f64 v[16:17], -v[32:33], v[50:51], v[16:17]
	v_mov_b32_e32 v50, s11
	ds_read2_b64 v[50:53], v50 offset1:1
	s_waitcnt lgkmcnt(0)
	v_fma_f64 v[16:17], -v[34:35], v[60:61], v[16:17]
	s_add_i32 s11, s9, 0xffffff80
	v_fma_f64 v[16:17], -v[38:39], v[58:59], v[16:17]
	v_mov_b32_e32 v54, s11
	s_sub_i32 s2, s0, 20
	ds_read2_b64 v[54:57], v54 offset1:1
	v_fma_f64 v[16:17], -v[44:45], v[52:53], v[16:17]
	s_addk_i32 s9, 0xff70
	v_fma_f64 v[16:17], -v[48:49], v[50:51], v[16:17]
	v_mov_b32_e32 v50, s9
	s_lshl_b32 s9, s2, 3
	ds_read2_b64 v[50:53], v50 offset1:1
	s_add_i32 s7, s7, s9
	v_mov_b32_e32 v58, s7
	ds_read2_b64 v[58:61], v58 offset1:1
	s_waitcnt lgkmcnt(0)
	v_fma_f64 v[16:17], -v[46:47], v[56:57], v[16:17]
	v_fma_f64 v[16:17], -v[42:43], v[54:55], v[16:17]
	;; [unrolled: 1-line block ×4, first 2 shown]
	s_add_i32 s7, s1, 0xffffee80
	v_fma_f64 v[16:17], -v[24:25], v[60:61], v[16:17]
	s_add_i32 s9, s7, s6
	v_mul_f64 v[16:17], v[58:59], v[16:17]
	v_lshl_add_u64 v[50:51], s[2:3], 3, v[40:41]
	s_add_i32 s2, s9, -8
	flat_store_dwordx2 v[50:51], v[16:17]
	v_mov_b32_e32 v50, s2
	ds_read2_b64 v[50:53], v50 offset1:1
	s_sub_i32 s11, s9, 24
	v_mov_b32_e32 v54, s11
	ds_read2_b64 v[54:57], v54 offset1:1
	s_sub_i32 s11, s9, 40
	s_waitcnt lgkmcnt(0)
	v_fma_f64 v[4:5], -v[6:7], v[52:53], v[4:5]
	v_fma_f64 v[4:5], -v[8:9], v[50:51], v[4:5]
	v_mov_b32_e32 v50, s11
	ds_read2_b64 v[50:53], v50 offset1:1
	s_sub_i32 s11, s9, 56
	v_fma_f64 v[4:5], -v[10:11], v[56:57], v[4:5]
	v_mov_b32_e32 v58, s11
	v_fma_f64 v[4:5], -v[12:13], v[54:55], v[4:5]
	ds_read2_b64 v[58:61], v58 offset1:1
	s_waitcnt lgkmcnt(0)
	v_fma_f64 v[4:5], -v[14:15], v[52:53], v[4:5]
	s_add_i32 s11, s9, 0xffffffb8
	v_fma_f64 v[4:5], -v[18:19], v[50:51], v[4:5]
	v_mov_b32_e32 v50, s11
	ds_read2_b64 v[50:53], v50 offset1:1
	v_fma_f64 v[4:5], -v[20:21], v[60:61], v[4:5]
	s_add_i32 s11, s9, 0xffffffa8
	v_fma_f64 v[4:5], -v[22:23], v[58:59], v[4:5]
	v_mov_b32_e32 v54, s11
	ds_read2_b64 v[54:57], v54 offset1:1
	s_waitcnt lgkmcnt(0)
	v_fma_f64 v[4:5], -v[26:27], v[52:53], v[4:5]
	s_add_i32 s11, s9, 0xffffff98
	v_fma_f64 v[4:5], -v[28:29], v[50:51], v[4:5]
	v_mov_b32_e32 v50, s11
	ds_read2_b64 v[50:53], v50 offset1:1
	s_add_i32 s11, s9, 0xffffff88
	v_mov_b32_e32 v58, s11
	ds_read2_b64 v[58:61], v58 offset1:1
	v_fma_f64 v[4:5], -v[32:33], v[56:57], v[4:5]
	v_fma_f64 v[4:5], -v[34:35], v[54:55], v[4:5]
	s_waitcnt lgkmcnt(0)
	v_fma_f64 v[4:5], -v[38:39], v[52:53], v[4:5]
	s_add_i32 s11, s9, 0xffffff78
	s_addk_i32 s9, 0xff68
	s_sub_i32 s2, s0, 21
	v_fma_f64 v[4:5], -v[44:45], v[50:51], v[4:5]
	v_mov_b32_e32 v50, s11
	v_mov_b32_e32 v54, s9
	ds_read2_b64 v[50:53], v50 offset1:1
	ds_read2_b64 v[54:57], v54 offset1:1
	s_lshl_b32 s9, s2, 3
	v_fma_f64 v[4:5], -v[48:49], v[60:61], v[4:5]
	s_add_i32 s7, s7, s9
	v_fma_f64 v[4:5], -v[46:47], v[58:59], v[4:5]
	v_mov_b32_e32 v58, s7
	ds_read2_b64 v[58:61], v58 offset1:1
	s_waitcnt lgkmcnt(0)
	v_fma_f64 v[4:5], -v[42:43], v[52:53], v[4:5]
	v_fma_f64 v[4:5], -v[36:37], v[50:51], v[4:5]
	;; [unrolled: 1-line block ×5, first 2 shown]
	s_add_i32 s7, s1, 0xffffeda0
	v_mul_f64 v[4:5], v[58:59], v[4:5]
	v_lshl_add_u64 v[50:51], s[2:3], 3, v[40:41]
	s_add_i32 s9, s7, s6
	flat_store_dwordx2 v[50:51], v[4:5]
	v_mov_b32_e32 v50, s9
	s_add_i32 s11, s9, -16
	ds_read_b64 v[54:55], v50
	v_mov_b32_e32 v50, s11
	ds_read2_b64 v[50:53], v50 offset1:1
	s_sub_i32 s11, s9, 32
	s_sub_i32 s2, s0, 22
	s_waitcnt lgkmcnt(0)
	v_fma_f64 v[2:3], -v[6:7], v[54:55], v[2:3]
	v_mov_b32_e32 v54, s11
	ds_read2_b64 v[54:57], v54 offset1:1
	v_fma_f64 v[2:3], -v[8:9], v[52:53], v[2:3]
	s_sub_i32 s11, s9, 48
	v_fma_f64 v[2:3], -v[10:11], v[50:51], v[2:3]
	v_mov_b32_e32 v50, s11
	ds_read2_b64 v[50:53], v50 offset1:1
	s_sub_i32 s11, s9, 64
	s_waitcnt lgkmcnt(0)
	v_fma_f64 v[2:3], -v[12:13], v[56:57], v[2:3]
	v_mov_b32_e32 v58, s11
	v_fma_f64 v[2:3], -v[14:15], v[54:55], v[2:3]
	ds_read2_b64 v[58:61], v58 offset1:1
	v_fma_f64 v[2:3], -v[18:19], v[52:53], v[2:3]
	s_add_i32 s11, s9, 0xffffffb0
	v_fma_f64 v[2:3], -v[20:21], v[50:51], v[2:3]
	v_mov_b32_e32 v50, s11
	ds_read2_b64 v[50:53], v50 offset1:1
	s_waitcnt lgkmcnt(0)
	v_fma_f64 v[2:3], -v[22:23], v[60:61], v[2:3]
	s_add_i32 s11, s9, 0xffffffa0
	v_fma_f64 v[2:3], -v[26:27], v[58:59], v[2:3]
	v_mov_b32_e32 v54, s11
	ds_read2_b64 v[54:57], v54 offset1:1
	v_fma_f64 v[2:3], -v[28:29], v[52:53], v[2:3]
	s_add_i32 s11, s9, 0xffffff90
	v_fma_f64 v[2:3], -v[32:33], v[50:51], v[2:3]
	v_mov_b32_e32 v50, s11
	ds_read2_b64 v[50:53], v50 offset1:1
	s_add_i32 s11, s9, 0xffffff80
	v_mov_b32_e32 v58, s11
	ds_read2_b64 v[58:61], v58 offset1:1
	s_waitcnt lgkmcnt(0)
	v_fma_f64 v[2:3], -v[34:35], v[56:57], v[2:3]
	v_fma_f64 v[2:3], -v[38:39], v[54:55], v[2:3]
	;; [unrolled: 1-line block ×3, first 2 shown]
	s_add_i32 s11, s9, 0xffffff70
	s_addk_i32 s9, 0xff60
	v_fma_f64 v[2:3], -v[48:49], v[50:51], v[2:3]
	v_mov_b32_e32 v50, s11
	v_mov_b32_e32 v54, s9
	ds_read2_b64 v[50:53], v50 offset1:1
	ds_read2_b64 v[54:57], v54 offset1:1
	s_lshl_b32 s9, s2, 3
	v_fma_f64 v[2:3], -v[46:47], v[60:61], v[2:3]
	s_add_i32 s7, s7, s9
	v_fma_f64 v[2:3], -v[42:43], v[58:59], v[2:3]
	v_mov_b32_e32 v58, s7
	ds_read2_b64 v[58:61], v58 offset1:1
	s_waitcnt lgkmcnt(0)
	v_fma_f64 v[2:3], -v[36:37], v[52:53], v[2:3]
	v_fma_f64 v[2:3], -v[30:31], v[50:51], v[2:3]
	;; [unrolled: 1-line block ×4, first 2 shown]
	s_addk_i32 s1, 0xecc0
	v_fma_f64 v[2:3], -v[4:5], v[60:61], v[2:3]
	s_add_i32 s6, s1, s6
	v_mul_f64 v[58:59], v[58:59], v[2:3]
	v_lshl_add_u64 v[2:3], s[2:3], 3, v[40:41]
	s_add_i32 s2, s6, -8
	flat_store_dwordx2 v[2:3], v[58:59]
	v_mov_b32_e32 v2, s2
	ds_read2_b64 v[50:53], v2 offset1:1
	s_sub_i32 s7, s6, 24
	v_mov_b32_e32 v2, s7
	ds_read2_b64 v[54:57], v2 offset1:1
	s_sub_i32 s7, s6, 40
	s_waitcnt lgkmcnt(0)
	v_fma_f64 v[0:1], -v[6:7], v[52:53], v[0:1]
	v_fma_f64 v[50:51], -v[8:9], v[50:51], v[0:1]
	v_mov_b32_e32 v0, s7
	ds_read2_b64 v[0:3], v0 offset1:1
	s_sub_i32 s7, s6, 56
	v_mov_b32_e32 v6, s7
	ds_read2_b64 v[6:9], v6 offset1:1
	v_fma_f64 v[10:11], -v[10:11], v[56:57], v[50:51]
	v_fma_f64 v[10:11], -v[12:13], v[54:55], v[10:11]
	s_waitcnt lgkmcnt(0)
	v_fma_f64 v[2:3], -v[14:15], v[2:3], v[10:11]
	v_fma_f64 v[0:1], -v[18:19], v[0:1], v[2:3]
	s_add_i32 s7, s6, 0xffffffb8
	v_fma_f64 v[8:9], -v[20:21], v[8:9], v[0:1]
	v_mov_b32_e32 v0, s7
	ds_read2_b64 v[0:3], v0 offset1:1
	s_add_i32 s7, s6, 0xffffffa8
	v_fma_f64 v[10:11], -v[22:23], v[6:7], v[8:9]
	v_mov_b32_e32 v6, s7
	ds_read2_b64 v[6:9], v6 offset1:1
	s_waitcnt lgkmcnt(0)
	v_fma_f64 v[2:3], -v[26:27], v[2:3], v[10:11]
	s_add_i32 s7, s6, 0xffffff98
	v_fma_f64 v[14:15], -v[28:29], v[0:1], v[2:3]
	v_mov_b32_e32 v0, s7
	ds_read2_b64 v[0:3], v0 offset1:1
	s_add_i32 s7, s6, 0xffffff88
	v_mov_b32_e32 v10, s7
	ds_read2_b64 v[10:13], v10 offset1:1
	v_fma_f64 v[8:9], -v[32:33], v[8:9], v[14:15]
	v_fma_f64 v[6:7], -v[34:35], v[6:7], v[8:9]
	s_waitcnt lgkmcnt(0)
	v_fma_f64 v[2:3], -v[38:39], v[2:3], v[6:7]
	v_fma_f64 v[0:1], -v[44:45], v[0:1], v[2:3]
	s_add_i32 s7, s6, 0xffffff78
	v_fma_f64 v[6:7], -v[48:49], v[12:13], v[0:1]
	v_mov_b32_e32 v0, s7
	ds_read2_b64 v[0:3], v0 offset1:1
	s_add_i32 s7, s6, 0xffffff68
	v_fma_f64 v[10:11], -v[46:47], v[10:11], v[6:7]
	v_mov_b32_e32 v6, s7
	s_sub_i32 s2, s0, 23
	ds_read2_b64 v[6:9], v6 offset1:1
	s_waitcnt lgkmcnt(0)
	v_fma_f64 v[2:3], -v[42:43], v[2:3], v[10:11]
	s_addk_i32 s6, 0xff58
	v_fma_f64 v[14:15], -v[36:37], v[0:1], v[2:3]
	v_mov_b32_e32 v0, s6
	s_lshl_b32 s6, s2, 3
	ds_read2_b64 v[0:3], v0 offset1:1
	s_add_i32 s1, s1, s6
	v_mov_b32_e32 v10, s1
	ds_read2_b64 v[10:13], v10 offset1:1
	v_fma_f64 v[8:9], -v[30:31], v[8:9], v[14:15]
	v_fma_f64 v[6:7], -v[24:25], v[6:7], v[8:9]
	s_waitcnt lgkmcnt(0)
	v_fma_f64 v[2:3], -v[16:17], v[2:3], v[6:7]
	v_fma_f64 v[0:1], -v[4:5], v[0:1], v[2:3]
	;; [unrolled: 1-line block ×3, first 2 shown]
	v_mul_f64 v[0:1], v[10:11], v[0:1]
	v_lshl_add_u64 v[2:3], s[2:3], 3, v[40:41]
	s_sub_i32 s0, s0, 24
	flat_store_dwordx2 v[2:3], v[0:1]
.LBB100_16:
	s_cmp_lt_i32 s0, 0
	s_cbranch_scc1 .LBB100_33
; %bb.17:
	s_and_b32 s1, s0, 3
	s_cmp_eq_u32 s1, 3
	s_mov_b32 s2, s0
	s_cbranch_scc1 .LBB100_22
; %bb.18:
	s_mul_i32 s2, s0, 0xe0
	s_lshl_b32 s3, s22, 3
	s_add_i32 s1, s0, 1
	s_add_i32 s2, s2, s3
	s_and_b32 s1, s1, 3
	s_add_i32 s9, s2, -8
	s_mov_b32 s7, 0
	s_mov_b32 s2, s0
	;; [unrolled: 1-line block ×3, first 2 shown]
	s_branch .LBB100_20
.LBB100_19:                             ;   in Loop: Header=BB100_20 Depth=1
	s_mul_i32 s3, s2, 0xe8
	v_mov_b32_e32 v4, s3
	ds_read_b64 v[4:5], v4
	s_add_i32 s2, s2, -1
	s_add_i32 s11, s11, 1
	s_addk_i32 s9, 0xff20
	s_cmp_lg_u32 s11, s1
	s_waitcnt lgkmcnt(0)
	v_mul_f64 v[2:3], v[4:5], v[2:3]
	flat_store_dwordx2 v[0:1], v[2:3]
	s_cbranch_scc0 .LBB100_22
.LBB100_20:                             ; =>This Loop Header: Depth=1
                                        ;     Child Loop BB100_21 Depth 2
	s_mov_b32 s3, s7
	v_lshl_add_u64 v[0:1], s[2:3], 3, v[40:41]
	flat_load_dwordx2 v[2:3], v[0:1]
	s_cmp_le_i32 s8, s2
	s_mov_b32 s3, s9
	s_mov_b32 s6, s8
	s_waitcnt vmcnt(0) lgkmcnt(0)
	v_mul_f64 v[2:3], s[4:5], v[2:3]
	s_cbranch_scc1 .LBB100_19
.LBB100_21:                             ;   Parent Loop BB100_20 Depth=1
                                        ; =>  This Inner Loop Header: Depth=2
	v_lshl_add_u64 v[4:5], s[6:7], 3, v[40:41]
	flat_load_dwordx2 v[4:5], v[4:5]
	v_mov_b32_e32 v6, s3
	ds_read_b64 v[6:7], v6
	s_add_i32 s6, s6, -1
	s_add_i32 s3, s3, -8
	s_cmp_gt_i32 s6, s2
	s_waitcnt vmcnt(0) lgkmcnt(0)
	v_fma_f64 v[2:3], -v[4:5], v[6:7], v[2:3]
	s_cbranch_scc1 .LBB100_21
	s_branch .LBB100_19
.LBB100_22:
	s_cmp_lt_u32 s0, 3
	s_cbranch_scc1 .LBB100_33
; %bb.23:
	s_mul_i32 s0, s2, 0xe0
	s_lshl_b32 s1, s22, 3
	s_add_i32 s0, s0, s1
	s_add_i32 s9, s0, -8
	s_add_i32 s11, s0, 0xffffff18
	s_add_i32 s12, s0, 0xfffffe38
	;; [unrolled: 1-line block ×3, first 2 shown]
	s_mov_b32 s1, 0
	s_branch .LBB100_25
.LBB100_24:                             ;   in Loop: Header=BB100_25 Depth=1
	s_add_i32 s0, s3, 0xffffff18
	v_mov_b32_e32 v4, s0
	ds_read_b64 v[4:5], v4
	s_add_i32 s0, s2, -4
	s_addk_i32 s9, 0xfc80
	s_addk_i32 s11, 0xfc80
	;; [unrolled: 1-line block ×4, first 2 shown]
	s_waitcnt lgkmcnt(0)
	v_mul_f64 v[2:3], v[4:5], v[2:3]
	s_cmp_lt_i32 s2, 4
	s_mov_b32 s2, s0
	flat_store_dwordx2 v[0:1], v[2:3]
	s_cbranch_scc1 .LBB100_33
.LBB100_25:                             ; =>This Loop Header: Depth=1
                                        ;     Child Loop BB100_26 Depth 2
                                        ;     Child Loop BB100_28 Depth 2
	;; [unrolled: 1-line block ×4, first 2 shown]
	s_mov_b32 s3, s1
	v_lshl_add_u64 v[2:3], s[2:3], 3, v[40:41]
	flat_load_dwordx2 v[0:1], v[2:3]
	s_cmp_le_i32 s8, s2
	s_mov_b32 s3, s9
	s_mov_b32 s0, s8
	s_waitcnt vmcnt(0) lgkmcnt(0)
	v_mul_f64 v[4:5], s[4:5], v[0:1]
	s_cbranch_scc1 .LBB100_27
.LBB100_26:                             ;   Parent Loop BB100_25 Depth=1
                                        ; =>  This Inner Loop Header: Depth=2
	v_lshl_add_u64 v[0:1], s[0:1], 3, v[40:41]
	flat_load_dwordx2 v[0:1], v[0:1]
	v_mov_b32_e32 v6, s3
	ds_read_b64 v[6:7], v6
	s_add_i32 s0, s0, -1
	s_add_i32 s3, s3, -8
	s_cmp_gt_i32 s0, s2
	s_waitcnt vmcnt(0) lgkmcnt(0)
	v_fma_f64 v[4:5], -v[0:1], v[6:7], v[4:5]
	s_cbranch_scc1 .LBB100_26
.LBB100_27:                             ;   in Loop: Header=BB100_25 Depth=1
	s_add_i32 s0, s2, -1
	v_lshl_add_u64 v[0:1], s[0:1], 3, v[40:41]
	flat_load_dwordx2 v[6:7], v[0:1]
	s_mul_i32 s3, s2, 0xe8
	v_mov_b32_e32 v8, s3
	ds_read_b64 v[8:9], v8
	s_mov_b32 s6, s11
	s_cmp_le_i32 s22, s2
	s_mov_b32 s0, s22
	s_waitcnt lgkmcnt(0)
	v_mul_f64 v[4:5], v[8:9], v[4:5]
	flat_store_dwordx2 v[2:3], v[4:5]
	s_waitcnt vmcnt(0)
	v_mul_f64 v[4:5], s[4:5], v[6:7]
	s_cbranch_scc1 .LBB100_29
.LBB100_28:                             ;   Parent Loop BB100_25 Depth=1
                                        ; =>  This Inner Loop Header: Depth=2
	s_add_i32 s0, s0, -1
	v_lshl_add_u64 v[2:3], s[0:1], 3, v[40:41]
	flat_load_dwordx2 v[2:3], v[2:3]
	v_mov_b32_e32 v6, s6
	ds_read_b64 v[6:7], v6
	s_add_i32 s6, s6, -8
	s_cmp_gt_i32 s0, s2
	s_waitcnt vmcnt(0) lgkmcnt(0)
	v_fma_f64 v[4:5], -v[2:3], v[6:7], v[4:5]
	s_cbranch_scc1 .LBB100_28
.LBB100_29:                             ;   in Loop: Header=BB100_25 Depth=1
	s_add_i32 s6, s2, -2
	s_mov_b32 s7, s1
	v_lshl_add_u64 v[2:3], s[6:7], 3, v[40:41]
	flat_load_dwordx2 v[6:7], v[2:3]
	s_addk_i32 s3, 0xff18
	v_mov_b32_e32 v8, s3
	ds_read_b64 v[8:9], v8
	s_mov_b32 s7, s12
	s_cmp_le_i32 s8, s6
	s_mov_b32 s0, s8
	s_waitcnt lgkmcnt(0)
	v_mul_f64 v[4:5], v[8:9], v[4:5]
	flat_store_dwordx2 v[0:1], v[4:5]
	s_waitcnt vmcnt(0)
	v_mul_f64 v[4:5], s[4:5], v[6:7]
	s_cbranch_scc1 .LBB100_31
.LBB100_30:                             ;   Parent Loop BB100_25 Depth=1
                                        ; =>  This Inner Loop Header: Depth=2
	v_lshl_add_u64 v[0:1], s[0:1], 3, v[40:41]
	flat_load_dwordx2 v[0:1], v[0:1]
	v_mov_b32_e32 v6, s7
	ds_read_b64 v[6:7], v6
	s_add_i32 s0, s0, -1
	s_add_i32 s7, s7, -8
	s_cmp_gt_i32 s0, s6
	s_waitcnt vmcnt(0) lgkmcnt(0)
	v_fma_f64 v[4:5], -v[0:1], v[6:7], v[4:5]
	s_cbranch_scc1 .LBB100_30
.LBB100_31:                             ;   in Loop: Header=BB100_25 Depth=1
	s_add_i32 s6, s2, -3
	s_mov_b32 s7, s1
	v_lshl_add_u64 v[0:1], s[6:7], 3, v[40:41]
	flat_load_dwordx2 v[6:7], v[0:1]
	s_addk_i32 s3, 0xff18
	v_mov_b32_e32 v8, s3
	ds_read_b64 v[8:9], v8
	s_mov_b32 s7, s13
	s_cmp_le_i32 s8, s6
	s_mov_b32 s0, s8
	s_waitcnt lgkmcnt(0)
	v_mul_f64 v[4:5], v[8:9], v[4:5]
	flat_store_dwordx2 v[2:3], v[4:5]
	s_waitcnt vmcnt(0)
	v_mul_f64 v[2:3], s[4:5], v[6:7]
	s_cbranch_scc1 .LBB100_24
.LBB100_32:                             ;   Parent Loop BB100_25 Depth=1
                                        ; =>  This Inner Loop Header: Depth=2
	v_lshl_add_u64 v[4:5], s[0:1], 3, v[40:41]
	flat_load_dwordx2 v[4:5], v[4:5]
	v_mov_b32_e32 v6, s7
	ds_read_b64 v[6:7], v6
	s_add_i32 s0, s0, -1
	s_add_i32 s7, s7, -8
	s_cmp_gt_i32 s0, s6
	s_waitcnt vmcnt(0) lgkmcnt(0)
	v_fma_f64 v[2:3], -v[4:5], v[6:7], v[2:3]
	s_cbranch_scc1 .LBB100_32
	s_branch .LBB100_24
.LBB100_33:
	s_mov_b64 s[0:1], 0
.LBB100_34:
	s_and_b64 vcc, exec, s[0:1]
	s_cbranch_vccz .LBB100_48
; %bb.35:
	s_cmp_gt_i32 s10, 27
	s_cselect_b64 s[0:1], -1, 0
	s_mov_b32 s2, 0
	s_and_b64 vcc, exec, s[0:1]
	s_cbranch_vccz .LBB100_37
; %bb.36:
	flat_load_dwordx4 v[0:3], v[40:41]
	flat_load_dwordx4 v[24:27], v[40:41] offset:16
	flat_load_dwordx4 v[28:31], v[40:41] offset:32
	;; [unrolled: 1-line block ×3, first 2 shown]
	v_mov_b32_e32 v58, 0
	ds_read_b64 v[4:5], v58
	s_movk_i32 s2, 0x1400
	s_waitcnt vmcnt(0) lgkmcnt(0)
	v_mul_f64 v[0:1], s[4:5], v[0:1]
	v_mul_f64 v[20:21], v[4:5], v[0:1]
	flat_store_dwordx2 v[40:41], v[20:21]
	ds_read_b64 v[0:1], v58 offset:8
	ds_read_b64 v[4:5], v58 offset:232
	flat_load_dwordx4 v[36:39], v[40:41] offset:64
	flat_load_dwordx4 v[16:19], v[40:41] offset:80
	s_waitcnt lgkmcnt(0)
	v_mul_f64 v[0:1], v[20:21], v[0:1]
	v_fma_f64 v[0:1], s[4:5], v[2:3], -v[0:1]
	v_mul_f64 v[22:23], v[4:5], v[0:1]
	flat_store_dwordx2 v[40:41], v[22:23] offset:8
	ds_read_b64 v[0:1], v58 offset:16
	ds_read_b64 v[2:3], v58 offset:240
	ds_read_b64 v[4:5], v58 offset:464
	flat_load_dwordx4 v[12:15], v[40:41] offset:96
	flat_load_dwordx4 v[8:11], v[40:41] offset:112
	s_waitcnt lgkmcnt(0)
	v_mul_f64 v[0:1], v[20:21], v[0:1]
	v_fma_f64 v[0:1], s[4:5], v[24:25], -v[0:1]
	v_fma_f64 v[0:1], -v[22:23], v[2:3], v[0:1]
	v_mul_f64 v[24:25], v[4:5], v[0:1]
	flat_store_dwordx2 v[40:41], v[24:25] offset:16
	ds_read_b64 v[42:43], v58 offset:24
	flat_load_dwordx4 v[4:7], v[40:41] offset:128
	flat_load_dwordx4 v[0:3], v[40:41] offset:144
	ds_read_b64 v[44:45], v58 offset:248
	ds_read_b64 v[46:47], v58 offset:472
	;; [unrolled: 1-line block ×3, first 2 shown]
	s_waitcnt lgkmcnt(0)
	v_mul_f64 v[42:43], v[20:21], v[42:43]
	v_fma_f64 v[26:27], s[4:5], v[26:27], -v[42:43]
	v_fma_f64 v[26:27], -v[22:23], v[44:45], v[26:27]
	v_fma_f64 v[26:27], -v[24:25], v[46:47], v[26:27]
	v_mul_f64 v[26:27], v[48:49], v[26:27]
	flat_store_dwordx2 v[40:41], v[26:27] offset:24
	ds_read_b64 v[42:43], v58 offset:32
	ds_read_b64 v[44:45], v58 offset:256
	;; [unrolled: 1-line block ×5, first 2 shown]
	s_waitcnt lgkmcnt(0)
	v_mul_f64 v[42:43], v[20:21], v[42:43]
	v_fma_f64 v[28:29], s[4:5], v[28:29], -v[42:43]
	v_fma_f64 v[28:29], -v[22:23], v[44:45], v[28:29]
	v_fma_f64 v[28:29], -v[24:25], v[46:47], v[28:29]
	;; [unrolled: 1-line block ×3, first 2 shown]
	v_mul_f64 v[28:29], v[50:51], v[28:29]
	flat_store_dwordx2 v[40:41], v[28:29] offset:32
	ds_read_b64 v[42:43], v58 offset:40
	ds_read_b64 v[44:45], v58 offset:264
	;; [unrolled: 1-line block ×6, first 2 shown]
	s_waitcnt lgkmcnt(0)
	v_mul_f64 v[42:43], v[20:21], v[42:43]
	v_fma_f64 v[30:31], s[4:5], v[30:31], -v[42:43]
	v_fma_f64 v[30:31], -v[22:23], v[44:45], v[30:31]
	v_fma_f64 v[30:31], -v[24:25], v[46:47], v[30:31]
	;; [unrolled: 1-line block ×4, first 2 shown]
	v_mul_f64 v[30:31], v[52:53], v[30:31]
	flat_store_dwordx2 v[40:41], v[30:31] offset:40
	ds_read_b64 v[42:43], v58 offset:48
	ds_read_b64 v[44:45], v58 offset:272
	;; [unrolled: 1-line block ×7, first 2 shown]
	s_waitcnt lgkmcnt(0)
	v_mul_f64 v[42:43], v[20:21], v[42:43]
	v_fma_f64 v[32:33], s[4:5], v[32:33], -v[42:43]
	v_fma_f64 v[32:33], -v[22:23], v[44:45], v[32:33]
	v_fma_f64 v[32:33], -v[24:25], v[46:47], v[32:33]
	;; [unrolled: 1-line block ×5, first 2 shown]
	v_mul_f64 v[32:33], v[54:55], v[32:33]
	flat_store_dwordx2 v[40:41], v[32:33] offset:48
	ds_read_b64 v[42:43], v58 offset:56
	ds_read_b64 v[44:45], v58 offset:280
	;; [unrolled: 1-line block ×8, first 2 shown]
	s_waitcnt lgkmcnt(0)
	v_mul_f64 v[42:43], v[20:21], v[42:43]
	v_fma_f64 v[34:35], s[4:5], v[34:35], -v[42:43]
	v_fma_f64 v[34:35], -v[22:23], v[44:45], v[34:35]
	v_fma_f64 v[34:35], -v[24:25], v[46:47], v[34:35]
	;; [unrolled: 1-line block ×6, first 2 shown]
	v_mul_f64 v[34:35], v[56:57], v[34:35]
	flat_store_dwordx2 v[40:41], v[34:35] offset:56
	ds_read_b64 v[42:43], v58 offset:64
	ds_read_b64 v[44:45], v58 offset:288
	ds_read_b64 v[46:47], v58 offset:512
	ds_read_b64 v[48:49], v58 offset:736
	ds_read_b64 v[50:51], v58 offset:960
	ds_read_b64 v[52:53], v58 offset:1184
	ds_read_b64 v[54:55], v58 offset:1408
	ds_read_b64 v[56:57], v58 offset:1632
	ds_read_b64 v[60:61], v58 offset:1856
	s_waitcnt lgkmcnt(0)
	v_mul_f64 v[42:43], v[20:21], v[42:43]
	s_waitcnt vmcnt(0)
	v_fma_f64 v[36:37], s[4:5], v[36:37], -v[42:43]
	v_fma_f64 v[36:37], -v[22:23], v[44:45], v[36:37]
	v_fma_f64 v[36:37], -v[24:25], v[46:47], v[36:37]
	;; [unrolled: 1-line block ×7, first 2 shown]
	v_mul_f64 v[36:37], v[60:61], v[36:37]
	flat_store_dwordx2 v[40:41], v[36:37] offset:64
	ds_read_b64 v[42:43], v58 offset:72
	ds_read_b64 v[44:45], v58 offset:296
	;; [unrolled: 1-line block ×10, first 2 shown]
	s_waitcnt lgkmcnt(0)
	v_mul_f64 v[42:43], v[20:21], v[42:43]
	v_fma_f64 v[38:39], s[4:5], v[38:39], -v[42:43]
	v_fma_f64 v[38:39], -v[22:23], v[44:45], v[38:39]
	v_fma_f64 v[38:39], -v[24:25], v[46:47], v[38:39]
	;; [unrolled: 1-line block ×8, first 2 shown]
	v_mul_f64 v[38:39], v[62:63], v[38:39]
	flat_store_dwordx2 v[40:41], v[38:39] offset:72
	ds_read_b64 v[42:43], v58 offset:80
	ds_read_b64 v[44:45], v58 offset:304
	;; [unrolled: 1-line block ×11, first 2 shown]
	s_waitcnt lgkmcnt(0)
	v_mul_f64 v[42:43], v[20:21], v[42:43]
	v_fma_f64 v[16:17], s[4:5], v[16:17], -v[42:43]
	v_fma_f64 v[16:17], -v[22:23], v[44:45], v[16:17]
	v_fma_f64 v[16:17], -v[24:25], v[46:47], v[16:17]
	;; [unrolled: 1-line block ×9, first 2 shown]
	v_mul_f64 v[16:17], v[64:65], v[16:17]
	flat_store_dwordx2 v[40:41], v[16:17] offset:80
	ds_read_b64 v[42:43], v58 offset:88
	ds_read_b64 v[44:45], v58 offset:312
	;; [unrolled: 1-line block ×12, first 2 shown]
	s_waitcnt lgkmcnt(0)
	v_mul_f64 v[42:43], v[20:21], v[42:43]
	v_fma_f64 v[18:19], s[4:5], v[18:19], -v[42:43]
	v_fma_f64 v[18:19], -v[22:23], v[44:45], v[18:19]
	v_fma_f64 v[18:19], -v[24:25], v[46:47], v[18:19]
	;; [unrolled: 1-line block ×10, first 2 shown]
	v_mul_f64 v[18:19], v[66:67], v[18:19]
	flat_store_dwordx2 v[40:41], v[18:19] offset:88
	ds_read_b64 v[42:43], v58 offset:96
	ds_read_b64 v[44:45], v58 offset:320
	;; [unrolled: 1-line block ×13, first 2 shown]
	s_waitcnt lgkmcnt(0)
	v_mul_f64 v[42:43], v[20:21], v[42:43]
	v_fma_f64 v[12:13], s[4:5], v[12:13], -v[42:43]
	v_fma_f64 v[12:13], -v[22:23], v[44:45], v[12:13]
	v_fma_f64 v[12:13], -v[24:25], v[46:47], v[12:13]
	;; [unrolled: 1-line block ×11, first 2 shown]
	v_mul_f64 v[12:13], v[68:69], v[12:13]
	flat_store_dwordx2 v[40:41], v[12:13] offset:96
	ds_read_b64 v[42:43], v58 offset:104
	ds_read_b64 v[44:45], v58 offset:328
	;; [unrolled: 1-line block ×14, first 2 shown]
	s_waitcnt lgkmcnt(0)
	v_mul_f64 v[42:43], v[20:21], v[42:43]
	v_fma_f64 v[14:15], s[4:5], v[14:15], -v[42:43]
	v_fma_f64 v[14:15], -v[22:23], v[44:45], v[14:15]
	v_fma_f64 v[14:15], -v[24:25], v[46:47], v[14:15]
	;; [unrolled: 1-line block ×12, first 2 shown]
	v_mul_f64 v[14:15], v[70:71], v[14:15]
	flat_store_dwordx2 v[40:41], v[14:15] offset:104
	ds_read_b64 v[42:43], v58 offset:112
	ds_read_b64 v[44:45], v58 offset:336
	;; [unrolled: 1-line block ×15, first 2 shown]
	s_waitcnt lgkmcnt(0)
	v_mul_f64 v[42:43], v[20:21], v[42:43]
	v_fma_f64 v[8:9], s[4:5], v[8:9], -v[42:43]
	v_fma_f64 v[8:9], -v[22:23], v[44:45], v[8:9]
	v_fma_f64 v[8:9], -v[24:25], v[46:47], v[8:9]
	;; [unrolled: 1-line block ×13, first 2 shown]
	v_mul_f64 v[8:9], v[72:73], v[8:9]
	flat_store_dwordx2 v[40:41], v[8:9] offset:112
	ds_read_b64 v[42:43], v58 offset:120
	ds_read_b64 v[44:45], v58 offset:344
	;; [unrolled: 1-line block ×12, first 2 shown]
	s_waitcnt lgkmcnt(0)
	v_mul_f64 v[42:43], v[20:21], v[42:43]
	v_fma_f64 v[10:11], s[4:5], v[10:11], -v[42:43]
	v_fma_f64 v[10:11], -v[22:23], v[44:45], v[10:11]
	v_fma_f64 v[10:11], -v[24:25], v[46:47], v[10:11]
	;; [unrolled: 1-line block ×9, first 2 shown]
	ds_read_b64 v[42:43], v58 offset:2808
	ds_read_b64 v[68:69], v58 offset:3032
	ds_read_b64 v[70:71], v58 offset:3256
	ds_read_b64 v[72:73], v58 offset:3480
	v_fma_f64 v[10:11], -v[16:17], v[64:65], v[10:11]
	v_fma_f64 v[10:11], -v[18:19], v[66:67], v[10:11]
	s_waitcnt lgkmcnt(0)
	v_fma_f64 v[10:11], -v[12:13], v[42:43], v[10:11]
	v_fma_f64 v[10:11], -v[14:15], v[68:69], v[10:11]
	;; [unrolled: 1-line block ×3, first 2 shown]
	v_mul_f64 v[10:11], v[72:73], v[10:11]
	flat_store_dwordx2 v[40:41], v[10:11] offset:120
	ds_read_b64 v[42:43], v58 offset:128
	ds_read_b64 v[44:45], v58 offset:352
	;; [unrolled: 1-line block ×12, first 2 shown]
	s_waitcnt lgkmcnt(0)
	v_mul_f64 v[42:43], v[20:21], v[42:43]
	v_fma_f64 v[4:5], s[4:5], v[4:5], -v[42:43]
	v_fma_f64 v[4:5], -v[22:23], v[44:45], v[4:5]
	v_fma_f64 v[4:5], -v[24:25], v[46:47], v[4:5]
	;; [unrolled: 1-line block ×11, first 2 shown]
	ds_read_b64 v[42:43], v58 offset:2816
	ds_read_b64 v[44:45], v58 offset:3040
	;; [unrolled: 1-line block ×5, first 2 shown]
	s_waitcnt lgkmcnt(0)
	v_fma_f64 v[4:5], -v[12:13], v[42:43], v[4:5]
	v_fma_f64 v[4:5], -v[14:15], v[44:45], v[4:5]
	;; [unrolled: 1-line block ×4, first 2 shown]
	v_mul_f64 v[42:43], v[50:51], v[4:5]
	flat_store_dwordx2 v[40:41], v[42:43] offset:128
	ds_read_b64 v[4:5], v58 offset:136
	ds_read_b64 v[44:45], v58 offset:360
	;; [unrolled: 1-line block ×4, first 2 shown]
	s_waitcnt lgkmcnt(0)
	v_mul_f64 v[4:5], v[20:21], v[4:5]
	v_fma_f64 v[4:5], s[4:5], v[6:7], -v[4:5]
	v_fma_f64 v[4:5], -v[22:23], v[44:45], v[4:5]
	v_fma_f64 v[4:5], -v[24:25], v[46:47], v[4:5]
	ds_read_b64 v[6:7], v58 offset:1032
	ds_read_b64 v[44:45], v58 offset:1256
	;; [unrolled: 1-line block ×3, first 2 shown]
	v_fma_f64 v[4:5], -v[26:27], v[48:49], v[4:5]
	ds_read_b64 v[48:49], v58 offset:1704
	s_waitcnt lgkmcnt(0)
	v_fma_f64 v[4:5], -v[28:29], v[6:7], v[4:5]
	v_fma_f64 v[4:5], -v[30:31], v[44:45], v[4:5]
	;; [unrolled: 1-line block ×3, first 2 shown]
	ds_read_b64 v[6:7], v58 offset:1928
	ds_read_b64 v[44:45], v58 offset:2152
	;; [unrolled: 1-line block ×3, first 2 shown]
	v_fma_f64 v[4:5], -v[34:35], v[48:49], v[4:5]
	ds_read_b64 v[48:49], v58 offset:2600
	s_waitcnt lgkmcnt(0)
	v_fma_f64 v[4:5], -v[36:37], v[6:7], v[4:5]
	ds_read_b64 v[6:7], v58 offset:2824
	v_fma_f64 v[4:5], -v[38:39], v[44:45], v[4:5]
	v_fma_f64 v[4:5], -v[16:17], v[46:47], v[4:5]
	;; [unrolled: 1-line block ×3, first 2 shown]
	ds_read_b64 v[44:45], v58 offset:3048
	ds_read_b64 v[46:47], v58 offset:3272
	ds_read_b64 v[48:49], v58 offset:3496
	s_waitcnt lgkmcnt(0)
	v_fma_f64 v[4:5], -v[12:13], v[6:7], v[4:5]
	ds_read_b64 v[6:7], v58 offset:3720
	ds_read_b64 v[50:51], v58 offset:3944
	v_fma_f64 v[4:5], -v[14:15], v[44:45], v[4:5]
	v_fma_f64 v[4:5], -v[8:9], v[46:47], v[4:5]
	;; [unrolled: 1-line block ×3, first 2 shown]
	s_waitcnt lgkmcnt(0)
	v_fma_f64 v[4:5], -v[42:43], v[6:7], v[4:5]
	v_mul_f64 v[44:45], v[50:51], v[4:5]
	flat_load_dwordx4 v[4:7], v[40:41] offset:160
	s_nop 0
	flat_store_dwordx2 v[40:41], v[44:45] offset:136
	ds_read_b64 v[46:47], v58 offset:144
	ds_read_b64 v[48:49], v58 offset:368
	;; [unrolled: 1-line block ×4, first 2 shown]
	s_waitcnt lgkmcnt(0)
	v_mul_f64 v[46:47], v[20:21], v[46:47]
	v_fma_f64 v[0:1], s[4:5], v[0:1], -v[46:47]
	v_fma_f64 v[0:1], -v[22:23], v[48:49], v[0:1]
	v_fma_f64 v[0:1], -v[24:25], v[50:51], v[0:1]
	ds_read_b64 v[46:47], v58 offset:1040
	ds_read_b64 v[48:49], v58 offset:1264
	;; [unrolled: 1-line block ×3, first 2 shown]
	v_fma_f64 v[0:1], -v[26:27], v[52:53], v[0:1]
	ds_read_b64 v[52:53], v58 offset:1712
	s_waitcnt lgkmcnt(0)
	v_fma_f64 v[0:1], -v[28:29], v[46:47], v[0:1]
	v_fma_f64 v[0:1], -v[30:31], v[48:49], v[0:1]
	;; [unrolled: 1-line block ×3, first 2 shown]
	ds_read_b64 v[46:47], v58 offset:1936
	ds_read_b64 v[48:49], v58 offset:2160
	;; [unrolled: 1-line block ×3, first 2 shown]
	v_fma_f64 v[0:1], -v[34:35], v[52:53], v[0:1]
	ds_read_b64 v[52:53], v58 offset:2608
	s_waitcnt lgkmcnt(0)
	v_fma_f64 v[0:1], -v[36:37], v[46:47], v[0:1]
	v_fma_f64 v[0:1], -v[38:39], v[48:49], v[0:1]
	ds_read_b64 v[46:47], v58 offset:2832
	ds_read_b64 v[48:49], v58 offset:3056
	v_fma_f64 v[0:1], -v[16:17], v[50:51], v[0:1]
	v_fma_f64 v[0:1], -v[18:19], v[52:53], v[0:1]
	ds_read_b64 v[50:51], v58 offset:3280
	ds_read_b64 v[52:53], v58 offset:3504
	s_waitcnt lgkmcnt(0)
	v_fma_f64 v[0:1], -v[12:13], v[46:47], v[0:1]
	v_fma_f64 v[0:1], -v[14:15], v[48:49], v[0:1]
	ds_read_b64 v[46:47], v58 offset:3728
	ds_read_b64 v[48:49], v58 offset:3952
	;; [unrolled: 1-line block ×3, first 2 shown]
	v_fma_f64 v[0:1], -v[8:9], v[50:51], v[0:1]
	v_fma_f64 v[0:1], -v[10:11], v[52:53], v[0:1]
	s_waitcnt lgkmcnt(0)
	v_fma_f64 v[0:1], -v[42:43], v[46:47], v[0:1]
	v_fma_f64 v[0:1], -v[44:45], v[48:49], v[0:1]
	v_mul_f64 v[46:47], v[54:55], v[0:1]
	flat_store_dwordx2 v[40:41], v[46:47] offset:144
	ds_read_b64 v[0:1], v58 offset:152
	ds_read_b64 v[48:49], v58 offset:376
	;; [unrolled: 1-line block ×4, first 2 shown]
	s_waitcnt lgkmcnt(0)
	v_mul_f64 v[0:1], v[20:21], v[0:1]
	v_fma_f64 v[0:1], s[4:5], v[2:3], -v[0:1]
	v_fma_f64 v[0:1], -v[22:23], v[48:49], v[0:1]
	v_fma_f64 v[0:1], -v[24:25], v[50:51], v[0:1]
	ds_read_b64 v[2:3], v58 offset:1048
	ds_read_b64 v[48:49], v58 offset:1272
	ds_read_b64 v[50:51], v58 offset:1496
	v_fma_f64 v[0:1], -v[26:27], v[52:53], v[0:1]
	ds_read_b64 v[52:53], v58 offset:1720
	s_waitcnt lgkmcnt(0)
	v_fma_f64 v[0:1], -v[28:29], v[2:3], v[0:1]
	v_fma_f64 v[0:1], -v[30:31], v[48:49], v[0:1]
	v_fma_f64 v[0:1], -v[32:33], v[50:51], v[0:1]
	ds_read_b64 v[2:3], v58 offset:1944
	ds_read_b64 v[48:49], v58 offset:2168
	ds_read_b64 v[50:51], v58 offset:2392
	v_fma_f64 v[0:1], -v[34:35], v[52:53], v[0:1]
	ds_read_b64 v[52:53], v58 offset:2616
	s_waitcnt lgkmcnt(0)
	v_fma_f64 v[0:1], -v[36:37], v[2:3], v[0:1]
	;; [unrolled: 9-line block ×3, first 2 shown]
	v_fma_f64 v[0:1], -v[14:15], v[48:49], v[0:1]
	v_fma_f64 v[0:1], -v[8:9], v[50:51], v[0:1]
	ds_read_b64 v[2:3], v58 offset:3736
	ds_read_b64 v[48:49], v58 offset:3960
	;; [unrolled: 1-line block ×4, first 2 shown]
	v_fma_f64 v[0:1], -v[10:11], v[52:53], v[0:1]
	s_waitcnt lgkmcnt(0)
	v_fma_f64 v[0:1], -v[42:43], v[2:3], v[0:1]
	v_fma_f64 v[0:1], -v[44:45], v[48:49], v[0:1]
	;; [unrolled: 1-line block ×3, first 2 shown]
	v_mul_f64 v[48:49], v[54:55], v[0:1]
	flat_load_dwordx4 v[0:3], v[40:41] offset:176
	s_nop 0
	flat_store_dwordx2 v[40:41], v[48:49] offset:152
	ds_read_b64 v[50:51], v58 offset:160
	ds_read_b64 v[52:53], v58 offset:384
	;; [unrolled: 1-line block ×4, first 2 shown]
	s_waitcnt lgkmcnt(0)
	v_mul_f64 v[50:51], v[20:21], v[50:51]
	s_waitcnt vmcnt(0)
	v_fma_f64 v[4:5], s[4:5], v[4:5], -v[50:51]
	v_fma_f64 v[4:5], -v[22:23], v[52:53], v[4:5]
	v_fma_f64 v[4:5], -v[24:25], v[54:55], v[4:5]
	ds_read_b64 v[50:51], v58 offset:1056
	ds_read_b64 v[52:53], v58 offset:1280
	;; [unrolled: 1-line block ×3, first 2 shown]
	v_fma_f64 v[4:5], -v[26:27], v[56:57], v[4:5]
	ds_read_b64 v[56:57], v58 offset:1728
	s_waitcnt lgkmcnt(3)
	v_fma_f64 v[4:5], -v[28:29], v[50:51], v[4:5]
	s_waitcnt lgkmcnt(2)
	v_fma_f64 v[4:5], -v[30:31], v[52:53], v[4:5]
	s_waitcnt lgkmcnt(1)
	v_fma_f64 v[4:5], -v[32:33], v[54:55], v[4:5]
	ds_read_b64 v[50:51], v58 offset:1952
	ds_read_b64 v[52:53], v58 offset:2176
	;; [unrolled: 1-line block ×3, first 2 shown]
	s_waitcnt lgkmcnt(3)
	v_fma_f64 v[4:5], -v[34:35], v[56:57], v[4:5]
	ds_read_b64 v[56:57], v58 offset:2624
	s_waitcnt lgkmcnt(3)
	v_fma_f64 v[4:5], -v[36:37], v[50:51], v[4:5]
	s_waitcnt lgkmcnt(2)
	v_fma_f64 v[4:5], -v[38:39], v[52:53], v[4:5]
	;; [unrolled: 2-line block ×3, first 2 shown]
	ds_read_b64 v[50:51], v58 offset:2848
	ds_read_b64 v[52:53], v58 offset:3072
	;; [unrolled: 1-line block ×4, first 2 shown]
	s_waitcnt lgkmcnt(4)
	v_fma_f64 v[4:5], -v[18:19], v[56:57], v[4:5]
	s_waitcnt lgkmcnt(3)
	v_fma_f64 v[4:5], -v[12:13], v[50:51], v[4:5]
	;; [unrolled: 2-line block ×5, first 2 shown]
	ds_read_b64 v[50:51], v58 offset:3744
	ds_read_b64 v[52:53], v58 offset:3968
	;; [unrolled: 1-line block ×5, first 2 shown]
	s_waitcnt lgkmcnt(4)
	v_fma_f64 v[4:5], -v[42:43], v[50:51], v[4:5]
	s_waitcnt lgkmcnt(3)
	v_fma_f64 v[4:5], -v[44:45], v[52:53], v[4:5]
	;; [unrolled: 2-line block ×4, first 2 shown]
	s_waitcnt lgkmcnt(0)
	v_mul_f64 v[50:51], v[60:61], v[4:5]
	flat_store_dwordx2 v[40:41], v[50:51] offset:160
	ds_read_b64 v[4:5], v58 offset:168
	ds_read_b64 v[52:53], v58 offset:392
	;; [unrolled: 1-line block ×4, first 2 shown]
	s_waitcnt lgkmcnt(0)
	v_mul_f64 v[4:5], v[20:21], v[4:5]
	v_fma_f64 v[4:5], s[4:5], v[6:7], -v[4:5]
	v_fma_f64 v[4:5], -v[22:23], v[52:53], v[4:5]
	v_fma_f64 v[4:5], -v[24:25], v[54:55], v[4:5]
	ds_read_b64 v[6:7], v58 offset:1064
	ds_read_b64 v[52:53], v58 offset:1288
	ds_read_b64 v[54:55], v58 offset:1512
	v_fma_f64 v[4:5], -v[26:27], v[56:57], v[4:5]
	ds_read_b64 v[56:57], v58 offset:1736
	s_waitcnt lgkmcnt(0)
	v_fma_f64 v[4:5], -v[28:29], v[6:7], v[4:5]
	v_fma_f64 v[4:5], -v[30:31], v[52:53], v[4:5]
	v_fma_f64 v[4:5], -v[32:33], v[54:55], v[4:5]
	ds_read_b64 v[6:7], v58 offset:1960
	ds_read_b64 v[52:53], v58 offset:2184
	ds_read_b64 v[54:55], v58 offset:2408
	v_fma_f64 v[4:5], -v[34:35], v[56:57], v[4:5]
	ds_read_b64 v[56:57], v58 offset:2632
	s_waitcnt lgkmcnt(0)
	v_fma_f64 v[4:5], -v[36:37], v[6:7], v[4:5]
	;; [unrolled: 9-line block ×3, first 2 shown]
	ds_read_b64 v[6:7], v58 offset:3752
	v_fma_f64 v[4:5], -v[14:15], v[52:53], v[4:5]
	v_fma_f64 v[4:5], -v[8:9], v[54:55], v[4:5]
	;; [unrolled: 1-line block ×3, first 2 shown]
	ds_read_b64 v[52:53], v58 offset:3976
	ds_read_b64 v[54:55], v58 offset:4200
	;; [unrolled: 1-line block ×3, first 2 shown]
	s_waitcnt lgkmcnt(0)
	v_fma_f64 v[4:5], -v[42:43], v[6:7], v[4:5]
	ds_read_b64 v[6:7], v58 offset:4648
	ds_read_b64 v[60:61], v58 offset:4872
	v_fma_f64 v[4:5], -v[44:45], v[52:53], v[4:5]
	v_fma_f64 v[4:5], -v[46:47], v[54:55], v[4:5]
	;; [unrolled: 1-line block ×3, first 2 shown]
	s_waitcnt lgkmcnt(0)
	v_fma_f64 v[4:5], -v[50:51], v[6:7], v[4:5]
	v_mul_f64 v[52:53], v[60:61], v[4:5]
	flat_load_dwordx4 v[4:7], v[40:41] offset:192
	s_nop 0
	flat_store_dwordx2 v[40:41], v[52:53] offset:168
	ds_read_b64 v[54:55], v58 offset:176
	ds_read_b64 v[56:57], v58 offset:400
	ds_read_b64 v[60:61], v58 offset:624
	ds_read_b64 v[62:63], v58 offset:848
	s_waitcnt lgkmcnt(0)
	v_mul_f64 v[54:55], v[20:21], v[54:55]
	v_fma_f64 v[0:1], s[4:5], v[0:1], -v[54:55]
	v_fma_f64 v[0:1], -v[22:23], v[56:57], v[0:1]
	v_fma_f64 v[0:1], -v[24:25], v[60:61], v[0:1]
	ds_read_b64 v[54:55], v58 offset:1072
	ds_read_b64 v[56:57], v58 offset:1296
	ds_read_b64 v[60:61], v58 offset:1520
	v_fma_f64 v[0:1], -v[26:27], v[62:63], v[0:1]
	ds_read_b64 v[62:63], v58 offset:1744
	s_waitcnt lgkmcnt(0)
	v_fma_f64 v[0:1], -v[28:29], v[54:55], v[0:1]
	v_fma_f64 v[0:1], -v[30:31], v[56:57], v[0:1]
	v_fma_f64 v[0:1], -v[32:33], v[60:61], v[0:1]
	ds_read_b64 v[54:55], v58 offset:1968
	ds_read_b64 v[56:57], v58 offset:2192
	ds_read_b64 v[60:61], v58 offset:2416
	v_fma_f64 v[0:1], -v[34:35], v[62:63], v[0:1]
	ds_read_b64 v[62:63], v58 offset:2640
	s_waitcnt lgkmcnt(0)
	v_fma_f64 v[0:1], -v[36:37], v[54:55], v[0:1]
	;; [unrolled: 9-line block ×3, first 2 shown]
	v_fma_f64 v[0:1], -v[14:15], v[56:57], v[0:1]
	ds_read_b64 v[54:55], v58 offset:3760
	ds_read_b64 v[56:57], v58 offset:3984
	v_fma_f64 v[0:1], -v[8:9], v[60:61], v[0:1]
	v_fma_f64 v[0:1], -v[10:11], v[62:63], v[0:1]
	ds_read_b64 v[60:61], v58 offset:4208
	ds_read_b64 v[62:63], v58 offset:4432
	s_waitcnt lgkmcnt(0)
	v_fma_f64 v[0:1], -v[42:43], v[54:55], v[0:1]
	v_fma_f64 v[0:1], -v[44:45], v[56:57], v[0:1]
	ds_read_b64 v[54:55], v58 offset:4656
	ds_read_b64 v[56:57], v58 offset:4880
	;; [unrolled: 1-line block ×3, first 2 shown]
	v_fma_f64 v[0:1], -v[46:47], v[60:61], v[0:1]
	v_fma_f64 v[0:1], -v[48:49], v[62:63], v[0:1]
	s_waitcnt lgkmcnt(0)
	v_fma_f64 v[0:1], -v[50:51], v[54:55], v[0:1]
	v_fma_f64 v[0:1], -v[52:53], v[56:57], v[0:1]
	v_mul_f64 v[54:55], v[64:65], v[0:1]
	flat_store_dwordx2 v[40:41], v[54:55] offset:176
	ds_read_b64 v[0:1], v58 offset:184
	ds_read_b64 v[56:57], v58 offset:408
	;; [unrolled: 1-line block ×4, first 2 shown]
	s_waitcnt lgkmcnt(0)
	v_mul_f64 v[0:1], v[20:21], v[0:1]
	v_fma_f64 v[0:1], s[4:5], v[2:3], -v[0:1]
	v_fma_f64 v[0:1], -v[22:23], v[56:57], v[0:1]
	v_fma_f64 v[0:1], -v[24:25], v[60:61], v[0:1]
	ds_read_b64 v[2:3], v58 offset:1080
	ds_read_b64 v[56:57], v58 offset:1304
	ds_read_b64 v[60:61], v58 offset:1528
	v_fma_f64 v[0:1], -v[26:27], v[62:63], v[0:1]
	ds_read_b64 v[62:63], v58 offset:1752
	s_waitcnt lgkmcnt(0)
	v_fma_f64 v[0:1], -v[28:29], v[2:3], v[0:1]
	v_fma_f64 v[0:1], -v[30:31], v[56:57], v[0:1]
	v_fma_f64 v[0:1], -v[32:33], v[60:61], v[0:1]
	ds_read_b64 v[2:3], v58 offset:1976
	ds_read_b64 v[56:57], v58 offset:2200
	ds_read_b64 v[60:61], v58 offset:2424
	v_fma_f64 v[0:1], -v[34:35], v[62:63], v[0:1]
	ds_read_b64 v[62:63], v58 offset:2648
	s_waitcnt lgkmcnt(0)
	v_fma_f64 v[0:1], -v[36:37], v[2:3], v[0:1]
	;; [unrolled: 9-line block ×4, first 2 shown]
	v_fma_f64 v[0:1], -v[44:45], v[56:57], v[0:1]
	v_fma_f64 v[0:1], -v[46:47], v[60:61], v[0:1]
	ds_read_b64 v[2:3], v58 offset:4664
	ds_read_b64 v[56:57], v58 offset:4888
	;; [unrolled: 1-line block ×4, first 2 shown]
	v_fma_f64 v[0:1], -v[48:49], v[62:63], v[0:1]
	s_waitcnt lgkmcnt(0)
	v_fma_f64 v[0:1], -v[50:51], v[2:3], v[0:1]
	v_fma_f64 v[0:1], -v[52:53], v[56:57], v[0:1]
	;; [unrolled: 1-line block ×3, first 2 shown]
	v_mul_f64 v[56:57], v[64:65], v[0:1]
	flat_load_dwordx4 v[0:3], v[40:41] offset:208
	s_nop 0
	flat_store_dwordx2 v[40:41], v[56:57] offset:184
	ds_read_b64 v[60:61], v58 offset:192
	ds_read_b64 v[62:63], v58 offset:416
	;; [unrolled: 1-line block ×4, first 2 shown]
	s_waitcnt lgkmcnt(0)
	v_mul_f64 v[60:61], v[20:21], v[60:61]
	s_waitcnt vmcnt(0)
	v_fma_f64 v[4:5], s[4:5], v[4:5], -v[60:61]
	v_fma_f64 v[4:5], -v[22:23], v[62:63], v[4:5]
	v_fma_f64 v[4:5], -v[24:25], v[64:65], v[4:5]
	ds_read_b64 v[60:61], v58 offset:1088
	ds_read_b64 v[62:63], v58 offset:1312
	ds_read_b64 v[64:65], v58 offset:1536
	v_fma_f64 v[4:5], -v[26:27], v[66:67], v[4:5]
	ds_read_b64 v[66:67], v58 offset:1760
	s_waitcnt lgkmcnt(3)
	v_fma_f64 v[4:5], -v[28:29], v[60:61], v[4:5]
	s_waitcnt lgkmcnt(2)
	v_fma_f64 v[4:5], -v[30:31], v[62:63], v[4:5]
	;; [unrolled: 2-line block ×3, first 2 shown]
	ds_read_b64 v[60:61], v58 offset:1984
	ds_read_b64 v[62:63], v58 offset:2208
	ds_read_b64 v[64:65], v58 offset:2432
	s_waitcnt lgkmcnt(3)
	v_fma_f64 v[4:5], -v[34:35], v[66:67], v[4:5]
	ds_read_b64 v[66:67], v58 offset:2656
	s_waitcnt lgkmcnt(3)
	v_fma_f64 v[4:5], -v[36:37], v[60:61], v[4:5]
	s_waitcnt lgkmcnt(2)
	v_fma_f64 v[4:5], -v[38:39], v[62:63], v[4:5]
	;; [unrolled: 2-line block ×3, first 2 shown]
	ds_read_b64 v[60:61], v58 offset:2880
	ds_read_b64 v[62:63], v58 offset:3104
	;; [unrolled: 1-line block ×3, first 2 shown]
	s_waitcnt lgkmcnt(3)
	v_fma_f64 v[4:5], -v[18:19], v[66:67], v[4:5]
	ds_read_b64 v[66:67], v58 offset:3552
	s_waitcnt lgkmcnt(3)
	v_fma_f64 v[4:5], -v[12:13], v[60:61], v[4:5]
	s_waitcnt lgkmcnt(2)
	v_fma_f64 v[4:5], -v[14:15], v[62:63], v[4:5]
	;; [unrolled: 2-line block ×3, first 2 shown]
	ds_read_b64 v[60:61], v58 offset:3776
	ds_read_b64 v[62:63], v58 offset:4000
	;; [unrolled: 1-line block ×4, first 2 shown]
	s_waitcnt lgkmcnt(4)
	v_fma_f64 v[4:5], -v[10:11], v[66:67], v[4:5]
	s_waitcnt lgkmcnt(3)
	v_fma_f64 v[4:5], -v[42:43], v[60:61], v[4:5]
	;; [unrolled: 2-line block ×5, first 2 shown]
	ds_read_b64 v[60:61], v58 offset:4672
	ds_read_b64 v[62:63], v58 offset:4896
	;; [unrolled: 1-line block ×5, first 2 shown]
	s_waitcnt lgkmcnt(4)
	v_fma_f64 v[4:5], -v[50:51], v[60:61], v[4:5]
	s_waitcnt lgkmcnt(3)
	v_fma_f64 v[4:5], -v[52:53], v[62:63], v[4:5]
	;; [unrolled: 2-line block ×4, first 2 shown]
	s_waitcnt lgkmcnt(0)
	v_mul_f64 v[4:5], v[68:69], v[4:5]
	flat_store_dwordx2 v[40:41], v[4:5] offset:192
	ds_read_b64 v[60:61], v58 offset:200
	ds_read_b64 v[62:63], v58 offset:424
	;; [unrolled: 1-line block ×4, first 2 shown]
	s_waitcnt lgkmcnt(0)
	v_mul_f64 v[60:61], v[20:21], v[60:61]
	v_fma_f64 v[6:7], s[4:5], v[6:7], -v[60:61]
	v_fma_f64 v[6:7], -v[22:23], v[62:63], v[6:7]
	v_fma_f64 v[6:7], -v[24:25], v[64:65], v[6:7]
	ds_read_b64 v[60:61], v58 offset:1096
	ds_read_b64 v[62:63], v58 offset:1320
	ds_read_b64 v[64:65], v58 offset:1544
	v_fma_f64 v[6:7], -v[26:27], v[66:67], v[6:7]
	ds_read_b64 v[66:67], v58 offset:1768
	s_waitcnt lgkmcnt(0)
	v_fma_f64 v[6:7], -v[28:29], v[60:61], v[6:7]
	v_fma_f64 v[6:7], -v[30:31], v[62:63], v[6:7]
	v_fma_f64 v[6:7], -v[32:33], v[64:65], v[6:7]
	ds_read_b64 v[60:61], v58 offset:1992
	ds_read_b64 v[62:63], v58 offset:2216
	ds_read_b64 v[64:65], v58 offset:2440
	v_fma_f64 v[6:7], -v[34:35], v[66:67], v[6:7]
	ds_read_b64 v[66:67], v58 offset:2664
	s_waitcnt lgkmcnt(0)
	v_fma_f64 v[6:7], -v[36:37], v[60:61], v[6:7]
	;; [unrolled: 9-line block ×4, first 2 shown]
	ds_read_b64 v[60:61], v58 offset:4680
	v_fma_f64 v[6:7], -v[44:45], v[62:63], v[6:7]
	v_fma_f64 v[6:7], -v[46:47], v[64:65], v[6:7]
	v_fma_f64 v[6:7], -v[48:49], v[66:67], v[6:7]
	ds_read_b64 v[62:63], v58 offset:4904
	ds_read_b64 v[64:65], v58 offset:5128
	;; [unrolled: 1-line block ×3, first 2 shown]
	s_waitcnt lgkmcnt(0)
	v_fma_f64 v[6:7], -v[50:51], v[60:61], v[6:7]
	ds_read_b64 v[60:61], v58 offset:5576
	ds_read_b64 v[68:69], v58 offset:5800
	v_fma_f64 v[6:7], -v[52:53], v[62:63], v[6:7]
	v_fma_f64 v[6:7], -v[54:55], v[64:65], v[6:7]
	;; [unrolled: 1-line block ×3, first 2 shown]
	s_waitcnt lgkmcnt(0)
	v_fma_f64 v[6:7], -v[4:5], v[60:61], v[6:7]
	v_mul_f64 v[6:7], v[68:69], v[6:7]
	flat_store_dwordx2 v[40:41], v[6:7] offset:200
	ds_read_b64 v[60:61], v58 offset:208
	ds_read_b64 v[62:63], v58 offset:432
	;; [unrolled: 1-line block ×4, first 2 shown]
	s_waitcnt lgkmcnt(0)
	v_mul_f64 v[60:61], v[20:21], v[60:61]
	v_fma_f64 v[0:1], s[4:5], v[0:1], -v[60:61]
	v_fma_f64 v[0:1], -v[22:23], v[62:63], v[0:1]
	v_fma_f64 v[0:1], -v[24:25], v[64:65], v[0:1]
	ds_read_b64 v[60:61], v58 offset:1104
	ds_read_b64 v[62:63], v58 offset:1328
	ds_read_b64 v[64:65], v58 offset:1552
	v_fma_f64 v[0:1], -v[26:27], v[66:67], v[0:1]
	ds_read_b64 v[66:67], v58 offset:1776
	s_waitcnt lgkmcnt(0)
	v_fma_f64 v[0:1], -v[28:29], v[60:61], v[0:1]
	v_fma_f64 v[0:1], -v[30:31], v[62:63], v[0:1]
	v_fma_f64 v[0:1], -v[32:33], v[64:65], v[0:1]
	ds_read_b64 v[60:61], v58 offset:2000
	ds_read_b64 v[62:63], v58 offset:2224
	ds_read_b64 v[64:65], v58 offset:2448
	v_fma_f64 v[0:1], -v[34:35], v[66:67], v[0:1]
	ds_read_b64 v[66:67], v58 offset:2672
	s_waitcnt lgkmcnt(0)
	v_fma_f64 v[0:1], -v[36:37], v[60:61], v[0:1]
	;; [unrolled: 9-line block ×4, first 2 shown]
	v_fma_f64 v[0:1], -v[44:45], v[62:63], v[0:1]
	ds_read_b64 v[60:61], v58 offset:4688
	ds_read_b64 v[62:63], v58 offset:4912
	v_fma_f64 v[0:1], -v[46:47], v[64:65], v[0:1]
	v_fma_f64 v[0:1], -v[48:49], v[66:67], v[0:1]
	ds_read_b64 v[64:65], v58 offset:5136
	ds_read_b64 v[66:67], v58 offset:5360
	s_waitcnt lgkmcnt(0)
	v_fma_f64 v[0:1], -v[50:51], v[60:61], v[0:1]
	v_fma_f64 v[0:1], -v[52:53], v[62:63], v[0:1]
	ds_read_b64 v[60:61], v58 offset:5584
	ds_read_b64 v[62:63], v58 offset:5808
	ds_read_b64 v[68:69], v58 offset:6032
	v_fma_f64 v[0:1], -v[54:55], v[64:65], v[0:1]
	v_fma_f64 v[0:1], -v[56:57], v[66:67], v[0:1]
	s_waitcnt lgkmcnt(0)
	v_fma_f64 v[0:1], -v[4:5], v[60:61], v[0:1]
	v_fma_f64 v[0:1], -v[6:7], v[62:63], v[0:1]
	v_mul_f64 v[60:61], v[68:69], v[0:1]
	flat_store_dwordx2 v[40:41], v[60:61] offset:208
	ds_read_b64 v[0:1], v58 offset:216
	ds_read_b64 v[62:63], v58 offset:440
	;; [unrolled: 1-line block ×4, first 2 shown]
	s_waitcnt lgkmcnt(0)
	v_mul_f64 v[0:1], v[20:21], v[0:1]
	v_fma_f64 v[0:1], s[4:5], v[2:3], -v[0:1]
	v_fma_f64 v[0:1], -v[22:23], v[62:63], v[0:1]
	ds_read_b64 v[2:3], v58 offset:1112
	ds_read_b64 v[20:21], v58 offset:1336
	;; [unrolled: 1-line block ×3, first 2 shown]
	v_fma_f64 v[0:1], -v[24:25], v[64:65], v[0:1]
	v_fma_f64 v[0:1], -v[26:27], v[66:67], v[0:1]
	ds_read_b64 v[24:25], v58 offset:1784
	s_waitcnt lgkmcnt(0)
	v_fma_f64 v[0:1], -v[28:29], v[2:3], v[0:1]
	v_fma_f64 v[0:1], -v[30:31], v[20:21], v[0:1]
	v_fma_f64 v[0:1], -v[32:33], v[22:23], v[0:1]
	ds_read_b64 v[2:3], v58 offset:2008
	ds_read_b64 v[20:21], v58 offset:2232
	ds_read_b64 v[22:23], v58 offset:2456
	v_fma_f64 v[0:1], -v[34:35], v[24:25], v[0:1]
	ds_read_b64 v[24:25], v58 offset:2680
	s_waitcnt lgkmcnt(0)
	v_fma_f64 v[0:1], -v[36:37], v[2:3], v[0:1]
	v_fma_f64 v[0:1], -v[38:39], v[20:21], v[0:1]
	v_fma_f64 v[0:1], -v[16:17], v[22:23], v[0:1]
	ds_read_b64 v[2:3], v58 offset:2904
	ds_read_b64 v[16:17], v58 offset:3128
	ds_read_b64 v[20:21], v58 offset:3352
	;; [unrolled: 9-line block ×3, first 2 shown]
	v_fma_f64 v[0:1], -v[10:11], v[18:19], v[0:1]
	ds_read_b64 v[10:11], v58 offset:4472
	s_waitcnt lgkmcnt(0)
	v_fma_f64 v[0:1], -v[42:43], v[2:3], v[0:1]
	v_fma_f64 v[0:1], -v[44:45], v[8:9], v[0:1]
	ds_read_b64 v[2:3], v58 offset:4696
	ds_read_b64 v[8:9], v58 offset:4920
	v_fma_f64 v[0:1], -v[46:47], v[12:13], v[0:1]
	v_fma_f64 v[0:1], -v[48:49], v[10:11], v[0:1]
	ds_read_b64 v[10:11], v58 offset:5144
	ds_read_b64 v[12:13], v58 offset:5368
	s_waitcnt lgkmcnt(0)
	v_fma_f64 v[0:1], -v[50:51], v[2:3], v[0:1]
	v_fma_f64 v[8:9], -v[52:53], v[8:9], v[0:1]
	ds_read_b64 v[14:15], v58 offset:5592
	ds_read_b64 v[16:17], v58 offset:5816
	v_add_u32_e64 v0, s2, 0
	ds_read2_b64 v[0:3], v0 offset0:115 offset1:143
	v_fma_f64 v[8:9], -v[54:55], v[10:11], v[8:9]
	v_fma_f64 v[8:9], -v[56:57], v[12:13], v[8:9]
	s_waitcnt lgkmcnt(0)
	v_fma_f64 v[4:5], -v[4:5], v[14:15], v[8:9]
	v_fma_f64 v[4:5], -v[6:7], v[16:17], v[4:5]
	;; [unrolled: 1-line block ×3, first 2 shown]
	v_mul_f64 v[0:1], v[2:3], v[0:1]
	s_mov_b32 s2, 28
	flat_store_dwordx2 v[40:41], v[0:1] offset:216
.LBB100_37:
	s_cmp_lt_i32 s2, s22
	s_cbranch_scc0 .LBB100_48
; %bb.38:
	s_add_i32 s3, s2, 23
	s_cmp_ge_u32 s3, s22
	s_cbranch_scc1 .LBB100_43
; %bb.39:
	s_lshl_b32 s6, s2, 3
	s_mov_b32 s7, 0
	v_lshl_add_u64 v[0:1], v[40:41], 0, s[6:7]
	flat_load_dwordx4 v[2:5], v[0:1]
	flat_load_dwordx4 v[6:9], v[0:1] offset:16
	flat_load_dwordx4 v[22:25], v[0:1] offset:32
	;; [unrolled: 1-line block ×11, first 2 shown]
	s_andn2_b64 vcc, exec, s[0:1]
	s_waitcnt vmcnt(0) lgkmcnt(0)
	v_mul_f64 v[12:13], s[4:5], v[2:3]
	v_mul_f64 v[16:17], s[4:5], v[4:5]
	;; [unrolled: 1-line block ×24, first 2 shown]
	s_cbranch_vccnz .LBB100_42
; %bb.40:
	v_mov_b64_e32 v[52:53], v[40:41]
	s_mov_b32 s0, s2
.LBB100_41:                             ; =>This Inner Loop Header: Depth=1
	flat_load_dwordx2 v[62:63], v[52:53]
	v_mov_b32_e32 v64, s6
	ds_read_b128 v[54:57], v64
	ds_read_b128 v[58:61], v64 offset:16
	s_add_i32 s0, s0, -1
	s_addk_i32 s6, 0xe0
	v_lshl_add_u64 v[52:53], v[52:53], 0, 8
	s_cmp_lg_u32 s0, 0
	s_waitcnt vmcnt(0) lgkmcnt(0)
	v_fma_f64 v[12:13], -v[62:63], v[54:55], v[12:13]
	v_fma_f64 v[16:17], -v[62:63], v[56:57], v[16:17]
	ds_read_b128 v[54:57], v64 offset:32
	v_fma_f64 v[18:19], -v[62:63], v[58:59], v[18:19]
	v_fma_f64 v[20:21], -v[62:63], v[60:61], v[20:21]
	ds_read_b128 v[58:61], v64 offset:48
	s_waitcnt lgkmcnt(1)
	v_fma_f64 v[22:23], -v[62:63], v[54:55], v[22:23]
	v_fma_f64 v[24:25], -v[62:63], v[56:57], v[24:25]
	ds_read_b128 v[54:57], v64 offset:64
	s_waitcnt lgkmcnt(1)
	v_fma_f64 v[28:29], -v[62:63], v[58:59], v[28:29]
	v_fma_f64 v[30:31], -v[62:63], v[60:61], v[30:31]
	ds_read_b128 v[58:61], v64 offset:80
	s_waitcnt lgkmcnt(1)
	v_fma_f64 v[34:35], -v[62:63], v[54:55], v[34:35]
	v_fma_f64 v[36:37], -v[62:63], v[56:57], v[36:37]
	ds_read_b128 v[54:57], v64 offset:96
	s_waitcnt lgkmcnt(1)
	v_fma_f64 v[42:43], -v[62:63], v[58:59], v[42:43]
	v_fma_f64 v[46:47], -v[62:63], v[60:61], v[46:47]
	ds_read_b128 v[58:61], v64 offset:112
	s_waitcnt lgkmcnt(1)
	v_fma_f64 v[50:51], -v[62:63], v[54:55], v[50:51]
	v_fma_f64 v[48:49], -v[62:63], v[56:57], v[48:49]
	ds_read_b128 v[54:57], v64 offset:128
	s_waitcnt lgkmcnt(1)
	v_fma_f64 v[44:45], -v[62:63], v[58:59], v[44:45]
	v_fma_f64 v[38:39], -v[62:63], v[60:61], v[38:39]
	ds_read_b128 v[58:61], v64 offset:144
	s_waitcnt lgkmcnt(1)
	v_fma_f64 v[32:33], -v[62:63], v[54:55], v[32:33]
	v_fma_f64 v[26:27], -v[62:63], v[56:57], v[26:27]
	ds_read_b128 v[54:57], v64 offset:160
	s_waitcnt lgkmcnt(1)
	v_fma_f64 v[14:15], -v[62:63], v[58:59], v[14:15]
	v_fma_f64 v[10:11], -v[62:63], v[60:61], v[10:11]
	ds_read_b128 v[58:61], v64 offset:176
	s_waitcnt lgkmcnt(1)
	v_fma_f64 v[8:9], -v[62:63], v[54:55], v[8:9]
	v_fma_f64 v[6:7], -v[62:63], v[56:57], v[6:7]
	s_waitcnt lgkmcnt(0)
	v_fma_f64 v[4:5], -v[62:63], v[58:59], v[4:5]
	v_fma_f64 v[2:3], -v[62:63], v[60:61], v[2:3]
	s_cbranch_scc1 .LBB100_41
.LBB100_42:
	s_lshl_b32 s0, s2, 3
	s_mul_i32 s1, s2, 0xe0
	s_add_i32 s0, s0, s1
	v_mov_b32_e32 v52, s0
	ds_read_b64 v[54:55], v52
	s_mul_i32 s0, s2, 0xe8
	v_mov_b32_e32 v53, s0
	s_mul_i32 s1, s3, 0xe8
	s_add_i32 s2, s2, 24
	s_waitcnt lgkmcnt(0)
	v_mul_f64 v[12:13], v[54:55], v[12:13]
	flat_store_dwordx2 v[0:1], v[12:13]
	ds_read_b64 v[54:55], v52 offset:8
	ds_read_b64 v[56:57], v52 offset:232
	s_waitcnt lgkmcnt(0)
	v_fma_f64 v[16:17], -v[12:13], v[54:55], v[16:17]
	v_mul_f64 v[16:17], v[56:57], v[16:17]
	flat_store_dwordx2 v[0:1], v[16:17] offset:8
	ds_read_b64 v[54:55], v52 offset:16
	ds_read_b64 v[56:57], v52 offset:240
	;; [unrolled: 1-line block ×3, first 2 shown]
	s_waitcnt lgkmcnt(0)
	v_fma_f64 v[18:19], -v[12:13], v[54:55], v[18:19]
	v_fma_f64 v[18:19], -v[16:17], v[56:57], v[18:19]
	v_mul_f64 v[18:19], v[58:59], v[18:19]
	flat_store_dwordx2 v[0:1], v[18:19] offset:16
	ds_read_b64 v[54:55], v52 offset:24
	ds_read_b64 v[56:57], v52 offset:248
	;; [unrolled: 1-line block ×4, first 2 shown]
	s_waitcnt lgkmcnt(0)
	v_fma_f64 v[20:21], -v[12:13], v[54:55], v[20:21]
	v_fma_f64 v[20:21], -v[16:17], v[56:57], v[20:21]
	;; [unrolled: 1-line block ×3, first 2 shown]
	v_mul_f64 v[20:21], v[60:61], v[20:21]
	flat_store_dwordx2 v[0:1], v[20:21] offset:24
	ds_read_b64 v[54:55], v52 offset:32
	ds_read_b64 v[56:57], v52 offset:256
	;; [unrolled: 1-line block ×5, first 2 shown]
	s_waitcnt lgkmcnt(0)
	v_fma_f64 v[22:23], -v[12:13], v[54:55], v[22:23]
	v_fma_f64 v[22:23], -v[16:17], v[56:57], v[22:23]
	v_fma_f64 v[22:23], -v[18:19], v[58:59], v[22:23]
	v_fma_f64 v[22:23], -v[20:21], v[60:61], v[22:23]
	v_mul_f64 v[22:23], v[62:63], v[22:23]
	flat_store_dwordx2 v[0:1], v[22:23] offset:32
	ds_read_b64 v[54:55], v52 offset:40
	ds_read_b64 v[56:57], v52 offset:264
	;; [unrolled: 1-line block ×6, first 2 shown]
	s_waitcnt lgkmcnt(0)
	v_fma_f64 v[24:25], -v[12:13], v[54:55], v[24:25]
	v_fma_f64 v[24:25], -v[16:17], v[56:57], v[24:25]
	;; [unrolled: 1-line block ×5, first 2 shown]
	v_mul_f64 v[24:25], v[64:65], v[24:25]
	flat_store_dwordx2 v[0:1], v[24:25] offset:40
	ds_read_b64 v[54:55], v52 offset:48
	ds_read_b64 v[56:57], v52 offset:272
	;; [unrolled: 1-line block ×7, first 2 shown]
	s_waitcnt lgkmcnt(0)
	v_fma_f64 v[28:29], -v[12:13], v[54:55], v[28:29]
	v_fma_f64 v[28:29], -v[16:17], v[56:57], v[28:29]
	;; [unrolled: 1-line block ×6, first 2 shown]
	v_mul_f64 v[28:29], v[66:67], v[28:29]
	flat_store_dwordx2 v[0:1], v[28:29] offset:48
	ds_read_b64 v[54:55], v52 offset:56
	ds_read_b64 v[56:57], v52 offset:280
	ds_read_b64 v[58:59], v52 offset:504
	ds_read_b64 v[60:61], v52 offset:728
	ds_read_b64 v[62:63], v52 offset:952
	ds_read_b64 v[64:65], v52 offset:1176
	ds_read_b64 v[66:67], v52 offset:1400
	ds_read_b64 v[68:69], v52 offset:1624
	s_waitcnt lgkmcnt(0)
	v_fma_f64 v[30:31], -v[12:13], v[54:55], v[30:31]
	v_fma_f64 v[30:31], -v[16:17], v[56:57], v[30:31]
	;; [unrolled: 1-line block ×7, first 2 shown]
	v_mul_f64 v[30:31], v[68:69], v[30:31]
	flat_store_dwordx2 v[0:1], v[30:31] offset:56
	ds_read_b64 v[54:55], v52 offset:64
	ds_read_b64 v[56:57], v52 offset:288
	ds_read_b64 v[58:59], v52 offset:512
	ds_read_b64 v[60:61], v52 offset:736
	ds_read_b64 v[62:63], v52 offset:960
	ds_read_b64 v[64:65], v52 offset:1184
	ds_read_b64 v[66:67], v52 offset:1408
	ds_read_b64 v[68:69], v52 offset:1632
	s_waitcnt lgkmcnt(0)
	v_fma_f64 v[34:35], -v[12:13], v[54:55], v[34:35]
	v_fma_f64 v[34:35], -v[16:17], v[56:57], v[34:35]
	;; [unrolled: 1-line block ×4, first 2 shown]
	ds_read_b64 v[54:55], v52 offset:1856
	v_fma_f64 v[34:35], -v[22:23], v[62:63], v[34:35]
	v_fma_f64 v[34:35], -v[24:25], v[64:65], v[34:35]
	;; [unrolled: 1-line block ×4, first 2 shown]
	s_waitcnt lgkmcnt(0)
	v_mul_f64 v[34:35], v[54:55], v[34:35]
	flat_store_dwordx2 v[0:1], v[34:35] offset:64
	ds_read_b64 v[54:55], v52 offset:72
	ds_read_b64 v[56:57], v52 offset:296
	;; [unrolled: 1-line block ×4, first 2 shown]
	s_waitcnt lgkmcnt(0)
	v_fma_f64 v[36:37], -v[12:13], v[54:55], v[36:37]
	ds_read_b64 v[54:55], v52 offset:968
	v_fma_f64 v[36:37], -v[16:17], v[56:57], v[36:37]
	v_fma_f64 v[36:37], -v[18:19], v[58:59], v[36:37]
	;; [unrolled: 1-line block ×3, first 2 shown]
	ds_read_b64 v[56:57], v52 offset:1192
	ds_read_b64 v[58:59], v52 offset:1416
	;; [unrolled: 1-line block ×3, first 2 shown]
	s_waitcnt lgkmcnt(0)
	v_fma_f64 v[36:37], -v[22:23], v[54:55], v[36:37]
	ds_read_b64 v[54:55], v52 offset:1864
	ds_read_b64 v[62:63], v53 offset:2088
	v_fma_f64 v[36:37], -v[24:25], v[56:57], v[36:37]
	v_fma_f64 v[36:37], -v[28:29], v[58:59], v[36:37]
	;; [unrolled: 1-line block ×3, first 2 shown]
	s_waitcnt lgkmcnt(0)
	v_fma_f64 v[36:37], -v[34:35], v[54:55], v[36:37]
	v_mul_f64 v[36:37], v[62:63], v[36:37]
	flat_store_dwordx2 v[0:1], v[36:37] offset:72
	ds_read_b64 v[54:55], v52 offset:80
	ds_read_b64 v[56:57], v52 offset:304
	;; [unrolled: 1-line block ×4, first 2 shown]
	s_waitcnt lgkmcnt(0)
	v_fma_f64 v[42:43], -v[12:13], v[54:55], v[42:43]
	v_fma_f64 v[42:43], -v[16:17], v[56:57], v[42:43]
	ds_read_b64 v[54:55], v52 offset:976
	ds_read_b64 v[56:57], v52 offset:1200
	v_fma_f64 v[42:43], -v[18:19], v[58:59], v[42:43]
	v_fma_f64 v[42:43], -v[20:21], v[60:61], v[42:43]
	ds_read_b64 v[58:59], v52 offset:1424
	ds_read_b64 v[60:61], v52 offset:1648
	s_waitcnt lgkmcnt(0)
	v_fma_f64 v[42:43], -v[22:23], v[54:55], v[42:43]
	v_fma_f64 v[42:43], -v[24:25], v[56:57], v[42:43]
	ds_read_b64 v[54:55], v52 offset:1872
	ds_read_b64 v[56:57], v52 offset:2096
	;; [unrolled: 1-line block ×3, first 2 shown]
	v_fma_f64 v[42:43], -v[28:29], v[58:59], v[42:43]
	v_fma_f64 v[42:43], -v[30:31], v[60:61], v[42:43]
	s_waitcnt lgkmcnt(0)
	v_fma_f64 v[42:43], -v[34:35], v[54:55], v[42:43]
	v_fma_f64 v[42:43], -v[36:37], v[56:57], v[42:43]
	v_mul_f64 v[42:43], v[62:63], v[42:43]
	flat_store_dwordx2 v[0:1], v[42:43] offset:80
	ds_read_b64 v[54:55], v52 offset:88
	ds_read_b64 v[56:57], v52 offset:312
	;; [unrolled: 1-line block ×4, first 2 shown]
	s_waitcnt lgkmcnt(0)
	v_fma_f64 v[46:47], -v[12:13], v[54:55], v[46:47]
	v_fma_f64 v[46:47], -v[16:17], v[56:57], v[46:47]
	;; [unrolled: 1-line block ×3, first 2 shown]
	ds_read_b64 v[54:55], v52 offset:984
	ds_read_b64 v[56:57], v52 offset:1208
	;; [unrolled: 1-line block ×3, first 2 shown]
	v_fma_f64 v[46:47], -v[20:21], v[60:61], v[46:47]
	ds_read_b64 v[60:61], v52 offset:1656
	s_waitcnt lgkmcnt(0)
	v_fma_f64 v[46:47], -v[22:23], v[54:55], v[46:47]
	v_fma_f64 v[46:47], -v[24:25], v[56:57], v[46:47]
	;; [unrolled: 1-line block ×3, first 2 shown]
	ds_read_b64 v[54:55], v52 offset:1880
	ds_read_b64 v[56:57], v52 offset:2104
	;; [unrolled: 1-line block ×4, first 2 shown]
	v_fma_f64 v[46:47], -v[30:31], v[60:61], v[46:47]
	s_waitcnt lgkmcnt(0)
	v_fma_f64 v[46:47], -v[34:35], v[54:55], v[46:47]
	v_fma_f64 v[46:47], -v[36:37], v[56:57], v[46:47]
	;; [unrolled: 1-line block ×3, first 2 shown]
	v_mul_f64 v[46:47], v[62:63], v[46:47]
	flat_store_dwordx2 v[0:1], v[46:47] offset:88
	ds_read_b64 v[54:55], v52 offset:96
	ds_read_b64 v[56:57], v52 offset:320
	;; [unrolled: 1-line block ×4, first 2 shown]
	s_waitcnt lgkmcnt(0)
	v_fma_f64 v[50:51], -v[12:13], v[54:55], v[50:51]
	v_fma_f64 v[50:51], -v[16:17], v[56:57], v[50:51]
	;; [unrolled: 1-line block ×3, first 2 shown]
	ds_read_b64 v[54:55], v52 offset:992
	ds_read_b64 v[56:57], v52 offset:1216
	;; [unrolled: 1-line block ×4, first 2 shown]
	v_fma_f64 v[50:51], -v[20:21], v[60:61], v[50:51]
	s_waitcnt lgkmcnt(0)
	v_fma_f64 v[50:51], -v[22:23], v[54:55], v[50:51]
	v_fma_f64 v[50:51], -v[24:25], v[56:57], v[50:51]
	;; [unrolled: 1-line block ×4, first 2 shown]
	ds_read_b64 v[54:55], v52 offset:1888
	ds_read_b64 v[56:57], v52 offset:2112
	ds_read_b64 v[58:59], v52 offset:2336
	ds_read_b64 v[60:61], v52 offset:2560
	ds_read_b64 v[62:63], v53 offset:2784
	s_waitcnt lgkmcnt(0)
	v_fma_f64 v[50:51], -v[34:35], v[54:55], v[50:51]
	v_fma_f64 v[50:51], -v[36:37], v[56:57], v[50:51]
	;; [unrolled: 1-line block ×4, first 2 shown]
	v_mul_f64 v[50:51], v[62:63], v[50:51]
	flat_store_dwordx2 v[0:1], v[50:51] offset:96
	ds_read_b64 v[54:55], v52 offset:104
	ds_read_b64 v[56:57], v52 offset:328
	;; [unrolled: 1-line block ×4, first 2 shown]
	s_waitcnt lgkmcnt(0)
	v_fma_f64 v[48:49], -v[12:13], v[54:55], v[48:49]
	v_fma_f64 v[48:49], -v[16:17], v[56:57], v[48:49]
	v_fma_f64 v[48:49], -v[18:19], v[58:59], v[48:49]
	ds_read_b64 v[54:55], v52 offset:1000
	ds_read_b64 v[56:57], v52 offset:1224
	;; [unrolled: 1-line block ×3, first 2 shown]
	v_fma_f64 v[48:49], -v[20:21], v[60:61], v[48:49]
	ds_read_b64 v[60:61], v52 offset:1672
	s_waitcnt lgkmcnt(0)
	v_fma_f64 v[48:49], -v[22:23], v[54:55], v[48:49]
	ds_read_b64 v[54:55], v52 offset:1896
	v_fma_f64 v[48:49], -v[24:25], v[56:57], v[48:49]
	v_fma_f64 v[48:49], -v[28:29], v[58:59], v[48:49]
	;; [unrolled: 1-line block ×3, first 2 shown]
	ds_read_b64 v[56:57], v52 offset:2120
	ds_read_b64 v[58:59], v52 offset:2344
	ds_read_b64 v[60:61], v52 offset:2568
	s_waitcnt lgkmcnt(0)
	v_fma_f64 v[48:49], -v[34:35], v[54:55], v[48:49]
	ds_read_b64 v[54:55], v52 offset:2792
	ds_read_b64 v[62:63], v53 offset:3016
	v_fma_f64 v[48:49], -v[36:37], v[56:57], v[48:49]
	v_fma_f64 v[48:49], -v[42:43], v[58:59], v[48:49]
	;; [unrolled: 1-line block ×3, first 2 shown]
	s_waitcnt lgkmcnt(0)
	v_fma_f64 v[48:49], -v[50:51], v[54:55], v[48:49]
	v_mul_f64 v[48:49], v[62:63], v[48:49]
	flat_store_dwordx2 v[0:1], v[48:49] offset:104
	ds_read_b64 v[54:55], v52 offset:112
	ds_read_b64 v[56:57], v52 offset:336
	ds_read_b64 v[58:59], v52 offset:560
	ds_read_b64 v[60:61], v52 offset:784
	s_waitcnt lgkmcnt(0)
	v_fma_f64 v[44:45], -v[12:13], v[54:55], v[44:45]
	v_fma_f64 v[44:45], -v[16:17], v[56:57], v[44:45]
	;; [unrolled: 1-line block ×3, first 2 shown]
	ds_read_b64 v[54:55], v52 offset:1008
	ds_read_b64 v[56:57], v52 offset:1232
	;; [unrolled: 1-line block ×3, first 2 shown]
	v_fma_f64 v[44:45], -v[20:21], v[60:61], v[44:45]
	ds_read_b64 v[60:61], v52 offset:1680
	s_waitcnt lgkmcnt(0)
	v_fma_f64 v[44:45], -v[22:23], v[54:55], v[44:45]
	v_fma_f64 v[44:45], -v[24:25], v[56:57], v[44:45]
	ds_read_b64 v[54:55], v52 offset:1904
	ds_read_b64 v[56:57], v52 offset:2128
	v_fma_f64 v[44:45], -v[28:29], v[58:59], v[44:45]
	v_fma_f64 v[44:45], -v[30:31], v[60:61], v[44:45]
	ds_read_b64 v[58:59], v52 offset:2352
	ds_read_b64 v[60:61], v52 offset:2576
	s_waitcnt lgkmcnt(0)
	v_fma_f64 v[44:45], -v[34:35], v[54:55], v[44:45]
	v_fma_f64 v[44:45], -v[36:37], v[56:57], v[44:45]
	ds_read_b64 v[54:55], v52 offset:2800
	ds_read_b64 v[56:57], v52 offset:3024
	;; [unrolled: 1-line block ×3, first 2 shown]
	v_fma_f64 v[44:45], -v[42:43], v[58:59], v[44:45]
	v_fma_f64 v[44:45], -v[46:47], v[60:61], v[44:45]
	s_waitcnt lgkmcnt(0)
	v_fma_f64 v[44:45], -v[50:51], v[54:55], v[44:45]
	v_fma_f64 v[44:45], -v[48:49], v[56:57], v[44:45]
	v_mul_f64 v[44:45], v[62:63], v[44:45]
	flat_store_dwordx2 v[0:1], v[44:45] offset:112
	ds_read_b64 v[54:55], v52 offset:120
	ds_read_b64 v[56:57], v52 offset:344
	;; [unrolled: 1-line block ×4, first 2 shown]
	s_waitcnt lgkmcnt(0)
	v_fma_f64 v[38:39], -v[12:13], v[54:55], v[38:39]
	v_fma_f64 v[38:39], -v[16:17], v[56:57], v[38:39]
	;; [unrolled: 1-line block ×3, first 2 shown]
	ds_read_b64 v[54:55], v52 offset:1016
	ds_read_b64 v[56:57], v52 offset:1240
	;; [unrolled: 1-line block ×3, first 2 shown]
	v_fma_f64 v[38:39], -v[20:21], v[60:61], v[38:39]
	ds_read_b64 v[60:61], v52 offset:1688
	s_waitcnt lgkmcnt(0)
	v_fma_f64 v[38:39], -v[22:23], v[54:55], v[38:39]
	v_fma_f64 v[38:39], -v[24:25], v[56:57], v[38:39]
	;; [unrolled: 1-line block ×3, first 2 shown]
	ds_read_b64 v[54:55], v52 offset:1912
	ds_read_b64 v[56:57], v52 offset:2136
	;; [unrolled: 1-line block ×3, first 2 shown]
	v_fma_f64 v[38:39], -v[30:31], v[60:61], v[38:39]
	ds_read_b64 v[60:61], v52 offset:2584
	s_waitcnt lgkmcnt(0)
	v_fma_f64 v[38:39], -v[34:35], v[54:55], v[38:39]
	v_fma_f64 v[38:39], -v[36:37], v[56:57], v[38:39]
	;; [unrolled: 1-line block ×3, first 2 shown]
	ds_read_b64 v[54:55], v52 offset:2808
	ds_read_b64 v[56:57], v52 offset:3032
	;; [unrolled: 1-line block ×4, first 2 shown]
	v_fma_f64 v[38:39], -v[46:47], v[60:61], v[38:39]
	s_waitcnt lgkmcnt(0)
	v_fma_f64 v[38:39], -v[50:51], v[54:55], v[38:39]
	v_fma_f64 v[38:39], -v[48:49], v[56:57], v[38:39]
	;; [unrolled: 1-line block ×3, first 2 shown]
	v_mul_f64 v[38:39], v[62:63], v[38:39]
	flat_store_dwordx2 v[0:1], v[38:39] offset:120
	ds_read_b64 v[54:55], v52 offset:128
	ds_read_b64 v[56:57], v52 offset:352
	;; [unrolled: 1-line block ×4, first 2 shown]
	s_waitcnt lgkmcnt(0)
	v_fma_f64 v[32:33], -v[12:13], v[54:55], v[32:33]
	v_fma_f64 v[32:33], -v[16:17], v[56:57], v[32:33]
	;; [unrolled: 1-line block ×3, first 2 shown]
	ds_read_b64 v[54:55], v52 offset:1024
	ds_read_b64 v[56:57], v52 offset:1248
	;; [unrolled: 1-line block ×3, first 2 shown]
	v_fma_f64 v[32:33], -v[20:21], v[60:61], v[32:33]
	ds_read_b64 v[60:61], v52 offset:1696
	s_waitcnt lgkmcnt(0)
	v_fma_f64 v[32:33], -v[22:23], v[54:55], v[32:33]
	v_fma_f64 v[32:33], -v[24:25], v[56:57], v[32:33]
	;; [unrolled: 1-line block ×3, first 2 shown]
	ds_read_b64 v[54:55], v52 offset:1920
	ds_read_b64 v[56:57], v52 offset:2144
	;; [unrolled: 1-line block ×4, first 2 shown]
	v_fma_f64 v[32:33], -v[30:31], v[60:61], v[32:33]
	s_waitcnt lgkmcnt(0)
	v_fma_f64 v[32:33], -v[34:35], v[54:55], v[32:33]
	v_fma_f64 v[32:33], -v[36:37], v[56:57], v[32:33]
	;; [unrolled: 1-line block ×4, first 2 shown]
	ds_read_b64 v[54:55], v52 offset:2816
	ds_read_b64 v[56:57], v52 offset:3040
	;; [unrolled: 1-line block ×5, first 2 shown]
	s_waitcnt lgkmcnt(0)
	v_fma_f64 v[32:33], -v[50:51], v[54:55], v[32:33]
	v_fma_f64 v[32:33], -v[48:49], v[56:57], v[32:33]
	;; [unrolled: 1-line block ×4, first 2 shown]
	v_mul_f64 v[32:33], v[62:63], v[32:33]
	flat_store_dwordx2 v[0:1], v[32:33] offset:128
	ds_read_b64 v[54:55], v52 offset:136
	ds_read_b64 v[56:57], v52 offset:360
	;; [unrolled: 1-line block ×4, first 2 shown]
	s_waitcnt lgkmcnt(0)
	v_fma_f64 v[26:27], -v[12:13], v[54:55], v[26:27]
	v_fma_f64 v[26:27], -v[16:17], v[56:57], v[26:27]
	;; [unrolled: 1-line block ×3, first 2 shown]
	ds_read_b64 v[54:55], v52 offset:1032
	ds_read_b64 v[56:57], v52 offset:1256
	ds_read_b64 v[58:59], v52 offset:1480
	v_fma_f64 v[26:27], -v[20:21], v[60:61], v[26:27]
	ds_read_b64 v[60:61], v52 offset:1704
	s_waitcnt lgkmcnt(0)
	v_fma_f64 v[26:27], -v[22:23], v[54:55], v[26:27]
	v_fma_f64 v[26:27], -v[24:25], v[56:57], v[26:27]
	;; [unrolled: 1-line block ×3, first 2 shown]
	ds_read_b64 v[54:55], v52 offset:1928
	ds_read_b64 v[56:57], v52 offset:2152
	;; [unrolled: 1-line block ×3, first 2 shown]
	v_fma_f64 v[26:27], -v[30:31], v[60:61], v[26:27]
	ds_read_b64 v[60:61], v52 offset:2600
	s_waitcnt lgkmcnt(0)
	v_fma_f64 v[26:27], -v[34:35], v[54:55], v[26:27]
	ds_read_b64 v[54:55], v52 offset:2824
	v_fma_f64 v[26:27], -v[36:37], v[56:57], v[26:27]
	v_fma_f64 v[26:27], -v[42:43], v[58:59], v[26:27]
	;; [unrolled: 1-line block ×3, first 2 shown]
	ds_read_b64 v[56:57], v52 offset:3048
	ds_read_b64 v[58:59], v52 offset:3272
	;; [unrolled: 1-line block ×3, first 2 shown]
	s_waitcnt lgkmcnt(0)
	v_fma_f64 v[26:27], -v[50:51], v[54:55], v[26:27]
	ds_read_b64 v[54:55], v52 offset:3720
	ds_read_b64 v[62:63], v53 offset:3944
	v_fma_f64 v[26:27], -v[48:49], v[56:57], v[26:27]
	v_fma_f64 v[26:27], -v[44:45], v[58:59], v[26:27]
	;; [unrolled: 1-line block ×3, first 2 shown]
	s_waitcnt lgkmcnt(0)
	v_fma_f64 v[26:27], -v[32:33], v[54:55], v[26:27]
	v_mul_f64 v[26:27], v[62:63], v[26:27]
	flat_store_dwordx2 v[0:1], v[26:27] offset:136
	ds_read_b64 v[54:55], v52 offset:144
	ds_read_b64 v[56:57], v52 offset:368
	;; [unrolled: 1-line block ×4, first 2 shown]
	s_waitcnt lgkmcnt(0)
	v_fma_f64 v[14:15], -v[12:13], v[54:55], v[14:15]
	v_fma_f64 v[14:15], -v[16:17], v[56:57], v[14:15]
	;; [unrolled: 1-line block ×3, first 2 shown]
	ds_read_b64 v[54:55], v52 offset:1040
	ds_read_b64 v[56:57], v52 offset:1264
	;; [unrolled: 1-line block ×3, first 2 shown]
	v_fma_f64 v[14:15], -v[20:21], v[60:61], v[14:15]
	ds_read_b64 v[60:61], v52 offset:1712
	s_waitcnt lgkmcnt(0)
	v_fma_f64 v[14:15], -v[22:23], v[54:55], v[14:15]
	v_fma_f64 v[14:15], -v[24:25], v[56:57], v[14:15]
	v_fma_f64 v[14:15], -v[28:29], v[58:59], v[14:15]
	ds_read_b64 v[54:55], v52 offset:1936
	ds_read_b64 v[56:57], v52 offset:2160
	;; [unrolled: 1-line block ×3, first 2 shown]
	v_fma_f64 v[14:15], -v[30:31], v[60:61], v[14:15]
	ds_read_b64 v[60:61], v52 offset:2608
	s_waitcnt lgkmcnt(0)
	v_fma_f64 v[14:15], -v[34:35], v[54:55], v[14:15]
	v_fma_f64 v[14:15], -v[36:37], v[56:57], v[14:15]
	ds_read_b64 v[54:55], v52 offset:2832
	ds_read_b64 v[56:57], v52 offset:3056
	v_fma_f64 v[14:15], -v[42:43], v[58:59], v[14:15]
	v_fma_f64 v[14:15], -v[46:47], v[60:61], v[14:15]
	ds_read_b64 v[58:59], v52 offset:3280
	ds_read_b64 v[60:61], v52 offset:3504
	s_waitcnt lgkmcnt(0)
	v_fma_f64 v[14:15], -v[50:51], v[54:55], v[14:15]
	v_fma_f64 v[14:15], -v[48:49], v[56:57], v[14:15]
	ds_read_b64 v[54:55], v52 offset:3728
	ds_read_b64 v[56:57], v52 offset:3952
	ds_read_b64 v[62:63], v53 offset:4176
	v_fma_f64 v[14:15], -v[44:45], v[58:59], v[14:15]
	v_fma_f64 v[14:15], -v[38:39], v[60:61], v[14:15]
	s_waitcnt lgkmcnt(0)
	v_fma_f64 v[14:15], -v[32:33], v[54:55], v[14:15]
	v_fma_f64 v[14:15], -v[26:27], v[56:57], v[14:15]
	v_mul_f64 v[14:15], v[62:63], v[14:15]
	flat_store_dwordx2 v[0:1], v[14:15] offset:144
	ds_read_b64 v[54:55], v52 offset:152
	ds_read_b64 v[56:57], v52 offset:376
	;; [unrolled: 1-line block ×4, first 2 shown]
	s_waitcnt lgkmcnt(0)
	v_fma_f64 v[10:11], -v[12:13], v[54:55], v[10:11]
	v_fma_f64 v[10:11], -v[16:17], v[56:57], v[10:11]
	v_fma_f64 v[10:11], -v[18:19], v[58:59], v[10:11]
	ds_read_b64 v[54:55], v52 offset:1048
	ds_read_b64 v[56:57], v52 offset:1272
	ds_read_b64 v[58:59], v52 offset:1496
	v_fma_f64 v[10:11], -v[20:21], v[60:61], v[10:11]
	ds_read_b64 v[60:61], v52 offset:1720
	s_waitcnt lgkmcnt(0)
	v_fma_f64 v[10:11], -v[22:23], v[54:55], v[10:11]
	v_fma_f64 v[10:11], -v[24:25], v[56:57], v[10:11]
	v_fma_f64 v[10:11], -v[28:29], v[58:59], v[10:11]
	ds_read_b64 v[54:55], v52 offset:1944
	ds_read_b64 v[56:57], v52 offset:2168
	ds_read_b64 v[58:59], v52 offset:2392
	v_fma_f64 v[10:11], -v[30:31], v[60:61], v[10:11]
	ds_read_b64 v[60:61], v52 offset:2616
	;; [unrolled: 9-line block ×3, first 2 shown]
	s_waitcnt lgkmcnt(0)
	v_fma_f64 v[10:11], -v[50:51], v[54:55], v[10:11]
	v_fma_f64 v[10:11], -v[48:49], v[56:57], v[10:11]
	;; [unrolled: 1-line block ×3, first 2 shown]
	ds_read_b64 v[54:55], v52 offset:3736
	ds_read_b64 v[56:57], v52 offset:3960
	;; [unrolled: 1-line block ×4, first 2 shown]
	v_fma_f64 v[10:11], -v[38:39], v[60:61], v[10:11]
	s_waitcnt lgkmcnt(0)
	v_fma_f64 v[10:11], -v[32:33], v[54:55], v[10:11]
	v_fma_f64 v[10:11], -v[26:27], v[56:57], v[10:11]
	;; [unrolled: 1-line block ×3, first 2 shown]
	v_mul_f64 v[10:11], v[62:63], v[10:11]
	flat_store_dwordx2 v[0:1], v[10:11] offset:152
	ds_read_b64 v[54:55], v52 offset:160
	ds_read_b64 v[56:57], v52 offset:384
	;; [unrolled: 1-line block ×4, first 2 shown]
	s_waitcnt lgkmcnt(0)
	v_fma_f64 v[8:9], -v[12:13], v[54:55], v[8:9]
	v_fma_f64 v[8:9], -v[16:17], v[56:57], v[8:9]
	;; [unrolled: 1-line block ×3, first 2 shown]
	ds_read_b64 v[54:55], v52 offset:1056
	ds_read_b64 v[56:57], v52 offset:1280
	;; [unrolled: 1-line block ×3, first 2 shown]
	v_fma_f64 v[8:9], -v[20:21], v[60:61], v[8:9]
	ds_read_b64 v[60:61], v52 offset:1728
	s_waitcnt lgkmcnt(0)
	v_fma_f64 v[8:9], -v[22:23], v[54:55], v[8:9]
	v_fma_f64 v[8:9], -v[24:25], v[56:57], v[8:9]
	;; [unrolled: 1-line block ×3, first 2 shown]
	ds_read_b64 v[54:55], v52 offset:1952
	ds_read_b64 v[56:57], v52 offset:2176
	;; [unrolled: 1-line block ×3, first 2 shown]
	v_fma_f64 v[8:9], -v[30:31], v[60:61], v[8:9]
	ds_read_b64 v[60:61], v52 offset:2624
	s_waitcnt lgkmcnt(0)
	v_fma_f64 v[8:9], -v[34:35], v[54:55], v[8:9]
	v_fma_f64 v[8:9], -v[36:37], v[56:57], v[8:9]
	;; [unrolled: 1-line block ×3, first 2 shown]
	ds_read_b64 v[54:55], v52 offset:2848
	ds_read_b64 v[56:57], v52 offset:3072
	;; [unrolled: 1-line block ×4, first 2 shown]
	v_fma_f64 v[8:9], -v[46:47], v[60:61], v[8:9]
	s_waitcnt lgkmcnt(0)
	v_fma_f64 v[8:9], -v[50:51], v[54:55], v[8:9]
	v_fma_f64 v[8:9], -v[48:49], v[56:57], v[8:9]
	;; [unrolled: 1-line block ×4, first 2 shown]
	ds_read_b64 v[54:55], v52 offset:3744
	ds_read_b64 v[56:57], v52 offset:3968
	;; [unrolled: 1-line block ×5, first 2 shown]
	s_waitcnt lgkmcnt(0)
	v_fma_f64 v[8:9], -v[32:33], v[54:55], v[8:9]
	v_fma_f64 v[8:9], -v[26:27], v[56:57], v[8:9]
	;; [unrolled: 1-line block ×4, first 2 shown]
	v_mul_f64 v[8:9], v[62:63], v[8:9]
	flat_store_dwordx2 v[0:1], v[8:9] offset:160
	ds_read_b64 v[54:55], v52 offset:168
	ds_read_b64 v[56:57], v52 offset:392
	;; [unrolled: 1-line block ×4, first 2 shown]
	s_waitcnt lgkmcnt(0)
	v_fma_f64 v[6:7], -v[12:13], v[54:55], v[6:7]
	v_fma_f64 v[6:7], -v[16:17], v[56:57], v[6:7]
	v_fma_f64 v[6:7], -v[18:19], v[58:59], v[6:7]
	ds_read_b64 v[54:55], v52 offset:1064
	ds_read_b64 v[56:57], v52 offset:1288
	ds_read_b64 v[58:59], v52 offset:1512
	v_fma_f64 v[6:7], -v[20:21], v[60:61], v[6:7]
	ds_read_b64 v[60:61], v52 offset:1736
	s_waitcnt lgkmcnt(0)
	v_fma_f64 v[6:7], -v[22:23], v[54:55], v[6:7]
	v_fma_f64 v[6:7], -v[24:25], v[56:57], v[6:7]
	v_fma_f64 v[6:7], -v[28:29], v[58:59], v[6:7]
	ds_read_b64 v[54:55], v52 offset:1960
	ds_read_b64 v[56:57], v52 offset:2184
	ds_read_b64 v[58:59], v52 offset:2408
	v_fma_f64 v[6:7], -v[30:31], v[60:61], v[6:7]
	ds_read_b64 v[60:61], v52 offset:2632
	;; [unrolled: 9-line block ×3, first 2 shown]
	s_waitcnt lgkmcnt(0)
	v_fma_f64 v[6:7], -v[50:51], v[54:55], v[6:7]
	ds_read_b64 v[54:55], v52 offset:3752
	v_fma_f64 v[6:7], -v[48:49], v[56:57], v[6:7]
	v_fma_f64 v[6:7], -v[44:45], v[58:59], v[6:7]
	;; [unrolled: 1-line block ×3, first 2 shown]
	ds_read_b64 v[56:57], v52 offset:3976
	ds_read_b64 v[58:59], v52 offset:4200
	;; [unrolled: 1-line block ×3, first 2 shown]
	s_waitcnt lgkmcnt(0)
	v_fma_f64 v[6:7], -v[32:33], v[54:55], v[6:7]
	ds_read_b64 v[54:55], v52 offset:4648
	ds_read_b64 v[62:63], v53 offset:4872
	v_fma_f64 v[6:7], -v[26:27], v[56:57], v[6:7]
	v_fma_f64 v[6:7], -v[14:15], v[58:59], v[6:7]
	;; [unrolled: 1-line block ×3, first 2 shown]
	s_waitcnt lgkmcnt(0)
	v_fma_f64 v[6:7], -v[8:9], v[54:55], v[6:7]
	v_mul_f64 v[6:7], v[62:63], v[6:7]
	flat_store_dwordx2 v[0:1], v[6:7] offset:168
	ds_read_b64 v[54:55], v52 offset:176
	ds_read_b64 v[56:57], v52 offset:400
	;; [unrolled: 1-line block ×4, first 2 shown]
	s_waitcnt lgkmcnt(0)
	v_fma_f64 v[4:5], -v[12:13], v[54:55], v[4:5]
	v_fma_f64 v[4:5], -v[16:17], v[56:57], v[4:5]
	v_fma_f64 v[4:5], -v[18:19], v[58:59], v[4:5]
	ds_read_b64 v[54:55], v52 offset:1072
	ds_read_b64 v[56:57], v52 offset:1296
	ds_read_b64 v[58:59], v52 offset:1520
	v_fma_f64 v[4:5], -v[20:21], v[60:61], v[4:5]
	ds_read_b64 v[60:61], v52 offset:1744
	s_waitcnt lgkmcnt(0)
	v_fma_f64 v[4:5], -v[22:23], v[54:55], v[4:5]
	v_fma_f64 v[4:5], -v[24:25], v[56:57], v[4:5]
	v_fma_f64 v[4:5], -v[28:29], v[58:59], v[4:5]
	ds_read_b64 v[54:55], v52 offset:1968
	ds_read_b64 v[56:57], v52 offset:2192
	ds_read_b64 v[58:59], v52 offset:2416
	v_fma_f64 v[4:5], -v[30:31], v[60:61], v[4:5]
	ds_read_b64 v[60:61], v52 offset:2640
	;; [unrolled: 9-line block ×3, first 2 shown]
	s_waitcnt lgkmcnt(0)
	v_fma_f64 v[4:5], -v[50:51], v[54:55], v[4:5]
	v_fma_f64 v[4:5], -v[48:49], v[56:57], v[4:5]
	ds_read_b64 v[54:55], v52 offset:3760
	ds_read_b64 v[56:57], v52 offset:3984
	v_fma_f64 v[4:5], -v[44:45], v[58:59], v[4:5]
	v_fma_f64 v[4:5], -v[38:39], v[60:61], v[4:5]
	ds_read_b64 v[58:59], v52 offset:4208
	ds_read_b64 v[60:61], v52 offset:4432
	s_waitcnt lgkmcnt(0)
	v_fma_f64 v[4:5], -v[32:33], v[54:55], v[4:5]
	v_fma_f64 v[4:5], -v[26:27], v[56:57], v[4:5]
	ds_read_b64 v[54:55], v52 offset:4656
	ds_read_b64 v[56:57], v52 offset:4880
	;; [unrolled: 1-line block ×3, first 2 shown]
	v_fma_f64 v[4:5], -v[14:15], v[58:59], v[4:5]
	v_fma_f64 v[4:5], -v[10:11], v[60:61], v[4:5]
	s_waitcnt lgkmcnt(0)
	v_fma_f64 v[4:5], -v[8:9], v[54:55], v[4:5]
	v_fma_f64 v[4:5], -v[6:7], v[56:57], v[4:5]
	v_mul_f64 v[54:55], v[62:63], v[4:5]
	flat_store_dwordx2 v[0:1], v[54:55] offset:176
	ds_read_b64 v[4:5], v52 offset:184
	ds_read_b64 v[56:57], v52 offset:408
	;; [unrolled: 1-line block ×4, first 2 shown]
	s_waitcnt lgkmcnt(0)
	v_fma_f64 v[2:3], -v[12:13], v[4:5], v[2:3]
	v_fma_f64 v[2:3], -v[16:17], v[56:57], v[2:3]
	ds_read_b64 v[4:5], v52 offset:1080
	ds_read_b64 v[12:13], v52 offset:1304
	ds_read_b64 v[16:17], v52 offset:1528
	v_fma_f64 v[2:3], -v[18:19], v[58:59], v[2:3]
	v_fma_f64 v[2:3], -v[20:21], v[60:61], v[2:3]
	ds_read_b64 v[18:19], v52 offset:1752
	s_waitcnt lgkmcnt(0)
	v_fma_f64 v[2:3], -v[22:23], v[4:5], v[2:3]
	v_fma_f64 v[2:3], -v[24:25], v[12:13], v[2:3]
	v_fma_f64 v[2:3], -v[28:29], v[16:17], v[2:3]
	ds_read_b64 v[4:5], v52 offset:1976
	ds_read_b64 v[12:13], v52 offset:2200
	ds_read_b64 v[16:17], v52 offset:2424
	v_fma_f64 v[2:3], -v[30:31], v[18:19], v[2:3]
	ds_read_b64 v[18:19], v52 offset:2648
	s_waitcnt lgkmcnt(0)
	v_fma_f64 v[2:3], -v[34:35], v[4:5], v[2:3]
	v_fma_f64 v[2:3], -v[36:37], v[12:13], v[2:3]
	v_fma_f64 v[2:3], -v[42:43], v[16:17], v[2:3]
	ds_read_b64 v[4:5], v52 offset:2872
	ds_read_b64 v[12:13], v52 offset:3096
	ds_read_b64 v[16:17], v52 offset:3320
	;; [unrolled: 9-line block ×3, first 2 shown]
	v_fma_f64 v[2:3], -v[38:39], v[18:19], v[2:3]
	ds_read_b64 v[18:19], v52 offset:4440
	s_waitcnt lgkmcnt(0)
	v_fma_f64 v[2:3], -v[32:33], v[4:5], v[2:3]
	v_fma_f64 v[2:3], -v[26:27], v[12:13], v[2:3]
	v_fma_f64 v[12:13], -v[14:15], v[16:17], v[2:3]
	ds_read_b64 v[14:15], v52 offset:4664
	v_add_u32_e32 v2, 0x1000, v52
	ds_read2_b64 v[2:5], v2 offset0:99 offset1:127
	v_mov_b32_e32 v16, s1
	ds_read_b64 v[16:17], v16
	v_fma_f64 v[10:11], -v[10:11], v[18:19], v[12:13]
	s_waitcnt lgkmcnt(0)
	v_fma_f64 v[8:9], -v[8:9], v[14:15], v[10:11]
	v_fma_f64 v[2:3], -v[6:7], v[2:3], v[8:9]
	;; [unrolled: 1-line block ×3, first 2 shown]
	v_mul_f64 v[2:3], v[16:17], v[2:3]
	flat_store_dwordx2 v[0:1], v[2:3] offset:184
.LBB100_43:
	s_cmp_ge_i32 s2, s22
	s_cbranch_scc1 .LBB100_48
; %bb.44:
	s_lshl_b32 s0, s2, 3
	s_mov_b32 s3, 0
	s_branch .LBB100_46
.LBB100_45:                             ;   in Loop: Header=BB100_46 Depth=1
	s_mul_i32 s1, s2, 0xe8
	v_mov_b32_e32 v4, s1
	ds_read_b64 v[4:5], v4
	s_add_i32 s2, s2, 1
	s_add_i32 s0, s0, 8
	s_cmp_ge_i32 s2, s22
	s_waitcnt lgkmcnt(0)
	v_mul_f64 v[2:3], v[4:5], v[2:3]
	flat_store_dwordx2 v[0:1], v[2:3]
	s_cbranch_scc1 .LBB100_48
.LBB100_46:                             ; =>This Loop Header: Depth=1
                                        ;     Child Loop BB100_47 Depth 2
	v_lshl_add_u64 v[0:1], s[2:3], 3, v[40:41]
	flat_load_dwordx2 v[2:3], v[0:1]
	s_cmp_eq_u32 s2, 0
	v_mov_b64_e32 v[4:5], v[40:41]
	s_mov_b32 s1, s0
	s_mov_b32 s6, s2
	s_waitcnt vmcnt(0) lgkmcnt(0)
	v_mul_f64 v[2:3], s[4:5], v[2:3]
	s_cbranch_scc1 .LBB100_45
.LBB100_47:                             ;   Parent Loop BB100_46 Depth=1
                                        ; =>  This Inner Loop Header: Depth=2
	flat_load_dwordx2 v[6:7], v[4:5]
	v_mov_b32_e32 v8, s1
	ds_read_b64 v[8:9], v8
	s_add_i32 s6, s6, -1
	s_addk_i32 s1, 0xe0
	v_lshl_add_u64 v[4:5], v[4:5], 0, 8
	s_cmp_lg_u32 s6, 0
	s_waitcnt vmcnt(0) lgkmcnt(0)
	v_fma_f64 v[2:3], -v[6:7], v[8:9], v[2:3]
	s_cbranch_scc1 .LBB100_47
	s_branch .LBB100_45
.LBB100_48:
	s_endpgm
	.section	.rodata,"a",@progbits
	.p2align	6, 0x0
	.amdhsa_kernel _ZL30rocblas_trsm_small_left_deviceILi28ELi28ELb1EddPKPKdPKPdEv13rocblas_fill_18rocblas_operation_17rocblas_diagonal_iiT3_T4_lilT5_lili
		.amdhsa_group_segment_fixed_size 6272
		.amdhsa_private_segment_fixed_size 0
		.amdhsa_kernarg_size 360
		.amdhsa_user_sgpr_count 2
		.amdhsa_user_sgpr_dispatch_ptr 0
		.amdhsa_user_sgpr_queue_ptr 0
		.amdhsa_user_sgpr_kernarg_segment_ptr 1
		.amdhsa_user_sgpr_dispatch_id 0
		.amdhsa_user_sgpr_kernarg_preload_length 0
		.amdhsa_user_sgpr_kernarg_preload_offset 0
		.amdhsa_user_sgpr_private_segment_size 0
		.amdhsa_uses_dynamic_stack 0
		.amdhsa_enable_private_segment 0
		.amdhsa_system_sgpr_workgroup_id_x 1
		.amdhsa_system_sgpr_workgroup_id_y 0
		.amdhsa_system_sgpr_workgroup_id_z 1
		.amdhsa_system_sgpr_workgroup_info 0
		.amdhsa_system_vgpr_workitem_id 0
		.amdhsa_next_free_vgpr 82
		.amdhsa_next_free_sgpr 75
		.amdhsa_accum_offset 84
		.amdhsa_reserve_vcc 1
		.amdhsa_float_round_mode_32 0
		.amdhsa_float_round_mode_16_64 0
		.amdhsa_float_denorm_mode_32 3
		.amdhsa_float_denorm_mode_16_64 3
		.amdhsa_dx10_clamp 1
		.amdhsa_ieee_mode 1
		.amdhsa_fp16_overflow 0
		.amdhsa_tg_split 0
		.amdhsa_exception_fp_ieee_invalid_op 0
		.amdhsa_exception_fp_denorm_src 0
		.amdhsa_exception_fp_ieee_div_zero 0
		.amdhsa_exception_fp_ieee_overflow 0
		.amdhsa_exception_fp_ieee_underflow 0
		.amdhsa_exception_fp_ieee_inexact 0
		.amdhsa_exception_int_div_zero 0
	.end_amdhsa_kernel
	.section	.text._ZL30rocblas_trsm_small_left_deviceILi28ELi28ELb1EddPKPKdPKPdEv13rocblas_fill_18rocblas_operation_17rocblas_diagonal_iiT3_T4_lilT5_lili,"axG",@progbits,_ZL30rocblas_trsm_small_left_deviceILi28ELi28ELb1EddPKPKdPKPdEv13rocblas_fill_18rocblas_operation_17rocblas_diagonal_iiT3_T4_lilT5_lili,comdat
.Lfunc_end100:
	.size	_ZL30rocblas_trsm_small_left_deviceILi28ELi28ELb1EddPKPKdPKPdEv13rocblas_fill_18rocblas_operation_17rocblas_diagonal_iiT3_T4_lilT5_lili, .Lfunc_end100-_ZL30rocblas_trsm_small_left_deviceILi28ELi28ELb1EddPKPKdPKPdEv13rocblas_fill_18rocblas_operation_17rocblas_diagonal_iiT3_T4_lilT5_lili
                                        ; -- End function
	.set _ZL30rocblas_trsm_small_left_deviceILi28ELi28ELb1EddPKPKdPKPdEv13rocblas_fill_18rocblas_operation_17rocblas_diagonal_iiT3_T4_lilT5_lili.num_vgpr, 82
	.set _ZL30rocblas_trsm_small_left_deviceILi28ELi28ELb1EddPKPKdPKPdEv13rocblas_fill_18rocblas_operation_17rocblas_diagonal_iiT3_T4_lilT5_lili.num_agpr, 0
	.set _ZL30rocblas_trsm_small_left_deviceILi28ELi28ELb1EddPKPKdPKPdEv13rocblas_fill_18rocblas_operation_17rocblas_diagonal_iiT3_T4_lilT5_lili.numbered_sgpr, 26
	.set _ZL30rocblas_trsm_small_left_deviceILi28ELi28ELb1EddPKPKdPKPdEv13rocblas_fill_18rocblas_operation_17rocblas_diagonal_iiT3_T4_lilT5_lili.num_named_barrier, 0
	.set _ZL30rocblas_trsm_small_left_deviceILi28ELi28ELb1EddPKPKdPKPdEv13rocblas_fill_18rocblas_operation_17rocblas_diagonal_iiT3_T4_lilT5_lili.private_seg_size, 0
	.set _ZL30rocblas_trsm_small_left_deviceILi28ELi28ELb1EddPKPKdPKPdEv13rocblas_fill_18rocblas_operation_17rocblas_diagonal_iiT3_T4_lilT5_lili.uses_vcc, 1
	.set _ZL30rocblas_trsm_small_left_deviceILi28ELi28ELb1EddPKPKdPKPdEv13rocblas_fill_18rocblas_operation_17rocblas_diagonal_iiT3_T4_lilT5_lili.uses_flat_scratch, 0
	.set _ZL30rocblas_trsm_small_left_deviceILi28ELi28ELb1EddPKPKdPKPdEv13rocblas_fill_18rocblas_operation_17rocblas_diagonal_iiT3_T4_lilT5_lili.has_dyn_sized_stack, 0
	.set _ZL30rocblas_trsm_small_left_deviceILi28ELi28ELb1EddPKPKdPKPdEv13rocblas_fill_18rocblas_operation_17rocblas_diagonal_iiT3_T4_lilT5_lili.has_recursion, 0
	.set _ZL30rocblas_trsm_small_left_deviceILi28ELi28ELb1EddPKPKdPKPdEv13rocblas_fill_18rocblas_operation_17rocblas_diagonal_iiT3_T4_lilT5_lili.has_indirect_call, 0
	.section	.AMDGPU.csdata,"",@progbits
; Kernel info:
; codeLenInByte = 28436
; TotalNumSgprs: 32
; NumVgprs: 82
; NumAgprs: 0
; TotalNumVgprs: 82
; ScratchSize: 0
; MemoryBound: 1
; FloatMode: 240
; IeeeMode: 1
; LDSByteSize: 6272 bytes/workgroup (compile time only)
; SGPRBlocks: 10
; VGPRBlocks: 10
; NumSGPRsForWavesPerEU: 81
; NumVGPRsForWavesPerEU: 82
; AccumOffset: 84
; Occupancy: 5
; WaveLimiterHint : 1
; COMPUTE_PGM_RSRC2:SCRATCH_EN: 0
; COMPUTE_PGM_RSRC2:USER_SGPR: 2
; COMPUTE_PGM_RSRC2:TRAP_HANDLER: 0
; COMPUTE_PGM_RSRC2:TGID_X_EN: 1
; COMPUTE_PGM_RSRC2:TGID_Y_EN: 0
; COMPUTE_PGM_RSRC2:TGID_Z_EN: 1
; COMPUTE_PGM_RSRC2:TIDIG_COMP_CNT: 0
; COMPUTE_PGM_RSRC3_GFX90A:ACCUM_OFFSET: 20
; COMPUTE_PGM_RSRC3_GFX90A:TG_SPLIT: 0
	.section	.text._ZL31rocblas_trsm_small_right_deviceIddPKPKdPKPdLi28EEv13rocblas_fill_18rocblas_operation_17rocblas_diagonal_iiT0_T1_lilT2_lili,"axG",@progbits,_ZL31rocblas_trsm_small_right_deviceIddPKPKdPKPdLi28EEv13rocblas_fill_18rocblas_operation_17rocblas_diagonal_iiT0_T1_lilT2_lili,comdat
	.globl	_ZL31rocblas_trsm_small_right_deviceIddPKPKdPKPdLi28EEv13rocblas_fill_18rocblas_operation_17rocblas_diagonal_iiT0_T1_lilT2_lili ; -- Begin function _ZL31rocblas_trsm_small_right_deviceIddPKPKdPKPdLi28EEv13rocblas_fill_18rocblas_operation_17rocblas_diagonal_iiT0_T1_lilT2_lili
	.p2align	8
	.type	_ZL31rocblas_trsm_small_right_deviceIddPKPKdPKPdLi28EEv13rocblas_fill_18rocblas_operation_17rocblas_diagonal_iiT0_T1_lilT2_lili,@function
_ZL31rocblas_trsm_small_right_deviceIddPKPKdPKPdLi28EEv13rocblas_fill_18rocblas_operation_17rocblas_diagonal_iiT0_T1_lilT2_lili: ; @_ZL31rocblas_trsm_small_right_deviceIddPKPKdPKPdLi28EEv13rocblas_fill_18rocblas_operation_17rocblas_diagonal_iiT0_T1_lilT2_lili
; %bb.0:
	s_load_dwordx4 s[4:7], s[0:1], 0x0
	s_load_dword s22, s[0:1], 0x10
	s_load_dwordx4 s[12:15], s[0:1], 0x40
	s_load_dwordx4 s[8:11], s[0:1], 0x18
	s_load_dwordx2 s[18:19], s[0:1], 0x28
	s_mov_b32 s16, s3
	s_mov_b32 s17, 0
	s_lshl_b64 s[20:21], s[16:17], 3
	s_waitcnt lgkmcnt(0)
	s_add_u32 s12, s12, s20
	s_addc_u32 s13, s13, s21
	s_load_dwordx2 s[12:13], s[12:13], 0x0
	s_min_i32 s23, s22, 28
	v_cmp_gt_i32_e32 vcc, s23, v0
	s_and_saveexec_b64 s[16:17], vcc
	s_cbranch_execz .LBB101_5
; %bb.1:
	s_load_dword s24, s[0:1], 0x30
	v_lshlrev_b32_e32 v2, 3, v0
	v_mov_b32_e32 v3, 0
	v_mov_b32_e32 v1, v2
	s_mov_b32 s3, s23
	s_waitcnt lgkmcnt(0)
	s_ashr_i32 s25, s24, 31
	s_add_u32 s10, s10, s20
	s_addc_u32 s11, s11, s21
	s_load_dwordx2 s[10:11], s[10:11], 0x0
	s_lshl_b64 s[18:19], s[18:19], 3
	s_waitcnt lgkmcnt(0)
	s_add_u32 s18, s10, s18
	s_addc_u32 s19, s11, s19
	s_lshl_b64 s[10:11], s[24:25], 3
	v_lshl_add_u64 v[4:5], s[18:19], 0, v[2:3]
.LBB101_2:                              ; =>This Inner Loop Header: Depth=1
	flat_load_dwordx2 v[6:7], v[4:5]
	s_add_i32 s3, s3, -1
	v_lshl_add_u64 v[4:5], v[4:5], 0, s[10:11]
	s_cmp_eq_u32 s3, 0
	s_waitcnt vmcnt(0) lgkmcnt(0)
	ds_write_b64 v1, v[6:7]
	v_add_u32_e32 v1, 0xe0, v1
	s_cbranch_scc0 .LBB101_2
; %bb.3:
	s_cmpk_eq_i32 s6, 0x84
	s_cbranch_scc0 .LBB101_5
; %bb.4:
	s_movk_i32 s3, 0xe0
	v_mad_u32_u24 v1, v0, s3, v2
	v_mov_b32_e32 v2, 0
	v_mov_b32_e32 v3, 0x3ff00000
	ds_write_b64 v1, v[2:3]
.LBB101_5:
	s_or_b64 exec, exec, s[16:17]
	s_load_dword s3, s[0:1], 0x68
	s_load_dword s6, s[0:1], 0x50
	s_lshl_b64 s[0:1], s[14:15], 3
	s_waitcnt lgkmcnt(0)
	s_add_u32 s0, s12, s0
	s_mul_i32 s10, s2, 0xffffffe4
	s_addc_u32 s1, s13, s1
	s_add_i32 s3, s3, -1
	s_add_i32 s7, s7, s10
	s_cmp_ge_u32 s2, s3
	s_mul_hi_i32 s3, s2, 0xe0
	s_mulk_i32 s2, 0xe0
	s_cselect_b32 s7, s7, 28
	s_add_u32 s2, s0, s2
	s_addc_u32 s3, s1, s3
	v_cmp_gt_i32_e64 s[0:1], s7, v0
	s_and_saveexec_b64 s[10:11], s[0:1]
	s_cbranch_execz .LBB101_9
; %bb.6:
	s_cmp_lt_i32 s22, 1
	s_cbranch_scc1 .LBB101_9
; %bb.7:
	s_ashr_i32 s7, s6, 31
	v_lshlrev_b32_e32 v4, 3, v0
	v_mov_b32_e32 v5, 0
	v_lshl_add_u64 v[2:3], s[2:3], 0, v[4:5]
	s_lshl_b64 s[12:13], s[6:7], 3
	v_add_u32_e32 v1, 0x1880, v4
	s_mov_b32 s7, s22
.LBB101_8:                              ; =>This Inner Loop Header: Depth=1
	flat_load_dwordx2 v[4:5], v[2:3]
	s_add_i32 s7, s7, -1
	v_lshl_add_u64 v[2:3], v[2:3], 0, s[12:13]
	s_cmp_lg_u32 s7, 0
	s_waitcnt vmcnt(0) lgkmcnt(0)
	v_mul_f64 v[4:5], s[8:9], v[4:5]
	ds_write_b64 v1, v[4:5]
	v_add_u32_e32 v1, 0xe0, v1
	s_cbranch_scc1 .LBB101_8
.LBB101_9:
	s_or_b64 exec, exec, s[10:11]
	s_cmpk_eq_i32 s5, 0x6f
	s_cselect_b64 s[10:11], -1, 0
	s_cmpk_lg_i32 s4, 0x79
	s_cselect_b64 s[8:9], -1, 0
	s_cmpk_eq_i32 s4, 0x79
	s_cselect_b64 s[12:13], -1, 0
	s_and_b64 s[12:13], s[12:13], s[10:11]
	s_andn2_b64 vcc, exec, s[12:13]
	s_mov_b64 s[12:13], -1
	s_waitcnt lgkmcnt(0)
	; wave barrier
	s_cbranch_vccz .LBB101_66
; %bb.10:
	s_cmpk_lg_i32 s4, 0x7a
	s_cselect_b64 s[4:5], -1, 0
	s_xor_b64 s[10:11], s[10:11], -1
	s_add_i32 s7, s23, -1
	s_or_b64 s[10:11], s[4:5], s[10:11]
	v_mov_b32_e32 v1, 0x1880
	s_cmp_gt_i32 s22, 3
	v_lshl_add_u32 v1, v0, 3, v1
	s_cselect_b64 s[4:5], -1, 0
	s_and_b64 vcc, exec, s[10:11]
	s_cbranch_vccz .LBB101_45
; %bb.11:
	s_andn2_b64 vcc, exec, s[8:9]
	s_mov_b64 s[8:9], -1
	s_cbranch_vccnz .LBB101_24
; %bb.12:
	s_andn2_b64 vcc, exec, s[4:5]
	s_mov_b32 s10, 0
	s_cbranch_vccnz .LBB101_18
; %bb.13:
	v_mov_b32_e32 v2, 0x1880
	v_lshl_add_u32 v10, v0, 3, v2
	s_mov_b32 s8, 0
	s_mov_b32 s9, 0
.LBB101_14:                             ; =>This Loop Header: Depth=1
                                        ;     Child Loop BB101_15 Depth 2
	s_or_b32 s11, s9, 3
	s_mul_i32 s10, s9, 0xe0
	v_add_u32_e32 v12, s10, v1
	s_mulk_i32 s11, 0xe0
	ds_read2_b64 v[2:5], v12 offset1:28
	v_add_u32_e32 v11, s11, v1
	ds_read_b64 v[8:9], v12 offset:448
	ds_read_b64 v[6:7], v11
	s_cmp_eq_u32 s9, 0
	v_mov_b32_e32 v13, v10
	s_mov_b32 s11, s8
	s_mov_b32 s12, s9
	s_cbranch_scc1 .LBB101_16
.LBB101_15:                             ;   Parent Loop BB101_14 Depth=1
                                        ; =>  This Inner Loop Header: Depth=2
	v_mov_b32_e32 v18, s11
	ds_read_b64 v[22:23], v13
	ds_read_b128 v[14:17], v18
	ds_read_b128 v[18:21], v18 offset:16
	s_add_i32 s12, s12, -1
	s_addk_i32 s11, 0xe0
	v_add_u32_e32 v13, 0xe0, v13
	s_cmp_eq_u32 s12, 0
	s_waitcnt lgkmcnt(1)
	v_fma_f64 v[2:3], -v[22:23], v[14:15], v[2:3]
	v_fma_f64 v[4:5], -v[22:23], v[16:17], v[4:5]
	s_waitcnt lgkmcnt(0)
	v_fma_f64 v[8:9], -v[22:23], v[18:19], v[8:9]
	v_fma_f64 v[6:7], -v[22:23], v[20:21], v[6:7]
	s_cbranch_scc0 .LBB101_15
.LBB101_16:                             ;   in Loop: Header=BB101_14 Depth=1
	s_lshl_b32 s12, s9, 3
	s_add_i32 s13, s12, s10
	v_mov_b32_e32 v13, s13
	ds_read_b128 v[14:17], v13
	ds_read_b128 v[18:21], v13 offset:16
	ds_read2_b64 v[22:25], v13 offset0:29 offset1:30
	ds_read_b128 v[26:29], v13 offset:464
	s_addk_i32 s13, 0xe8
	s_add_i32 s8, s8, 32
	s_waitcnt lgkmcnt(3)
	v_div_scale_f64 v[30:31], s[10:11], v[14:15], v[14:15], v[2:3]
	v_rcp_f64_e32 v[32:33], v[30:31]
	v_div_scale_f64 v[34:35], vcc, v[2:3], v[14:15], v[2:3]
	v_fma_f64 v[36:37], -v[30:31], v[32:33], 1.0
	v_fmac_f64_e32 v[32:33], v[32:33], v[36:37]
	v_fma_f64 v[36:37], -v[30:31], v[32:33], 1.0
	v_fmac_f64_e32 v[32:33], v[32:33], v[36:37]
	v_mul_f64 v[36:37], v[34:35], v[32:33]
	v_fma_f64 v[30:31], -v[30:31], v[36:37], v[34:35]
	v_div_fmas_f64 v[30:31], v[30:31], v[32:33], v[36:37]
	v_div_fixup_f64 v[2:3], v[30:31], v[14:15], v[2:3]
	v_fma_f64 v[4:5], -v[2:3], v[16:17], v[4:5]
	s_waitcnt lgkmcnt(1)
	v_div_scale_f64 v[14:15], s[10:11], v[22:23], v[22:23], v[4:5]
	v_rcp_f64_e32 v[16:17], v[14:15]
	v_fma_f64 v[8:9], -v[2:3], v[18:19], v[8:9]
	v_fma_f64 v[6:7], -v[2:3], v[20:21], v[6:7]
	v_fma_f64 v[30:31], -v[14:15], v[16:17], 1.0
	v_fmac_f64_e32 v[16:17], v[16:17], v[30:31]
	v_fma_f64 v[30:31], -v[14:15], v[16:17], 1.0
	v_fmac_f64_e32 v[16:17], v[16:17], v[30:31]
	v_div_scale_f64 v[30:31], vcc, v[4:5], v[22:23], v[4:5]
	v_mul_f64 v[32:33], v[30:31], v[16:17]
	v_fma_f64 v[14:15], -v[14:15], v[32:33], v[30:31]
	s_nop 1
	v_div_fmas_f64 v[14:15], v[14:15], v[16:17], v[32:33]
	v_div_fixup_f64 v[4:5], v[14:15], v[22:23], v[4:5]
	v_fma_f64 v[8:9], -v[4:5], v[24:25], v[8:9]
	s_waitcnt lgkmcnt(0)
	v_div_scale_f64 v[14:15], s[10:11], v[26:27], v[26:27], v[8:9]
	v_rcp_f64_e32 v[16:17], v[14:15]
	s_or_b32 s10, s12, 8
	s_sub_i32 s10, s13, s10
	s_add_i32 s10, s10, s12
	v_fma_f64 v[18:19], -v[14:15], v[16:17], 1.0
	v_fmac_f64_e32 v[16:17], v[16:17], v[18:19]
	v_fma_f64 v[18:19], -v[14:15], v[16:17], 1.0
	v_fmac_f64_e32 v[16:17], v[16:17], v[18:19]
	v_div_scale_f64 v[18:19], vcc, v[8:9], v[26:27], v[8:9]
	v_mul_f64 v[22:23], v[18:19], v[16:17]
	v_fma_f64 v[14:15], -v[14:15], v[22:23], v[18:19]
	v_mov_b32_e32 v18, s10
	ds_read_b64 v[18:19], v18 offset:24
	v_div_fmas_f64 v[14:15], v[14:15], v[16:17], v[22:23]
	v_div_fixup_f64 v[8:9], v[14:15], v[26:27], v[8:9]
	ds_read_b64 v[14:15], v13 offset:696
	ds_write2_b64 v12, v[2:3], v[4:5] offset1:28
	ds_write_b64 v12, v[8:9] offset:448
	s_waitcnt lgkmcnt(3)
	v_fma_f64 v[6:7], -v[4:5], v[18:19], v[6:7]
	v_fma_f64 v[6:7], -v[8:9], v[28:29], v[6:7]
	s_waitcnt lgkmcnt(2)
	v_div_scale_f64 v[16:17], s[10:11], v[14:15], v[14:15], v[6:7]
	v_rcp_f64_e32 v[18:19], v[16:17]
	s_add_i32 s10, s9, 4
	s_add_i32 s9, s9, 7
	s_cmp_ge_i32 s9, s23
	v_fma_f64 v[2:3], -v[16:17], v[18:19], 1.0
	v_fmac_f64_e32 v[18:19], v[18:19], v[2:3]
	v_fma_f64 v[2:3], -v[16:17], v[18:19], 1.0
	v_fmac_f64_e32 v[18:19], v[18:19], v[2:3]
	v_div_scale_f64 v[2:3], vcc, v[6:7], v[14:15], v[6:7]
	v_mul_f64 v[4:5], v[2:3], v[18:19]
	v_fma_f64 v[2:3], -v[16:17], v[4:5], v[2:3]
	s_nop 1
	v_div_fmas_f64 v[2:3], v[2:3], v[18:19], v[4:5]
	v_div_fixup_f64 v[2:3], v[2:3], v[14:15], v[6:7]
	ds_write_b64 v11, v[2:3]
	s_cbranch_scc1 .LBB101_18
; %bb.17:                               ;   in Loop: Header=BB101_14 Depth=1
	s_mov_b32 s9, s10
	s_branch .LBB101_14
.LBB101_18:
	s_cmp_ge_i32 s10, s23
	s_cbranch_scc1 .LBB101_23
; %bb.19:
	v_mov_b32_e32 v2, 0x1880
	s_lshl_b32 s8, s10, 3
	v_lshl_add_u32 v4, v0, 3, v2
	s_branch .LBB101_21
.LBB101_20:                             ;   in Loop: Header=BB101_21 Depth=1
	s_lshl_b32 s11, s10, 3
	s_add_i32 s9, s11, s9
	v_mov_b32_e32 v6, s9
	ds_read_b64 v[6:7], v6
	s_add_i32 s10, s10, 1
	s_add_i32 s8, s8, 8
	s_cmp_ge_i32 s10, s23
	s_waitcnt lgkmcnt(0)
	v_div_scale_f64 v[8:9], s[12:13], v[6:7], v[6:7], v[2:3]
	v_rcp_f64_e32 v[10:11], v[8:9]
	v_div_scale_f64 v[12:13], vcc, v[2:3], v[6:7], v[2:3]
	v_fma_f64 v[14:15], -v[8:9], v[10:11], 1.0
	v_fmac_f64_e32 v[10:11], v[10:11], v[14:15]
	v_fma_f64 v[14:15], -v[8:9], v[10:11], 1.0
	v_fmac_f64_e32 v[10:11], v[10:11], v[14:15]
	v_mul_f64 v[14:15], v[12:13], v[10:11]
	v_fma_f64 v[8:9], -v[8:9], v[14:15], v[12:13]
	v_div_fmas_f64 v[8:9], v[8:9], v[10:11], v[14:15]
	v_div_fixup_f64 v[2:3], v[8:9], v[6:7], v[2:3]
	ds_write_b64 v5, v[2:3]
	s_cbranch_scc1 .LBB101_23
.LBB101_21:                             ; =>This Loop Header: Depth=1
                                        ;     Child Loop BB101_22 Depth 2
	s_mul_i32 s9, s10, 0xe0
	v_add_u32_e32 v5, s9, v1
	ds_read_b64 v[2:3], v5
	s_cmp_eq_u32 s10, 0
	v_mov_b32_e32 v6, v4
	s_mov_b32 s11, s8
	s_mov_b32 s12, s10
	s_cbranch_scc1 .LBB101_20
.LBB101_22:                             ;   Parent Loop BB101_21 Depth=1
                                        ; =>  This Inner Loop Header: Depth=2
	v_mov_b32_e32 v7, s11
	ds_read_b64 v[8:9], v6
	ds_read_b64 v[10:11], v7
	s_add_i32 s12, s12, -1
	s_addk_i32 s11, 0xe0
	v_add_u32_e32 v6, 0xe0, v6
	s_cmp_eq_u32 s12, 0
	s_waitcnt lgkmcnt(0)
	v_fma_f64 v[2:3], -v[8:9], v[10:11], v[2:3]
	s_cbranch_scc0 .LBB101_22
	s_branch .LBB101_20
.LBB101_23:
	s_mov_b64 s[8:9], 0
.LBB101_24:
	s_and_b64 vcc, exec, s[8:9]
	s_cbranch_vccz .LBB101_44
; %bb.25:
	s_andn2_b64 vcc, exec, s[4:5]
	s_mov_b32 s10, s7
	s_cbranch_vccnz .LBB101_31
; %bb.26:
	s_mul_i32 s9, s23, 0xe0
	s_mul_i32 s8, s23, 0xe8
	v_lshl_add_u32 v2, v0, 3, s9
	s_addk_i32 s8, 0xff00
	v_add_u32_e32 v10, 0x17a0, v2
	s_mov_b32 s9, s7
.LBB101_27:                             ; =>This Loop Header: Depth=1
                                        ;     Child Loop BB101_28 Depth 2
	s_mul_i32 s10, s9, 0xe0
	v_add_u32_e32 v12, s10, v1
	s_add_i32 s11, s10, 0xfffffd60
	v_add_u32_e32 v13, 0xffffff20, v12
	v_add_u32_e32 v14, 0xfffffe40, v12
	;; [unrolled: 1-line block ×3, first 2 shown]
	ds_read_b64 v[8:9], v12
	ds_read_b64 v[6:7], v13
	;; [unrolled: 1-line block ×4, first 2 shown]
	s_cmp_le_i32 s7, s9
	v_mov_b32_e32 v15, v10
	s_mov_b32 s12, s8
	s_mov_b32 s13, s7
	s_cbranch_scc1 .LBB101_29
.LBB101_28:                             ;   Parent Loop BB101_27 Depth=1
                                        ; =>  This Inner Loop Header: Depth=2
	v_mov_b32_e32 v20, s12
	ds_read_b64 v[24:25], v15
	ds_read2_b64 v[16:19], v20 offset0:2 offset1:3
	ds_read2_b64 v[20:23], v20 offset1:1
	s_add_i32 s13, s13, -1
	s_addk_i32 s12, 0xff20
	v_add_u32_e32 v15, 0xffffff20, v15
	s_cmp_le_i32 s13, s9
	s_waitcnt lgkmcnt(1)
	v_fma_f64 v[8:9], -v[24:25], v[18:19], v[8:9]
	v_fma_f64 v[6:7], -v[24:25], v[16:17], v[6:7]
	s_waitcnt lgkmcnt(0)
	v_fma_f64 v[4:5], -v[24:25], v[22:23], v[4:5]
	v_fma_f64 v[2:3], -v[24:25], v[20:21], v[2:3]
	s_cbranch_scc0 .LBB101_28
.LBB101_29:                             ;   in Loop: Header=BB101_27 Depth=1
	s_lshl_b32 s13, s9, 3
	s_add_i32 s16, s13, s10
	s_add_i32 s14, s16, -8
	v_mov_b32_e32 v15, s14
	ds_read2_b64 v[16:19], v15 offset1:1
	s_add_i32 s14, s16, 0xffffff18
	v_mov_b32_e32 v15, s14
	ds_read_b64 v[20:21], v15
	s_add_i32 s12, s9, -3
	s_waitcnt lgkmcnt(1)
	v_div_scale_f64 v[22:23], s[14:15], v[18:19], v[18:19], v[8:9]
	v_rcp_f64_e32 v[24:25], v[22:23]
	v_div_scale_f64 v[26:27], vcc, v[8:9], v[18:19], v[8:9]
	s_add_i32 s13, s13, s11
	v_fma_f64 v[28:29], -v[22:23], v[24:25], 1.0
	v_fmac_f64_e32 v[24:25], v[24:25], v[28:29]
	v_fma_f64 v[28:29], -v[22:23], v[24:25], 1.0
	v_fmac_f64_e32 v[24:25], v[24:25], v[28:29]
	v_mul_f64 v[28:29], v[26:27], v[24:25]
	v_fma_f64 v[22:23], -v[22:23], v[28:29], v[26:27]
	v_div_fmas_f64 v[22:23], v[22:23], v[24:25], v[28:29]
	v_div_fixup_f64 v[22:23], v[22:23], v[18:19], v[8:9]
	v_fma_f64 v[24:25], -v[22:23], v[16:17], v[6:7]
	s_waitcnt lgkmcnt(0)
	v_div_scale_f64 v[6:7], s[14:15], v[20:21], v[20:21], v[24:25]
	v_rcp_f64_e32 v[26:27], v[6:7]
	s_sub_i32 s11, s16, 24
	s_sub_i32 s8, s8, 32
	v_fma_f64 v[8:9], -v[6:7], v[26:27], 1.0
	v_fmac_f64_e32 v[26:27], v[26:27], v[8:9]
	v_fma_f64 v[8:9], -v[6:7], v[26:27], 1.0
	v_fmac_f64_e32 v[26:27], v[26:27], v[8:9]
	v_div_scale_f64 v[8:9], vcc, v[24:25], v[20:21], v[24:25]
	v_mul_f64 v[28:29], v[8:9], v[26:27]
	v_fma_f64 v[30:31], -v[6:7], v[28:29], v[8:9]
	v_mov_b32_e32 v6, s11
	s_lshl_b32 s11, s12, 3
	s_add_i32 s10, s10, s11
	s_add_i32 s11, s10, 0xffffff20
	v_mov_b32_e32 v15, s11
	ds_read2_b64 v[6:9], v6 offset1:1
	ds_read2_b64 v[16:19], v15 offset1:1
	v_div_fmas_f64 v[26:27], v[30:31], v[26:27], v[28:29]
	s_addk_i32 s10, 0xfe40
	v_div_fixup_f64 v[24:25], v[26:27], v[20:21], v[24:25]
	s_waitcnt lgkmcnt(1)
	v_fma_f64 v[4:5], -v[22:23], v[8:9], v[4:5]
	v_mov_b32_e32 v8, s10
	s_waitcnt lgkmcnt(0)
	v_fma_f64 v[4:5], -v[24:25], v[18:19], v[4:5]
	ds_read2_b64 v[18:21], v8 offset1:1
	s_sub_i32 s10, s13, 24
	v_mov_b32_e32 v8, s10
	ds_read_b64 v[8:9], v8
	v_fma_f64 v[2:3], -v[22:23], v[6:7], v[2:3]
	s_waitcnt lgkmcnt(1)
	v_div_scale_f64 v[26:27], s[10:11], v[20:21], v[20:21], v[4:5]
	v_rcp_f64_e32 v[28:29], v[26:27]
	v_fma_f64 v[2:3], -v[24:25], v[16:17], v[2:3]
	v_fma_f64 v[30:31], -v[26:27], v[28:29], 1.0
	v_fmac_f64_e32 v[28:29], v[28:29], v[30:31]
	v_fma_f64 v[30:31], -v[26:27], v[28:29], 1.0
	v_fmac_f64_e32 v[28:29], v[28:29], v[30:31]
	v_div_scale_f64 v[30:31], vcc, v[4:5], v[20:21], v[4:5]
	v_mul_f64 v[32:33], v[30:31], v[28:29]
	v_fma_f64 v[26:27], -v[26:27], v[32:33], v[30:31]
	s_nop 1
	v_div_fmas_f64 v[26:27], v[26:27], v[28:29], v[32:33]
	v_div_fixup_f64 v[4:5], v[26:27], v[20:21], v[4:5]
	v_fma_f64 v[2:3], -v[4:5], v[18:19], v[2:3]
	s_waitcnt lgkmcnt(0)
	v_div_scale_f64 v[6:7], s[10:11], v[8:9], v[8:9], v[2:3]
	v_rcp_f64_e32 v[16:17], v[6:7]
	ds_write_b64 v12, v[22:23]
	ds_write_b64 v13, v[24:25]
	;; [unrolled: 1-line block ×3, first 2 shown]
	s_add_i32 s10, s9, -4
	s_cmp_lt_i32 s9, 7
	v_fma_f64 v[4:5], -v[6:7], v[16:17], 1.0
	v_fmac_f64_e32 v[16:17], v[16:17], v[4:5]
	v_fma_f64 v[4:5], -v[6:7], v[16:17], 1.0
	v_fmac_f64_e32 v[16:17], v[16:17], v[4:5]
	v_div_scale_f64 v[4:5], vcc, v[2:3], v[8:9], v[2:3]
	v_mul_f64 v[12:13], v[4:5], v[16:17]
	v_fma_f64 v[4:5], -v[6:7], v[12:13], v[4:5]
	s_nop 1
	v_div_fmas_f64 v[4:5], v[4:5], v[16:17], v[12:13]
	v_div_fixup_f64 v[2:3], v[4:5], v[8:9], v[2:3]
	ds_write_b64 v11, v[2:3]
	s_cbranch_scc1 .LBB101_31
; %bb.30:                               ;   in Loop: Header=BB101_27 Depth=1
	s_mov_b32 s9, s10
	s_branch .LBB101_27
.LBB101_31:
	s_cmp_lt_i32 s10, 0
	s_cbranch_scc1 .LBB101_44
; %bb.32:
	s_bitcmp1_b32 s10, 0
	s_cselect_b64 s[8:9], -1, 0
	s_and_b64 vcc, exec, s[8:9]
	s_mov_b32 s8, s10
	s_cbranch_vccnz .LBB101_37
; %bb.33:
	s_mul_i32 s8, s10, 0xe0
	v_add_u32_e32 v4, s8, v1
	ds_read_b64 v[2:3], v4
	s_cmp_le_i32 s7, s10
	s_cbranch_scc1 .LBB101_36
; %bb.34:
	s_mul_i32 s11, s23, 0xe0
	s_lshl_b32 s9, s10, 3
	s_add_i32 s9, s11, s9
	v_lshl_add_u32 v5, v0, 3, s11
	s_addk_i32 s9, 0xff20
	v_add_u32_e32 v5, 0x17a0, v5
	s_mov_b32 s11, s7
.LBB101_35:                             ; =>This Inner Loop Header: Depth=1
	v_mov_b32_e32 v8, s9
	ds_read_b64 v[6:7], v5
	ds_read_b64 v[8:9], v8
	s_add_i32 s11, s11, -1
	s_addk_i32 s9, 0xff20
	v_add_u32_e32 v5, 0xffffff20, v5
	s_cmp_gt_u32 s11, s10
	s_waitcnt lgkmcnt(0)
	v_fma_f64 v[2:3], -v[6:7], v[8:9], v[2:3]
	s_cbranch_scc1 .LBB101_35
.LBB101_36:
	s_lshl_b32 s9, s10, 3
	s_add_i32 s8, s9, s8
	v_mov_b32_e32 v5, s8
	ds_read_b64 v[6:7], v5
	s_waitcnt lgkmcnt(0)
	v_div_scale_f64 v[8:9], s[8:9], v[6:7], v[6:7], v[2:3]
	v_rcp_f64_e32 v[10:11], v[8:9]
	v_div_scale_f64 v[12:13], vcc, v[2:3], v[6:7], v[2:3]
	s_add_i32 s8, s10, -1
	v_fma_f64 v[14:15], -v[8:9], v[10:11], 1.0
	v_fmac_f64_e32 v[10:11], v[10:11], v[14:15]
	v_fma_f64 v[14:15], -v[8:9], v[10:11], 1.0
	v_fmac_f64_e32 v[10:11], v[10:11], v[14:15]
	v_mul_f64 v[14:15], v[12:13], v[10:11]
	v_fma_f64 v[8:9], -v[8:9], v[14:15], v[12:13]
	v_div_fmas_f64 v[8:9], v[8:9], v[10:11], v[14:15]
	v_div_fixup_f64 v[2:3], v[8:9], v[6:7], v[2:3]
	ds_write_b64 v4, v[2:3]
.LBB101_37:
	s_cmp_eq_u32 s10, 0
	s_cbranch_scc1 .LBB101_44
; %bb.38:
	s_mul_i32 s10, s23, 0xe0
	s_lshl_b32 s9, s8, 3
	s_add_i32 s11, s10, s9
	v_lshl_add_u32 v2, v0, 3, s10
	s_add_i32 s9, s11, 0xffffff20
	v_add_u32_e32 v6, 0x17a0, v2
	s_add_i32 s10, s11, 0xffffff18
	s_branch .LBB101_40
.LBB101_39:                             ;   in Loop: Header=BB101_40 Depth=1
	s_mul_i32 s13, s12, 0xe0
	s_add_i32 s11, s11, s13
	s_add_i32 s11, s11, -8
	v_mov_b32_e32 v4, s11
	ds_read_b64 v[4:5], v4
	s_add_i32 s8, s8, -2
	s_add_i32 s9, s9, -16
	;; [unrolled: 1-line block ×3, first 2 shown]
	s_cmp_eq_u32 s12, 0
	s_waitcnt lgkmcnt(0)
	v_div_scale_f64 v[8:9], s[14:15], v[4:5], v[4:5], v[2:3]
	v_rcp_f64_e32 v[10:11], v[8:9]
	v_div_scale_f64 v[12:13], vcc, v[2:3], v[4:5], v[2:3]
	v_fma_f64 v[14:15], -v[8:9], v[10:11], 1.0
	v_fmac_f64_e32 v[10:11], v[10:11], v[14:15]
	v_fma_f64 v[14:15], -v[8:9], v[10:11], 1.0
	v_fmac_f64_e32 v[10:11], v[10:11], v[14:15]
	v_mul_f64 v[14:15], v[12:13], v[10:11]
	v_fma_f64 v[8:9], -v[8:9], v[14:15], v[12:13]
	v_div_fmas_f64 v[8:9], v[8:9], v[10:11], v[14:15]
	v_div_fixup_f64 v[2:3], v[8:9], v[4:5], v[2:3]
	ds_write_b64 v7, v[2:3]
	s_cbranch_scc1 .LBB101_44
.LBB101_40:                             ; =>This Loop Header: Depth=1
                                        ;     Child Loop BB101_41 Depth 2
                                        ;     Child Loop BB101_43 Depth 2
	s_mul_i32 s12, s8, 0xe0
	v_add_u32_e32 v8, s12, v1
	ds_read_b64 v[4:5], v8
	s_cmp_le_i32 s7, s8
	v_mov_b32_e32 v2, v6
	s_mov_b32 s11, s9
	s_mov_b32 s13, s7
	s_cbranch_scc1 .LBB101_42
.LBB101_41:                             ;   Parent Loop BB101_40 Depth=1
                                        ; =>  This Inner Loop Header: Depth=2
	v_mov_b32_e32 v3, s11
	ds_read_b64 v[10:11], v2
	ds_read_b64 v[12:13], v3
	s_add_i32 s13, s13, -1
	s_addk_i32 s11, 0xff20
	v_add_u32_e32 v2, 0xffffff20, v2
	s_cmp_le_u32 s13, s8
	s_waitcnt lgkmcnt(0)
	v_fma_f64 v[4:5], -v[10:11], v[12:13], v[4:5]
	s_cbranch_scc0 .LBB101_41
.LBB101_42:                             ;   in Loop: Header=BB101_40 Depth=1
	s_lshl_b32 s11, s8, 3
	s_add_i32 s13, s11, s12
	v_mov_b32_e32 v2, s13
	ds_read_b64 v[10:11], v2
	s_addk_i32 s12, 0xff20
	v_add_u32_e32 v7, s12, v1
	ds_read_b64 v[2:3], v7
	s_mov_b32 s14, s7
	s_waitcnt lgkmcnt(1)
	v_div_scale_f64 v[12:13], s[12:13], v[10:11], v[10:11], v[4:5]
	v_rcp_f64_e32 v[14:15], v[12:13]
	v_div_scale_f64 v[16:17], vcc, v[4:5], v[10:11], v[4:5]
	s_add_i32 s12, s8, -1
	v_fma_f64 v[18:19], -v[12:13], v[14:15], 1.0
	v_fmac_f64_e32 v[14:15], v[14:15], v[18:19]
	v_fma_f64 v[18:19], -v[12:13], v[14:15], 1.0
	v_fmac_f64_e32 v[14:15], v[14:15], v[18:19]
	v_mul_f64 v[18:19], v[16:17], v[14:15]
	v_fma_f64 v[12:13], -v[12:13], v[18:19], v[16:17]
	v_div_fmas_f64 v[12:13], v[12:13], v[14:15], v[18:19]
	v_div_fixup_f64 v[4:5], v[12:13], v[10:11], v[4:5]
	ds_write_b64 v8, v[4:5]
	s_cmp_le_i32 s23, s8
	v_mov_b32_e32 v4, v6
	s_mov_b32 s13, s10
	s_cbranch_scc1 .LBB101_39
.LBB101_43:                             ;   Parent Loop BB101_40 Depth=1
                                        ; =>  This Inner Loop Header: Depth=2
	v_mov_b32_e32 v5, s13
	ds_read_b64 v[8:9], v4
	ds_read_b64 v[10:11], v5
	s_add_i32 s14, s14, -1
	s_addk_i32 s13, 0xff20
	v_add_u32_e32 v4, 0xffffff20, v4
	s_cmp_gt_u32 s14, s12
	s_waitcnt lgkmcnt(0)
	v_fma_f64 v[2:3], -v[8:9], v[10:11], v[2:3]
	s_cbranch_scc1 .LBB101_43
	s_branch .LBB101_39
.LBB101_44:
	s_mov_b64 s[12:13], 0
.LBB101_45:
	s_andn2_b64 vcc, exec, s[12:13]
	s_cbranch_vccnz .LBB101_65
; %bb.46:
	s_andn2_b64 vcc, exec, s[4:5]
	s_mov_b32 s8, s7
	s_cbranch_vccnz .LBB101_52
; %bb.47:
	s_mul_i32 s4, s23, 0xe0
	v_lshl_add_u32 v2, v0, 3, s4
	s_mul_i32 s4, s23, 0xe8
	v_add_u32_e32 v10, 0x17a0, v2
	s_addk_i32 s4, 0xfc78
	s_mov_b32 s5, s7
.LBB101_48:                             ; =>This Loop Header: Depth=1
                                        ;     Child Loop BB101_49 Depth 2
	s_mul_i32 s8, s5, 28
	v_lshl_add_u32 v12, s8, 3, v1
	v_add_u32_e32 v13, 0xffffff20, v12
	v_add_u32_e32 v14, 0xfffffe40, v12
	;; [unrolled: 1-line block ×3, first 2 shown]
	ds_read_b64 v[8:9], v12
	ds_read_b64 v[6:7], v13
	;; [unrolled: 1-line block ×4, first 2 shown]
	s_cmp_le_i32 s7, s5
	s_mov_b32 s9, s4
	v_mov_b32_e32 v15, v10
	s_mov_b32 s10, s7
	s_cbranch_scc1 .LBB101_50
.LBB101_49:                             ;   Parent Loop BB101_48 Depth=1
                                        ; =>  This Inner Loop Header: Depth=2
	v_mov_b32_e32 v20, s9
	ds_read_b64 v[24:25], v15
	ds_read2_b64 v[16:19], v20 offset0:56 offset1:84
	ds_read2_b64 v[20:23], v20 offset1:28
	s_add_i32 s10, s10, -1
	s_add_i32 s9, s9, -8
	v_add_u32_e32 v15, 0xffffff20, v15
	s_cmp_le_i32 s10, s5
	s_waitcnt lgkmcnt(1)
	v_fma_f64 v[8:9], -v[24:25], v[18:19], v[8:9]
	v_fma_f64 v[6:7], -v[24:25], v[16:17], v[6:7]
	s_waitcnt lgkmcnt(0)
	v_fma_f64 v[4:5], -v[24:25], v[22:23], v[4:5]
	v_fma_f64 v[2:3], -v[24:25], v[20:21], v[2:3]
	s_cbranch_scc0 .LBB101_49
.LBB101_50:                             ;   in Loop: Header=BB101_48 Depth=1
	s_mul_i32 s9, s5, 0xe8
	v_mov_b32_e32 v15, s9
	ds_read_b64 v[20:21], v15
	s_lshl_b32 s8, s8, 3
	s_lshl_b32 s9, s5, 3
	s_add_i32 s10, s8, s9
	s_add_i32 s8, s10, 0xffffff18
	v_mov_b32_e32 v15, s8
	s_waitcnt lgkmcnt(0)
	v_div_scale_f64 v[22:23], s[8:9], v[20:21], v[20:21], v[8:9]
	v_rcp_f64_e32 v[24:25], v[22:23]
	ds_read2_b64 v[16:19], v15 offset1:1
	s_addk_i32 s4, 0xfc80
	v_fma_f64 v[26:27], -v[22:23], v[24:25], 1.0
	v_fmac_f64_e32 v[24:25], v[24:25], v[26:27]
	v_fma_f64 v[26:27], -v[22:23], v[24:25], 1.0
	v_fmac_f64_e32 v[24:25], v[24:25], v[26:27]
	v_div_scale_f64 v[26:27], vcc, v[8:9], v[20:21], v[8:9]
	v_mul_f64 v[28:29], v[26:27], v[24:25]
	v_fma_f64 v[22:23], -v[22:23], v[28:29], v[26:27]
	s_nop 1
	v_div_fmas_f64 v[22:23], v[22:23], v[24:25], v[28:29]
	v_div_fixup_f64 v[24:25], v[22:23], v[20:21], v[8:9]
	s_waitcnt lgkmcnt(0)
	v_fma_f64 v[18:19], -v[24:25], v[18:19], v[6:7]
	v_div_scale_f64 v[6:7], s[8:9], v[16:17], v[16:17], v[18:19]
	v_rcp_f64_e32 v[20:21], v[6:7]
	s_add_i32 s8, s10, 0xfffffe40
	v_fma_f64 v[8:9], -v[6:7], v[20:21], 1.0
	v_fmac_f64_e32 v[20:21], v[20:21], v[8:9]
	v_fma_f64 v[8:9], -v[6:7], v[20:21], 1.0
	v_fmac_f64_e32 v[20:21], v[20:21], v[8:9]
	v_div_scale_f64 v[8:9], vcc, v[18:19], v[16:17], v[18:19]
	v_mul_f64 v[22:23], v[8:9], v[20:21]
	v_fma_f64 v[26:27], -v[6:7], v[22:23], v[8:9]
	v_mov_b32_e32 v6, s8
	s_add_i32 s8, s10, 0xfffffe30
	v_mov_b32_e32 v7, s8
	ds_read_b64 v[28:29], v6
	ds_read2_b64 v[6:9], v7 offset1:1
	v_div_fmas_f64 v[20:21], v[26:27], v[20:21], v[22:23]
	v_div_fixup_f64 v[26:27], v[20:21], v[16:17], v[18:19]
	s_waitcnt lgkmcnt(1)
	v_fma_f64 v[4:5], -v[24:25], v[28:29], v[4:5]
	s_waitcnt lgkmcnt(0)
	v_fma_f64 v[4:5], -v[26:27], v[8:9], v[4:5]
	v_div_scale_f64 v[8:9], s[8:9], v[6:7], v[6:7], v[4:5]
	v_rcp_f64_e32 v[28:29], v[8:9]
	s_add_i32 s8, s10, 0xfffffd58
	v_mov_b32_e32 v15, s8
	s_add_i32 s8, s10, 0xfffffd48
	v_fma_f64 v[16:17], -v[8:9], v[28:29], 1.0
	v_fmac_f64_e32 v[28:29], v[28:29], v[16:17]
	v_fma_f64 v[16:17], -v[8:9], v[28:29], 1.0
	v_fmac_f64_e32 v[28:29], v[28:29], v[16:17]
	v_div_scale_f64 v[16:17], vcc, v[4:5], v[6:7], v[4:5]
	v_mul_f64 v[30:31], v[16:17], v[28:29]
	v_mov_b32_e32 v20, s8
	v_fma_f64 v[8:9], -v[8:9], v[30:31], v[16:17]
	ds_read2_b64 v[16:19], v15 offset1:1
	ds_read2_b64 v[20:23], v20 offset1:1
	v_div_fmas_f64 v[8:9], v[8:9], v[28:29], v[30:31]
	v_div_fixup_f64 v[4:5], v[8:9], v[6:7], v[4:5]
	ds_write_b64 v12, v[24:25]
	ds_write_b64 v13, v[26:27]
	;; [unrolled: 1-line block ×3, first 2 shown]
	s_waitcnt lgkmcnt(4)
	v_fma_f64 v[2:3], -v[24:25], v[18:19], v[2:3]
	v_fma_f64 v[2:3], -v[26:27], v[16:17], v[2:3]
	s_waitcnt lgkmcnt(3)
	v_fma_f64 v[2:3], -v[4:5], v[22:23], v[2:3]
	v_div_scale_f64 v[6:7], s[8:9], v[20:21], v[20:21], v[2:3]
	v_rcp_f64_e32 v[8:9], v[6:7]
	s_add_i32 s8, s5, -4
	s_cmp_lt_i32 s5, 7
	v_fma_f64 v[4:5], -v[6:7], v[8:9], 1.0
	v_fmac_f64_e32 v[8:9], v[8:9], v[4:5]
	v_fma_f64 v[4:5], -v[6:7], v[8:9], 1.0
	v_fmac_f64_e32 v[8:9], v[8:9], v[4:5]
	v_div_scale_f64 v[4:5], vcc, v[2:3], v[20:21], v[2:3]
	v_mul_f64 v[12:13], v[4:5], v[8:9]
	v_fma_f64 v[4:5], -v[6:7], v[12:13], v[4:5]
	s_nop 1
	v_div_fmas_f64 v[4:5], v[4:5], v[8:9], v[12:13]
	v_div_fixup_f64 v[2:3], v[4:5], v[20:21], v[2:3]
	ds_write_b64 v11, v[2:3]
	s_cbranch_scc1 .LBB101_52
; %bb.51:                               ;   in Loop: Header=BB101_48 Depth=1
	s_mov_b32 s5, s8
	s_branch .LBB101_48
.LBB101_52:
	s_cmp_lt_i32 s8, 0
	s_cbranch_scc1 .LBB101_65
; %bb.53:
	s_bitcmp1_b32 s8, 0
	s_cselect_b64 s[4:5], -1, 0
	s_and_b64 vcc, exec, s[4:5]
	s_mov_b32 s4, s8
	s_cbranch_vccnz .LBB101_58
; %bb.54:
	s_mul_i32 s4, s8, 0xe0
	v_add_u32_e32 v4, s4, v1
	ds_read_b64 v[2:3], v4
	s_cmp_le_i32 s7, s8
	s_cbranch_scc1 .LBB101_57
; %bb.55:
	s_lshl_b32 s5, s23, 3
	s_add_i32 s4, s4, s5
	s_mul_i32 s5, s23, 0xe0
	v_lshl_add_u32 v5, v0, 3, s5
	s_add_i32 s4, s4, -8
	v_add_u32_e32 v5, 0x17a0, v5
	s_mov_b32 s5, s7
.LBB101_56:                             ; =>This Inner Loop Header: Depth=1
	v_mov_b32_e32 v8, s4
	ds_read_b64 v[6:7], v5
	ds_read_b64 v[8:9], v8
	s_add_i32 s5, s5, -1
	s_add_i32 s4, s4, -8
	v_add_u32_e32 v5, 0xffffff20, v5
	s_cmp_gt_u32 s5, s8
	s_waitcnt lgkmcnt(0)
	v_fma_f64 v[2:3], -v[6:7], v[8:9], v[2:3]
	s_cbranch_scc1 .LBB101_56
.LBB101_57:
	s_mul_i32 s4, s8, 0xe8
	v_mov_b32_e32 v5, s4
	ds_read_b64 v[6:7], v5
	s_waitcnt lgkmcnt(0)
	v_div_scale_f64 v[8:9], s[4:5], v[6:7], v[6:7], v[2:3]
	v_rcp_f64_e32 v[10:11], v[8:9]
	v_div_scale_f64 v[12:13], vcc, v[2:3], v[6:7], v[2:3]
	s_add_i32 s4, s8, -1
	v_fma_f64 v[14:15], -v[8:9], v[10:11], 1.0
	v_fmac_f64_e32 v[10:11], v[10:11], v[14:15]
	v_fma_f64 v[14:15], -v[8:9], v[10:11], 1.0
	v_fmac_f64_e32 v[10:11], v[10:11], v[14:15]
	v_mul_f64 v[14:15], v[12:13], v[10:11]
	v_fma_f64 v[8:9], -v[8:9], v[14:15], v[12:13]
	v_div_fmas_f64 v[8:9], v[8:9], v[10:11], v[14:15]
	v_div_fixup_f64 v[2:3], v[8:9], v[6:7], v[2:3]
	ds_write_b64 v4, v[2:3]
.LBB101_58:
	s_cmp_eq_u32 s8, 0
	s_cbranch_scc1 .LBB101_65
; %bb.59:
	s_mul_i32 s5, s23, 0xe0
	v_lshl_add_u32 v2, v0, 3, s5
	s_mul_i32 s5, s4, 0xe0
	s_lshl_b32 s8, s23, 3
	s_add_i32 s8, s5, s8
	v_add_u32_e32 v6, 0x17a0, v2
	s_add_i32 s5, s8, -8
	s_addk_i32 s8, 0xff18
	s_branch .LBB101_61
.LBB101_60:                             ;   in Loop: Header=BB101_61 Depth=1
	s_addk_i32 s10, 0xff18
	v_mov_b32_e32 v4, s10
	ds_read_b64 v[4:5], v4
	s_add_i32 s4, s4, -2
	s_addk_i32 s5, 0xfe40
	s_addk_i32 s8, 0xfe40
	s_cmp_eq_u32 s9, 0
	s_waitcnt lgkmcnt(0)
	v_div_scale_f64 v[8:9], s[10:11], v[4:5], v[4:5], v[2:3]
	v_rcp_f64_e32 v[10:11], v[8:9]
	v_div_scale_f64 v[12:13], vcc, v[2:3], v[4:5], v[2:3]
	v_fma_f64 v[14:15], -v[8:9], v[10:11], 1.0
	v_fmac_f64_e32 v[10:11], v[10:11], v[14:15]
	v_fma_f64 v[14:15], -v[8:9], v[10:11], 1.0
	v_fmac_f64_e32 v[10:11], v[10:11], v[14:15]
	v_mul_f64 v[14:15], v[12:13], v[10:11]
	v_fma_f64 v[8:9], -v[8:9], v[14:15], v[12:13]
	v_div_fmas_f64 v[8:9], v[8:9], v[10:11], v[14:15]
	v_div_fixup_f64 v[2:3], v[8:9], v[4:5], v[2:3]
	ds_write_b64 v7, v[2:3]
	s_cbranch_scc1 .LBB101_65
.LBB101_61:                             ; =>This Loop Header: Depth=1
                                        ;     Child Loop BB101_62 Depth 2
                                        ;     Child Loop BB101_64 Depth 2
	s_mul_i32 s9, s4, 0xe0
	v_add_u32_e32 v8, s9, v1
	ds_read_b64 v[4:5], v8
	s_cmp_le_i32 s7, s4
	s_mov_b32 s9, s5
	v_mov_b32_e32 v2, v6
	s_mov_b32 s10, s7
	s_cbranch_scc1 .LBB101_63
.LBB101_62:                             ;   Parent Loop BB101_61 Depth=1
                                        ; =>  This Inner Loop Header: Depth=2
	v_mov_b32_e32 v3, s9
	ds_read_b64 v[10:11], v2
	ds_read_b64 v[12:13], v3
	s_add_i32 s10, s10, -1
	s_add_i32 s9, s9, -8
	v_add_u32_e32 v2, 0xffffff20, v2
	s_cmp_le_u32 s10, s4
	s_waitcnt lgkmcnt(0)
	v_fma_f64 v[4:5], -v[10:11], v[12:13], v[4:5]
	s_cbranch_scc0 .LBB101_62
.LBB101_63:                             ;   in Loop: Header=BB101_61 Depth=1
	s_mul_i32 s10, s4, 0xe8
	v_mov_b32_e32 v2, s10
	ds_read_b64 v[10:11], v2
	v_add_u32_e32 v7, 0xffffff20, v8
	ds_read_b64 v[2:3], v7
	s_add_i32 s9, s4, -1
	s_cmp_le_i32 s23, s4
	s_waitcnt lgkmcnt(1)
	v_div_scale_f64 v[12:13], s[12:13], v[10:11], v[10:11], v[4:5]
	v_rcp_f64_e32 v[14:15], v[12:13]
	v_div_scale_f64 v[16:17], vcc, v[4:5], v[10:11], v[4:5]
	s_mov_b32 s11, s8
	v_fma_f64 v[18:19], -v[12:13], v[14:15], 1.0
	v_fmac_f64_e32 v[14:15], v[14:15], v[18:19]
	v_fma_f64 v[18:19], -v[12:13], v[14:15], 1.0
	v_fmac_f64_e32 v[14:15], v[14:15], v[18:19]
	v_mul_f64 v[18:19], v[16:17], v[14:15]
	v_fma_f64 v[12:13], -v[12:13], v[18:19], v[16:17]
	v_div_fmas_f64 v[12:13], v[12:13], v[14:15], v[18:19]
	v_div_fixup_f64 v[4:5], v[12:13], v[10:11], v[4:5]
	ds_write_b64 v8, v[4:5]
	v_mov_b32_e32 v4, v6
	s_mov_b32 s12, s7
	s_cbranch_scc1 .LBB101_60
.LBB101_64:                             ;   Parent Loop BB101_61 Depth=1
                                        ; =>  This Inner Loop Header: Depth=2
	v_mov_b32_e32 v5, s11
	ds_read_b64 v[8:9], v4
	ds_read_b64 v[10:11], v5
	s_add_i32 s12, s12, -1
	s_add_i32 s11, s11, -8
	v_add_u32_e32 v4, 0xffffff20, v4
	s_cmp_gt_u32 s12, s9
	s_waitcnt lgkmcnt(0)
	v_fma_f64 v[2:3], -v[8:9], v[10:11], v[2:3]
	s_cbranch_scc1 .LBB101_64
	s_branch .LBB101_60
.LBB101_65:
	s_mov_b64 s[12:13], 0
.LBB101_66:
	s_andn2_b64 vcc, exec, s[12:13]
	s_cbranch_vccnz .LBB101_78
; %bb.67:
	v_mov_b32_e32 v1, 0x1880
	v_lshl_add_u32 v1, v0, 3, v1
	s_cmp_lt_i32 s22, 4
	s_mov_b32 s7, 0
	s_cbranch_scc1 .LBB101_73
; %bb.68:
	s_mov_b32 s4, 0
	s_mov_b32 s5, 0
.LBB101_69:                             ; =>This Loop Header: Depth=1
                                        ;     Child Loop BB101_70 Depth 2
	s_mul_i32 s7, s5, 28
	v_lshl_add_u32 v10, s7, 3, v1
	ds_read2_b64 v[6:9], v10 offset1:28
	ds_read2_b64 v[2:5], v10 offset0:56 offset1:84
	s_cmp_eq_u32 s5, 0
	s_mov_b32 s8, s4
	v_mov_b32_e32 v11, v1
	s_mov_b32 s9, s5
	s_cbranch_scc1 .LBB101_71
.LBB101_70:                             ;   Parent Loop BB101_69 Depth=1
                                        ; =>  This Inner Loop Header: Depth=2
	v_mov_b32_e32 v16, s8
	ds_read_b64 v[20:21], v11
	ds_read2_b64 v[12:15], v16 offset1:28
	ds_read2_b64 v[16:19], v16 offset0:56 offset1:84
	s_add_i32 s9, s9, -1
	s_add_i32 s8, s8, 8
	v_add_u32_e32 v11, 0xe0, v11
	s_cmp_eq_u32 s9, 0
	s_waitcnt lgkmcnt(1)
	v_fma_f64 v[6:7], -v[20:21], v[12:13], v[6:7]
	v_fma_f64 v[8:9], -v[20:21], v[14:15], v[8:9]
	s_waitcnt lgkmcnt(0)
	v_fma_f64 v[2:3], -v[20:21], v[16:17], v[2:3]
	v_fma_f64 v[4:5], -v[20:21], v[18:19], v[4:5]
	s_cbranch_scc0 .LBB101_70
.LBB101_71:                             ;   in Loop: Header=BB101_69 Depth=1
	s_mul_i32 s8, s5, 0xe8
	v_mov_b32_e32 v11, s8
	ds_read_b64 v[16:17], v11
	s_lshl_b32 s7, s7, 3
	s_lshl_b32 s8, s5, 3
	s_add_i32 s7, s7, s8
	v_mov_b32_e32 v11, s7
	s_waitcnt lgkmcnt(0)
	v_div_scale_f64 v[18:19], s[8:9], v[16:17], v[16:17], v[6:7]
	v_rcp_f64_e32 v[20:21], v[18:19]
	ds_read_b128 v[12:15], v11 offset:224
	s_add_i32 s7, s5, 4
	s_add_i32 s5, s5, 7
	v_fma_f64 v[22:23], -v[18:19], v[20:21], 1.0
	v_fmac_f64_e32 v[20:21], v[20:21], v[22:23]
	v_fma_f64 v[22:23], -v[18:19], v[20:21], 1.0
	v_fmac_f64_e32 v[20:21], v[20:21], v[22:23]
	v_div_scale_f64 v[22:23], vcc, v[6:7], v[16:17], v[6:7]
	v_mul_f64 v[24:25], v[22:23], v[20:21]
	v_fma_f64 v[18:19], -v[18:19], v[24:25], v[22:23]
	s_addk_i32 s4, 0x380
	s_nop 0
	v_div_fmas_f64 v[18:19], v[18:19], v[20:21], v[24:25]
	v_div_fixup_f64 v[16:17], v[18:19], v[16:17], v[6:7]
	s_waitcnt lgkmcnt(0)
	v_fma_f64 v[12:13], -v[16:17], v[12:13], v[8:9]
	v_div_scale_f64 v[6:7], s[8:9], v[14:15], v[14:15], v[12:13]
	v_rcp_f64_e32 v[18:19], v[6:7]
	s_cmp_ge_i32 s5, s23
	v_fma_f64 v[8:9], -v[6:7], v[18:19], 1.0
	v_fmac_f64_e32 v[18:19], v[18:19], v[8:9]
	v_fma_f64 v[8:9], -v[6:7], v[18:19], 1.0
	v_fmac_f64_e32 v[18:19], v[18:19], v[8:9]
	v_div_scale_f64 v[8:9], vcc, v[12:13], v[14:15], v[12:13]
	v_mul_f64 v[20:21], v[8:9], v[18:19]
	v_fma_f64 v[22:23], -v[6:7], v[20:21], v[8:9]
	ds_read_b128 v[6:9], v11 offset:448
	s_nop 0
	v_div_fmas_f64 v[18:19], v[22:23], v[18:19], v[20:21]
	ds_read_b64 v[20:21], v11 offset:464
	v_div_fixup_f64 v[18:19], v[18:19], v[14:15], v[12:13]
	s_waitcnt lgkmcnt(1)
	v_fma_f64 v[2:3], -v[16:17], v[6:7], v[2:3]
	v_fma_f64 v[2:3], -v[18:19], v[8:9], v[2:3]
	s_waitcnt lgkmcnt(0)
	v_div_scale_f64 v[6:7], s[8:9], v[20:21], v[20:21], v[2:3]
	v_rcp_f64_e32 v[22:23], v[6:7]
	s_nop 0
	v_fma_f64 v[8:9], -v[6:7], v[22:23], 1.0
	v_fmac_f64_e32 v[22:23], v[22:23], v[8:9]
	v_fma_f64 v[8:9], -v[6:7], v[22:23], 1.0
	v_fmac_f64_e32 v[22:23], v[22:23], v[8:9]
	v_div_scale_f64 v[8:9], vcc, v[2:3], v[20:21], v[2:3]
	v_mul_f64 v[24:25], v[8:9], v[22:23]
	v_fma_f64 v[26:27], -v[6:7], v[24:25], v[8:9]
	ds_read_b128 v[6:9], v11 offset:672
	ds_read_b128 v[12:15], v11 offset:688
	v_div_fmas_f64 v[22:23], v[26:27], v[22:23], v[24:25]
	v_div_fixup_f64 v[2:3], v[22:23], v[20:21], v[2:3]
	ds_write2_b64 v10, v[16:17], v[18:19] offset1:28
	s_waitcnt lgkmcnt(2)
	v_fma_f64 v[4:5], -v[16:17], v[6:7], v[4:5]
	v_fma_f64 v[4:5], -v[18:19], v[8:9], v[4:5]
	s_waitcnt lgkmcnt(1)
	v_fma_f64 v[4:5], -v[2:3], v[12:13], v[4:5]
	v_div_scale_f64 v[6:7], s[8:9], v[14:15], v[14:15], v[4:5]
	v_rcp_f64_e32 v[8:9], v[6:7]
	s_nop 0
	v_fma_f64 v[12:13], -v[6:7], v[8:9], 1.0
	v_fmac_f64_e32 v[8:9], v[8:9], v[12:13]
	v_fma_f64 v[12:13], -v[6:7], v[8:9], 1.0
	v_fmac_f64_e32 v[8:9], v[8:9], v[12:13]
	v_div_scale_f64 v[12:13], vcc, v[4:5], v[14:15], v[4:5]
	v_mul_f64 v[16:17], v[12:13], v[8:9]
	v_fma_f64 v[6:7], -v[6:7], v[16:17], v[12:13]
	s_nop 1
	v_div_fmas_f64 v[6:7], v[6:7], v[8:9], v[16:17]
	v_div_fixup_f64 v[4:5], v[6:7], v[14:15], v[4:5]
	ds_write2_b64 v10, v[2:3], v[4:5] offset0:56 offset1:84
	s_cbranch_scc1 .LBB101_73
; %bb.72:                               ;   in Loop: Header=BB101_69 Depth=1
	s_mov_b32 s5, s7
	s_branch .LBB101_69
.LBB101_73:
	s_cmp_ge_i32 s7, s23
	s_cbranch_scc1 .LBB101_78
; %bb.74:
	v_mov_b32_e32 v2, 0x1880
	v_lshl_add_u32 v4, v0, 3, v2
	s_mul_i32 s4, s7, 0xe0
	s_branch .LBB101_76
.LBB101_75:                             ;   in Loop: Header=BB101_76 Depth=1
	s_mul_i32 s5, s7, 0xe8
	v_mov_b32_e32 v6, s5
	ds_read_b64 v[6:7], v6
	s_add_i32 s7, s7, 1
	s_addk_i32 s4, 0xe0
	s_cmp_ge_i32 s7, s23
	s_waitcnt lgkmcnt(0)
	v_div_scale_f64 v[8:9], s[8:9], v[6:7], v[6:7], v[2:3]
	v_rcp_f64_e32 v[10:11], v[8:9]
	v_div_scale_f64 v[12:13], vcc, v[2:3], v[6:7], v[2:3]
	v_fma_f64 v[14:15], -v[8:9], v[10:11], 1.0
	v_fmac_f64_e32 v[10:11], v[10:11], v[14:15]
	v_fma_f64 v[14:15], -v[8:9], v[10:11], 1.0
	v_fmac_f64_e32 v[10:11], v[10:11], v[14:15]
	v_mul_f64 v[14:15], v[12:13], v[10:11]
	v_fma_f64 v[8:9], -v[8:9], v[14:15], v[12:13]
	v_div_fmas_f64 v[8:9], v[8:9], v[10:11], v[14:15]
	v_div_fixup_f64 v[2:3], v[8:9], v[6:7], v[2:3]
	ds_write_b64 v5, v[2:3]
	s_cbranch_scc1 .LBB101_78
.LBB101_76:                             ; =>This Loop Header: Depth=1
                                        ;     Child Loop BB101_77 Depth 2
	s_mul_i32 s5, s7, 0xe0
	v_add_u32_e32 v5, s5, v1
	ds_read_b64 v[2:3], v5
	s_cmp_eq_u32 s7, 0
	s_mov_b32 s5, s4
	v_mov_b32_e32 v6, v4
	s_mov_b32 s8, s7
	s_cbranch_scc1 .LBB101_75
.LBB101_77:                             ;   Parent Loop BB101_76 Depth=1
                                        ; =>  This Inner Loop Header: Depth=2
	v_mov_b32_e32 v7, s5
	ds_read_b64 v[8:9], v6
	ds_read_b64 v[10:11], v7
	s_add_i32 s8, s8, -1
	s_add_i32 s5, s5, 8
	v_add_u32_e32 v6, 0xe0, v6
	s_cmp_eq_u32 s8, 0
	s_waitcnt lgkmcnt(0)
	v_fma_f64 v[2:3], -v[8:9], v[10:11], v[2:3]
	s_cbranch_scc0 .LBB101_77
	s_branch .LBB101_75
.LBB101_78:
	s_and_saveexec_b64 s[4:5], s[0:1]
	s_cbranch_execz .LBB101_82
; %bb.79:
	s_cmp_lt_i32 s22, 1
	s_cbranch_scc1 .LBB101_82
; %bb.80:
	s_ashr_i32 s7, s6, 31
	v_lshlrev_b32_e32 v2, 3, v0
	v_mov_b32_e32 v3, 0
	v_lshl_add_u64 v[0:1], s[2:3], 0, v[2:3]
	s_lshl_b64 s[0:1], s[6:7], 3
	v_add_u32_e32 v2, 0x1880, v2
.LBB101_81:                             ; =>This Inner Loop Header: Depth=1
	ds_read_b64 v[4:5], v2
	s_add_i32 s22, s22, -1
	v_add_u32_e32 v2, 0xe0, v2
	s_cmp_lg_u32 s22, 0
	s_waitcnt lgkmcnt(0)
	flat_store_dwordx2 v[0:1], v[4:5]
	v_lshl_add_u64 v[0:1], v[0:1], 0, s[0:1]
	s_cbranch_scc1 .LBB101_81
.LBB101_82:
	s_endpgm
	.section	.rodata,"a",@progbits
	.p2align	6, 0x0
	.amdhsa_kernel _ZL31rocblas_trsm_small_right_deviceIddPKPKdPKPdLi28EEv13rocblas_fill_18rocblas_operation_17rocblas_diagonal_iiT0_T1_lilT2_lili
		.amdhsa_group_segment_fixed_size 12544
		.amdhsa_private_segment_fixed_size 0
		.amdhsa_kernarg_size 360
		.amdhsa_user_sgpr_count 2
		.amdhsa_user_sgpr_dispatch_ptr 0
		.amdhsa_user_sgpr_queue_ptr 0
		.amdhsa_user_sgpr_kernarg_segment_ptr 1
		.amdhsa_user_sgpr_dispatch_id 0
		.amdhsa_user_sgpr_kernarg_preload_length 0
		.amdhsa_user_sgpr_kernarg_preload_offset 0
		.amdhsa_user_sgpr_private_segment_size 0
		.amdhsa_uses_dynamic_stack 0
		.amdhsa_enable_private_segment 0
		.amdhsa_system_sgpr_workgroup_id_x 1
		.amdhsa_system_sgpr_workgroup_id_y 0
		.amdhsa_system_sgpr_workgroup_id_z 1
		.amdhsa_system_sgpr_workgroup_info 0
		.amdhsa_system_vgpr_workitem_id 0
		.amdhsa_next_free_vgpr 97
		.amdhsa_next_free_sgpr 96
		.amdhsa_accum_offset 40
		.amdhsa_reserve_vcc 1
		.amdhsa_float_round_mode_32 0
		.amdhsa_float_round_mode_16_64 0
		.amdhsa_float_denorm_mode_32 3
		.amdhsa_float_denorm_mode_16_64 3
		.amdhsa_dx10_clamp 1
		.amdhsa_ieee_mode 1
		.amdhsa_fp16_overflow 0
		.amdhsa_tg_split 0
		.amdhsa_exception_fp_ieee_invalid_op 0
		.amdhsa_exception_fp_denorm_src 0
		.amdhsa_exception_fp_ieee_div_zero 0
		.amdhsa_exception_fp_ieee_overflow 0
		.amdhsa_exception_fp_ieee_underflow 0
		.amdhsa_exception_fp_ieee_inexact 0
		.amdhsa_exception_int_div_zero 0
	.end_amdhsa_kernel
	.section	.text._ZL31rocblas_trsm_small_right_deviceIddPKPKdPKPdLi28EEv13rocblas_fill_18rocblas_operation_17rocblas_diagonal_iiT0_T1_lilT2_lili,"axG",@progbits,_ZL31rocblas_trsm_small_right_deviceIddPKPKdPKPdLi28EEv13rocblas_fill_18rocblas_operation_17rocblas_diagonal_iiT0_T1_lilT2_lili,comdat
.Lfunc_end101:
	.size	_ZL31rocblas_trsm_small_right_deviceIddPKPKdPKPdLi28EEv13rocblas_fill_18rocblas_operation_17rocblas_diagonal_iiT0_T1_lilT2_lili, .Lfunc_end101-_ZL31rocblas_trsm_small_right_deviceIddPKPKdPKPdLi28EEv13rocblas_fill_18rocblas_operation_17rocblas_diagonal_iiT0_T1_lilT2_lili
                                        ; -- End function
	.set _ZL31rocblas_trsm_small_right_deviceIddPKPKdPKPdLi28EEv13rocblas_fill_18rocblas_operation_17rocblas_diagonal_iiT0_T1_lilT2_lili.num_vgpr, 38
	.set _ZL31rocblas_trsm_small_right_deviceIddPKPKdPKPdLi28EEv13rocblas_fill_18rocblas_operation_17rocblas_diagonal_iiT0_T1_lilT2_lili.num_agpr, 0
	.set _ZL31rocblas_trsm_small_right_deviceIddPKPKdPKPdLi28EEv13rocblas_fill_18rocblas_operation_17rocblas_diagonal_iiT0_T1_lilT2_lili.numbered_sgpr, 26
	.set _ZL31rocblas_trsm_small_right_deviceIddPKPKdPKPdLi28EEv13rocblas_fill_18rocblas_operation_17rocblas_diagonal_iiT0_T1_lilT2_lili.num_named_barrier, 0
	.set _ZL31rocblas_trsm_small_right_deviceIddPKPKdPKPdLi28EEv13rocblas_fill_18rocblas_operation_17rocblas_diagonal_iiT0_T1_lilT2_lili.private_seg_size, 0
	.set _ZL31rocblas_trsm_small_right_deviceIddPKPKdPKPdLi28EEv13rocblas_fill_18rocblas_operation_17rocblas_diagonal_iiT0_T1_lilT2_lili.uses_vcc, 1
	.set _ZL31rocblas_trsm_small_right_deviceIddPKPKdPKPdLi28EEv13rocblas_fill_18rocblas_operation_17rocblas_diagonal_iiT0_T1_lilT2_lili.uses_flat_scratch, 0
	.set _ZL31rocblas_trsm_small_right_deviceIddPKPKdPKPdLi28EEv13rocblas_fill_18rocblas_operation_17rocblas_diagonal_iiT0_T1_lilT2_lili.has_dyn_sized_stack, 0
	.set _ZL31rocblas_trsm_small_right_deviceIddPKPKdPKPdLi28EEv13rocblas_fill_18rocblas_operation_17rocblas_diagonal_iiT0_T1_lilT2_lili.has_recursion, 0
	.set _ZL31rocblas_trsm_small_right_deviceIddPKPKdPKPdLi28EEv13rocblas_fill_18rocblas_operation_17rocblas_diagonal_iiT0_T1_lilT2_lili.has_indirect_call, 0
	.section	.AMDGPU.csdata,"",@progbits
; Kernel info:
; codeLenInByte = 5736
; TotalNumSgprs: 32
; NumVgprs: 38
; NumAgprs: 0
; TotalNumVgprs: 38
; ScratchSize: 0
; MemoryBound: 0
; FloatMode: 240
; IeeeMode: 1
; LDSByteSize: 12544 bytes/workgroup (compile time only)
; SGPRBlocks: 12
; VGPRBlocks: 12
; NumSGPRsForWavesPerEU: 102
; NumVGPRsForWavesPerEU: 97
; AccumOffset: 40
; Occupancy: 4
; WaveLimiterHint : 0
; COMPUTE_PGM_RSRC2:SCRATCH_EN: 0
; COMPUTE_PGM_RSRC2:USER_SGPR: 2
; COMPUTE_PGM_RSRC2:TRAP_HANDLER: 0
; COMPUTE_PGM_RSRC2:TGID_X_EN: 1
; COMPUTE_PGM_RSRC2:TGID_Y_EN: 0
; COMPUTE_PGM_RSRC2:TGID_Z_EN: 1
; COMPUTE_PGM_RSRC2:TIDIG_COMP_CNT: 0
; COMPUTE_PGM_RSRC3_GFX90A:ACCUM_OFFSET: 9
; COMPUTE_PGM_RSRC3_GFX90A:TG_SPLIT: 0
	.section	.text._ZL38rocblas_trsm_small_left_device_sharedBILi32ELi32ELb0EddPKPKdPKPdEv13rocblas_fill_18rocblas_operation_17rocblas_diagonal_iiT3_T4_lilT5_lili,"axG",@progbits,_ZL38rocblas_trsm_small_left_device_sharedBILi32ELi32ELb0EddPKPKdPKPdEv13rocblas_fill_18rocblas_operation_17rocblas_diagonal_iiT3_T4_lilT5_lili,comdat
	.globl	_ZL38rocblas_trsm_small_left_device_sharedBILi32ELi32ELb0EddPKPKdPKPdEv13rocblas_fill_18rocblas_operation_17rocblas_diagonal_iiT3_T4_lilT5_lili ; -- Begin function _ZL38rocblas_trsm_small_left_device_sharedBILi32ELi32ELb0EddPKPKdPKPdEv13rocblas_fill_18rocblas_operation_17rocblas_diagonal_iiT3_T4_lilT5_lili
	.p2align	8
	.type	_ZL38rocblas_trsm_small_left_device_sharedBILi32ELi32ELb0EddPKPKdPKPdEv13rocblas_fill_18rocblas_operation_17rocblas_diagonal_iiT3_T4_lilT5_lili,@function
_ZL38rocblas_trsm_small_left_device_sharedBILi32ELi32ELb0EddPKPKdPKPdEv13rocblas_fill_18rocblas_operation_17rocblas_diagonal_iiT3_T4_lilT5_lili: ; @_ZL38rocblas_trsm_small_left_device_sharedBILi32ELi32ELb0EddPKPKdPKPdEv13rocblas_fill_18rocblas_operation_17rocblas_diagonal_iiT3_T4_lilT5_lili
; %bb.0:
	s_load_dwordx2 s[18:19], s[0:1], 0x28
	s_load_dwordx4 s[12:15], s[0:1], 0x40
	s_load_dwordx4 s[4:7], s[0:1], 0x4
	;; [unrolled: 1-line block ×3, first 2 shown]
	s_mov_b32 s16, s3
	s_mov_b32 s17, 0
	s_lshl_b64 s[20:21], s[16:17], 3
	s_waitcnt lgkmcnt(0)
	s_add_u32 s12, s12, s20
	s_addc_u32 s13, s13, s21
	s_load_dwordx2 s[12:13], s[12:13], 0x0
	s_min_i32 s22, s6, 32
	v_cmp_gt_i32_e32 vcc, s22, v0
	s_and_saveexec_b64 s[16:17], vcc
	s_cbranch_execz .LBB102_6
; %bb.1:
	s_load_dword s24, s[0:1], 0x30
	v_lshlrev_b32_e32 v2, 3, v0
	v_mov_b32_e32 v3, 0
	v_mov_b32_e32 v1, v2
	s_mov_b32 s3, s22
	s_waitcnt lgkmcnt(0)
	s_ashr_i32 s25, s24, 31
	s_add_u32 s10, s10, s20
	s_addc_u32 s11, s11, s21
	s_load_dwordx2 s[10:11], s[10:11], 0x0
	s_lshl_b64 s[18:19], s[18:19], 3
	s_waitcnt lgkmcnt(0)
	s_add_u32 s18, s10, s18
	s_addc_u32 s19, s11, s19
	s_lshl_b64 s[10:11], s[24:25], 3
	v_lshl_add_u64 v[4:5], s[18:19], 0, v[2:3]
.LBB102_2:                              ; =>This Inner Loop Header: Depth=1
	flat_load_dwordx2 v[6:7], v[4:5]
	s_add_i32 s3, s3, -1
	v_lshl_add_u64 v[4:5], v[4:5], 0, s[10:11]
	s_cmp_eq_u32 s3, 0
	s_waitcnt vmcnt(0) lgkmcnt(0)
	ds_write_b64 v1, v[6:7]
	v_add_u32_e32 v1, 0x100, v1
	s_cbranch_scc0 .LBB102_2
; %bb.3:
	v_lshlrev_b32_e32 v1, 8, v0
	s_cmpk_lg_i32 s5, 0x84
	v_mov_b64_e32 v[4:5], 1.0
	v_add_u32_e32 v1, v2, v1
	s_cbranch_scc0 .LBB102_5
; %bb.4:
	ds_read_b64 v[2:3], v1
	s_waitcnt lgkmcnt(0)
	v_div_scale_f64 v[4:5], s[10:11], v[2:3], v[2:3], 1.0
	v_rcp_f64_e32 v[6:7], v[4:5]
	v_div_scale_f64 v[8:9], vcc, 1.0, v[2:3], 1.0
	v_fma_f64 v[10:11], -v[4:5], v[6:7], 1.0
	v_fmac_f64_e32 v[6:7], v[6:7], v[10:11]
	v_fma_f64 v[10:11], -v[4:5], v[6:7], 1.0
	v_fmac_f64_e32 v[6:7], v[6:7], v[10:11]
	v_mul_f64 v[10:11], v[8:9], v[6:7]
	v_fma_f64 v[4:5], -v[4:5], v[10:11], v[8:9]
	v_div_fmas_f64 v[4:5], v[4:5], v[6:7], v[10:11]
	v_div_fixup_f64 v[4:5], v[4:5], v[2:3], 1.0
.LBB102_5:
	ds_write_b64 v1, v[4:5]
.LBB102_6:
	s_or_b64 exec, exec, s[16:17]
	s_load_dword s3, s[0:1], 0x68
	s_load_dword s16, s[0:1], 0x50
	s_lshl_b64 s[0:1], s[14:15], 3
	s_waitcnt lgkmcnt(0)
	s_add_u32 s5, s12, s0
	s_addc_u32 s10, s13, s1
	s_lshl_b32 s0, s2, 5
	s_add_i32 s3, s3, -1
	s_sub_i32 s1, s7, s0
	s_cmp_ge_u32 s2, s3
	s_cselect_b32 s7, s1, 32
	s_mul_hi_i32 s1, s16, s0
	s_mul_i32 s0, s16, s0
	s_lshl_b64 s[0:1], s[0:1], 3
	s_add_u32 s2, s5, s0
	s_addc_u32 s3, s10, s1
	s_cmp_gt_i32 s6, 0
	v_cmp_gt_i32_e64 s[0:1], s7, v0
	s_cselect_b64 s[10:11], -1, 0
	s_and_b64 s[14:15], s[0:1], s[10:11]
	s_and_saveexec_b64 s[12:13], s[14:15]
	s_cbranch_execz .LBB102_9
; %bb.7:
	v_mad_i64_i32 v[2:3], s[14:15], s16, v0, 0
	v_mov_b32_e32 v1, 0x2000
	v_lshl_add_u64 v[2:3], v[2:3], 3, s[2:3]
	v_lshl_or_b32 v1, v0, 3, v1
	s_mov_b32 s5, s22
.LBB102_8:                              ; =>This Inner Loop Header: Depth=1
	flat_load_dwordx2 v[4:5], v[2:3]
	s_add_i32 s5, s5, -1
	v_lshl_add_u64 v[2:3], v[2:3], 0, 8
	s_cmp_lg_u32 s5, 0
	s_waitcnt vmcnt(0) lgkmcnt(0)
	v_mul_f64 v[4:5], s[8:9], v[4:5]
	ds_write_b64 v1, v[4:5]
	v_add_u32_e32 v1, 0x100, v1
	s_cbranch_scc1 .LBB102_8
.LBB102_9:
	s_or_b64 exec, exec, s[12:13]
	v_mov_b32_e32 v1, 0x2000
	s_cmpk_eq_i32 s4, 0x6f
	v_lshl_or_b32 v1, v0, 3, v1
	s_mov_b64 s[4:5], -1
	s_waitcnt lgkmcnt(0)
	; wave barrier
	s_cbranch_scc1 .LBB102_24
; %bb.10:
	s_cmp_gt_i32 s6, 31
	s_cselect_b64 s[4:5], -1, 0
	s_mov_b32 s9, 0
	s_and_b64 vcc, exec, s[4:5]
	s_cbranch_vccz .LBB102_12
; %bb.11:
	v_add_u32_e32 v67, 0x800, v1
	v_add_u32_e32 v66, 0x1000, v1
	;; [unrolled: 1-line block ×3, first 2 shown]
	v_mov_b32_e32 v71, 0
	ds_read2_b64 v[46:49], v1 offset1:32
	ds_read2_b64 v[50:53], v1 offset0:64 offset1:96
	ds_read2_b64 v[54:57], v1 offset0:128 offset1:160
	ds_read2_b64 v[58:61], v1 offset0:192 offset1:224
	ds_read2_b64 v[62:65], v67 offset1:32
	ds_read2_b64 v[42:45], v67 offset0:64 offset1:96
	ds_read2_b64 v[38:41], v67 offset0:128 offset1:160
	ds_read2_b64 v[34:37], v67 offset0:192 offset1:224
	;; [unrolled: 4-line block ×3, first 2 shown]
	ds_read2_b64 v[14:17], v70 offset1:32
	ds_read2_b64 v[72:75], v71 offset1:66
	ds_read2_b64 v[10:13], v70 offset0:64 offset1:96
	ds_read_b128 v[76:79], v71 offset:256
	ds_read2_b64 v[6:9], v70 offset0:128 offset1:160
	ds_read2_b64 v[2:5], v70 offset0:192 offset1:224
	ds_read_b128 v[80:83], v71 offset:512
	s_waitcnt lgkmcnt(5)
	v_mul_f64 v[46:47], v[72:73], v[46:47]
	s_waitcnt lgkmcnt(3)
	v_fma_f64 v[48:49], -v[46:47], v[76:77], v[48:49]
	v_mul_f64 v[48:49], v[78:79], v[48:49]
	ds_read_b128 v[76:79], v71 offset:768
	s_waitcnt lgkmcnt(1)
	v_fma_f64 v[50:51], -v[46:47], v[80:81], v[50:51]
	v_fma_f64 v[50:51], -v[48:49], v[82:83], v[50:51]
	ds_read_b128 v[80:83], v71 offset:784
	v_mul_f64 v[50:51], v[74:75], v[50:51]
	ds_read_b128 v[72:75], v71 offset:1024
	s_waitcnt lgkmcnt(2)
	v_fma_f64 v[52:53], -v[46:47], v[76:77], v[52:53]
	v_fma_f64 v[52:53], -v[48:49], v[78:79], v[52:53]
	ds_read_b128 v[76:79], v71 offset:1040
	s_waitcnt lgkmcnt(2)
	v_fma_f64 v[52:53], -v[50:51], v[80:81], v[52:53]
	v_mul_f64 v[52:53], v[82:83], v[52:53]
	ds_write2_b64 v1, v[46:47], v[48:49] offset1:32
	ds_write2_b64 v1, v[50:51], v[52:53] offset0:64 offset1:96
	s_waitcnt lgkmcnt(3)
	v_fma_f64 v[54:55], -v[46:47], v[72:73], v[54:55]
	v_fma_f64 v[54:55], -v[48:49], v[74:75], v[54:55]
	ds_read2_b64 v[72:75], v71 offset0:132 offset1:198
	ds_read_b128 v[80:83], v71 offset:1280
	s_waitcnt lgkmcnt(4)
	v_fma_f64 v[54:55], -v[50:51], v[76:77], v[54:55]
	v_fma_f64 v[54:55], -v[52:53], v[78:79], v[54:55]
	ds_read_b128 v[76:79], v71 offset:1296
	ds_read_b128 v[84:87], v71 offset:1312
	s_waitcnt lgkmcnt(2)
	v_fma_f64 v[56:57], -v[46:47], v[80:81], v[56:57]
	v_fma_f64 v[56:57], -v[48:49], v[82:83], v[56:57]
	v_mul_f64 v[54:55], v[72:73], v[54:55]
	s_waitcnt lgkmcnt(1)
	v_fma_f64 v[56:57], -v[50:51], v[76:77], v[56:57]
	v_fma_f64 v[56:57], -v[52:53], v[78:79], v[56:57]
	ds_read_b128 v[76:79], v71 offset:1536
	ds_read_b128 v[80:83], v71 offset:1552
	s_waitcnt lgkmcnt(2)
	v_fma_f64 v[56:57], -v[54:55], v[84:85], v[56:57]
	v_mul_f64 v[56:57], v[86:87], v[56:57]
	ds_read_b128 v[84:87], v71 offset:1568
	s_waitcnt lgkmcnt(2)
	v_fma_f64 v[58:59], -v[46:47], v[76:77], v[58:59]
	v_fma_f64 v[58:59], -v[48:49], v[78:79], v[58:59]
	s_waitcnt lgkmcnt(1)
	v_fma_f64 v[58:59], -v[50:51], v[80:81], v[58:59]
	ds_read_b128 v[76:79], v71 offset:1792
	v_fma_f64 v[58:59], -v[52:53], v[82:83], v[58:59]
	s_waitcnt lgkmcnt(1)
	v_fma_f64 v[58:59], -v[54:55], v[84:85], v[58:59]
	ds_read_b128 v[80:83], v71 offset:1808
	v_fma_f64 v[58:59], -v[56:57], v[86:87], v[58:59]
	v_mul_f64 v[58:59], v[74:75], v[58:59]
	ds_read_b128 v[72:75], v71 offset:1824
	s_waitcnt lgkmcnt(2)
	v_fma_f64 v[60:61], -v[46:47], v[76:77], v[60:61]
	v_fma_f64 v[60:61], -v[48:49], v[78:79], v[60:61]
	ds_read_b128 v[76:79], v71 offset:1840
	s_waitcnt lgkmcnt(2)
	v_fma_f64 v[60:61], -v[50:51], v[80:81], v[60:61]
	v_fma_f64 v[60:61], -v[52:53], v[82:83], v[60:61]
	s_waitcnt lgkmcnt(1)
	v_fma_f64 v[60:61], -v[54:55], v[72:73], v[60:61]
	v_fma_f64 v[60:61], -v[56:57], v[74:75], v[60:61]
	ds_read_b128 v[72:75], v71 offset:2048
	s_waitcnt lgkmcnt(1)
	v_fma_f64 v[60:61], -v[58:59], v[76:77], v[60:61]
	v_mul_f64 v[60:61], v[78:79], v[60:61]
	ds_read_b128 v[76:79], v71 offset:2064
	ds_read_b128 v[80:83], v71 offset:2080
	s_waitcnt lgkmcnt(2)
	v_fma_f64 v[62:63], -v[46:47], v[72:73], v[62:63]
	v_fma_f64 v[62:63], -v[48:49], v[74:75], v[62:63]
	ds_read_b128 v[72:75], v71 offset:2096
	s_waitcnt lgkmcnt(2)
	v_fma_f64 v[62:63], -v[50:51], v[76:77], v[62:63]
	s_movk_i32 s9, 0x800
	v_fma_f64 v[62:63], -v[52:53], v[78:79], v[62:63]
	ds_write2_b64 v1, v[54:55], v[56:57] offset0:128 offset1:160
	ds_write2_b64 v1, v[58:59], v[60:61] offset0:192 offset1:224
	s_waitcnt lgkmcnt(3)
	v_fma_f64 v[62:63], -v[54:55], v[80:81], v[62:63]
	v_add_u32_e64 v68, s9, 0
	v_fma_f64 v[62:63], -v[56:57], v[82:83], v[62:63]
	ds_read2_b64 v[76:79], v68 offset0:8 offset1:74
	ds_read_b128 v[80:83], v71 offset:2304
	s_waitcnt lgkmcnt(4)
	v_fma_f64 v[62:63], -v[58:59], v[72:73], v[62:63]
	v_fma_f64 v[62:63], -v[60:61], v[74:75], v[62:63]
	ds_read_b128 v[72:75], v71 offset:2320
	ds_read_b128 v[84:87], v71 offset:2336
	s_waitcnt lgkmcnt(2)
	v_fma_f64 v[64:65], -v[46:47], v[80:81], v[64:65]
	v_fma_f64 v[64:65], -v[48:49], v[82:83], v[64:65]
	ds_read_b128 v[80:83], v71 offset:2352
	s_waitcnt lgkmcnt(2)
	v_fma_f64 v[64:65], -v[50:51], v[72:73], v[64:65]
	v_fma_f64 v[64:65], -v[52:53], v[74:75], v[64:65]
	;; [unrolled: 4-line block ×3, first 2 shown]
	s_waitcnt lgkmcnt(1)
	v_fma_f64 v[64:65], -v[58:59], v[80:81], v[64:65]
	v_mul_f64 v[62:63], v[76:77], v[62:63]
	v_fma_f64 v[64:65], -v[60:61], v[82:83], v[64:65]
	ds_read_b128 v[80:83], v71 offset:2560
	s_waitcnt lgkmcnt(1)
	v_fma_f64 v[64:65], -v[62:63], v[72:73], v[64:65]
	v_mul_f64 v[64:65], v[74:75], v[64:65]
	ds_write2_b64 v67, v[62:63], v[64:65] offset1:32
	ds_read_b128 v[72:75], v71 offset:2576
	ds_read_b128 v[84:87], v71 offset:2592
	;; [unrolled: 1-line block ×3, first 2 shown]
	s_waitcnt lgkmcnt(4)
	v_fma_f64 v[42:43], -v[46:47], v[80:81], v[42:43]
	v_fma_f64 v[42:43], -v[48:49], v[82:83], v[42:43]
	s_waitcnt lgkmcnt(2)
	v_fma_f64 v[42:43], -v[50:51], v[72:73], v[42:43]
	v_fma_f64 v[42:43], -v[52:53], v[74:75], v[42:43]
	ds_read_b128 v[72:75], v71 offset:2624
	ds_read_b128 v[80:83], v71 offset:2816
	s_waitcnt lgkmcnt(3)
	v_fma_f64 v[42:43], -v[54:55], v[84:85], v[42:43]
	v_fma_f64 v[42:43], -v[56:57], v[86:87], v[42:43]
	s_waitcnt lgkmcnt(2)
	v_fma_f64 v[42:43], -v[58:59], v[88:89], v[42:43]
	v_fma_f64 v[42:43], -v[60:61], v[90:91], v[42:43]
	;; [unrolled: 3-line block ×3, first 2 shown]
	ds_read_b128 v[72:75], v71 offset:2832
	v_mul_f64 v[42:43], v[78:79], v[42:43]
	ds_read_b128 v[76:79], v71 offset:2848
	s_waitcnt lgkmcnt(2)
	v_fma_f64 v[44:45], -v[46:47], v[80:81], v[44:45]
	v_fma_f64 v[44:45], -v[48:49], v[82:83], v[44:45]
	ds_read_b128 v[80:83], v71 offset:2864
	s_waitcnt lgkmcnt(2)
	v_fma_f64 v[44:45], -v[50:51], v[72:73], v[44:45]
	v_fma_f64 v[44:45], -v[52:53], v[74:75], v[44:45]
	;; [unrolled: 4-line block ×4, first 2 shown]
	s_waitcnt lgkmcnt(1)
	v_fma_f64 v[44:45], -v[62:63], v[72:73], v[44:45]
	v_fma_f64 v[44:45], -v[64:65], v[74:75], v[44:45]
	ds_read_b128 v[72:75], v71 offset:3072
	s_waitcnt lgkmcnt(1)
	v_fma_f64 v[44:45], -v[42:43], v[76:77], v[44:45]
	v_mul_f64 v[44:45], v[78:79], v[44:45]
	ds_read_b128 v[76:79], v71 offset:3088
	ds_read_b128 v[80:83], v71 offset:3104
	s_waitcnt lgkmcnt(2)
	v_fma_f64 v[38:39], -v[46:47], v[72:73], v[38:39]
	v_fma_f64 v[38:39], -v[48:49], v[74:75], v[38:39]
	ds_read_b128 v[72:75], v71 offset:3120
	s_waitcnt lgkmcnt(2)
	v_fma_f64 v[38:39], -v[50:51], v[76:77], v[38:39]
	v_fma_f64 v[38:39], -v[52:53], v[78:79], v[38:39]
	;; [unrolled: 4-line block ×3, first 2 shown]
	s_waitcnt lgkmcnt(1)
	v_fma_f64 v[38:39], -v[58:59], v[72:73], v[38:39]
	ds_read_b128 v[80:83], v71 offset:3152
	v_fma_f64 v[38:39], -v[60:61], v[74:75], v[38:39]
	s_waitcnt lgkmcnt(1)
	v_fma_f64 v[38:39], -v[62:63], v[76:77], v[38:39]
	v_fma_f64 v[38:39], -v[64:65], v[78:79], v[38:39]
	ds_read_b128 v[76:79], v71 offset:3328
	ds_write2_b64 v67, v[42:43], v[44:45] offset0:64 offset1:96
	s_waitcnt lgkmcnt(2)
	v_fma_f64 v[38:39], -v[42:43], v[80:81], v[38:39]
	ds_read2_b64 v[72:75], v68 offset0:140 offset1:206
	v_fma_f64 v[38:39], -v[44:45], v[82:83], v[38:39]
	ds_read_b128 v[80:83], v71 offset:3344
	ds_read_b128 v[84:87], v71 offset:3360
	ds_read_b128 v[88:91], v71 offset:3376
	s_waitcnt lgkmcnt(5)
	v_fma_f64 v[40:41], -v[46:47], v[76:77], v[40:41]
	v_fma_f64 v[40:41], -v[48:49], v[78:79], v[40:41]
	s_waitcnt lgkmcnt(2)
	v_fma_f64 v[40:41], -v[50:51], v[80:81], v[40:41]
	v_fma_f64 v[40:41], -v[52:53], v[82:83], v[40:41]
	ds_read_b128 v[76:79], v71 offset:3392
	ds_read_b128 v[80:83], v71 offset:3408
	s_waitcnt lgkmcnt(3)
	v_fma_f64 v[40:41], -v[54:55], v[84:85], v[40:41]
	v_fma_f64 v[40:41], -v[56:57], v[86:87], v[40:41]
	s_waitcnt lgkmcnt(2)
	v_fma_f64 v[40:41], -v[58:59], v[88:89], v[40:41]
	v_fma_f64 v[40:41], -v[60:61], v[90:91], v[40:41]
	ds_read_b128 v[84:87], v71 offset:3424
	s_waitcnt lgkmcnt(2)
	v_fma_f64 v[40:41], -v[62:63], v[76:77], v[40:41]
	v_fma_f64 v[40:41], -v[64:65], v[78:79], v[40:41]
	ds_read_b128 v[76:79], v71 offset:3584
	s_waitcnt lgkmcnt(2)
	v_fma_f64 v[40:41], -v[42:43], v[80:81], v[40:41]
	v_mul_f64 v[38:39], v[72:73], v[38:39]
	v_fma_f64 v[40:41], -v[44:45], v[82:83], v[40:41]
	ds_read_b128 v[80:83], v71 offset:3600
	s_waitcnt lgkmcnt(2)
	v_fma_f64 v[40:41], -v[38:39], v[84:85], v[40:41]
	v_mul_f64 v[40:41], v[86:87], v[40:41]
	ds_read_b128 v[84:87], v71 offset:3616
	s_waitcnt lgkmcnt(2)
	v_fma_f64 v[34:35], -v[46:47], v[76:77], v[34:35]
	v_fma_f64 v[34:35], -v[48:49], v[78:79], v[34:35]
	ds_read_b128 v[76:79], v71 offset:3632
	s_waitcnt lgkmcnt(2)
	v_fma_f64 v[34:35], -v[50:51], v[80:81], v[34:35]
	v_fma_f64 v[34:35], -v[52:53], v[82:83], v[34:35]
	;; [unrolled: 4-line block ×5, first 2 shown]
	s_waitcnt lgkmcnt(1)
	v_fma_f64 v[34:35], -v[42:43], v[84:85], v[34:35]
	v_fma_f64 v[34:35], -v[44:45], v[86:87], v[34:35]
	s_waitcnt lgkmcnt(0)
	v_fma_f64 v[34:35], -v[38:39], v[76:77], v[34:35]
	v_fma_f64 v[34:35], -v[40:41], v[78:79], v[34:35]
	ds_read_b128 v[76:79], v71 offset:3840
	ds_write2_b64 v67, v[38:39], v[40:41] offset0:128 offset1:160
	v_mul_f64 v[34:35], v[74:75], v[34:35]
	ds_read_b128 v[72:75], v71 offset:3856
	ds_read_b128 v[80:83], v71 offset:3872
	;; [unrolled: 1-line block ×3, first 2 shown]
	s_movk_i32 s8, 0x1000
	s_waitcnt lgkmcnt(4)
	v_fma_f64 v[36:37], -v[46:47], v[76:77], v[36:37]
	v_fma_f64 v[36:37], -v[48:49], v[78:79], v[36:37]
	s_waitcnt lgkmcnt(2)
	v_fma_f64 v[36:37], -v[50:51], v[72:73], v[36:37]
	v_fma_f64 v[36:37], -v[52:53], v[74:75], v[36:37]
	ds_read_b128 v[72:75], v71 offset:3904
	ds_read_b128 v[76:79], v71 offset:3920
	s_waitcnt lgkmcnt(3)
	v_fma_f64 v[36:37], -v[54:55], v[80:81], v[36:37]
	v_fma_f64 v[36:37], -v[56:57], v[82:83], v[36:37]
	s_waitcnt lgkmcnt(2)
	v_fma_f64 v[36:37], -v[58:59], v[84:85], v[36:37]
	v_fma_f64 v[36:37], -v[60:61], v[86:87], v[36:37]
	ds_read_b128 v[80:83], v71 offset:3936
	s_waitcnt lgkmcnt(2)
	v_fma_f64 v[36:37], -v[62:63], v[72:73], v[36:37]
	v_fma_f64 v[36:37], -v[64:65], v[74:75], v[36:37]
	ds_read_b128 v[72:75], v71 offset:3952
	s_waitcnt lgkmcnt(2)
	v_fma_f64 v[36:37], -v[42:43], v[76:77], v[36:37]
	v_fma_f64 v[36:37], -v[44:45], v[78:79], v[36:37]
	s_waitcnt lgkmcnt(1)
	v_fma_f64 v[36:37], -v[38:39], v[80:81], v[36:37]
	v_fma_f64 v[36:37], -v[40:41], v[82:83], v[36:37]
	ds_read_b128 v[76:79], v71 offset:4096
	s_waitcnt lgkmcnt(1)
	v_fma_f64 v[36:37], -v[34:35], v[72:73], v[36:37]
	v_mul_f64 v[36:37], v[74:75], v[36:37]
	ds_read_b128 v[72:75], v71 offset:4112
	ds_read_b128 v[80:83], v71 offset:4128
	s_waitcnt lgkmcnt(2)
	v_fma_f64 v[30:31], -v[46:47], v[76:77], v[30:31]
	v_fma_f64 v[30:31], -v[48:49], v[78:79], v[30:31]
	ds_read_b128 v[76:79], v71 offset:4144
	s_waitcnt lgkmcnt(2)
	v_fma_f64 v[30:31], -v[50:51], v[72:73], v[30:31]
	v_fma_f64 v[30:31], -v[52:53], v[74:75], v[30:31]
	;; [unrolled: 4-line block ×6, first 2 shown]
	s_waitcnt lgkmcnt(1)
	v_fma_f64 v[30:31], -v[38:39], v[76:77], v[30:31]
	v_fma_f64 v[30:31], -v[40:41], v[78:79], v[30:31]
	s_waitcnt lgkmcnt(0)
	v_fma_f64 v[30:31], -v[34:35], v[72:73], v[30:31]
	v_fma_f64 v[30:31], -v[36:37], v[74:75], v[30:31]
	ds_read_b128 v[72:75], v71 offset:4352
	ds_write2_b64 v67, v[34:35], v[36:37] offset0:192 offset1:224
	v_add_u32_e64 v67, s8, 0
	ds_read2_b64 v[80:83], v67 offset0:16 offset1:82
	ds_read_b128 v[76:79], v71 offset:4368
	ds_read_b128 v[84:87], v71 offset:4384
	;; [unrolled: 1-line block ×3, first 2 shown]
	s_waitcnt lgkmcnt(5)
	v_fma_f64 v[32:33], -v[46:47], v[72:73], v[32:33]
	v_fma_f64 v[32:33], -v[48:49], v[74:75], v[32:33]
	s_waitcnt lgkmcnt(2)
	v_fma_f64 v[32:33], -v[50:51], v[76:77], v[32:33]
	v_fma_f64 v[32:33], -v[52:53], v[78:79], v[32:33]
	ds_read_b128 v[72:75], v71 offset:4416
	ds_read_b128 v[76:79], v71 offset:4432
	s_waitcnt lgkmcnt(3)
	v_fma_f64 v[32:33], -v[54:55], v[84:85], v[32:33]
	v_fma_f64 v[32:33], -v[56:57], v[86:87], v[32:33]
	s_waitcnt lgkmcnt(2)
	v_fma_f64 v[32:33], -v[58:59], v[88:89], v[32:33]
	v_fma_f64 v[32:33], -v[60:61], v[90:91], v[32:33]
	ds_read_b128 v[84:87], v71 offset:4448
	s_waitcnt lgkmcnt(2)
	v_fma_f64 v[32:33], -v[62:63], v[72:73], v[32:33]
	v_fma_f64 v[32:33], -v[64:65], v[74:75], v[32:33]
	ds_read_b128 v[72:75], v71 offset:4464
	;; [unrolled: 4-line block ×3, first 2 shown]
	s_waitcnt lgkmcnt(2)
	v_fma_f64 v[32:33], -v[38:39], v[84:85], v[32:33]
	v_fma_f64 v[32:33], -v[40:41], v[86:87], v[32:33]
	s_waitcnt lgkmcnt(1)
	v_fma_f64 v[32:33], -v[34:35], v[72:73], v[32:33]
	v_mul_f64 v[30:31], v[80:81], v[30:31]
	v_fma_f64 v[32:33], -v[36:37], v[74:75], v[32:33]
	ds_read_b128 v[72:75], v71 offset:4608
	s_waitcnt lgkmcnt(1)
	v_fma_f64 v[32:33], -v[30:31], v[76:77], v[32:33]
	v_mul_f64 v[32:33], v[78:79], v[32:33]
	ds_read_b128 v[76:79], v71 offset:4624
	ds_read_b128 v[84:87], v71 offset:4640
	s_waitcnt lgkmcnt(2)
	v_fma_f64 v[26:27], -v[46:47], v[72:73], v[26:27]
	v_fma_f64 v[26:27], -v[48:49], v[74:75], v[26:27]
	ds_read_b128 v[72:75], v71 offset:4656
	s_waitcnt lgkmcnt(2)
	v_fma_f64 v[26:27], -v[50:51], v[76:77], v[26:27]
	v_fma_f64 v[26:27], -v[52:53], v[78:79], v[26:27]
	;; [unrolled: 4-line block ×7, first 2 shown]
	s_waitcnt lgkmcnt(1)
	v_fma_f64 v[26:27], -v[34:35], v[76:77], v[26:27]
	ds_read_b128 v[72:75], v71 offset:4864
	v_fma_f64 v[26:27], -v[36:37], v[78:79], v[26:27]
	s_waitcnt lgkmcnt(1)
	v_fma_f64 v[26:27], -v[30:31], v[84:85], v[26:27]
	ds_write2_b64 v66, v[30:31], v[32:33] offset1:32
	v_fma_f64 v[26:27], -v[32:33], v[86:87], v[26:27]
	v_mul_f64 v[26:27], v[82:83], v[26:27]
	ds_read_b128 v[76:79], v71 offset:4880
	ds_read_b128 v[80:83], v71 offset:4896
	;; [unrolled: 1-line block ×3, first 2 shown]
	s_waitcnt lgkmcnt(4)
	v_fma_f64 v[28:29], -v[46:47], v[72:73], v[28:29]
	v_fma_f64 v[28:29], -v[48:49], v[74:75], v[28:29]
	s_waitcnt lgkmcnt(2)
	v_fma_f64 v[28:29], -v[50:51], v[76:77], v[28:29]
	v_fma_f64 v[28:29], -v[52:53], v[78:79], v[28:29]
	ds_read_b128 v[72:75], v71 offset:4928
	ds_read_b128 v[76:79], v71 offset:4944
	s_waitcnt lgkmcnt(3)
	v_fma_f64 v[28:29], -v[54:55], v[80:81], v[28:29]
	v_fma_f64 v[28:29], -v[56:57], v[82:83], v[28:29]
	s_waitcnt lgkmcnt(2)
	v_fma_f64 v[28:29], -v[58:59], v[84:85], v[28:29]
	v_fma_f64 v[28:29], -v[60:61], v[86:87], v[28:29]
	ds_read_b128 v[80:83], v71 offset:4960
	s_waitcnt lgkmcnt(2)
	v_fma_f64 v[28:29], -v[62:63], v[72:73], v[28:29]
	v_fma_f64 v[28:29], -v[64:65], v[74:75], v[28:29]
	ds_read_b128 v[72:75], v71 offset:4976
	;; [unrolled: 4-line block ×6, first 2 shown]
	s_waitcnt lgkmcnt(2)
	v_fma_f64 v[28:29], -v[26:27], v[80:81], v[28:29]
	v_mul_f64 v[28:29], v[82:83], v[28:29]
	ds_read_b128 v[80:83], v71 offset:5152
	s_waitcnt lgkmcnt(2)
	v_fma_f64 v[22:23], -v[46:47], v[72:73], v[22:23]
	v_fma_f64 v[22:23], -v[48:49], v[74:75], v[22:23]
	ds_read_b128 v[72:75], v71 offset:5168
	s_waitcnt lgkmcnt(2)
	v_fma_f64 v[22:23], -v[50:51], v[76:77], v[22:23]
	v_fma_f64 v[22:23], -v[52:53], v[78:79], v[22:23]
	;; [unrolled: 4-line block ×8, first 2 shown]
	s_waitcnt lgkmcnt(1)
	v_fma_f64 v[22:23], -v[30:31], v[80:81], v[22:23]
	v_fma_f64 v[22:23], -v[32:33], v[82:83], v[22:23]
	s_waitcnt lgkmcnt(0)
	v_fma_f64 v[22:23], -v[26:27], v[72:73], v[22:23]
	v_fma_f64 v[22:23], -v[28:29], v[74:75], v[22:23]
	ds_read_b128 v[72:75], v71 offset:5376
	ds_write2_b64 v66, v[26:27], v[28:29] offset0:64 offset1:96
	ds_read2_b64 v[76:79], v67 offset0:148 offset1:214
	ds_read_b128 v[80:83], v71 offset:5392
	ds_read_b128 v[84:87], v71 offset:5408
	;; [unrolled: 1-line block ×3, first 2 shown]
	s_movk_i32 s7, 0x1800
	s_waitcnt lgkmcnt(5)
	v_fma_f64 v[24:25], -v[46:47], v[72:73], v[24:25]
	v_fma_f64 v[24:25], -v[48:49], v[74:75], v[24:25]
	s_waitcnt lgkmcnt(2)
	v_fma_f64 v[24:25], -v[50:51], v[80:81], v[24:25]
	v_fma_f64 v[24:25], -v[52:53], v[82:83], v[24:25]
	ds_read_b128 v[72:75], v71 offset:5440
	ds_read_b128 v[80:83], v71 offset:5456
	s_waitcnt lgkmcnt(3)
	v_fma_f64 v[24:25], -v[54:55], v[84:85], v[24:25]
	v_fma_f64 v[24:25], -v[56:57], v[86:87], v[24:25]
	s_waitcnt lgkmcnt(2)
	v_fma_f64 v[24:25], -v[58:59], v[88:89], v[24:25]
	v_fma_f64 v[24:25], -v[60:61], v[90:91], v[24:25]
	ds_read_b128 v[84:87], v71 offset:5472
	s_waitcnt lgkmcnt(2)
	v_fma_f64 v[24:25], -v[62:63], v[72:73], v[24:25]
	v_fma_f64 v[24:25], -v[64:65], v[74:75], v[24:25]
	ds_read_b128 v[72:75], v71 offset:5488
	s_waitcnt lgkmcnt(2)
	v_fma_f64 v[24:25], -v[42:43], v[80:81], v[24:25]
	v_fma_f64 v[24:25], -v[44:45], v[82:83], v[24:25]
	ds_read_b128 v[80:83], v71 offset:5504
	s_waitcnt lgkmcnt(2)
	v_fma_f64 v[24:25], -v[38:39], v[84:85], v[24:25]
	v_fma_f64 v[24:25], -v[40:41], v[86:87], v[24:25]
	ds_read_b128 v[84:87], v71 offset:5520
	s_waitcnt lgkmcnt(2)
	v_fma_f64 v[24:25], -v[34:35], v[72:73], v[24:25]
	v_fma_f64 v[24:25], -v[36:37], v[74:75], v[24:25]
	ds_read_b128 v[72:75], v71 offset:5536
	s_waitcnt lgkmcnt(2)
	v_fma_f64 v[24:25], -v[30:31], v[80:81], v[24:25]
	v_fma_f64 v[24:25], -v[32:33], v[82:83], v[24:25]
	s_waitcnt lgkmcnt(1)
	v_fma_f64 v[24:25], -v[26:27], v[84:85], v[24:25]
	v_mul_f64 v[22:23], v[76:77], v[22:23]
	v_fma_f64 v[24:25], -v[28:29], v[86:87], v[24:25]
	ds_read_b128 v[80:83], v71 offset:5632
	s_waitcnt lgkmcnt(1)
	v_fma_f64 v[24:25], -v[22:23], v[72:73], v[24:25]
	v_mul_f64 v[24:25], v[74:75], v[24:25]
	ds_read_b128 v[72:75], v71 offset:5648
	ds_read_b128 v[84:87], v71 offset:5664
	s_waitcnt lgkmcnt(2)
	v_fma_f64 v[18:19], -v[46:47], v[80:81], v[18:19]
	v_fma_f64 v[18:19], -v[48:49], v[82:83], v[18:19]
	ds_read_b128 v[80:83], v71 offset:5680
	s_waitcnt lgkmcnt(2)
	v_fma_f64 v[18:19], -v[50:51], v[72:73], v[18:19]
	v_fma_f64 v[18:19], -v[52:53], v[74:75], v[18:19]
	;; [unrolled: 4-line block ×5, first 2 shown]
	s_waitcnt lgkmcnt(1)
	v_fma_f64 v[18:19], -v[42:43], v[84:85], v[18:19]
	ds_read_b128 v[72:75], v71 offset:5744
	v_fma_f64 v[18:19], -v[44:45], v[86:87], v[18:19]
	s_waitcnt lgkmcnt(1)
	v_fma_f64 v[18:19], -v[38:39], v[80:81], v[18:19]
	v_fma_f64 v[18:19], -v[40:41], v[82:83], v[18:19]
	ds_read_b128 v[80:83], v71 offset:5760
	ds_read_b128 v[84:87], v71 offset:5776
	s_waitcnt lgkmcnt(2)
	v_fma_f64 v[18:19], -v[34:35], v[72:73], v[18:19]
	v_fma_f64 v[18:19], -v[36:37], v[74:75], v[18:19]
	ds_read_b128 v[72:75], v71 offset:5792
	s_waitcnt lgkmcnt(2)
	v_fma_f64 v[18:19], -v[30:31], v[80:81], v[18:19]
	v_fma_f64 v[18:19], -v[32:33], v[82:83], v[18:19]
	s_waitcnt lgkmcnt(1)
	v_fma_f64 v[18:19], -v[26:27], v[84:85], v[18:19]
	v_fma_f64 v[18:19], -v[28:29], v[86:87], v[18:19]
	;; [unrolled: 3-line block ×3, first 2 shown]
	ds_read_b128 v[72:75], v71 offset:5888
	ds_write2_b64 v66, v[22:23], v[24:25] offset0:128 offset1:160
	v_mul_f64 v[18:19], v[78:79], v[18:19]
	ds_read_b128 v[76:79], v71 offset:5904
	ds_read_b128 v[80:83], v71 offset:5920
	;; [unrolled: 1-line block ×3, first 2 shown]
	v_add_u32_e64 v88, s7, 0
	s_waitcnt lgkmcnt(4)
	v_fma_f64 v[20:21], -v[46:47], v[72:73], v[20:21]
	v_fma_f64 v[20:21], -v[48:49], v[74:75], v[20:21]
	s_waitcnt lgkmcnt(2)
	v_fma_f64 v[20:21], -v[50:51], v[76:77], v[20:21]
	v_fma_f64 v[20:21], -v[52:53], v[78:79], v[20:21]
	ds_read_b128 v[72:75], v71 offset:5952
	ds_read_b128 v[76:79], v71 offset:5968
	s_waitcnt lgkmcnt(3)
	v_fma_f64 v[20:21], -v[54:55], v[80:81], v[20:21]
	v_fma_f64 v[20:21], -v[56:57], v[82:83], v[20:21]
	s_waitcnt lgkmcnt(2)
	v_fma_f64 v[20:21], -v[58:59], v[84:85], v[20:21]
	v_fma_f64 v[20:21], -v[60:61], v[86:87], v[20:21]
	ds_read_b128 v[80:83], v71 offset:5984
	s_waitcnt lgkmcnt(2)
	v_fma_f64 v[20:21], -v[62:63], v[72:73], v[20:21]
	v_fma_f64 v[20:21], -v[64:65], v[74:75], v[20:21]
	ds_read_b128 v[72:75], v71 offset:6000
	;; [unrolled: 4-line block ×6, first 2 shown]
	s_waitcnt lgkmcnt(2)
	v_fma_f64 v[20:21], -v[26:27], v[80:81], v[20:21]
	v_fma_f64 v[20:21], -v[28:29], v[82:83], v[20:21]
	s_waitcnt lgkmcnt(1)
	v_fma_f64 v[20:21], -v[22:23], v[72:73], v[20:21]
	v_fma_f64 v[20:21], -v[24:25], v[74:75], v[20:21]
	ds_read_b128 v[72:75], v71 offset:6144
	s_waitcnt lgkmcnt(1)
	v_fma_f64 v[20:21], -v[18:19], v[76:77], v[20:21]
	v_mul_f64 v[20:21], v[78:79], v[20:21]
	ds_read_b128 v[76:79], v71 offset:6160
	ds_write2_b64 v66, v[18:19], v[20:21] offset0:192 offset1:224
	ds_read_b128 v[66:69], v71 offset:6176
	s_waitcnt lgkmcnt(3)
	v_fma_f64 v[14:15], -v[46:47], v[72:73], v[14:15]
	v_fma_f64 v[14:15], -v[48:49], v[74:75], v[14:15]
	ds_read_b128 v[72:75], v71 offset:6192
	s_waitcnt lgkmcnt(3)
	v_fma_f64 v[14:15], -v[50:51], v[76:77], v[14:15]
	v_fma_f64 v[14:15], -v[52:53], v[78:79], v[14:15]
	;; [unrolled: 4-line block ×10, first 2 shown]
	s_waitcnt lgkmcnt(1)
	v_fma_f64 v[14:15], -v[22:23], v[76:77], v[14:15]
	v_fma_f64 v[14:15], -v[24:25], v[78:79], v[14:15]
	s_waitcnt lgkmcnt(0)
	v_fma_f64 v[14:15], -v[18:19], v[66:67], v[14:15]
	v_fma_f64 v[14:15], -v[20:21], v[68:69], v[14:15]
	ds_read_b128 v[66:69], v71 offset:6400
	ds_read2_b64 v[72:75], v88 offset0:24 offset1:90
	ds_read_b128 v[76:79], v71 offset:6416
	ds_read_b128 v[80:83], v71 offset:6432
	;; [unrolled: 1-line block ×3, first 2 shown]
	s_mov_b32 s9, 32
	s_waitcnt lgkmcnt(4)
	v_fma_f64 v[16:17], -v[46:47], v[66:67], v[16:17]
	v_fma_f64 v[16:17], -v[48:49], v[68:69], v[16:17]
	s_waitcnt lgkmcnt(2)
	v_fma_f64 v[16:17], -v[50:51], v[76:77], v[16:17]
	v_fma_f64 v[16:17], -v[52:53], v[78:79], v[16:17]
	ds_read_b128 v[66:69], v71 offset:6464
	ds_read_b128 v[76:79], v71 offset:6480
	s_waitcnt lgkmcnt(3)
	v_fma_f64 v[16:17], -v[54:55], v[80:81], v[16:17]
	v_fma_f64 v[16:17], -v[56:57], v[82:83], v[16:17]
	s_waitcnt lgkmcnt(2)
	v_fma_f64 v[16:17], -v[58:59], v[84:85], v[16:17]
	v_fma_f64 v[16:17], -v[60:61], v[86:87], v[16:17]
	ds_read_b128 v[80:83], v71 offset:6496
	s_waitcnt lgkmcnt(2)
	v_fma_f64 v[16:17], -v[62:63], v[66:67], v[16:17]
	v_fma_f64 v[16:17], -v[64:65], v[68:69], v[16:17]
	ds_read_b128 v[66:69], v71 offset:6512
	;; [unrolled: 4-line block ×8, first 2 shown]
	s_waitcnt lgkmcnt(2)
	v_fma_f64 v[16:17], -v[18:19], v[76:77], v[16:17]
	v_mul_f64 v[14:15], v[72:73], v[14:15]
	v_fma_f64 v[16:17], -v[20:21], v[78:79], v[16:17]
	ds_read_b128 v[76:79], v71 offset:6672
	s_waitcnt lgkmcnt(2)
	v_fma_f64 v[16:17], -v[14:15], v[80:81], v[16:17]
	v_mul_f64 v[16:17], v[82:83], v[16:17]
	ds_read_b128 v[80:83], v71 offset:6688
	s_waitcnt lgkmcnt(2)
	v_fma_f64 v[10:11], -v[46:47], v[66:67], v[10:11]
	v_fma_f64 v[10:11], -v[48:49], v[68:69], v[10:11]
	ds_read_b128 v[66:69], v71 offset:6704
	s_waitcnt lgkmcnt(2)
	v_fma_f64 v[10:11], -v[50:51], v[76:77], v[10:11]
	v_fma_f64 v[10:11], -v[52:53], v[78:79], v[10:11]
	ds_read_b128 v[76:79], v71 offset:6720
	s_waitcnt lgkmcnt(2)
	v_fma_f64 v[10:11], -v[54:55], v[80:81], v[10:11]
	v_fma_f64 v[10:11], -v[56:57], v[82:83], v[10:11]
	ds_read_b128 v[80:83], v71 offset:6736
	s_waitcnt lgkmcnt(2)
	v_fma_f64 v[10:11], -v[58:59], v[66:67], v[10:11]
	v_fma_f64 v[10:11], -v[60:61], v[68:69], v[10:11]
	ds_read_b128 v[66:69], v71 offset:6752
	s_waitcnt lgkmcnt(2)
	v_fma_f64 v[10:11], -v[62:63], v[76:77], v[10:11]
	v_fma_f64 v[10:11], -v[64:65], v[78:79], v[10:11]
	ds_read_b128 v[76:79], v71 offset:6768
	s_waitcnt lgkmcnt(2)
	v_fma_f64 v[10:11], -v[42:43], v[80:81], v[10:11]
	v_fma_f64 v[10:11], -v[44:45], v[82:83], v[10:11]
	ds_read_b128 v[80:83], v71 offset:6784
	s_waitcnt lgkmcnt(2)
	v_fma_f64 v[10:11], -v[38:39], v[66:67], v[10:11]
	v_fma_f64 v[10:11], -v[40:41], v[68:69], v[10:11]
	ds_read_b128 v[66:69], v71 offset:6800
	s_waitcnt lgkmcnt(2)
	v_fma_f64 v[10:11], -v[34:35], v[76:77], v[10:11]
	v_fma_f64 v[10:11], -v[36:37], v[78:79], v[10:11]
	ds_read_b128 v[76:79], v71 offset:6816
	s_waitcnt lgkmcnt(2)
	v_fma_f64 v[10:11], -v[30:31], v[80:81], v[10:11]
	v_fma_f64 v[10:11], -v[32:33], v[82:83], v[10:11]
	ds_read_b128 v[80:83], v71 offset:6832
	s_waitcnt lgkmcnt(2)
	v_fma_f64 v[10:11], -v[26:27], v[66:67], v[10:11]
	v_fma_f64 v[10:11], -v[28:29], v[68:69], v[10:11]
	ds_read_b128 v[66:69], v71 offset:6848
	s_waitcnt lgkmcnt(2)
	v_fma_f64 v[10:11], -v[22:23], v[76:77], v[10:11]
	v_fma_f64 v[10:11], -v[24:25], v[78:79], v[10:11]
	s_waitcnt lgkmcnt(1)
	v_fma_f64 v[10:11], -v[18:19], v[80:81], v[10:11]
	ds_read_b128 v[76:79], v71 offset:6912
	v_fma_f64 v[10:11], -v[20:21], v[82:83], v[10:11]
	s_waitcnt lgkmcnt(1)
	v_fma_f64 v[10:11], -v[14:15], v[66:67], v[10:11]
	ds_write2_b64 v70, v[14:15], v[16:17] offset1:32
	v_fma_f64 v[10:11], -v[16:17], v[68:69], v[10:11]
	v_mul_f64 v[66:67], v[74:75], v[10:11]
	ds_read_b128 v[72:75], v71 offset:6928
	ds_read_b128 v[80:83], v71 offset:6944
	;; [unrolled: 1-line block ×3, first 2 shown]
	s_waitcnt lgkmcnt(4)
	v_fma_f64 v[10:11], -v[46:47], v[76:77], v[12:13]
	v_fma_f64 v[10:11], -v[48:49], v[78:79], v[10:11]
	s_waitcnt lgkmcnt(2)
	v_fma_f64 v[10:11], -v[50:51], v[72:73], v[10:11]
	v_fma_f64 v[10:11], -v[52:53], v[74:75], v[10:11]
	s_waitcnt lgkmcnt(1)
	v_fma_f64 v[68:69], -v[54:55], v[80:81], v[10:11]
	ds_read_b128 v[10:13], v71 offset:6976
	ds_read_b128 v[72:75], v71 offset:6992
	v_fma_f64 v[68:69], -v[56:57], v[82:83], v[68:69]
	s_waitcnt lgkmcnt(2)
	v_fma_f64 v[68:69], -v[58:59], v[84:85], v[68:69]
	v_fma_f64 v[68:69], -v[60:61], v[86:87], v[68:69]
	s_waitcnt lgkmcnt(1)
	v_fma_f64 v[10:11], -v[62:63], v[10:11], v[68:69]
	ds_read_b128 v[76:79], v71 offset:7008
	v_fma_f64 v[10:11], -v[64:65], v[12:13], v[10:11]
	s_waitcnt lgkmcnt(1)
	v_fma_f64 v[68:69], -v[42:43], v[72:73], v[10:11]
	ds_read_b128 v[10:13], v71 offset:7024
	v_fma_f64 v[68:69], -v[44:45], v[74:75], v[68:69]
	ds_read_b128 v[72:75], v71 offset:7040
	s_waitcnt lgkmcnt(2)
	v_fma_f64 v[68:69], -v[38:39], v[76:77], v[68:69]
	v_fma_f64 v[68:69], -v[40:41], v[78:79], v[68:69]
	s_waitcnt lgkmcnt(1)
	v_fma_f64 v[10:11], -v[34:35], v[10:11], v[68:69]
	ds_read_b128 v[76:79], v71 offset:7056
	v_fma_f64 v[10:11], -v[36:37], v[12:13], v[10:11]
	s_waitcnt lgkmcnt(1)
	v_fma_f64 v[68:69], -v[30:31], v[72:73], v[10:11]
	ds_read_b128 v[10:13], v71 offset:7072
	v_fma_f64 v[68:69], -v[32:33], v[74:75], v[68:69]
	ds_read_b128 v[72:75], v71 offset:7088
	s_waitcnt lgkmcnt(2)
	v_fma_f64 v[68:69], -v[26:27], v[76:77], v[68:69]
	v_fma_f64 v[68:69], -v[28:29], v[78:79], v[68:69]
	s_waitcnt lgkmcnt(1)
	v_fma_f64 v[10:11], -v[22:23], v[10:11], v[68:69]
	ds_read_b128 v[76:79], v71 offset:7104
	v_fma_f64 v[10:11], -v[24:25], v[12:13], v[10:11]
	s_waitcnt lgkmcnt(1)
	v_fma_f64 v[68:69], -v[18:19], v[72:73], v[10:11]
	ds_read_b128 v[10:13], v71 offset:7120
	v_fma_f64 v[68:69], -v[20:21], v[74:75], v[68:69]
	s_waitcnt lgkmcnt(1)
	v_fma_f64 v[68:69], -v[14:15], v[76:77], v[68:69]
	v_fma_f64 v[68:69], -v[16:17], v[78:79], v[68:69]
	ds_read_b128 v[72:75], v71 offset:7168
	s_waitcnt lgkmcnt(1)
	v_fma_f64 v[10:11], -v[66:67], v[10:11], v[68:69]
	v_mul_f64 v[68:69], v[12:13], v[10:11]
	ds_read_b128 v[10:13], v71 offset:7184
	ds_read_b128 v[76:79], v71 offset:7200
	s_waitcnt lgkmcnt(2)
	v_fma_f64 v[6:7], -v[46:47], v[72:73], v[6:7]
	v_fma_f64 v[6:7], -v[48:49], v[74:75], v[6:7]
	ds_read_b128 v[72:75], v71 offset:7216
	s_waitcnt lgkmcnt(2)
	v_fma_f64 v[6:7], -v[50:51], v[10:11], v[6:7]
	v_fma_f64 v[6:7], -v[52:53], v[12:13], v[6:7]
	;; [unrolled: 4-line block ×10, first 2 shown]
	ds_read_b128 v[72:75], v71 offset:7360
	ds_read_b128 v[80:83], v71 offset:7376
	s_waitcnt lgkmcnt(3)
	v_fma_f64 v[6:7], -v[22:23], v[10:11], v[6:7]
	v_fma_f64 v[6:7], -v[24:25], v[12:13], v[6:7]
	s_waitcnt lgkmcnt(2)
	v_fma_f64 v[6:7], -v[18:19], v[76:77], v[6:7]
	v_fma_f64 v[6:7], -v[20:21], v[78:79], v[6:7]
	;; [unrolled: 3-line block ×3, first 2 shown]
	ds_read_b128 v[72:75], v71 offset:7424
	ds_write2_b64 v70, v[66:67], v[68:69] offset0:64 offset1:96
	s_waitcnt lgkmcnt(2)
	v_fma_f64 v[6:7], -v[66:67], v[80:81], v[6:7]
	ds_read2_b64 v[10:13], v88 offset0:156 offset1:222
	v_fma_f64 v[6:7], -v[68:69], v[82:83], v[6:7]
	ds_read_b128 v[76:79], v71 offset:7440
	ds_read_b128 v[80:83], v71 offset:7456
	ds_read_b128 v[84:87], v71 offset:7472
	s_waitcnt lgkmcnt(5)
	v_fma_f64 v[8:9], -v[46:47], v[72:73], v[8:9]
	v_fma_f64 v[8:9], -v[48:49], v[74:75], v[8:9]
	s_waitcnt lgkmcnt(2)
	v_fma_f64 v[8:9], -v[50:51], v[76:77], v[8:9]
	v_fma_f64 v[8:9], -v[52:53], v[78:79], v[8:9]
	v_mul_f64 v[6:7], v[10:11], v[6:7]
	s_waitcnt lgkmcnt(1)
	v_fma_f64 v[72:73], -v[54:55], v[80:81], v[8:9]
	ds_read_b128 v[8:11], v71 offset:7488
	v_fma_f64 v[72:73], -v[56:57], v[82:83], v[72:73]
	s_waitcnt lgkmcnt(1)
	v_fma_f64 v[76:77], -v[58:59], v[84:85], v[72:73]
	ds_read_b128 v[72:75], v71 offset:7504
	v_fma_f64 v[76:77], -v[60:61], v[86:87], v[76:77]
	;; [unrolled: 4-line block ×11, first 2 shown]
	s_waitcnt lgkmcnt(1)
	v_fma_f64 v[8:9], -v[66:67], v[8:9], v[76:77]
	v_fma_f64 v[8:9], -v[68:69], v[10:11], v[8:9]
	ds_read_b128 v[76:79], v71 offset:7680
	s_waitcnt lgkmcnt(1)
	v_fma_f64 v[8:9], -v[6:7], v[72:73], v[8:9]
	v_mul_f64 v[8:9], v[74:75], v[8:9]
	ds_write2_b64 v70, v[6:7], v[8:9] offset0:128 offset1:160
	ds_read_b128 v[72:75], v71 offset:7696
	ds_read_b128 v[80:83], v71 offset:7712
	;; [unrolled: 1-line block ×3, first 2 shown]
	s_waitcnt lgkmcnt(4)
	v_fma_f64 v[2:3], -v[46:47], v[76:77], v[2:3]
	v_fma_f64 v[2:3], -v[48:49], v[78:79], v[2:3]
	s_waitcnt lgkmcnt(2)
	v_fma_f64 v[2:3], -v[50:51], v[72:73], v[2:3]
	v_fma_f64 v[2:3], -v[52:53], v[74:75], v[2:3]
	ds_read_b128 v[72:75], v71 offset:7744
	ds_read_b128 v[76:79], v71 offset:7760
	s_waitcnt lgkmcnt(3)
	v_fma_f64 v[2:3], -v[54:55], v[80:81], v[2:3]
	v_fma_f64 v[2:3], -v[56:57], v[82:83], v[2:3]
	s_waitcnt lgkmcnt(2)
	v_fma_f64 v[2:3], -v[58:59], v[84:85], v[2:3]
	v_fma_f64 v[2:3], -v[60:61], v[86:87], v[2:3]
	ds_read_b128 v[80:83], v71 offset:7776
	s_waitcnt lgkmcnt(2)
	v_fma_f64 v[2:3], -v[62:63], v[72:73], v[2:3]
	v_fma_f64 v[2:3], -v[64:65], v[74:75], v[2:3]
	ds_read_b128 v[72:75], v71 offset:7792
	;; [unrolled: 4-line block ×5, first 2 shown]
	s_waitcnt lgkmcnt(2)
	v_fma_f64 v[2:3], -v[30:31], v[76:77], v[2:3]
	v_fma_f64 v[2:3], -v[32:33], v[78:79], v[2:3]
	s_waitcnt lgkmcnt(1)
	v_fma_f64 v[2:3], -v[26:27], v[80:81], v[2:3]
	ds_read_b128 v[76:79], v71 offset:7856
	v_fma_f64 v[2:3], -v[28:29], v[82:83], v[2:3]
	s_waitcnt lgkmcnt(1)
	v_fma_f64 v[2:3], -v[22:23], v[72:73], v[2:3]
	v_fma_f64 v[2:3], -v[24:25], v[74:75], v[2:3]
	ds_read_b128 v[72:75], v71 offset:7872
	ds_read_b128 v[80:83], v71 offset:7888
	s_waitcnt lgkmcnt(2)
	v_fma_f64 v[2:3], -v[18:19], v[76:77], v[2:3]
	v_fma_f64 v[2:3], -v[20:21], v[78:79], v[2:3]
	ds_read_b128 v[76:79], v71 offset:7904
	s_waitcnt lgkmcnt(2)
	v_fma_f64 v[2:3], -v[14:15], v[72:73], v[2:3]
	v_fma_f64 v[2:3], -v[16:17], v[74:75], v[2:3]
	s_waitcnt lgkmcnt(1)
	v_fma_f64 v[2:3], -v[66:67], v[80:81], v[2:3]
	ds_read_b128 v[72:75], v71 offset:7936
	v_fma_f64 v[2:3], -v[68:69], v[82:83], v[2:3]
	s_waitcnt lgkmcnt(1)
	v_fma_f64 v[2:3], -v[6:7], v[76:77], v[2:3]
	v_fma_f64 v[2:3], -v[8:9], v[78:79], v[2:3]
	v_mul_f64 v[84:85], v[12:13], v[2:3]
	ds_read_b128 v[10:13], v71 offset:7952
	ds_read_b128 v[76:79], v71 offset:7968
	ds_read_b128 v[80:83], v71 offset:7984
	s_waitcnt lgkmcnt(3)
	v_fma_f64 v[2:3], -v[46:47], v[72:73], v[4:5]
	v_fma_f64 v[2:3], -v[48:49], v[74:75], v[2:3]
	s_waitcnt lgkmcnt(2)
	v_fma_f64 v[2:3], -v[50:51], v[10:11], v[2:3]
	v_fma_f64 v[2:3], -v[52:53], v[12:13], v[2:3]
	s_waitcnt lgkmcnt(1)
	v_fma_f64 v[10:11], -v[54:55], v[76:77], v[2:3]
	ds_read_b128 v[2:5], v71 offset:8000
	v_fma_f64 v[10:11], -v[56:57], v[78:79], v[10:11]
	s_waitcnt lgkmcnt(1)
	v_fma_f64 v[46:47], -v[58:59], v[80:81], v[10:11]
	ds_read_b128 v[10:13], v71 offset:8016
	;; [unrolled: 4-line block ×9, first 2 shown]
	v_fma_f64 v[2:3], -v[24:25], v[4:5], v[2:3]
	s_waitcnt lgkmcnt(1)
	v_fma_f64 v[2:3], -v[18:19], v[10:11], v[2:3]
	v_fma_f64 v[10:11], -v[20:21], v[12:13], v[2:3]
	ds_read_b128 v[2:5], v71 offset:8144
	s_waitcnt lgkmcnt(1)
	v_fma_f64 v[14:15], -v[14:15], v[26:27], v[10:11]
	ds_read_b128 v[10:13], v71 offset:8160
	v_fma_f64 v[18:19], -v[16:17], v[28:29], v[14:15]
	ds_read_b128 v[14:17], v71 offset:8176
	s_waitcnt lgkmcnt(2)
	v_fma_f64 v[2:3], -v[66:67], v[2:3], v[18:19]
	v_fma_f64 v[2:3], -v[68:69], v[4:5], v[2:3]
	s_waitcnt lgkmcnt(1)
	v_fma_f64 v[2:3], -v[6:7], v[10:11], v[2:3]
	v_fma_f64 v[2:3], -v[8:9], v[12:13], v[2:3]
	s_waitcnt lgkmcnt(0)
	v_fma_f64 v[2:3], -v[84:85], v[14:15], v[2:3]
	v_mul_f64 v[2:3], v[16:17], v[2:3]
	ds_write2_b64 v70, v[84:85], v[2:3] offset0:192 offset1:224
.LBB102_12:
	s_cmp_lt_i32 s9, s22
	s_cbranch_scc0 .LBB102_23
; %bb.13:
	s_or_b32 s7, s9, 27
	s_cmp_ge_u32 s7, s22
	s_cbranch_scc1 .LBB102_18
; %bb.14:
	s_lshl_b32 s8, s9, 8
	v_add_u32_e32 v63, s8, v1
	v_add_u32_e32 v2, 0x800, v63
	ds_read2_b64 v[50:53], v63 offset1:32
	ds_read2_b64 v[46:49], v63 offset0:64 offset1:96
	ds_read2_b64 v[42:45], v63 offset0:128 offset1:160
	;; [unrolled: 1-line block ×3, first 2 shown]
	ds_read2_b64 v[34:37], v2 offset1:32
	ds_read2_b64 v[30:33], v2 offset0:64 offset1:96
	ds_read2_b64 v[26:29], v2 offset0:128 offset1:160
	ds_read2_b64 v[22:25], v2 offset0:192 offset1:224
	v_add_u32_e32 v2, 0x1000, v63
	ds_read2_b64 v[18:21], v2 offset1:32
	ds_read2_b64 v[14:17], v2 offset0:64 offset1:96
	ds_read2_b64 v[10:13], v2 offset0:128 offset1:160
	;; [unrolled: 1-line block ×3, first 2 shown]
	v_add_u32_e32 v2, 0x1800, v63
	s_lshl_b32 s7, s7, 8
	ds_read2_b64 v[2:5], v2 offset1:32
	v_add_u32_e32 v62, s7, v1
	ds_read_b64 v[60:61], v63 offset:6656
	ds_read_b64 v[58:59], v62
	s_andn2_b64 vcc, exec, s[4:5]
	s_cbranch_vccnz .LBB102_17
; %bb.15:
	v_mov_b32_e32 v54, 0x2000
	v_lshl_or_b32 v64, v0, 3, v54
	s_mov_b32 s4, s9
	s_mov_b32 s5, s8
.LBB102_16:                             ; =>This Inner Loop Header: Depth=1
	ds_read2_b64 v[54:57], v64 offset1:32
	v_mov_b32_e32 v65, s5
	ds_read_b128 v[66:69], v65
	ds_read_b128 v[70:73], v65 offset:256
	ds_read_b128 v[74:77], v65 offset:512
	;; [unrolled: 1-line block ×24, first 2 shown]
	s_add_i32 s5, s5, 16
	s_add_i32 s4, s4, -2
	s_waitcnt lgkmcnt(14)
	v_fma_f64 v[50:51], -v[54:55], v[66:67], v[50:51]
	v_fma_f64 v[52:53], -v[54:55], v[70:71], v[52:53]
	v_fma_f64 v[46:47], -v[54:55], v[74:75], v[46:47]
	v_fma_f64 v[50:51], -v[56:57], v[68:69], v[50:51]
	ds_read_b128 v[66:69], v65 offset:6400
	v_fma_f64 v[52:53], -v[56:57], v[72:73], v[52:53]
	ds_read_b128 v[70:73], v65 offset:6656
	v_fma_f64 v[46:47], -v[56:57], v[76:77], v[46:47]
	;; [unrolled: 2-line block ×3, first 2 shown]
	v_fma_f64 v[44:45], -v[54:55], v[86:87], v[44:45]
	v_fma_f64 v[38:39], -v[54:55], v[90:91], v[38:39]
	;; [unrolled: 1-line block ×6, first 2 shown]
	s_waitcnt lgkmcnt(14)
	v_fma_f64 v[32:33], -v[54:55], v[110:111], v[32:33]
	v_fma_f64 v[26:27], -v[54:55], v[114:115], v[26:27]
	;; [unrolled: 1-line block ×3, first 2 shown]
	s_waitcnt lgkmcnt(13)
	v_fma_f64 v[22:23], -v[54:55], v[122:123], v[22:23]
	s_waitcnt lgkmcnt(12)
	v_fma_f64 v[24:25], -v[54:55], v[126:127], v[24:25]
	;; [unrolled: 2-line block ×12, first 2 shown]
	v_fma_f64 v[48:49], -v[54:55], v[78:79], v[48:49]
	s_waitcnt lgkmcnt(1)
	v_fma_f64 v[60:61], -v[54:55], v[70:71], v[60:61]
	s_waitcnt lgkmcnt(0)
	v_fma_f64 v[54:55], -v[54:55], v[74:75], v[58:59]
	v_add_u32_e32 v64, 0x200, v64
	s_cmp_lg_u32 s4, 0
	v_fma_f64 v[48:49], -v[56:57], v[80:81], v[48:49]
	v_fma_f64 v[42:43], -v[56:57], v[84:85], v[42:43]
	;; [unrolled: 1-line block ×25, first 2 shown]
	s_cbranch_scc1 .LBB102_16
.LBB102_17:
	s_lshl_b32 s5, s9, 3
	s_add_i32 s4, s5, s8
	v_mov_b32_e32 v54, s4
	s_or_b32 s4, s9, 28
	s_or_b32 s9, s8, 0x100
	s_add_i32 s12, s5, s9
	ds_read2_b64 v[64:67], v54 offset1:66
	v_mov_b32_e32 v55, s12
	ds_read_b128 v[68:71], v55
	s_or_b32 s12, s8, 0x200
	s_add_i32 s13, s5, s12
	v_mov_b32_e32 v55, s13
	ds_read_b128 v[72:75], v55
	s_waitcnt lgkmcnt(2)
	v_mul_f64 v[50:51], v[64:65], v[50:51]
	s_waitcnt lgkmcnt(1)
	v_fma_f64 v[52:53], -v[50:51], v[68:69], v[52:53]
	v_add_u32_e32 v55, s9, v1
	s_or_b32 s9, s8, 0x300
	v_mul_f64 v[52:53], v[70:71], v[52:53]
	s_add_i32 s13, s5, s9
	ds_write_b64 v55, v[52:53]
	v_mov_b32_e32 v55, s13
	s_waitcnt lgkmcnt(1)
	v_fma_f64 v[46:47], -v[50:51], v[72:73], v[46:47]
	ds_read_b128 v[68:71], v55
	v_fma_f64 v[46:47], -v[52:53], v[74:75], v[46:47]
	v_mul_f64 v[46:47], v[66:67], v[46:47]
	ds_read_b128 v[64:67], v55 offset:16
	v_add_u32_e32 v55, s12, v1
	s_waitcnt lgkmcnt(1)
	v_fma_f64 v[48:49], -v[50:51], v[68:69], v[48:49]
	s_or_b32 s12, s8, 0x400
	v_fma_f64 v[48:49], -v[52:53], v[70:71], v[48:49]
	s_add_i32 s13, s5, s12
	ds_write_b64 v55, v[46:47]
	s_waitcnt lgkmcnt(1)
	v_fma_f64 v[48:49], -v[46:47], v[64:65], v[48:49]
	v_mov_b32_e32 v55, s13
	v_mul_f64 v[48:49], v[66:67], v[48:49]
	ds_read_b128 v[64:67], v55
	ds_read_b128 v[68:71], v55 offset:16
	v_add_u32_e32 v56, s9, v1
	s_or_b32 s9, s8, 0x500
	s_add_i32 s13, s5, s9
	s_waitcnt lgkmcnt(1)
	v_fma_f64 v[42:43], -v[50:51], v[64:65], v[42:43]
	v_mov_b32_e32 v55, s13
	v_fma_f64 v[42:43], -v[52:53], v[66:67], v[42:43]
	ds_read_b128 v[64:67], v55
	s_waitcnt lgkmcnt(1)
	v_fma_f64 v[42:43], -v[46:47], v[68:69], v[42:43]
	v_fma_f64 v[42:43], -v[48:49], v[70:71], v[42:43]
	ds_read_b128 v[68:71], v55 offset:16
	ds_write_b64 v56, v[48:49]
	ds_read2_b64 v[72:75], v54 offset0:132 offset1:198
	v_add_u32_e32 v56, s12, v1
	s_or_b32 s12, s8, 0x600
	ds_read_b128 v[76:79], v55 offset:32
	s_add_i32 s13, s5, s12
	s_waitcnt lgkmcnt(4)
	v_fma_f64 v[44:45], -v[50:51], v[64:65], v[44:45]
	v_mov_b32_e32 v55, s13
	v_fma_f64 v[44:45], -v[52:53], v[66:67], v[44:45]
	ds_read_b128 v[64:67], v55
	s_waitcnt lgkmcnt(4)
	v_fma_f64 v[44:45], -v[46:47], v[68:69], v[44:45]
	s_waitcnt lgkmcnt(2)
	v_mul_f64 v[42:43], v[72:73], v[42:43]
	v_fma_f64 v[44:45], -v[48:49], v[70:71], v[44:45]
	ds_read_b128 v[68:71], v55 offset:16
	s_waitcnt lgkmcnt(2)
	v_fma_f64 v[44:45], -v[42:43], v[76:77], v[44:45]
	v_mul_f64 v[44:45], v[78:79], v[44:45]
	ds_read_b128 v[76:79], v55 offset:32
	s_waitcnt lgkmcnt(2)
	v_fma_f64 v[38:39], -v[50:51], v[64:65], v[38:39]
	ds_write_b64 v56, v[42:43]
	v_add_u32_e32 v56, s9, v1
	v_fma_f64 v[38:39], -v[52:53], v[66:67], v[38:39]
	s_or_b32 s9, s8, 0x700
	s_waitcnt lgkmcnt(2)
	v_fma_f64 v[38:39], -v[46:47], v[68:69], v[38:39]
	v_add_u32_e32 v55, s12, v1
	s_add_i32 s12, s5, s9
	ds_write_b64 v56, v[44:45]
	v_fma_f64 v[38:39], -v[48:49], v[70:71], v[38:39]
	v_mov_b32_e32 v56, s12
	s_waitcnt lgkmcnt(2)
	v_fma_f64 v[38:39], -v[42:43], v[76:77], v[38:39]
	ds_read_b128 v[64:67], v56
	v_fma_f64 v[38:39], -v[44:45], v[78:79], v[38:39]
	v_mul_f64 v[38:39], v[74:75], v[38:39]
	ds_write_b64 v63, v[50:51]
	ds_write_b64 v55, v[38:39]
	ds_read_b128 v[68:71], v56 offset:16
	ds_read_b128 v[72:75], v56 offset:32
	;; [unrolled: 1-line block ×3, first 2 shown]
	s_waitcnt lgkmcnt(5)
	v_fma_f64 v[40:41], -v[50:51], v[64:65], v[40:41]
	v_fma_f64 v[40:41], -v[52:53], v[66:67], v[40:41]
	s_waitcnt lgkmcnt(2)
	v_fma_f64 v[40:41], -v[46:47], v[68:69], v[40:41]
	v_add_u32_e32 v55, s9, v1
	s_or_b32 s9, s8, 0x800
	v_fma_f64 v[40:41], -v[48:49], v[70:71], v[40:41]
	s_add_i32 s12, s5, s9
	s_waitcnt lgkmcnt(1)
	v_fma_f64 v[40:41], -v[42:43], v[72:73], v[40:41]
	v_mov_b32_e32 v56, s12
	v_fma_f64 v[40:41], -v[44:45], v[74:75], v[40:41]
	ds_read_b128 v[64:67], v56
	s_waitcnt lgkmcnt(1)
	v_fma_f64 v[40:41], -v[38:39], v[76:77], v[40:41]
	v_mul_f64 v[40:41], v[78:79], v[40:41]
	ds_write_b64 v55, v[40:41]
	ds_read_b128 v[68:71], v56 offset:16
	ds_read_b128 v[72:75], v56 offset:32
	;; [unrolled: 1-line block ×3, first 2 shown]
	s_waitcnt lgkmcnt(4)
	v_fma_f64 v[34:35], -v[50:51], v[64:65], v[34:35]
	v_fma_f64 v[34:35], -v[52:53], v[66:67], v[34:35]
	s_waitcnt lgkmcnt(2)
	v_fma_f64 v[34:35], -v[46:47], v[68:69], v[34:35]
	v_add_u32_e32 v55, 0x800, v54
	v_fma_f64 v[34:35], -v[48:49], v[70:71], v[34:35]
	ds_read2_b64 v[64:67], v55 offset0:8 offset1:74
	v_add_u32_e32 v56, s9, v1
	s_or_b32 s9, s8, 0x900
	s_waitcnt lgkmcnt(2)
	v_fma_f64 v[34:35], -v[42:43], v[72:73], v[34:35]
	s_add_i32 s12, s5, s9
	v_fma_f64 v[34:35], -v[44:45], v[74:75], v[34:35]
	v_mov_b32_e32 v57, s12
	s_waitcnt lgkmcnt(1)
	v_fma_f64 v[34:35], -v[38:39], v[76:77], v[34:35]
	ds_read_b128 v[68:71], v57
	v_fma_f64 v[34:35], -v[40:41], v[78:79], v[34:35]
	s_waitcnt lgkmcnt(1)
	v_mul_f64 v[34:35], v[64:65], v[34:35]
	ds_write_b64 v56, v[34:35]
	ds_read_b128 v[72:75], v57 offset:16
	ds_read_b128 v[76:79], v57 offset:32
	;; [unrolled: 1-line block ×3, first 2 shown]
	s_waitcnt lgkmcnt(4)
	v_fma_f64 v[36:37], -v[50:51], v[68:69], v[36:37]
	v_fma_f64 v[36:37], -v[52:53], v[70:71], v[36:37]
	s_waitcnt lgkmcnt(2)
	v_fma_f64 v[36:37], -v[46:47], v[72:73], v[36:37]
	v_fma_f64 v[36:37], -v[48:49], v[74:75], v[36:37]
	ds_read_b128 v[68:71], v57 offset:64
	s_waitcnt lgkmcnt(2)
	v_fma_f64 v[36:37], -v[42:43], v[76:77], v[36:37]
	s_or_b32 s12, s8, 0xa00
	v_fma_f64 v[36:37], -v[44:45], v[78:79], v[36:37]
	s_add_i32 s13, s5, s12
	s_waitcnt lgkmcnt(1)
	v_fma_f64 v[36:37], -v[38:39], v[80:81], v[36:37]
	v_mov_b32_e32 v56, s13
	v_fma_f64 v[36:37], -v[40:41], v[82:83], v[36:37]
	ds_read_b128 v[72:75], v56
	s_waitcnt lgkmcnt(1)
	v_fma_f64 v[36:37], -v[34:35], v[68:69], v[36:37]
	v_mul_f64 v[36:37], v[70:71], v[36:37]
	v_add_u32_e32 v57, s9, v1
	ds_write_b64 v57, v[36:37]
	ds_read_b128 v[68:71], v56 offset:16
	ds_read_b128 v[76:79], v56 offset:32
	;; [unrolled: 1-line block ×3, first 2 shown]
	s_waitcnt lgkmcnt(4)
	v_fma_f64 v[30:31], -v[50:51], v[72:73], v[30:31]
	v_fma_f64 v[30:31], -v[52:53], v[74:75], v[30:31]
	s_waitcnt lgkmcnt(2)
	v_fma_f64 v[30:31], -v[46:47], v[68:69], v[30:31]
	v_fma_f64 v[30:31], -v[48:49], v[70:71], v[30:31]
	ds_read_b128 v[68:71], v56 offset:64
	s_waitcnt lgkmcnt(2)
	v_fma_f64 v[30:31], -v[42:43], v[76:77], v[30:31]
	v_fma_f64 v[30:31], -v[44:45], v[78:79], v[30:31]
	s_waitcnt lgkmcnt(1)
	v_fma_f64 v[30:31], -v[38:39], v[80:81], v[30:31]
	v_fma_f64 v[30:31], -v[40:41], v[82:83], v[30:31]
	s_or_b32 s9, s8, 0xb00
	s_waitcnt lgkmcnt(0)
	v_fma_f64 v[30:31], -v[34:35], v[68:69], v[30:31]
	v_add_u32_e32 v56, s12, v1
	s_add_i32 s12, s5, s9
	v_fma_f64 v[30:31], -v[36:37], v[70:71], v[30:31]
	v_mov_b32_e32 v57, s12
	v_mul_f64 v[30:31], v[66:67], v[30:31]
	ds_read_b128 v[64:67], v57
	ds_write_b64 v56, v[30:31]
	ds_read_b128 v[68:71], v57 offset:16
	ds_read_b128 v[72:75], v57 offset:32
	;; [unrolled: 1-line block ×3, first 2 shown]
	v_add_u32_e32 v56, s9, v1
	s_or_b32 s9, s8, 0xc00
	s_waitcnt lgkmcnt(4)
	v_fma_f64 v[32:33], -v[50:51], v[64:65], v[32:33]
	v_fma_f64 v[32:33], -v[52:53], v[66:67], v[32:33]
	s_waitcnt lgkmcnt(2)
	v_fma_f64 v[32:33], -v[46:47], v[68:69], v[32:33]
	v_fma_f64 v[32:33], -v[48:49], v[70:71], v[32:33]
	ds_read_b128 v[64:67], v57 offset:64
	ds_read_b128 v[68:71], v57 offset:80
	s_waitcnt lgkmcnt(3)
	v_fma_f64 v[32:33], -v[42:43], v[72:73], v[32:33]
	v_fma_f64 v[32:33], -v[44:45], v[74:75], v[32:33]
	s_waitcnt lgkmcnt(2)
	v_fma_f64 v[32:33], -v[38:39], v[76:77], v[32:33]
	v_fma_f64 v[32:33], -v[40:41], v[78:79], v[32:33]
	s_add_i32 s12, s5, s9
	s_waitcnt lgkmcnt(1)
	v_fma_f64 v[32:33], -v[34:35], v[64:65], v[32:33]
	v_mov_b32_e32 v57, s12
	v_fma_f64 v[32:33], -v[36:37], v[66:67], v[32:33]
	ds_read_b128 v[64:67], v57
	s_waitcnt lgkmcnt(1)
	v_fma_f64 v[32:33], -v[30:31], v[68:69], v[32:33]
	v_mul_f64 v[32:33], v[70:71], v[32:33]
	ds_write_b64 v56, v[32:33]
	ds_read_b128 v[68:71], v57 offset:16
	ds_read_b128 v[72:75], v57 offset:32
	;; [unrolled: 1-line block ×3, first 2 shown]
	s_waitcnt lgkmcnt(4)
	v_fma_f64 v[26:27], -v[50:51], v[64:65], v[26:27]
	v_fma_f64 v[26:27], -v[52:53], v[66:67], v[26:27]
	s_waitcnt lgkmcnt(2)
	v_fma_f64 v[26:27], -v[46:47], v[68:69], v[26:27]
	v_fma_f64 v[26:27], -v[48:49], v[70:71], v[26:27]
	ds_read_b128 v[64:67], v57 offset:64
	s_waitcnt lgkmcnt(2)
	v_fma_f64 v[26:27], -v[42:43], v[72:73], v[26:27]
	v_fma_f64 v[26:27], -v[44:45], v[74:75], v[26:27]
	ds_read_b128 v[68:71], v57 offset:80
	s_waitcnt lgkmcnt(2)
	v_fma_f64 v[26:27], -v[38:39], v[76:77], v[26:27]
	v_fma_f64 v[26:27], -v[40:41], v[78:79], v[26:27]
	ds_read2_b64 v[72:75], v55 offset0:140 offset1:206
	v_add_u32_e32 v55, s9, v1
	s_or_b32 s9, s8, 0xd00
	s_waitcnt lgkmcnt(2)
	v_fma_f64 v[26:27], -v[34:35], v[64:65], v[26:27]
	s_add_i32 s12, s5, s9
	v_fma_f64 v[26:27], -v[36:37], v[66:67], v[26:27]
	v_mov_b32_e32 v56, s12
	ds_read_b128 v[64:67], v56
	s_waitcnt lgkmcnt(2)
	v_fma_f64 v[26:27], -v[30:31], v[68:69], v[26:27]
	v_fma_f64 v[26:27], -v[32:33], v[70:71], v[26:27]
	s_waitcnt lgkmcnt(1)
	v_mul_f64 v[26:27], v[72:73], v[26:27]
	ds_write_b64 v55, v[26:27]
	ds_read_b128 v[68:71], v56 offset:16
	ds_read_b128 v[76:79], v56 offset:32
	;; [unrolled: 1-line block ×3, first 2 shown]
	s_waitcnt lgkmcnt(4)
	v_fma_f64 v[28:29], -v[50:51], v[64:65], v[28:29]
	v_fma_f64 v[28:29], -v[52:53], v[66:67], v[28:29]
	s_waitcnt lgkmcnt(2)
	v_fma_f64 v[28:29], -v[46:47], v[68:69], v[28:29]
	v_fma_f64 v[28:29], -v[48:49], v[70:71], v[28:29]
	ds_read_b128 v[64:67], v56 offset:64
	ds_read_b128 v[68:71], v56 offset:80
	s_waitcnt lgkmcnt(3)
	v_fma_f64 v[28:29], -v[42:43], v[76:77], v[28:29]
	v_fma_f64 v[28:29], -v[44:45], v[78:79], v[28:29]
	s_waitcnt lgkmcnt(2)
	v_fma_f64 v[28:29], -v[38:39], v[80:81], v[28:29]
	v_fma_f64 v[28:29], -v[40:41], v[82:83], v[28:29]
	;; [unrolled: 3-line block ×3, first 2 shown]
	ds_read_b128 v[64:67], v56 offset:96
	s_or_b32 s12, s8, 0xe00
	s_add_i32 s13, s5, s12
	s_waitcnt lgkmcnt(1)
	v_fma_f64 v[28:29], -v[30:31], v[68:69], v[28:29]
	v_mov_b32_e32 v55, s13
	v_fma_f64 v[28:29], -v[32:33], v[70:71], v[28:29]
	ds_read_b128 v[68:71], v55
	s_waitcnt lgkmcnt(1)
	v_fma_f64 v[28:29], -v[26:27], v[64:65], v[28:29]
	v_mul_f64 v[28:29], v[66:67], v[28:29]
	v_add_u32_e32 v56, s9, v1
	ds_write_b64 v56, v[28:29]
	ds_read_b128 v[64:67], v55 offset:16
	ds_read_b128 v[76:79], v55 offset:32
	;; [unrolled: 1-line block ×3, first 2 shown]
	s_waitcnt lgkmcnt(4)
	v_fma_f64 v[22:23], -v[50:51], v[68:69], v[22:23]
	v_fma_f64 v[22:23], -v[52:53], v[70:71], v[22:23]
	s_waitcnt lgkmcnt(2)
	v_fma_f64 v[22:23], -v[46:47], v[64:65], v[22:23]
	v_fma_f64 v[22:23], -v[48:49], v[66:67], v[22:23]
	ds_read_b128 v[64:67], v55 offset:64
	ds_read_b128 v[68:71], v55 offset:80
	s_waitcnt lgkmcnt(3)
	v_fma_f64 v[22:23], -v[42:43], v[76:77], v[22:23]
	v_fma_f64 v[22:23], -v[44:45], v[78:79], v[22:23]
	s_waitcnt lgkmcnt(2)
	v_fma_f64 v[22:23], -v[38:39], v[80:81], v[22:23]
	v_fma_f64 v[22:23], -v[40:41], v[82:83], v[22:23]
	ds_read_b128 v[76:79], v55 offset:96
	s_waitcnt lgkmcnt(2)
	v_fma_f64 v[22:23], -v[34:35], v[64:65], v[22:23]
	v_fma_f64 v[22:23], -v[36:37], v[66:67], v[22:23]
	s_or_b32 s9, s8, 0xf00
	s_waitcnt lgkmcnt(1)
	v_fma_f64 v[22:23], -v[30:31], v[68:69], v[22:23]
	v_add_u32_e32 v55, s12, v1
	s_add_i32 s12, s5, s9
	v_fma_f64 v[22:23], -v[32:33], v[70:71], v[22:23]
	v_mov_b32_e32 v56, s12
	s_waitcnt lgkmcnt(0)
	v_fma_f64 v[22:23], -v[26:27], v[76:77], v[22:23]
	ds_read_b128 v[64:67], v56
	v_fma_f64 v[22:23], -v[28:29], v[78:79], v[22:23]
	v_mul_f64 v[22:23], v[74:75], v[22:23]
	ds_write_b64 v55, v[22:23]
	ds_read_b128 v[68:71], v56 offset:16
	ds_read_b128 v[72:75], v56 offset:32
	ds_read_b128 v[76:79], v56 offset:48
	s_waitcnt lgkmcnt(4)
	v_fma_f64 v[24:25], -v[50:51], v[64:65], v[24:25]
	v_fma_f64 v[24:25], -v[52:53], v[66:67], v[24:25]
	s_waitcnt lgkmcnt(2)
	v_fma_f64 v[24:25], -v[46:47], v[68:69], v[24:25]
	v_fma_f64 v[24:25], -v[48:49], v[70:71], v[24:25]
	ds_read_b128 v[64:67], v56 offset:64
	ds_read_b128 v[68:71], v56 offset:80
	s_waitcnt lgkmcnt(3)
	v_fma_f64 v[24:25], -v[42:43], v[72:73], v[24:25]
	v_fma_f64 v[24:25], -v[44:45], v[74:75], v[24:25]
	s_waitcnt lgkmcnt(2)
	v_fma_f64 v[24:25], -v[38:39], v[76:77], v[24:25]
	v_fma_f64 v[24:25], -v[40:41], v[78:79], v[24:25]
	ds_read_b128 v[72:75], v56 offset:96
	s_waitcnt lgkmcnt(2)
	v_fma_f64 v[24:25], -v[34:35], v[64:65], v[24:25]
	v_fma_f64 v[24:25], -v[36:37], v[66:67], v[24:25]
	ds_read_b128 v[64:67], v56 offset:112
	s_waitcnt lgkmcnt(2)
	v_fma_f64 v[24:25], -v[30:31], v[68:69], v[24:25]
	v_fma_f64 v[24:25], -v[32:33], v[70:71], v[24:25]
	s_waitcnt lgkmcnt(1)
	v_fma_f64 v[24:25], -v[26:27], v[72:73], v[24:25]
	v_add_u32_e32 v55, s9, v1
	s_or_b32 s9, s8, 0x1000
	v_fma_f64 v[24:25], -v[28:29], v[74:75], v[24:25]
	s_add_i32 s12, s5, s9
	s_waitcnt lgkmcnt(0)
	v_fma_f64 v[24:25], -v[22:23], v[64:65], v[24:25]
	v_mov_b32_e32 v56, s12
	v_mul_f64 v[24:25], v[66:67], v[24:25]
	ds_read_b128 v[64:67], v56
	ds_write_b64 v55, v[24:25]
	ds_read_b128 v[68:71], v56 offset:16
	ds_read_b128 v[72:75], v56 offset:32
	;; [unrolled: 1-line block ×3, first 2 shown]
	v_add_u32_e32 v55, 0x1000, v54
	v_add_u32_e32 v54, 0x1800, v54
	s_waitcnt lgkmcnt(4)
	v_fma_f64 v[18:19], -v[50:51], v[64:65], v[18:19]
	v_fma_f64 v[18:19], -v[52:53], v[66:67], v[18:19]
	s_waitcnt lgkmcnt(2)
	v_fma_f64 v[18:19], -v[46:47], v[68:69], v[18:19]
	v_fma_f64 v[18:19], -v[48:49], v[70:71], v[18:19]
	ds_read_b128 v[64:67], v56 offset:64
	ds_read_b128 v[68:71], v56 offset:80
	s_waitcnt lgkmcnt(3)
	v_fma_f64 v[18:19], -v[42:43], v[72:73], v[18:19]
	v_fma_f64 v[18:19], -v[44:45], v[74:75], v[18:19]
	s_waitcnt lgkmcnt(2)
	v_fma_f64 v[18:19], -v[38:39], v[76:77], v[18:19]
	v_fma_f64 v[18:19], -v[40:41], v[78:79], v[18:19]
	;; [unrolled: 3-line block ×3, first 2 shown]
	ds_read_b128 v[64:67], v56 offset:96
	s_waitcnt lgkmcnt(1)
	v_fma_f64 v[18:19], -v[30:31], v[68:69], v[18:19]
	v_fma_f64 v[18:19], -v[32:33], v[70:71], v[18:19]
	ds_read_b128 v[68:71], v56 offset:112
	ds_read2_b64 v[72:75], v55 offset0:16 offset1:82
	v_add_u32_e32 v56, s9, v1
	s_or_b32 s9, s8, 0x1100
	s_waitcnt lgkmcnt(2)
	v_fma_f64 v[18:19], -v[26:27], v[64:65], v[18:19]
	s_add_i32 s12, s5, s9
	v_fma_f64 v[18:19], -v[28:29], v[66:67], v[18:19]
	v_mov_b32_e32 v57, s12
	s_waitcnt lgkmcnt(1)
	v_fma_f64 v[18:19], -v[22:23], v[68:69], v[18:19]
	ds_read_b128 v[64:67], v57
	v_fma_f64 v[18:19], -v[24:25], v[70:71], v[18:19]
	s_waitcnt lgkmcnt(1)
	v_mul_f64 v[18:19], v[72:73], v[18:19]
	ds_write_b64 v56, v[18:19]
	ds_read_b128 v[68:71], v57 offset:16
	ds_read_b128 v[76:79], v57 offset:32
	;; [unrolled: 1-line block ×3, first 2 shown]
	s_waitcnt lgkmcnt(4)
	v_fma_f64 v[20:21], -v[50:51], v[64:65], v[20:21]
	v_fma_f64 v[20:21], -v[52:53], v[66:67], v[20:21]
	s_waitcnt lgkmcnt(2)
	v_fma_f64 v[20:21], -v[46:47], v[68:69], v[20:21]
	v_fma_f64 v[20:21], -v[48:49], v[70:71], v[20:21]
	ds_read_b128 v[64:67], v57 offset:64
	ds_read_b128 v[68:71], v57 offset:80
	s_waitcnt lgkmcnt(3)
	v_fma_f64 v[20:21], -v[42:43], v[76:77], v[20:21]
	v_fma_f64 v[20:21], -v[44:45], v[78:79], v[20:21]
	s_waitcnt lgkmcnt(2)
	v_fma_f64 v[20:21], -v[38:39], v[80:81], v[20:21]
	v_fma_f64 v[20:21], -v[40:41], v[82:83], v[20:21]
	ds_read_b128 v[76:79], v57 offset:96
	s_waitcnt lgkmcnt(2)
	v_fma_f64 v[20:21], -v[34:35], v[64:65], v[20:21]
	v_fma_f64 v[20:21], -v[36:37], v[66:67], v[20:21]
	ds_read_b128 v[64:67], v57 offset:112
	s_or_b32 s12, s8, 0x1200
	s_waitcnt lgkmcnt(2)
	v_fma_f64 v[20:21], -v[30:31], v[68:69], v[20:21]
	s_add_i32 s13, s5, s12
	v_fma_f64 v[20:21], -v[32:33], v[70:71], v[20:21]
	v_mov_b32_e32 v56, s13
	ds_read_b128 v[68:71], v56
	s_waitcnt lgkmcnt(2)
	v_fma_f64 v[20:21], -v[26:27], v[76:77], v[20:21]
	v_fma_f64 v[20:21], -v[28:29], v[78:79], v[20:21]
	s_waitcnt lgkmcnt(1)
	v_fma_f64 v[20:21], -v[22:23], v[64:65], v[20:21]
	v_fma_f64 v[20:21], -v[24:25], v[66:67], v[20:21]
	ds_read_b128 v[64:67], v57 offset:128
	v_add_u32_e32 v57, s9, v1
	s_waitcnt lgkmcnt(1)
	v_fma_f64 v[14:15], -v[50:51], v[68:69], v[14:15]
	v_fma_f64 v[14:15], -v[52:53], v[70:71], v[14:15]
	s_or_b32 s9, s8, 0x1300
	s_waitcnt lgkmcnt(0)
	v_fma_f64 v[20:21], -v[18:19], v[64:65], v[20:21]
	v_mul_f64 v[20:21], v[66:67], v[20:21]
	ds_write_b64 v57, v[20:21]
	ds_read_b128 v[64:67], v56 offset:16
	ds_read_b128 v[76:79], v56 offset:32
	;; [unrolled: 1-line block ×4, first 2 shown]
	s_waitcnt lgkmcnt(3)
	v_fma_f64 v[14:15], -v[46:47], v[64:65], v[14:15]
	v_fma_f64 v[14:15], -v[48:49], v[66:67], v[14:15]
	ds_read_b128 v[64:67], v56 offset:64
	s_waitcnt lgkmcnt(3)
	v_fma_f64 v[14:15], -v[42:43], v[76:77], v[14:15]
	v_fma_f64 v[14:15], -v[44:45], v[78:79], v[14:15]
	s_waitcnt lgkmcnt(2)
	v_fma_f64 v[14:15], -v[38:39], v[80:81], v[14:15]
	v_fma_f64 v[14:15], -v[40:41], v[82:83], v[14:15]
	s_waitcnt lgkmcnt(0)
	v_fma_f64 v[14:15], -v[34:35], v[64:65], v[14:15]
	v_fma_f64 v[14:15], -v[36:37], v[66:67], v[14:15]
	ds_read_b128 v[64:67], v56 offset:96
	ds_read_b128 v[76:79], v56 offset:112
	v_fma_f64 v[14:15], -v[30:31], v[68:69], v[14:15]
	v_fma_f64 v[14:15], -v[32:33], v[70:71], v[14:15]
	ds_read_b128 v[68:71], v56 offset:128
	s_waitcnt lgkmcnt(2)
	v_fma_f64 v[14:15], -v[26:27], v[64:65], v[14:15]
	v_fma_f64 v[14:15], -v[28:29], v[66:67], v[14:15]
	s_waitcnt lgkmcnt(1)
	v_fma_f64 v[14:15], -v[22:23], v[76:77], v[14:15]
	v_add_u32_e32 v56, s12, v1
	s_add_i32 s12, s5, s9
	v_fma_f64 v[14:15], -v[24:25], v[78:79], v[14:15]
	v_mov_b32_e32 v57, s12
	s_waitcnt lgkmcnt(0)
	v_fma_f64 v[14:15], -v[18:19], v[68:69], v[14:15]
	ds_read_b128 v[64:67], v57
	v_fma_f64 v[14:15], -v[20:21], v[70:71], v[14:15]
	v_mul_f64 v[14:15], v[74:75], v[14:15]
	ds_write_b64 v56, v[14:15]
	ds_read_b128 v[68:71], v57 offset:16
	ds_read_b128 v[72:75], v57 offset:32
	;; [unrolled: 1-line block ×3, first 2 shown]
	s_waitcnt lgkmcnt(4)
	v_fma_f64 v[16:17], -v[50:51], v[64:65], v[16:17]
	v_fma_f64 v[16:17], -v[52:53], v[66:67], v[16:17]
	s_waitcnt lgkmcnt(2)
	v_fma_f64 v[16:17], -v[46:47], v[68:69], v[16:17]
	v_fma_f64 v[16:17], -v[48:49], v[70:71], v[16:17]
	ds_read_b128 v[64:67], v57 offset:64
	ds_read_b128 v[68:71], v57 offset:80
	s_waitcnt lgkmcnt(3)
	v_fma_f64 v[16:17], -v[42:43], v[72:73], v[16:17]
	v_fma_f64 v[16:17], -v[44:45], v[74:75], v[16:17]
	s_waitcnt lgkmcnt(2)
	v_fma_f64 v[16:17], -v[38:39], v[76:77], v[16:17]
	v_fma_f64 v[16:17], -v[40:41], v[78:79], v[16:17]
	ds_read_b128 v[72:75], v57 offset:96
	s_waitcnt lgkmcnt(2)
	v_fma_f64 v[16:17], -v[34:35], v[64:65], v[16:17]
	v_fma_f64 v[16:17], -v[36:37], v[66:67], v[16:17]
	ds_read_b128 v[64:67], v57 offset:112
	s_waitcnt lgkmcnt(2)
	v_fma_f64 v[16:17], -v[30:31], v[68:69], v[16:17]
	v_fma_f64 v[16:17], -v[32:33], v[70:71], v[16:17]
	ds_read_b128 v[68:71], v57 offset:128
	s_waitcnt lgkmcnt(2)
	v_fma_f64 v[16:17], -v[26:27], v[72:73], v[16:17]
	v_fma_f64 v[16:17], -v[28:29], v[74:75], v[16:17]
	ds_read_b128 v[72:75], v57 offset:144
	s_waitcnt lgkmcnt(2)
	v_fma_f64 v[16:17], -v[22:23], v[64:65], v[16:17]
	v_add_u32_e32 v56, s9, v1
	s_or_b32 s9, s8, 0x1400
	v_fma_f64 v[16:17], -v[24:25], v[66:67], v[16:17]
	s_add_i32 s12, s5, s9
	s_waitcnt lgkmcnt(1)
	v_fma_f64 v[16:17], -v[18:19], v[68:69], v[16:17]
	v_mov_b32_e32 v57, s12
	v_fma_f64 v[16:17], -v[20:21], v[70:71], v[16:17]
	ds_read_b128 v[64:67], v57
	s_waitcnt lgkmcnt(1)
	v_fma_f64 v[16:17], -v[14:15], v[72:73], v[16:17]
	v_mul_f64 v[16:17], v[74:75], v[16:17]
	ds_write_b64 v56, v[16:17]
	ds_read_b128 v[68:71], v57 offset:16
	ds_read_b128 v[72:75], v57 offset:32
	;; [unrolled: 1-line block ×3, first 2 shown]
	s_waitcnt lgkmcnt(4)
	v_fma_f64 v[10:11], -v[50:51], v[64:65], v[10:11]
	v_fma_f64 v[10:11], -v[52:53], v[66:67], v[10:11]
	s_waitcnt lgkmcnt(2)
	v_fma_f64 v[10:11], -v[46:47], v[68:69], v[10:11]
	v_fma_f64 v[10:11], -v[48:49], v[70:71], v[10:11]
	ds_read_b128 v[64:67], v57 offset:64
	ds_read_b128 v[68:71], v57 offset:80
	s_waitcnt lgkmcnt(3)
	v_fma_f64 v[10:11], -v[42:43], v[72:73], v[10:11]
	v_fma_f64 v[10:11], -v[44:45], v[74:75], v[10:11]
	s_waitcnt lgkmcnt(2)
	v_fma_f64 v[10:11], -v[38:39], v[76:77], v[10:11]
	v_fma_f64 v[10:11], -v[40:41], v[78:79], v[10:11]
	ds_read_b128 v[72:75], v57 offset:96
	s_waitcnt lgkmcnt(2)
	v_fma_f64 v[10:11], -v[34:35], v[64:65], v[10:11]
	v_fma_f64 v[10:11], -v[36:37], v[66:67], v[10:11]
	ds_read_b128 v[64:67], v57 offset:112
	;; [unrolled: 4-line block ×4, first 2 shown]
	s_waitcnt lgkmcnt(2)
	v_fma_f64 v[10:11], -v[22:23], v[64:65], v[10:11]
	v_fma_f64 v[10:11], -v[24:25], v[66:67], v[10:11]
	ds_read2_b64 v[64:67], v55 offset0:148 offset1:214
	v_add_u32_e32 v55, s9, v1
	s_or_b32 s9, s8, 0x1500
	s_waitcnt lgkmcnt(2)
	v_fma_f64 v[10:11], -v[18:19], v[68:69], v[10:11]
	s_add_i32 s12, s5, s9
	v_fma_f64 v[10:11], -v[20:21], v[70:71], v[10:11]
	v_mov_b32_e32 v56, s12
	ds_read_b128 v[68:71], v56
	s_waitcnt lgkmcnt(2)
	v_fma_f64 v[10:11], -v[14:15], v[72:73], v[10:11]
	v_fma_f64 v[10:11], -v[16:17], v[74:75], v[10:11]
	s_waitcnt lgkmcnt(1)
	v_mul_f64 v[10:11], v[64:65], v[10:11]
	ds_write_b64 v55, v[10:11]
	ds_read_b128 v[72:75], v56 offset:16
	ds_read_b128 v[76:79], v56 offset:32
	;; [unrolled: 1-line block ×3, first 2 shown]
	s_waitcnt lgkmcnt(4)
	v_fma_f64 v[12:13], -v[50:51], v[68:69], v[12:13]
	v_fma_f64 v[12:13], -v[52:53], v[70:71], v[12:13]
	s_waitcnt lgkmcnt(2)
	v_fma_f64 v[12:13], -v[46:47], v[72:73], v[12:13]
	v_fma_f64 v[12:13], -v[48:49], v[74:75], v[12:13]
	ds_read_b128 v[68:71], v56 offset:64
	ds_read_b128 v[72:75], v56 offset:80
	s_waitcnt lgkmcnt(3)
	v_fma_f64 v[12:13], -v[42:43], v[76:77], v[12:13]
	v_fma_f64 v[12:13], -v[44:45], v[78:79], v[12:13]
	s_waitcnt lgkmcnt(2)
	v_fma_f64 v[12:13], -v[38:39], v[80:81], v[12:13]
	v_fma_f64 v[12:13], -v[40:41], v[82:83], v[12:13]
	ds_read_b128 v[76:79], v56 offset:96
	s_waitcnt lgkmcnt(2)
	v_fma_f64 v[12:13], -v[34:35], v[68:69], v[12:13]
	v_fma_f64 v[12:13], -v[36:37], v[70:71], v[12:13]
	ds_read_b128 v[68:71], v56 offset:112
	;; [unrolled: 4-line block ×5, first 2 shown]
	s_or_b32 s12, s8, 0x1600
	s_waitcnt lgkmcnt(2)
	v_fma_f64 v[12:13], -v[18:19], v[72:73], v[12:13]
	s_add_i32 s13, s5, s12
	v_fma_f64 v[12:13], -v[20:21], v[74:75], v[12:13]
	v_mov_b32_e32 v55, s13
	ds_read_b128 v[72:75], v55
	s_waitcnt lgkmcnt(2)
	v_fma_f64 v[12:13], -v[14:15], v[76:77], v[12:13]
	v_fma_f64 v[12:13], -v[16:17], v[78:79], v[12:13]
	s_waitcnt lgkmcnt(1)
	v_fma_f64 v[12:13], -v[10:11], v[68:69], v[12:13]
	v_mul_f64 v[12:13], v[70:71], v[12:13]
	v_add_u32_e32 v56, s9, v1
	ds_write_b64 v56, v[12:13]
	ds_read_b128 v[68:71], v55 offset:16
	ds_read_b128 v[76:79], v55 offset:32
	;; [unrolled: 1-line block ×3, first 2 shown]
	s_waitcnt lgkmcnt(4)
	v_fma_f64 v[6:7], -v[50:51], v[72:73], v[6:7]
	v_fma_f64 v[6:7], -v[52:53], v[74:75], v[6:7]
	s_waitcnt lgkmcnt(2)
	v_fma_f64 v[6:7], -v[46:47], v[68:69], v[6:7]
	v_fma_f64 v[6:7], -v[48:49], v[70:71], v[6:7]
	ds_read_b128 v[68:71], v55 offset:64
	ds_read_b128 v[72:75], v55 offset:80
	s_waitcnt lgkmcnt(3)
	v_fma_f64 v[6:7], -v[42:43], v[76:77], v[6:7]
	v_fma_f64 v[6:7], -v[44:45], v[78:79], v[6:7]
	s_waitcnt lgkmcnt(2)
	v_fma_f64 v[6:7], -v[38:39], v[80:81], v[6:7]
	v_fma_f64 v[6:7], -v[40:41], v[82:83], v[6:7]
	ds_read_b128 v[76:79], v55 offset:96
	s_waitcnt lgkmcnt(2)
	v_fma_f64 v[6:7], -v[34:35], v[68:69], v[6:7]
	v_fma_f64 v[6:7], -v[36:37], v[70:71], v[6:7]
	ds_read_b128 v[68:71], v55 offset:112
	;; [unrolled: 4-line block ×5, first 2 shown]
	s_waitcnt lgkmcnt(2)
	v_fma_f64 v[6:7], -v[18:19], v[72:73], v[6:7]
	v_fma_f64 v[6:7], -v[20:21], v[74:75], v[6:7]
	s_waitcnt lgkmcnt(1)
	v_fma_f64 v[6:7], -v[14:15], v[76:77], v[6:7]
	v_fma_f64 v[6:7], -v[16:17], v[78:79], v[6:7]
	s_or_b32 s9, s8, 0x1700
	s_waitcnt lgkmcnt(0)
	v_fma_f64 v[6:7], -v[10:11], v[68:69], v[6:7]
	v_add_u32_e32 v55, s12, v1
	s_add_i32 s12, s5, s9
	v_fma_f64 v[6:7], -v[12:13], v[70:71], v[6:7]
	v_mov_b32_e32 v56, s12
	v_mul_f64 v[6:7], v[66:67], v[6:7]
	ds_read_b128 v[64:67], v56
	ds_write_b64 v55, v[6:7]
	ds_read_b128 v[68:71], v56 offset:16
	ds_read_b128 v[72:75], v56 offset:32
	ds_read_b128 v[76:79], v56 offset:48
	v_add_u32_e32 v55, s9, v1
	s_or_b32 s9, s8, 0x1800
	s_waitcnt lgkmcnt(4)
	v_fma_f64 v[8:9], -v[50:51], v[64:65], v[8:9]
	v_fma_f64 v[8:9], -v[52:53], v[66:67], v[8:9]
	s_waitcnt lgkmcnt(2)
	v_fma_f64 v[8:9], -v[46:47], v[68:69], v[8:9]
	v_fma_f64 v[8:9], -v[48:49], v[70:71], v[8:9]
	ds_read_b128 v[64:67], v56 offset:64
	ds_read_b128 v[68:71], v56 offset:80
	s_waitcnt lgkmcnt(3)
	v_fma_f64 v[8:9], -v[42:43], v[72:73], v[8:9]
	v_fma_f64 v[8:9], -v[44:45], v[74:75], v[8:9]
	s_waitcnt lgkmcnt(2)
	v_fma_f64 v[8:9], -v[38:39], v[76:77], v[8:9]
	v_fma_f64 v[8:9], -v[40:41], v[78:79], v[8:9]
	ds_read_b128 v[72:75], v56 offset:96
	s_waitcnt lgkmcnt(2)
	v_fma_f64 v[8:9], -v[34:35], v[64:65], v[8:9]
	v_fma_f64 v[8:9], -v[36:37], v[66:67], v[8:9]
	ds_read_b128 v[64:67], v56 offset:112
	s_waitcnt lgkmcnt(2)
	v_fma_f64 v[8:9], -v[30:31], v[68:69], v[8:9]
	v_fma_f64 v[8:9], -v[32:33], v[70:71], v[8:9]
	s_waitcnt lgkmcnt(1)
	v_fma_f64 v[8:9], -v[26:27], v[72:73], v[8:9]
	ds_read_b128 v[68:71], v56 offset:128
	v_fma_f64 v[8:9], -v[28:29], v[74:75], v[8:9]
	s_waitcnt lgkmcnt(1)
	v_fma_f64 v[8:9], -v[22:23], v[64:65], v[8:9]
	v_fma_f64 v[8:9], -v[24:25], v[66:67], v[8:9]
	ds_read_b128 v[64:67], v56 offset:144
	ds_read_b128 v[72:75], v56 offset:160
	s_waitcnt lgkmcnt(2)
	v_fma_f64 v[8:9], -v[18:19], v[68:69], v[8:9]
	v_fma_f64 v[8:9], -v[20:21], v[70:71], v[8:9]
	ds_read_b128 v[68:71], v56 offset:176
	s_waitcnt lgkmcnt(2)
	v_fma_f64 v[8:9], -v[14:15], v[64:65], v[8:9]
	v_fma_f64 v[8:9], -v[16:17], v[66:67], v[8:9]
	s_add_i32 s12, s5, s9
	s_waitcnt lgkmcnt(1)
	v_fma_f64 v[8:9], -v[10:11], v[72:73], v[8:9]
	v_mov_b32_e32 v56, s12
	v_fma_f64 v[8:9], -v[12:13], v[74:75], v[8:9]
	ds_read_b128 v[64:67], v56
	s_waitcnt lgkmcnt(1)
	v_fma_f64 v[8:9], -v[6:7], v[68:69], v[8:9]
	v_mul_f64 v[8:9], v[70:71], v[8:9]
	ds_write_b64 v55, v[8:9]
	ds_read_b128 v[68:71], v56 offset:16
	ds_read_b128 v[72:75], v56 offset:32
	;; [unrolled: 1-line block ×3, first 2 shown]
	s_waitcnt lgkmcnt(4)
	v_fma_f64 v[2:3], -v[50:51], v[64:65], v[2:3]
	v_fma_f64 v[2:3], -v[52:53], v[66:67], v[2:3]
	s_waitcnt lgkmcnt(2)
	v_fma_f64 v[2:3], -v[46:47], v[68:69], v[2:3]
	v_fma_f64 v[2:3], -v[48:49], v[70:71], v[2:3]
	ds_read_b128 v[64:67], v56 offset:64
	ds_read_b128 v[68:71], v56 offset:80
	s_waitcnt lgkmcnt(3)
	v_fma_f64 v[2:3], -v[42:43], v[72:73], v[2:3]
	v_fma_f64 v[2:3], -v[44:45], v[74:75], v[2:3]
	s_waitcnt lgkmcnt(2)
	v_fma_f64 v[2:3], -v[38:39], v[76:77], v[2:3]
	v_fma_f64 v[2:3], -v[40:41], v[78:79], v[2:3]
	ds_read_b128 v[72:75], v56 offset:96
	s_waitcnt lgkmcnt(2)
	v_fma_f64 v[2:3], -v[34:35], v[64:65], v[2:3]
	v_fma_f64 v[2:3], -v[36:37], v[66:67], v[2:3]
	ds_read_b128 v[64:67], v56 offset:112
	;; [unrolled: 4-line block ×6, first 2 shown]
	s_waitcnt lgkmcnt(2)
	v_fma_f64 v[2:3], -v[14:15], v[72:73], v[2:3]
	v_fma_f64 v[2:3], -v[16:17], v[74:75], v[2:3]
	ds_read2_b64 v[54:57], v54 offset0:24 offset1:90
	s_waitcnt lgkmcnt(2)
	v_fma_f64 v[2:3], -v[10:11], v[64:65], v[2:3]
	v_fma_f64 v[2:3], -v[12:13], v[66:67], v[2:3]
	s_waitcnt lgkmcnt(1)
	v_fma_f64 v[2:3], -v[6:7], v[68:69], v[2:3]
	v_fma_f64 v[2:3], -v[8:9], v[70:71], v[2:3]
	s_waitcnt lgkmcnt(0)
	v_mul_f64 v[2:3], v[54:55], v[2:3]
	v_add_u32_e32 v54, s9, v1
	s_or_b32 s9, s8, 0x1900
	s_add_i32 s12, s5, s9
	v_mov_b32_e32 v55, s12
	ds_read_b128 v[64:67], v55
	ds_write_b64 v54, v[2:3]
	ds_read_b128 v[68:71], v55 offset:16
	ds_read_b128 v[72:75], v55 offset:32
	ds_read_b128 v[76:79], v55 offset:48
	s_or_b32 s8, s8, 0x1a00
	s_add_i32 s12, s5, s8
	s_waitcnt lgkmcnt(4)
	v_fma_f64 v[4:5], -v[50:51], v[64:65], v[4:5]
	v_fma_f64 v[4:5], -v[52:53], v[66:67], v[4:5]
	s_waitcnt lgkmcnt(2)
	v_fma_f64 v[4:5], -v[46:47], v[68:69], v[4:5]
	v_fma_f64 v[4:5], -v[48:49], v[70:71], v[4:5]
	ds_read_b128 v[64:67], v55 offset:64
	ds_read_b128 v[68:71], v55 offset:80
	s_waitcnt lgkmcnt(3)
	v_fma_f64 v[4:5], -v[42:43], v[72:73], v[4:5]
	v_fma_f64 v[4:5], -v[44:45], v[74:75], v[4:5]
	s_waitcnt lgkmcnt(2)
	v_fma_f64 v[4:5], -v[38:39], v[76:77], v[4:5]
	v_fma_f64 v[4:5], -v[40:41], v[78:79], v[4:5]
	ds_read_b128 v[72:75], v55 offset:96
	s_waitcnt lgkmcnt(2)
	v_fma_f64 v[4:5], -v[34:35], v[64:65], v[4:5]
	v_fma_f64 v[4:5], -v[36:37], v[66:67], v[4:5]
	ds_read_b128 v[64:67], v55 offset:112
	s_waitcnt lgkmcnt(2)
	v_fma_f64 v[4:5], -v[30:31], v[68:69], v[4:5]
	v_fma_f64 v[4:5], -v[32:33], v[70:71], v[4:5]
	s_waitcnt lgkmcnt(1)
	v_fma_f64 v[4:5], -v[26:27], v[72:73], v[4:5]
	ds_read_b128 v[68:71], v55 offset:128
	v_fma_f64 v[4:5], -v[28:29], v[74:75], v[4:5]
	s_waitcnt lgkmcnt(1)
	v_fma_f64 v[4:5], -v[22:23], v[64:65], v[4:5]
	v_fma_f64 v[4:5], -v[24:25], v[66:67], v[4:5]
	ds_read_b128 v[64:67], v55 offset:144
	ds_read_b128 v[72:75], v55 offset:160
	s_waitcnt lgkmcnt(2)
	v_fma_f64 v[4:5], -v[18:19], v[68:69], v[4:5]
	v_fma_f64 v[4:5], -v[20:21], v[70:71], v[4:5]
	ds_read_b128 v[68:71], v55 offset:176
	s_waitcnt lgkmcnt(2)
	v_fma_f64 v[4:5], -v[14:15], v[64:65], v[4:5]
	v_fma_f64 v[4:5], -v[16:17], v[66:67], v[4:5]
	;; [unrolled: 4-line block ×3, first 2 shown]
	s_waitcnt lgkmcnt(1)
	v_fma_f64 v[4:5], -v[6:7], v[68:69], v[4:5]
	v_mov_b32_e32 v63, s12
	v_fma_f64 v[4:5], -v[8:9], v[70:71], v[4:5]
	ds_read_b128 v[68:71], v63
	s_waitcnt lgkmcnt(1)
	v_fma_f64 v[4:5], -v[2:3], v[64:65], v[4:5]
	v_mul_f64 v[4:5], v[66:67], v[4:5]
	v_add_u32_e32 v54, s9, v1
	ds_write_b64 v54, v[4:5]
	ds_read_b128 v[64:67], v63 offset:16
	ds_read_b128 v[72:75], v63 offset:32
	;; [unrolled: 1-line block ×3, first 2 shown]
	s_waitcnt lgkmcnt(4)
	v_fma_f64 v[54:55], -v[50:51], v[68:69], v[60:61]
	v_fma_f64 v[54:55], -v[52:53], v[70:71], v[54:55]
	s_waitcnt lgkmcnt(2)
	v_fma_f64 v[54:55], -v[46:47], v[64:65], v[54:55]
	v_fma_f64 v[54:55], -v[48:49], v[66:67], v[54:55]
	ds_read_b128 v[64:67], v63 offset:64
	ds_read_b128 v[68:71], v63 offset:80
	s_waitcnt lgkmcnt(3)
	v_fma_f64 v[54:55], -v[42:43], v[72:73], v[54:55]
	v_fma_f64 v[54:55], -v[44:45], v[74:75], v[54:55]
	s_waitcnt lgkmcnt(2)
	v_fma_f64 v[54:55], -v[38:39], v[76:77], v[54:55]
	v_fma_f64 v[54:55], -v[40:41], v[78:79], v[54:55]
	ds_read_b128 v[72:75], v63 offset:96
	s_waitcnt lgkmcnt(2)
	v_fma_f64 v[54:55], -v[34:35], v[64:65], v[54:55]
	v_fma_f64 v[54:55], -v[36:37], v[66:67], v[54:55]
	ds_read_b128 v[64:67], v63 offset:112
	;; [unrolled: 4-line block ×7, first 2 shown]
	s_waitcnt lgkmcnt(2)
	v_fma_f64 v[54:55], -v[10:11], v[64:65], v[54:55]
	v_fma_f64 v[54:55], -v[12:13], v[66:67], v[54:55]
	s_waitcnt lgkmcnt(1)
	v_fma_f64 v[54:55], -v[6:7], v[68:69], v[54:55]
	v_fma_f64 v[54:55], -v[8:9], v[70:71], v[54:55]
	s_waitcnt lgkmcnt(0)
	v_fma_f64 v[54:55], -v[2:3], v[72:73], v[54:55]
	s_add_i32 s5, s5, s7
	v_fma_f64 v[54:55], -v[4:5], v[74:75], v[54:55]
	v_mov_b32_e32 v76, s5
	v_mul_f64 v[60:61], v[56:57], v[54:55]
	ds_read_b128 v[54:57], v76
	v_add_u32_e32 v63, s8, v1
	ds_write_b64 v63, v[60:61]
	ds_read_b128 v[64:67], v76 offset:16
	ds_read_b128 v[68:71], v76 offset:32
	;; [unrolled: 1-line block ×3, first 2 shown]
	s_mov_b32 s9, s4
	s_waitcnt lgkmcnt(4)
	v_fma_f64 v[50:51], -v[50:51], v[54:55], v[58:59]
	v_fma_f64 v[50:51], -v[52:53], v[56:57], v[50:51]
	s_waitcnt lgkmcnt(2)
	v_fma_f64 v[46:47], -v[46:47], v[64:65], v[50:51]
	v_fma_f64 v[46:47], -v[48:49], v[66:67], v[46:47]
	s_waitcnt lgkmcnt(1)
	v_fma_f64 v[42:43], -v[42:43], v[68:69], v[46:47]
	ds_read_b128 v[46:49], v76 offset:64
	v_fma_f64 v[42:43], -v[44:45], v[70:71], v[42:43]
	s_waitcnt lgkmcnt(1)
	v_fma_f64 v[38:39], -v[38:39], v[72:73], v[42:43]
	ds_read_b128 v[42:45], v76 offset:80
	;; [unrolled: 4-line block ×7, first 2 shown]
	v_fma_f64 v[18:19], -v[20:21], v[32:33], v[18:19]
	s_waitcnt lgkmcnt(1)
	v_fma_f64 v[14:15], -v[14:15], v[26:27], v[18:19]
	v_fma_f64 v[18:19], -v[16:17], v[28:29], v[14:15]
	ds_read_b128 v[14:17], v76 offset:176
	s_waitcnt lgkmcnt(1)
	v_fma_f64 v[10:11], -v[10:11], v[22:23], v[18:19]
	ds_read_b128 v[18:21], v76 offset:192
	v_fma_f64 v[22:23], -v[12:13], v[24:25], v[10:11]
	ds_read_b128 v[10:13], v76 offset:208
	s_waitcnt lgkmcnt(2)
	v_fma_f64 v[6:7], -v[6:7], v[14:15], v[22:23]
	v_fma_f64 v[6:7], -v[8:9], v[16:17], v[6:7]
	s_waitcnt lgkmcnt(1)
	v_fma_f64 v[2:3], -v[2:3], v[18:19], v[6:7]
	v_fma_f64 v[2:3], -v[4:5], v[20:21], v[2:3]
	s_waitcnt lgkmcnt(0)
	v_fma_f64 v[2:3], -v[60:61], v[10:11], v[2:3]
	v_mul_f64 v[2:3], v[12:13], v[2:3]
	ds_write_b64 v62, v[2:3]
.LBB102_18:
	s_cmp_ge_i32 s9, s22
	s_cbranch_scc1 .LBB102_23
; %bb.19:
	v_mov_b32_e32 v2, 0x2000
	s_lshl_b32 s4, s9, 8
	v_lshl_or_b32 v4, v0, 3, v2
	s_branch .LBB102_21
.LBB102_20:                             ;   in Loop: Header=BB102_21 Depth=1
	s_mul_i32 s5, s9, 0x108
	v_mov_b32_e32 v6, s5
	ds_read_b64 v[6:7], v6
	s_add_i32 s9, s9, 1
	s_addk_i32 s4, 0x100
	s_cmp_ge_i32 s9, s22
	s_waitcnt lgkmcnt(0)
	v_mul_f64 v[2:3], v[6:7], v[2:3]
	ds_write_b64 v5, v[2:3]
	s_cbranch_scc1 .LBB102_23
.LBB102_21:                             ; =>This Loop Header: Depth=1
                                        ;     Child Loop BB102_22 Depth 2
	s_lshl_b32 s5, s9, 8
	v_add_u32_e32 v5, s5, v1
	ds_read_b64 v[2:3], v5
	s_cmp_eq_u32 s9, 0
	v_mov_b32_e32 v6, v4
	s_mov_b32 s5, s9
	s_mov_b32 s7, s4
	s_cbranch_scc1 .LBB102_20
.LBB102_22:                             ;   Parent Loop BB102_21 Depth=1
                                        ; =>  This Inner Loop Header: Depth=2
	v_mov_b32_e32 v7, s7
	ds_read_b64 v[8:9], v6
	ds_read_b64 v[10:11], v7
	s_add_i32 s7, s7, 8
	s_add_i32 s5, s5, -1
	v_add_u32_e32 v6, 0x100, v6
	s_cmp_lg_u32 s5, 0
	s_waitcnt lgkmcnt(0)
	v_fma_f64 v[2:3], -v[8:9], v[10:11], v[2:3]
	s_cbranch_scc1 .LBB102_22
	s_branch .LBB102_20
.LBB102_23:
	s_mov_b64 s[4:5], 0
.LBB102_24:
	s_and_b64 vcc, exec, s[4:5]
	s_cbranch_vccz .LBB102_50
; %bb.25:
	s_add_i32 s4, s22, -1
	s_cmp_gt_i32 s6, 31
	s_mov_b32 s5, s4
	s_cbranch_scc0 .LBB102_27
; %bb.26:
	v_add_u32_e32 v80, 0x1800, v1
	v_add_u32_e32 v84, 0x1000, v1
	;; [unrolled: 1-line block ×3, first 2 shown]
	v_mov_b32_e32 v82, 0
	ds_read2_b64 v[62:65], v80 offset0:192 offset1:224
	ds_read2_b64 v[50:53], v80 offset0:128 offset1:160
	ds_read2_b64 v[46:49], v80 offset0:64 offset1:96
	ds_read2_b64 v[42:45], v80 offset1:32
	ds_read2_b64 v[38:41], v84 offset0:192 offset1:224
	ds_read2_b64 v[34:37], v84 offset0:128 offset1:160
	ds_read2_b64 v[30:33], v84 offset0:64 offset1:96
	ds_read2_b64 v[26:29], v84 offset1:32
	;; [unrolled: 4-line block ×3, first 2 shown]
	ds_read2_b64 v[6:9], v1 offset0:192 offset1:224
	ds_read_b128 v[66:69], v82 offset:8176
	s_movk_i32 s7, 0x1800
	v_add_u32_e64 v81, s7, 0
	ds_read2_b64 v[54:57], v81 offset0:156 offset1:222
	ds_read2_b64 v[2:5], v1 offset0:128 offset1:160
	ds_read_b128 v[58:61], v82 offset:8160
	ds_read_b128 v[70:73], v82 offset:7888
	s_waitcnt lgkmcnt(4)
	v_mul_f64 v[78:79], v[68:69], v[64:65]
	v_fma_f64 v[62:63], -v[78:79], v[66:67], v[62:63]
	s_waitcnt lgkmcnt(3)
	v_mul_f64 v[56:57], v[56:57], v[62:63]
	ds_read_b128 v[62:65], v82 offset:7904
	ds_read_b128 v[66:69], v82 offset:7648
	s_waitcnt lgkmcnt(3)
	v_fma_f64 v[52:53], -v[78:79], v[60:61], v[52:53]
	v_fma_f64 v[50:51], -v[78:79], v[58:59], v[50:51]
	ds_read_b128 v[74:77], v82 offset:7680
	s_waitcnt lgkmcnt(2)
	v_fma_f64 v[52:53], -v[56:57], v[64:65], v[52:53]
	s_waitcnt lgkmcnt(1)
	v_mul_f64 v[60:61], v[68:69], v[52:53]
	v_fma_f64 v[58:59], -v[56:57], v[62:63], v[50:51]
	ds_read_b128 v[50:53], v82 offset:8144
	ds_read_b128 v[62:65], v82 offset:8128
	v_fma_f64 v[58:59], -v[60:61], v[66:67], v[58:59]
	v_mul_f64 v[58:59], v[54:55], v[58:59]
	ds_write2_b64 v80, v[56:57], v[78:79] offset0:192 offset1:224
	s_waitcnt lgkmcnt(2)
	v_fma_f64 v[48:49], -v[78:79], v[52:53], v[48:49]
	ds_read_b128 v[52:55], v82 offset:7632
	ds_write2_b64 v80, v[58:59], v[60:61] offset0:128 offset1:160
	ds_read_b128 v[66:69], v82 offset:7376
	ds_read_b128 v[86:89], v82 offset:7120
	;; [unrolled: 1-line block ×3, first 2 shown]
	v_fma_f64 v[48:49], -v[56:57], v[72:73], v[48:49]
	v_fma_f64 v[46:47], -v[78:79], v[50:51], v[46:47]
	s_waitcnt lgkmcnt(4)
	v_fma_f64 v[48:49], -v[60:61], v[54:55], v[48:49]
	v_fma_f64 v[46:47], -v[56:57], v[70:71], v[46:47]
	s_waitcnt lgkmcnt(2)
	;; [unrolled: 3-line block ×3, first 2 shown]
	v_mul_f64 v[48:49], v[88:89], v[48:49]
	ds_read2_b64 v[68:71], v81 offset0:24 offset1:90
	v_fma_f64 v[46:47], -v[58:59], v[66:67], v[46:47]
	v_fma_f64 v[46:47], -v[48:49], v[86:87], v[46:47]
	ds_read_b128 v[86:89], v82 offset:7872
	ds_read_b128 v[94:97], v82 offset:7360
	;; [unrolled: 1-line block ×3, first 2 shown]
	s_waitcnt lgkmcnt(3)
	v_mul_f64 v[50:51], v[70:71], v[46:47]
	v_fma_f64 v[44:45], -v[78:79], v[64:65], v[44:45]
	ds_read_b128 v[70:73], v82 offset:6848
	ds_read_b128 v[106:109], v82 offset:6832
	v_fma_f64 v[42:43], -v[78:79], v[62:63], v[42:43]
	s_waitcnt lgkmcnt(4)
	v_fma_f64 v[44:45], -v[56:57], v[88:89], v[44:45]
	v_fma_f64 v[42:43], -v[56:57], v[86:87], v[42:43]
	v_fma_f64 v[44:45], -v[60:61], v[92:93], v[44:45]
	ds_read_b128 v[102:105], v82 offset:6592
	v_fma_f64 v[42:43], -v[60:61], v[90:91], v[42:43]
	s_waitcnt lgkmcnt(4)
	v_fma_f64 v[44:45], -v[58:59], v[96:97], v[44:45]
	v_fma_f64 v[42:43], -v[58:59], v[94:95], v[42:43]
	s_waitcnt lgkmcnt(3)
	v_fma_f64 v[44:45], -v[48:49], v[100:101], v[44:45]
	;; [unrolled: 3-line block ×3, first 2 shown]
	v_fma_f64 v[42:43], -v[50:51], v[70:71], v[42:43]
	ds_read_b128 v[70:73], v82 offset:8112
	ds_read_b128 v[86:89], v82 offset:8096
	;; [unrolled: 1-line block ×5, first 2 shown]
	s_waitcnt lgkmcnt(5)
	v_mul_f64 v[52:53], v[104:105], v[52:53]
	v_fma_f64 v[42:43], -v[52:53], v[102:103], v[42:43]
	v_mul_f64 v[42:43], v[68:69], v[42:43]
	ds_write2_b64 v80, v[50:51], v[48:49] offset0:64 offset1:96
	ds_write2_b64 v80, v[42:43], v[52:53] offset1:32
	s_waitcnt lgkmcnt(6)
	v_fma_f64 v[40:41], -v[78:79], v[72:73], v[40:41]
	s_waitcnt lgkmcnt(4)
	v_fma_f64 v[40:41], -v[56:57], v[66:67], v[40:41]
	ds_read_b128 v[66:69], v82 offset:7344
	ds_read_b128 v[94:97], v82 offset:7088
	;; [unrolled: 1-line block ×3, first 2 shown]
	s_waitcnt lgkmcnt(6)
	v_fma_f64 v[40:41], -v[60:61], v[92:93], v[40:41]
	ds_read_b128 v[102:105], v82 offset:7328
	s_waitcnt lgkmcnt(3)
	v_fma_f64 v[40:41], -v[58:59], v[68:69], v[40:41]
	ds_read_b128 v[110:113], v82 offset:7072
	ds_read_b128 v[114:117], v82 offset:6576
	;; [unrolled: 1-line block ×5, first 2 shown]
	v_fma_f64 v[38:39], -v[78:79], v[70:71], v[38:39]
	ds_read_b128 v[68:71], v82 offset:7840
	v_fma_f64 v[38:39], -v[56:57], v[64:65], v[38:39]
	s_movk_i32 s6, 0x1000
	v_fma_f64 v[38:39], -v[60:61], v[90:91], v[38:39]
	v_fma_f64 v[36:37], -v[78:79], v[88:89], v[36:37]
	s_waitcnt lgkmcnt(8)
	v_fma_f64 v[40:41], -v[48:49], v[96:97], v[40:41]
	v_fma_f64 v[38:39], -v[58:59], v[66:67], v[38:39]
	v_add_u32_e64 v80, s6, 0
	ds_read_b128 v[88:91], v82 offset:7824
	s_waitcnt lgkmcnt(1)
	v_fma_f64 v[36:37], -v[56:57], v[70:71], v[36:37]
	ds_read_b128 v[70:73], v82 offset:6816
	v_fma_f64 v[40:41], -v[50:51], v[108:109], v[40:41]
	v_fma_f64 v[38:39], -v[48:49], v[94:95], v[38:39]
	ds_read2_b64 v[64:67], v80 offset0:148 offset1:214
	v_fma_f64 v[34:35], -v[78:79], v[86:87], v[34:35]
	v_fma_f64 v[40:41], -v[52:53], v[116:117], v[40:41]
	ds_read_b128 v[130:133], v82 offset:6304
	ds_read_b128 v[134:137], v82 offset:6048
	v_fma_f64 v[38:39], -v[50:51], v[106:107], v[38:39]
	v_fma_f64 v[36:37], -v[60:61], v[100:101], v[36:37]
	;; [unrolled: 1-line block ×7, first 2 shown]
	v_mul_f64 v[40:41], v[124:125], v[40:41]
	v_fma_f64 v[38:39], -v[42:43], v[118:119], v[38:39]
	v_fma_f64 v[36:37], -v[48:49], v[112:113], v[36:37]
	ds_read_b128 v[104:107], v82 offset:5792
	ds_read_b128 v[116:119], v82 offset:5776
	v_fma_f64 v[34:35], -v[58:59], v[102:103], v[34:35]
	v_fma_f64 v[38:39], -v[40:41], v[122:123], v[38:39]
	ds_read_b128 v[92:95], v82 offset:6800
	s_waitcnt lgkmcnt(6)
	v_fma_f64 v[36:37], -v[50:51], v[72:73], v[36:37]
	ds_read_b128 v[112:115], v82 offset:5536
	v_fma_f64 v[34:35], -v[48:49], v[110:111], v[34:35]
	s_waitcnt lgkmcnt(6)
	v_mul_f64 v[54:55], v[66:67], v[38:39]
	v_fma_f64 v[36:37], -v[52:53], v[128:129], v[36:37]
	v_fma_f64 v[34:35], -v[50:51], v[70:71], v[34:35]
	ds_read_b128 v[66:69], v82 offset:8080
	s_waitcnt lgkmcnt(6)
	v_fma_f64 v[36:37], -v[42:43], v[132:133], v[36:37]
	v_fma_f64 v[34:35], -v[52:53], v[126:127], v[34:35]
	s_waitcnt lgkmcnt(5)
	v_fma_f64 v[36:37], -v[40:41], v[136:137], v[36:37]
	v_fma_f64 v[34:35], -v[42:43], v[130:131], v[34:35]
	s_waitcnt lgkmcnt(4)
	v_fma_f64 v[62:63], -v[54:55], v[106:107], v[36:37]
	ds_read_b128 v[36:39], v82 offset:5632
	v_fma_f64 v[34:35], -v[40:41], v[134:135], v[34:35]
	ds_read_b128 v[70:73], v82 offset:7568
	ds_read_b128 v[96:99], v82 offset:8064
	s_waitcnt lgkmcnt(4)
	v_mul_f64 v[62:63], v[114:115], v[62:63]
	v_fma_f64 v[34:35], -v[54:55], v[104:105], v[34:35]
	ds_read_b128 v[100:103], v82 offset:7312
	ds_read_b128 v[104:107], v82 offset:7552
	v_fma_f64 v[34:35], -v[62:63], v[112:113], v[34:35]
	s_waitcnt lgkmcnt(5)
	v_fma_f64 v[32:33], -v[78:79], v[68:69], v[32:33]
	ds_read_b128 v[108:111], v82 offset:7056
	ds_read_b128 v[112:115], v82 offset:7296
	v_fma_f64 v[32:33], -v[56:57], v[90:91], v[32:33]
	v_fma_f64 v[30:31], -v[78:79], v[66:67], v[30:31]
	s_waitcnt lgkmcnt(5)
	v_fma_f64 v[32:33], -v[60:61], v[72:73], v[32:33]
	ds_read_b128 v[120:123], v82 offset:6544
	ds_read_b128 v[124:127], v82 offset:7040
	v_fma_f64 v[30:31], -v[56:57], v[88:89], v[30:31]
	s_waitcnt lgkmcnt(5)
	v_fma_f64 v[32:33], -v[58:59], v[102:103], v[32:33]
	ds_read_b128 v[128:131], v82 offset:6288
	ds_read_b128 v[132:135], v82 offset:6528
	;; [unrolled: 5-line block ×3, first 2 shown]
	v_fma_f64 v[30:31], -v[58:59], v[100:101], v[30:31]
	v_fma_f64 v[32:33], -v[50:51], v[94:95], v[32:33]
	;; [unrolled: 1-line block ×3, first 2 shown]
	s_waitcnt lgkmcnt(5)
	v_fma_f64 v[32:33], -v[52:53], v[122:123], v[32:33]
	ds_read_b128 v[144:147], v82 offset:5520
	ds_read_b128 v[148:151], v82 offset:6016
	v_fma_f64 v[30:31], -v[50:51], v[92:93], v[30:31]
	s_waitcnt lgkmcnt(5)
	v_fma_f64 v[32:33], -v[42:43], v[130:131], v[32:33]
	ds_read_b128 v[152:155], v82 offset:5264
	ds_read_b128 v[156:159], v82 offset:5504
	v_fma_f64 v[30:31], -v[52:53], v[120:121], v[30:31]
	;; [unrolled: 5-line block ×3, first 2 shown]
	v_fma_f64 v[32:33], -v[54:55], v[118:119], v[32:33]
	v_fma_f64 v[30:31], -v[40:41], v[136:137], v[30:31]
	ds_read2_b64 v[68:71], v80 offset0:16 offset1:82
	ds_read_b128 v[86:89], v82 offset:7808
	v_mul_f64 v[34:35], v[64:65], v[34:35]
	s_waitcnt lgkmcnt(7)
	v_fma_f64 v[32:33], -v[62:63], v[146:147], v[32:33]
	v_fma_f64 v[30:31], -v[54:55], v[116:117], v[30:31]
	s_waitcnt lgkmcnt(5)
	v_fma_f64 v[32:33], -v[34:35], v[154:155], v[32:33]
	v_fma_f64 v[30:31], -v[62:63], v[144:145], v[30:31]
	s_waitcnt lgkmcnt(3)
	v_mul_f64 v[32:33], v[162:163], v[32:33]
	v_fma_f64 v[30:31], -v[34:35], v[152:153], v[30:31]
	v_fma_f64 v[30:31], -v[32:33], v[160:161], v[30:31]
	;; [unrolled: 1-line block ×3, first 2 shown]
	s_waitcnt lgkmcnt(1)
	v_mul_f64 v[64:65], v[70:71], v[30:31]
	ds_read_b128 v[70:73], v82 offset:7792
	s_waitcnt lgkmcnt(1)
	v_fma_f64 v[28:29], -v[56:57], v[88:89], v[28:29]
	ds_read_b128 v[88:91], v82 offset:6784
	v_fma_f64 v[26:27], -v[78:79], v[96:97], v[26:27]
	v_fma_f64 v[28:29], -v[60:61], v[106:107], v[28:29]
	;; [unrolled: 1-line block ×6, first 2 shown]
	ds_read_b128 v[92:95], v82 offset:6768
	ds_read_b128 v[98:101], v82 offset:5760
	v_fma_f64 v[26:27], -v[58:59], v[112:113], v[26:27]
	s_waitcnt lgkmcnt(2)
	v_fma_f64 v[28:29], -v[50:51], v[90:91], v[28:29]
	v_fma_f64 v[26:27], -v[48:49], v[124:125], v[26:27]
	;; [unrolled: 1-line block ×6, first 2 shown]
	ds_read_b128 v[168:171], v82 offset:4992
	ds_read_b128 v[106:109], v82 offset:5744
	v_fma_f64 v[28:29], -v[40:41], v[150:151], v[28:29]
	v_fma_f64 v[26:27], -v[42:43], v[140:141], v[26:27]
	s_waitcnt lgkmcnt(2)
	v_fma_f64 v[28:29], -v[54:55], v[100:101], v[28:29]
	ds_read_b128 v[100:103], v82 offset:4736
	ds_read_b128 v[118:121], v82 offset:4720
	v_fma_f64 v[26:27], -v[40:41], v[148:149], v[26:27]
	ds_read_b128 v[114:117], v82 offset:4480
	v_fma_f64 v[26:27], -v[54:55], v[98:99], v[26:27]
	ds_read_b128 v[86:89], v82 offset:8048
	v_fma_f64 v[28:29], -v[62:63], v[158:159], v[28:29]
	v_fma_f64 v[26:27], -v[62:63], v[156:157], v[26:27]
	v_fma_f64 v[28:29], -v[34:35], v[166:167], v[28:29]
	;; [unrolled: 1-line block ×3, first 2 shown]
	s_waitcnt lgkmcnt(5)
	v_fma_f64 v[28:29], -v[32:33], v[170:171], v[28:29]
	v_fma_f64 v[26:27], -v[32:33], v[168:169], v[26:27]
	s_waitcnt lgkmcnt(3)
	v_fma_f64 v[66:67], -v[64:65], v[102:103], v[28:29]
	ds_read_b128 v[28:31], v82 offset:4608
	v_fma_f64 v[26:27], -v[64:65], v[100:101], v[26:27]
	ds_read_b128 v[96:99], v82 offset:7536
	ds_read_b128 v[100:103], v82 offset:8032
	s_waitcnt lgkmcnt(4)
	v_mul_f64 v[66:67], v[116:117], v[66:67]
	s_waitcnt lgkmcnt(3)
	v_fma_f64 v[24:25], -v[78:79], v[88:89], v[24:25]
	ds_read_b128 v[88:91], v82 offset:7280
	ds_read_b128 v[110:113], v82 offset:7520
	v_fma_f64 v[26:27], -v[66:67], v[114:115], v[26:27]
	ds_read_b128 v[114:117], v82 offset:7024
	ds_read_b128 v[122:125], v82 offset:7264
	v_fma_f64 v[24:25], -v[56:57], v[72:73], v[24:25]
	s_waitcnt lgkmcnt(5)
	v_fma_f64 v[24:25], -v[60:61], v[98:99], v[24:25]
	ds_read_b128 v[126:129], v82 offset:6512
	ds_read_b128 v[130:133], v82 offset:7008
	s_waitcnt lgkmcnt(5)
	v_fma_f64 v[24:25], -v[58:59], v[90:91], v[24:25]
	ds_read_b128 v[134:137], v82 offset:6256
	ds_read_b128 v[138:141], v82 offset:6496
	;; [unrolled: 4-line block ×3, first 2 shown]
	v_fma_f64 v[24:25], -v[50:51], v[94:95], v[24:25]
	s_waitcnt lgkmcnt(5)
	v_fma_f64 v[24:25], -v[52:53], v[128:129], v[24:25]
	ds_read_b128 v[150:153], v82 offset:5488
	ds_read_b128 v[154:157], v82 offset:5984
	s_waitcnt lgkmcnt(5)
	v_fma_f64 v[24:25], -v[42:43], v[136:137], v[24:25]
	ds_read_b128 v[158:161], v82 offset:5232
	ds_read_b128 v[162:165], v82 offset:5472
	;; [unrolled: 1-line block ×3, first 2 shown]
	s_waitcnt lgkmcnt(6)
	v_fma_f64 v[24:25], -v[40:41], v[144:145], v[24:25]
	v_fma_f64 v[22:23], -v[78:79], v[86:87], v[22:23]
	v_mul_f64 v[26:27], v[68:69], v[26:27]
	v_fma_f64 v[24:25], -v[54:55], v[108:109], v[24:25]
	v_fma_f64 v[22:23], -v[56:57], v[70:71], v[22:23]
	ds_read_b128 v[68:71], v82 offset:4464
	s_waitcnt lgkmcnt(5)
	v_fma_f64 v[24:25], -v[62:63], v[152:153], v[24:25]
	s_waitcnt lgkmcnt(3)
	v_fma_f64 v[24:25], -v[34:35], v[160:161], v[24:25]
	v_fma_f64 v[22:23], -v[60:61], v[96:97], v[22:23]
	ds_read_b128 v[94:97], v82 offset:4960
	s_waitcnt lgkmcnt(2)
	v_fma_f64 v[24:25], -v[32:33], v[172:173], v[24:25]
	v_fma_f64 v[24:25], -v[64:65], v[120:121], v[24:25]
	;; [unrolled: 1-line block ×3, first 2 shown]
	ds_read_b128 v[86:89], v82 offset:4448
	s_waitcnt lgkmcnt(2)
	v_fma_f64 v[24:25], -v[66:67], v[70:71], v[24:25]
	v_fma_f64 v[22:23], -v[48:49], v[114:115], v[22:23]
	ds_read_b128 v[70:73], v82 offset:4208
	ds_read_b128 v[114:117], v82 offset:4192
	v_fma_f64 v[22:23], -v[50:51], v[92:93], v[22:23]
	ds_read_b128 v[90:93], v82 offset:3952
	v_fma_f64 v[22:23], -v[52:53], v[126:127], v[22:23]
	s_waitcnt lgkmcnt(2)
	v_fma_f64 v[24:25], -v[26:27], v[72:73], v[24:25]
	v_fma_f64 v[72:73], -v[42:43], v[134:135], v[22:23]
	ds_read_b128 v[126:129], v82 offset:3936
	s_waitcnt lgkmcnt(1)
	v_mul_f64 v[22:23], v[92:93], v[24:25]
	v_fma_f64 v[24:25], -v[40:41], v[142:143], v[72:73]
	v_fma_f64 v[24:25], -v[54:55], v[106:107], v[24:25]
	v_fma_f64 v[24:25], -v[62:63], v[150:151], v[24:25]
	v_fma_f64 v[24:25], -v[34:35], v[158:159], v[24:25]
	v_fma_f64 v[24:25], -v[32:33], v[170:171], v[24:25]
	v_fma_f64 v[24:25], -v[64:65], v[118:119], v[24:25]
	v_fma_f64 v[24:25], -v[66:67], v[68:69], v[24:25]
	v_fma_f64 v[24:25], -v[26:27], v[70:71], v[24:25]
	ds_read_b128 v[68:71], v82 offset:7776
	s_movk_i32 s5, 0x800
	v_add_u32_e64 v85, s5, 0
	ds_read2_b64 v[104:107], v85 offset0:140 offset1:206
	v_fma_f64 v[20:21], -v[78:79], v[102:103], v[20:21]
	v_fma_f64 v[24:25], -v[22:23], v[90:91], v[24:25]
	ds_read_b128 v[90:93], v82 offset:7760
	s_waitcnt lgkmcnt(2)
	v_fma_f64 v[20:21], -v[56:57], v[70:71], v[20:21]
	ds_read_b128 v[70:73], v82 offset:6752
	v_fma_f64 v[18:19], -v[78:79], v[100:101], v[18:19]
	v_fma_f64 v[20:21], -v[60:61], v[112:113], v[20:21]
	v_fma_f64 v[18:19], -v[56:57], v[68:69], v[18:19]
	v_fma_f64 v[20:21], -v[58:59], v[124:125], v[20:21]
	v_fma_f64 v[18:19], -v[60:61], v[110:111], v[18:19]
	s_waitcnt lgkmcnt(2)
	v_mul_f64 v[24:25], v[106:107], v[24:25]
	v_fma_f64 v[20:21], -v[48:49], v[132:133], v[20:21]
	ds_read_b128 v[106:109], v82 offset:6736
	ds_read_b128 v[118:121], v82 offset:5728
	v_fma_f64 v[18:19], -v[58:59], v[122:123], v[18:19]
	s_waitcnt lgkmcnt(2)
	v_fma_f64 v[20:21], -v[50:51], v[72:73], v[20:21]
	v_fma_f64 v[72:73], -v[48:49], v[130:131], v[18:19]
	ds_read_b128 v[166:169], v82 offset:5216
	ds_read_b128 v[132:135], v82 offset:5712
	v_fma_f64 v[20:21], -v[52:53], v[140:141], v[20:21]
	v_fma_f64 v[70:71], -v[50:51], v[70:71], v[72:73]
	;; [unrolled: 1-line block ×5, first 2 shown]
	ds_read_b128 v[140:143], v82 offset:4704
	v_fma_f64 v[70:71], -v[42:43], v[146:147], v[70:71]
	s_waitcnt lgkmcnt(3)
	v_fma_f64 v[20:21], -v[54:55], v[120:121], v[20:21]
	v_fma_f64 v[70:71], -v[40:41], v[154:155], v[70:71]
	;; [unrolled: 1-line block ×4, first 2 shown]
	s_waitcnt lgkmcnt(2)
	v_fma_f64 v[20:21], -v[34:35], v[168:169], v[20:21]
	v_fma_f64 v[70:71], -v[62:63], v[162:163], v[70:71]
	;; [unrolled: 1-line block ×3, first 2 shown]
	ds_read_b128 v[100:103], v82 offset:3680
	ds_read_b128 v[120:123], v82 offset:3664
	v_fma_f64 v[70:71], -v[34:35], v[166:167], v[70:71]
	ds_read_b128 v[96:99], v82 offset:4688
	s_waitcnt lgkmcnt(3)
	v_fma_f64 v[20:21], -v[64:65], v[142:143], v[20:21]
	ds_read_b128 v[110:113], v82 offset:3424
	v_fma_f64 v[70:71], -v[32:33], v[94:95], v[70:71]
	v_fma_f64 v[20:21], -v[66:67], v[88:89], v[20:21]
	v_fma_f64 v[70:71], -v[64:65], v[140:141], v[70:71]
	v_fma_f64 v[20:21], -v[26:27], v[116:117], v[20:21]
	v_fma_f64 v[70:71], -v[66:67], v[86:87], v[70:71]
	v_fma_f64 v[20:21], -v[22:23], v[128:129], v[20:21]
	v_fma_f64 v[70:71], -v[26:27], v[114:115], v[70:71]
	ds_read_b128 v[86:89], v82 offset:8016
	s_waitcnt lgkmcnt(4)
	v_fma_f64 v[68:69], -v[24:25], v[102:103], v[20:21]
	v_fma_f64 v[70:71], -v[22:23], v[126:127], v[70:71]
	ds_read_b128 v[18:21], v82 offset:3584
	s_waitcnt lgkmcnt(2)
	v_mul_f64 v[68:69], v[112:113], v[68:69]
	v_fma_f64 v[70:71], -v[24:25], v[100:101], v[70:71]
	v_fma_f64 v[70:71], -v[68:69], v[110:111], v[70:71]
	ds_read_b128 v[100:103], v82 offset:7504
	ds_read_b128 v[110:113], v82 offset:8000
	s_waitcnt lgkmcnt(3)
	v_fma_f64 v[16:17], -v[78:79], v[88:89], v[16:17]
	v_fma_f64 v[16:17], -v[56:57], v[92:93], v[16:17]
	ds_read_b128 v[92:95], v82 offset:7248
	ds_read_b128 v[114:117], v82 offset:7488
	v_mul_f64 v[70:71], v[104:105], v[70:71]
	s_waitcnt lgkmcnt(3)
	v_fma_f64 v[16:17], -v[60:61], v[102:103], v[16:17]
	ds_read_b128 v[102:105], v82 offset:6992
	ds_read_b128 v[124:127], v82 offset:7232
	;; [unrolled: 1-line block ×4, first 2 shown]
	s_waitcnt lgkmcnt(5)
	v_fma_f64 v[16:17], -v[58:59], v[94:95], v[16:17]
	ds_read_b128 v[140:143], v82 offset:6224
	ds_read_b128 v[144:147], v82 offset:6464
	s_waitcnt lgkmcnt(5)
	v_fma_f64 v[16:17], -v[48:49], v[104:105], v[16:17]
	ds_read_b128 v[148:151], v82 offset:5968
	ds_read_b128 v[152:155], v82 offset:6208
	v_fma_f64 v[16:17], -v[50:51], v[108:109], v[16:17]
	s_waitcnt lgkmcnt(5)
	v_fma_f64 v[16:17], -v[52:53], v[130:131], v[16:17]
	ds_read_b128 v[156:159], v82 offset:5456
	ds_read_b128 v[160:163], v82 offset:5952
	s_waitcnt lgkmcnt(5)
	v_fma_f64 v[16:17], -v[42:43], v[142:143], v[16:17]
	s_waitcnt lgkmcnt(3)
	v_fma_f64 v[16:17], -v[40:41], v[150:151], v[16:17]
	v_fma_f64 v[16:17], -v[54:55], v[134:135], v[16:17]
	;; [unrolled: 1-line block ×3, first 2 shown]
	s_waitcnt lgkmcnt(1)
	v_fma_f64 v[72:73], -v[62:63], v[158:159], v[16:17]
	v_fma_f64 v[80:81], -v[56:57], v[90:91], v[14:15]
	ds_read_b128 v[14:17], v82 offset:5200
	v_fma_f64 v[80:81], -v[60:61], v[100:101], v[80:81]
	ds_read_b128 v[164:167], v82 offset:4944
	;; [unrolled: 2-line block ×3, first 2 shown]
	s_waitcnt lgkmcnt(2)
	v_fma_f64 v[16:17], -v[34:35], v[16:17], v[72:73]
	v_fma_f64 v[72:73], -v[48:49], v[102:103], v[80:81]
	;; [unrolled: 1-line block ×3, first 2 shown]
	ds_read_b128 v[104:107], v82 offset:4432
	v_fma_f64 v[72:73], -v[52:53], v[128:129], v[72:73]
	ds_read_b128 v[128:131], v82 offset:4176
	ds_read_b128 v[100:103], v82 offset:4928
	s_waitcnt lgkmcnt(4)
	v_fma_f64 v[16:17], -v[32:33], v[166:167], v[16:17]
	v_fma_f64 v[72:73], -v[42:43], v[140:141], v[72:73]
	;; [unrolled: 1-line block ×4, first 2 shown]
	ds_read_b128 v[140:143], v82 offset:4416
	s_waitcnt lgkmcnt(3)
	v_fma_f64 v[16:17], -v[66:67], v[106:107], v[16:17]
	v_fma_f64 v[72:73], -v[54:55], v[132:133], v[72:73]
	ds_read_b128 v[106:109], v82 offset:4160
	s_waitcnt lgkmcnt(3)
	v_fma_f64 v[16:17], -v[26:27], v[130:131], v[16:17]
	ds_read_b128 v[130:133], v82 offset:3920
	v_fma_f64 v[72:73], -v[62:63], v[156:157], v[72:73]
	v_fma_f64 v[14:15], -v[34:35], v[14:15], v[72:73]
	ds_read_b128 v[148:151], v82 offset:3408
	v_fma_f64 v[14:15], -v[32:33], v[164:165], v[14:15]
	v_fma_f64 v[14:15], -v[64:65], v[96:97], v[14:15]
	ds_read_b128 v[94:97], v82 offset:3152
	ds_read_b128 v[168:171], v82 offset:3136
	;; [unrolled: 1-line block ×4, first 2 shown]
	s_waitcnt lgkmcnt(5)
	v_fma_f64 v[16:17], -v[22:23], v[132:133], v[16:17]
	v_fma_f64 v[16:17], -v[24:25], v[122:123], v[16:17]
	;; [unrolled: 1-line block ×3, first 2 shown]
	ds_read_b128 v[132:135], v82 offset:3392
	s_waitcnt lgkmcnt(5)
	v_fma_f64 v[16:17], -v[68:69], v[150:151], v[16:17]
	v_fma_f64 v[14:15], -v[26:27], v[128:129], v[14:15]
	s_waitcnt lgkmcnt(4)
	v_fma_f64 v[16:17], -v[70:71], v[96:97], v[16:17]
	v_fma_f64 v[72:73], -v[22:23], v[130:131], v[14:15]
	ds_read_b128 v[96:99], v82 offset:2880
	s_waitcnt lgkmcnt(3)
	v_mul_f64 v[14:15], v[166:167], v[16:17]
	v_fma_f64 v[16:17], -v[24:25], v[120:121], v[72:73]
	ds_read2_b64 v[118:121], v85 offset0:8 offset1:74
	ds_read_b128 v[128:131], v82 offset:7744
	v_fma_f64 v[16:17], -v[68:69], v[148:149], v[16:17]
	v_fma_f64 v[16:17], -v[70:71], v[94:95], v[16:17]
	;; [unrolled: 1-line block ×3, first 2 shown]
	s_waitcnt lgkmcnt(1)
	v_mul_f64 v[16:17], v[120:121], v[16:17]
	v_fma_f64 v[12:13], -v[78:79], v[112:113], v[12:13]
	ds_read_b128 v[120:123], v82 offset:7728
	ds_read_b128 v[148:151], v82 offset:6720
	s_waitcnt lgkmcnt(2)
	v_fma_f64 v[12:13], -v[56:57], v[130:131], v[12:13]
	v_fma_f64 v[12:13], -v[60:61], v[116:117], v[12:13]
	;; [unrolled: 1-line block ×5, first 2 shown]
	s_waitcnt lgkmcnt(0)
	v_fma_f64 v[10:11], -v[50:51], v[150:151], v[12:13]
	ds_read_b128 v[110:113], v82 offset:6704
	v_fma_f64 v[80:81], -v[52:53], v[146:147], v[10:11]
	ds_read_b128 v[10:13], v82 offset:5696
	ds_read_b128 v[86:89], v82 offset:5440
	v_fma_f64 v[80:81], -v[42:43], v[154:155], v[80:81]
	v_fma_f64 v[72:73], -v[56:57], v[128:129], v[72:73]
	;; [unrolled: 1-line block ×4, first 2 shown]
	ds_read_b128 v[114:117], v82 offset:4672
	s_waitcnt lgkmcnt(2)
	v_fma_f64 v[12:13], -v[54:55], v[12:13], v[80:81]
	ds_read_b128 v[126:129], v82 offset:5680
	s_waitcnt lgkmcnt(2)
	v_fma_f64 v[12:13], -v[62:63], v[88:89], v[12:13]
	v_fma_f64 v[12:13], -v[34:35], v[92:93], v[12:13]
	;; [unrolled: 1-line block ×3, first 2 shown]
	ds_read_b128 v[102:105], v82 offset:3648
	v_fma_f64 v[72:73], -v[58:59], v[124:125], v[72:73]
	ds_read_b128 v[92:95], v82 offset:4656
	s_waitcnt lgkmcnt(3)
	v_fma_f64 v[12:13], -v[64:65], v[116:117], v[12:13]
	v_fma_f64 v[12:13], -v[66:67], v[142:143], v[12:13]
	;; [unrolled: 1-line block ×7, first 2 shown]
	ds_read_b128 v[142:145], v82 offset:2624
	ds_read_b128 v[136:139], v82 offset:3632
	s_waitcnt lgkmcnt(3)
	v_fma_f64 v[12:13], -v[24:25], v[104:105], v[12:13]
	ds_read_b128 v[146:149], v82 offset:2368
	v_fma_f64 v[12:13], -v[68:69], v[134:135], v[12:13]
	v_fma_f64 v[12:13], -v[70:71], v[170:171], v[12:13]
	;; [unrolled: 1-line block ×5, first 2 shown]
	ds_read_b128 v[150:153], v82 offset:2608
	s_waitcnt lgkmcnt(3)
	v_fma_f64 v[80:81], -v[16:17], v[144:145], v[12:13]
	v_fma_f64 v[88:89], -v[54:55], v[10:11], v[72:73]
	ds_read_b128 v[10:13], v82 offset:2560
	s_waitcnt lgkmcnt(2)
	v_mul_f64 v[72:73], v[148:149], v[80:81]
	v_fma_f64 v[80:81], -v[62:63], v[86:87], v[88:89]
	v_fma_f64 v[80:81], -v[34:35], v[90:91], v[80:81]
	;; [unrolled: 1-line block ×7, first 2 shown]
	ds_read_b128 v[86:89], v82 offset:7984
	v_fma_f64 v[80:81], -v[24:25], v[102:103], v[80:81]
	v_fma_f64 v[80:81], -v[68:69], v[132:133], v[80:81]
	;; [unrolled: 1-line block ×4, first 2 shown]
	ds_read_b128 v[96:99], v82 offset:7472
	ds_read_b128 v[100:103], v82 offset:7968
	s_waitcnt lgkmcnt(2)
	v_fma_f64 v[8:9], -v[78:79], v[88:89], v[8:9]
	ds_read_b128 v[88:91], v82 offset:7216
	ds_read_b128 v[104:107], v82 offset:7456
	v_fma_f64 v[8:9], -v[56:57], v[122:123], v[8:9]
	ds_read_b128 v[114:117], v82 offset:6960
	ds_read_b128 v[122:125], v82 offset:7200
	v_fma_f64 v[80:81], -v[16:17], v[142:143], v[80:81]
	s_waitcnt lgkmcnt(5)
	v_fma_f64 v[8:9], -v[60:61], v[98:99], v[8:9]
	ds_read_b128 v[130:133], v82 offset:6448
	ds_read_b128 v[140:143], v82 offset:6944
	v_fma_f64 v[80:81], -v[72:73], v[146:147], v[80:81]
	s_waitcnt lgkmcnt(5)
	v_fma_f64 v[8:9], -v[58:59], v[90:91], v[8:9]
	v_mul_f64 v[80:81], v[118:119], v[80:81]
	s_waitcnt lgkmcnt(3)
	v_fma_f64 v[8:9], -v[48:49], v[116:117], v[8:9]
	ds_read_b128 v[116:119], v82 offset:6192
	ds_read_b128 v[144:147], v82 offset:6432
	v_fma_f64 v[8:9], -v[50:51], v[112:113], v[8:9]
	s_waitcnt lgkmcnt(3)
	v_fma_f64 v[8:9], -v[52:53], v[132:133], v[8:9]
	ds_read_b128 v[132:135], v82 offset:5936
	ds_read_b128 v[154:157], v82 offset:6176
	s_waitcnt lgkmcnt(3)
	v_fma_f64 v[90:91], -v[42:43], v[118:119], v[8:9]
	v_fma_f64 v[86:87], -v[78:79], v[86:87], v[6:7]
	ds_read_b128 v[6:9], v82 offset:5424
	ds_read_b128 v[158:161], v82 offset:5920
	s_waitcnt lgkmcnt(3)
	v_fma_f64 v[90:91], -v[40:41], v[134:135], v[90:91]
	v_fma_f64 v[86:87], -v[56:57], v[120:121], v[86:87]
	;; [unrolled: 1-line block ×3, first 2 shown]
	ds_read_b128 v[118:121], v82 offset:5408
	v_fma_f64 v[86:87], -v[60:61], v[96:97], v[86:87]
	ds_read_b128 v[96:99], v82 offset:5168
	s_waitcnt lgkmcnt(3)
	v_fma_f64 v[8:9], -v[62:63], v[8:9], v[90:91]
	v_fma_f64 v[90:91], -v[58:59], v[88:89], v[86:87]
	ds_read_b128 v[86:89], v82 offset:4912
	v_fma_f64 v[90:91], -v[48:49], v[114:115], v[90:91]
	s_waitcnt lgkmcnt(1)
	v_fma_f64 v[8:9], -v[34:35], v[98:99], v[8:9]
	ds_read_b128 v[112:115], v82 offset:5152
	v_fma_f64 v[90:91], -v[50:51], v[110:111], v[90:91]
	s_waitcnt lgkmcnt(1)
	v_fma_f64 v[8:9], -v[32:33], v[88:89], v[8:9]
	ds_read_b128 v[108:111], v82 offset:4896
	v_fma_f64 v[8:9], -v[64:65], v[94:95], v[8:9]
	v_fma_f64 v[94:95], -v[52:53], v[130:131], v[90:91]
	ds_read_b128 v[88:91], v82 offset:4400
	ds_read_b128 v[128:131], v82 offset:4144
	v_fma_f64 v[94:95], -v[42:43], v[116:117], v[94:95]
	v_fma_f64 v[94:95], -v[40:41], v[132:133], v[94:95]
	ds_read_b128 v[132:135], v82 offset:4384
	s_waitcnt lgkmcnt(2)
	v_fma_f64 v[8:9], -v[66:67], v[90:91], v[8:9]
	v_fma_f64 v[90:91], -v[54:55], v[126:127], v[94:95]
	ds_read_b128 v[162:165], v82 offset:4128
	s_waitcnt lgkmcnt(2)
	v_fma_f64 v[98:99], -v[26:27], v[130:131], v[8:9]
	v_fma_f64 v[90:91], -v[62:63], v[6:7], v[90:91]
	ds_read_b128 v[6:9], v82 offset:3888
	v_fma_f64 v[90:91], -v[34:35], v[96:97], v[90:91]
	ds_read_b128 v[94:97], v82 offset:3376
	ds_read_b128 v[166:169], v82 offset:3872
	v_fma_f64 v[86:87], -v[32:33], v[86:87], v[90:91]
	s_waitcnt lgkmcnt(2)
	v_fma_f64 v[8:9], -v[22:23], v[8:9], v[98:99]
	v_fma_f64 v[8:9], -v[24:25], v[138:139], v[8:9]
	;; [unrolled: 1-line block ×3, first 2 shown]
	ds_read_b128 v[90:93], v82 offset:3360
	s_waitcnt lgkmcnt(2)
	v_fma_f64 v[116:117], -v[68:69], v[96:97], v[8:9]
	v_fma_f64 v[8:9], -v[66:67], v[88:89], v[86:87]
	ds_read_b128 v[86:89], v82 offset:3120
	ds_read_b128 v[96:99], v82 offset:2864
	v_fma_f64 v[8:9], -v[26:27], v[128:129], v[8:9]
	v_fma_f64 v[126:127], -v[22:23], v[6:7], v[8:9]
	ds_read_b128 v[6:9], v82 offset:3104
	s_waitcnt lgkmcnt(2)
	v_fma_f64 v[88:89], -v[70:71], v[88:89], v[116:117]
	v_fma_f64 v[116:117], -v[24:25], v[136:137], v[126:127]
	s_waitcnt lgkmcnt(1)
	v_fma_f64 v[88:89], -v[14:15], v[98:99], v[88:89]
	ds_read_b128 v[126:129], v82 offset:2848
	ds_read_b128 v[136:139], v82 offset:2352
	v_fma_f64 v[98:99], -v[16:17], v[152:153], v[88:89]
	v_fma_f64 v[88:89], -v[68:69], v[94:95], v[116:117]
	;; [unrolled: 1-line block ×3, first 2 shown]
	ds_read_b128 v[86:89], v82 offset:2096
	v_fma_f64 v[116:117], -v[14:15], v[96:97], v[94:95]
	s_waitcnt lgkmcnt(1)
	v_fma_f64 v[98:99], -v[72:73], v[138:139], v[98:99]
	v_fma_f64 v[116:117], -v[16:17], v[150:151], v[116:117]
	ds_read_b128 v[94:97], v82 offset:2336
	s_waitcnt lgkmcnt(1)
	v_fma_f64 v[130:131], -v[80:81], v[88:89], v[98:99]
	v_fma_f64 v[88:89], -v[72:73], v[136:137], v[116:117]
	ds_read_b128 v[148:151], v82 offset:2080
	ds_read_b128 v[136:139], v82 offset:1840
	v_fma_f64 v[116:117], -v[80:81], v[86:87], v[88:89]
	v_fma_f64 v[4:5], -v[78:79], v[102:103], v[4:5]
	;; [unrolled: 1-line block ×3, first 2 shown]
	ds_read_b128 v[86:89], v82 offset:7712
	ds_read_b128 v[98:101], v82 offset:1824
	s_waitcnt lgkmcnt(2)
	v_mul_f64 v[2:3], v[138:139], v[130:131]
	v_fma_f64 v[116:117], -v[2:3], v[136:137], v[116:117]
	ds_read_b128 v[136:139], v82 offset:7696
	s_waitcnt lgkmcnt(2)
	v_fma_f64 v[4:5], -v[56:57], v[88:89], v[4:5]
	v_fma_f64 v[102:103], -v[56:57], v[86:87], v[102:103]
	;; [unrolled: 1-line block ×6, first 2 shown]
	ds_read_b128 v[122:125], v82 offset:6688
	v_fma_f64 v[4:5], -v[48:49], v[142:143], v[4:5]
	v_fma_f64 v[106:107], -v[48:49], v[140:141], v[106:107]
	ds_read2_b64 v[86:89], v1 offset0:64 offset1:96
	ds_read2_b64 v[102:105], v1 offset1:32
	ds_write2_b64 v84, v[54:55], v[40:41] offset0:192 offset1:224
	ds_write2_b64 v84, v[34:35], v[62:63] offset0:128 offset1:160
	ds_read_b128 v[140:143], v82 offset:6672
	s_waitcnt lgkmcnt(5)
	v_fma_f64 v[130:131], -v[50:51], v[124:125], v[4:5]
	v_fma_f64 v[106:107], -v[50:51], v[122:123], v[106:107]
	ds_read2_b64 v[122:125], v82 offset0:132 offset1:198
	ds_write2_b64 v84, v[64:65], v[32:33] offset0:64 offset1:96
	ds_write2_b64 v84, v[26:27], v[66:67] offset1:32
	ds_write2_b64 v83, v[24:25], v[22:23] offset0:192 offset1:224
	ds_write2_b64 v83, v[70:71], v[68:69] offset0:128 offset1:160
	v_fma_f64 v[84:85], -v[52:53], v[146:147], v[130:131]
	v_fma_f64 v[106:107], -v[52:53], v[144:145], v[106:107]
	ds_read_b128 v[144:147], v82 offset:5664
	v_fma_f64 v[84:85], -v[42:43], v[156:157], v[84:85]
	v_fma_f64 v[106:107], -v[42:43], v[154:155], v[106:107]
	;; [unrolled: 1-line block ×4, first 2 shown]
	ds_read_b128 v[156:159], v82 offset:4640
	ds_read_b128 v[152:155], v82 offset:5648
	s_waitcnt lgkmcnt(2)
	v_fma_f64 v[84:85], -v[54:55], v[146:147], v[84:85]
	v_fma_f64 v[84:85], -v[62:63], v[120:121], v[84:85]
	;; [unrolled: 1-line block ×6, first 2 shown]
	ds_read_b128 v[118:121], v82 offset:3616
	v_mul_f64 v[4:5], v[124:125], v[116:117]
	ds_read_b128 v[114:117], v82 offset:4624
	s_waitcnt lgkmcnt(3)
	v_fma_f64 v[84:85], -v[64:65], v[158:159], v[84:85]
	v_fma_f64 v[84:85], -v[66:67], v[134:135], v[84:85]
	;; [unrolled: 1-line block ×5, first 2 shown]
	ds_read_b128 v[110:113], v82 offset:3600
	s_waitcnt lgkmcnt(2)
	v_fma_f64 v[84:85], -v[24:25], v[120:121], v[84:85]
	v_fma_f64 v[84:85], -v[68:69], v[92:93], v[84:85]
	;; [unrolled: 1-line block ×3, first 2 shown]
	ds_read_b128 v[106:109], v82 offset:2592
	v_fma_f64 v[8:9], -v[70:71], v[8:9], v[84:85]
	v_fma_f64 v[84:85], -v[64:65], v[156:157], v[92:93]
	;; [unrolled: 1-line block ×4, first 2 shown]
	ds_read_b128 v[132:135], v82 offset:1568
	ds_read_b128 v[156:159], v82 offset:1552
	;; [unrolled: 1-line block ×3, first 2 shown]
	s_waitcnt lgkmcnt(3)
	v_fma_f64 v[8:9], -v[16:17], v[108:109], v[8:9]
	ds_read_b128 v[144:147], v82 offset:1312
	v_fma_f64 v[8:9], -v[72:73], v[96:97], v[8:9]
	v_fma_f64 v[8:9], -v[80:81], v[150:151], v[8:9]
	;; [unrolled: 1-line block ×5, first 2 shown]
	s_waitcnt lgkmcnt(3)
	v_fma_f64 v[8:9], -v[4:5], v[134:135], v[8:9]
	v_fma_f64 v[84:85], -v[24:25], v[118:119], v[84:85]
	ds_read_b128 v[118:121], v82 offset:1536
	s_waitcnt lgkmcnt(1)
	v_mul_f64 v[168:169], v[146:147], v[8:9]
	v_fma_f64 v[8:9], -v[68:69], v[90:91], v[84:85]
	v_fma_f64 v[6:7], -v[70:71], v[6:7], v[8:9]
	;; [unrolled: 1-line block ×7, first 2 shown]
	ds_read_b128 v[6:9], v82 offset:7952
	ds_read_b128 v[90:93], v82 offset:7936
	;; [unrolled: 1-line block ×3, first 2 shown]
	v_fma_f64 v[84:85], -v[4:5], v[132:133], v[84:85]
	v_fma_f64 v[84:85], -v[168:169], v[144:145], v[84:85]
	v_mul_f64 v[170:171], v[122:123], v[84:85]
	s_waitcnt lgkmcnt(2)
	v_fma_f64 v[8:9], -v[78:79], v[8:9], v[88:89]
	ds_read_b128 v[98:101], v82 offset:7184
	ds_read_b128 v[106:109], v82 offset:6928
	;; [unrolled: 1-line block ×3, first 2 shown]
	v_fma_f64 v[8:9], -v[56:57], v[138:139], v[8:9]
	s_waitcnt lgkmcnt(3)
	v_fma_f64 v[8:9], -v[60:61], v[96:97], v[8:9]
	s_waitcnt lgkmcnt(2)
	v_fma_f64 v[8:9], -v[58:59], v[100:101], v[8:9]
	ds_read_b128 v[144:147], v82 offset:6912
	ds_read_b128 v[148:151], v82 offset:6416
	s_waitcnt lgkmcnt(3)
	v_fma_f64 v[8:9], -v[48:49], v[108:109], v[8:9]
	v_fma_f64 v[88:89], -v[50:51], v[142:143], v[8:9]
	;; [unrolled: 1-line block ×3, first 2 shown]
	ds_read_b128 v[6:9], v82 offset:6160
	ds_read_b128 v[84:87], v82 offset:6400
	s_waitcnt lgkmcnt(2)
	v_fma_f64 v[100:101], -v[52:53], v[150:151], v[88:89]
	v_fma_f64 v[92:93], -v[78:79], v[92:93], v[104:105]
	;; [unrolled: 1-line block ×3, first 2 shown]
	ds_read_b128 v[88:91], v82 offset:6144
	s_waitcnt lgkmcnt(2)
	v_fma_f64 v[8:9], -v[42:43], v[8:9], v[100:101]
	ds_read_b128 v[100:103], v82 offset:5904
	ds_read_b128 v[132:135], v82 offset:7168
	v_fma_f64 v[96:97], -v[56:57], v[136:137], v[96:97]
	v_fma_f64 v[104:105], -v[56:57], v[76:77], v[92:93]
	;; [unrolled: 1-line block ×3, first 2 shown]
	ds_read_b128 v[74:77], v82 offset:5392
	ds_read_b128 v[136:139], v82 offset:5888
	s_waitcnt lgkmcnt(3)
	v_fma_f64 v[8:9], -v[40:41], v[102:103], v[8:9]
	v_fma_f64 v[8:9], -v[54:55], v[154:155], v[8:9]
	;; [unrolled: 1-line block ×3, first 2 shown]
	s_waitcnt lgkmcnt(1)
	v_fma_f64 v[8:9], -v[62:63], v[76:77], v[8:9]
	v_fma_f64 v[108:109], -v[58:59], v[98:99], v[78:79]
	ds_read_b128 v[76:79], v82 offset:5136
	ds_read_b128 v[96:99], v82 offset:4880
	v_fma_f64 v[102:103], -v[60:61], v[124:125], v[104:105]
	v_fma_f64 v[56:57], -v[60:61], v[122:123], v[56:57]
	;; [unrolled: 1-line block ×4, first 2 shown]
	ds_read_b128 v[56:59], v82 offset:5120
	s_waitcnt lgkmcnt(2)
	v_fma_f64 v[8:9], -v[34:35], v[78:79], v[8:9]
	v_fma_f64 v[78:79], -v[48:49], v[106:107], v[108:109]
	ds_read_b128 v[106:109], v82 offset:4368
	ds_read_b128 v[132:135], v82 offset:4352
	;; [unrolled: 1-line block ×4, first 2 shown]
	s_waitcnt lgkmcnt(5)
	v_fma_f64 v[8:9], -v[32:33], v[98:99], v[8:9]
	v_fma_f64 v[78:79], -v[50:51], v[140:141], v[78:79]
	;; [unrolled: 1-line block ×4, first 2 shown]
	s_waitcnt lgkmcnt(3)
	v_fma_f64 v[98:99], -v[66:67], v[108:109], v[8:9]
	v_fma_f64 v[78:79], -v[42:43], v[6:7], v[78:79]
	ds_read_b128 v[6:9], v82 offset:4096
	s_waitcnt lgkmcnt(2)
	v_fma_f64 v[108:109], -v[26:27], v[124:125], v[98:99]
	v_fma_f64 v[78:79], -v[40:41], v[100:101], v[78:79]
	ds_read_b128 v[98:101], v82 offset:3856
	ds_read_b128 v[140:143], v82 offset:3840
	v_fma_f64 v[60:61], -v[48:49], v[146:147], v[60:61]
	ds_read_b128 v[92:95], v82 offset:5376
	v_fma_f64 v[46:47], -v[50:51], v[46:47], v[60:61]
	v_fma_f64 v[78:79], -v[54:55], v[152:153], v[78:79]
	;; [unrolled: 1-line block ×5, first 2 shown]
	ds_read_b128 v[124:127], v82 offset:3344
	s_waitcnt lgkmcnt(3)
	v_fma_f64 v[78:79], -v[22:23], v[100:101], v[108:109]
	v_fma_f64 v[100:101], -v[34:35], v[76:77], v[74:75]
	;; [unrolled: 1-line block ×4, first 2 shown]
	ds_read_b128 v[148:151], v82 offset:3088
	v_fma_f64 v[38:39], -v[54:55], v[38:39], v[46:47]
	v_fma_f64 v[78:79], -v[24:25], v[112:113], v[78:79]
	;; [unrolled: 1-line block ×3, first 2 shown]
	ds_read_b128 v[112:115], v82 offset:2832
	s_waitcnt lgkmcnt(3)
	v_fma_f64 v[38:39], -v[62:63], v[94:95], v[38:39]
	v_fma_f64 v[38:39], -v[34:35], v[58:59], v[38:39]
	;; [unrolled: 1-line block ×4, first 2 shown]
	ds_read_b128 v[74:77], v82 offset:3328
	s_waitcnt lgkmcnt(3)
	v_fma_f64 v[78:79], -v[68:69], v[126:127], v[78:79]
	v_fma_f64 v[96:97], -v[26:27], v[122:123], v[96:97]
	;; [unrolled: 1-line block ×3, first 2 shown]
	ds_read_b128 v[106:109], v82 offset:3072
	s_waitcnt lgkmcnt(3)
	v_fma_f64 v[78:79], -v[70:71], v[150:151], v[78:79]
	v_fma_f64 v[100:101], -v[22:23], v[98:99], v[96:97]
	ds_read_b128 v[96:99], v82 offset:2320
	v_fma_f64 v[30:31], -v[66:67], v[134:135], v[30:31]
	ds_read_b128 v[150:153], v82 offset:2816
	s_waitcnt lgkmcnt(4)
	v_fma_f64 v[78:79], -v[14:15], v[114:115], v[78:79]
	ds_read_b128 v[114:117], v82 offset:2064
	v_fma_f64 v[8:9], -v[26:27], v[8:9], v[30:31]
	v_fma_f64 v[8:9], -v[22:23], v[142:143], v[8:9]
	;; [unrolled: 1-line block ×6, first 2 shown]
	s_waitcnt lgkmcnt(4)
	v_fma_f64 v[8:9], -v[68:69], v[76:77], v[8:9]
	ds_read_b128 v[122:125], v82 offset:2304
	s_waitcnt lgkmcnt(3)
	v_fma_f64 v[78:79], -v[72:73], v[98:99], v[78:79]
	v_fma_f64 v[110:111], -v[70:71], v[148:149], v[100:101]
	;; [unrolled: 1-line block ×3, first 2 shown]
	ds_read_b128 v[98:101], v82 offset:2048
	s_waitcnt lgkmcnt(2)
	v_fma_f64 v[78:79], -v[80:81], v[116:117], v[78:79]
	v_fma_f64 v[116:117], -v[14:15], v[112:113], v[110:111]
	ds_read_b128 v[110:113], v82 offset:1808
	ds_read_b128 v[160:163], v82 offset:1792
	v_fma_f64 v[8:9], -v[14:15], v[152:153], v[8:9]
	v_fma_f64 v[8:9], -v[16:17], v[12:13], v[8:9]
	;; [unrolled: 1-line block ×4, first 2 shown]
	ds_read_b128 v[126:129], v82 offset:1296
	v_fma_f64 v[12:13], -v[50:51], v[44:45], v[12:13]
	v_fma_f64 v[12:13], -v[52:53], v[84:85], v[12:13]
	;; [unrolled: 1-line block ×4, first 2 shown]
	s_waitcnt lgkmcnt(2)
	v_fma_f64 v[78:79], -v[2:3], v[112:113], v[78:79]
	v_fma_f64 v[12:13], -v[40:41], v[136:137], v[12:13]
	;; [unrolled: 1-line block ×5, first 2 shown]
	ds_read_b128 v[112:115], v82 offset:1280
	s_waitcnt lgkmcnt(1)
	v_fma_f64 v[78:79], -v[168:169], v[128:129], v[78:79]
	v_fma_f64 v[96:97], -v[2:3], v[110:111], v[96:97]
	ds_read_b128 v[128:131], v82 offset:1040
	ds_read_b128 v[164:167], v82 offset:1024
	v_fma_f64 v[12:13], -v[62:63], v[92:93], v[12:13]
	v_fma_f64 v[96:97], -v[4:5], v[156:157], v[96:97]
	ds_read_b128 v[154:157], v82 offset:784
	v_fma_f64 v[12:13], -v[34:35], v[56:57], v[12:13]
	v_fma_f64 v[12:13], -v[32:33], v[102:103], v[12:13]
	;; [unrolled: 1-line block ×5, first 2 shown]
	s_waitcnt lgkmcnt(2)
	v_fma_f64 v[78:79], -v[170:171], v[130:131], v[78:79]
	v_fma_f64 v[6:7], -v[26:27], v[6:7], v[12:13]
	;; [unrolled: 1-line block ×3, first 2 shown]
	ds_read_b128 v[126:129], v82 offset:768
	s_waitcnt lgkmcnt(1)
	v_mul_f64 v[78:79], v[156:157], v[78:79]
	v_fma_f64 v[6:7], -v[22:23], v[140:141], v[6:7]
	v_fma_f64 v[96:97], -v[78:79], v[154:155], v[96:97]
	ds_read2_b64 v[154:157], v82 offset1:66
	v_fma_f64 v[6:7], -v[24:25], v[18:19], v[6:7]
	v_fma_f64 v[6:7], -v[68:69], v[74:75], v[6:7]
	;; [unrolled: 1-line block ×6, first 2 shown]
	s_waitcnt lgkmcnt(0)
	v_mul_f64 v[96:97], v[156:157], v[96:97]
	v_fma_f64 v[8:9], -v[80:81], v[100:101], v[8:9]
	v_fma_f64 v[6:7], -v[72:73], v[122:123], v[6:7]
	ds_write2_b64 v83, v[16:17], v[14:15] offset0:64 offset1:96
	ds_write2_b64 v83, v[80:81], v[72:73] offset1:32
	ds_write2_b64 v1, v[4:5], v[2:3] offset0:192 offset1:224
	ds_write2_b64 v1, v[170:171], v[168:169] offset0:128 offset1:160
	;; [unrolled: 1-line block ×3, first 2 shown]
	v_fma_f64 v[8:9], -v[2:3], v[162:163], v[8:9]
	v_fma_f64 v[6:7], -v[80:81], v[98:99], v[6:7]
	;; [unrolled: 1-line block ×3, first 2 shown]
	ds_read_b128 v[46:49], v82 offset:512
	ds_read_b128 v[58:61], v82 offset:256
	v_fma_f64 v[2:3], -v[2:3], v[160:161], v[6:7]
	v_fma_f64 v[8:9], -v[168:169], v[114:115], v[8:9]
	;; [unrolled: 1-line block ×7, first 2 shown]
	s_waitcnt lgkmcnt(1)
	v_fma_f64 v[8:9], -v[96:97], v[48:49], v[8:9]
	v_fma_f64 v[2:3], -v[78:79], v[126:127], v[2:3]
	s_waitcnt lgkmcnt(0)
	v_mul_f64 v[8:9], v[60:61], v[8:9]
	v_fma_f64 v[2:3], -v[96:97], v[46:47], v[2:3]
	v_fma_f64 v[2:3], -v[8:9], v[58:59], v[2:3]
	v_mul_f64 v[2:3], v[154:155], v[2:3]
	s_mov_b32 s5, -1
	ds_write2_b64 v1, v[2:3], v[8:9] offset1:32
.LBB102_27:
	s_cmp_gt_i32 s5, -1
	s_cbranch_scc0 .LBB102_50
; %bb.28:
	s_cmp_lt_u32 s5, 27
	s_cbranch_scc1 .LBB102_33
; %bb.29:
	s_lshl_b32 s6, s5, 8
	v_add_u32_e32 v58, s6, v1
	v_add_u32_e32 v2, 0xffffff00, v58
	v_add_u32_e32 v3, 0xfffffe00, v58
	v_add_u32_e32 v4, 0xfffffd00, v58
	ds_read_b64 v[14:15], v58
	ds_read_b64 v[12:13], v2
	ds_read_b64 v[16:17], v3
	ds_read_b64 v[18:19], v4
	v_add_u32_e32 v2, 0xfffffc00, v58
	v_add_u32_e32 v3, 0xfffffb00, v58
	v_add_u32_e32 v4, 0xfffffa00, v58
	v_add_u32_e32 v5, 0xfffff900, v58
	ds_read_b64 v[20:21], v2
	ds_read_b64 v[22:23], v3
	ds_read_b64 v[26:27], v4
	ds_read_b64 v[28:29], v5
	;; [unrolled: 8-line block ×7, first 2 shown]
	s_cmp_le_i32 s4, s5
	s_cbranch_scc1 .LBB102_32
; %bb.30:
	s_lshl_b32 s7, s22, 8
	s_lshl_b32 s8, s5, 3
	v_lshl_or_b32 v59, v0, 3, s7
	s_add_i32 s7, s7, s8
	v_add_u32_e32 v59, 0x1f00, v59
	s_addk_i32 s7, 0xfe28
	s_mov_b32 s8, s4
.LBB102_31:                             ; =>This Inner Loop Header: Depth=1
	v_mov_b32_e32 v112, s7
	ds_read_b64 v[116:117], v59
	ds_read2_b64 v[60:63], v112 offset0:26 offset1:27
	ds_read2_b64 v[64:67], v112 offset0:24 offset1:25
	;; [unrolled: 1-line block ×13, first 2 shown]
	ds_read2_b64 v[112:115], v112 offset1:1
	s_add_i32 s8, s8, -1
	s_addk_i32 s7, 0xff00
	v_add_u32_e32 v59, 0xffffff00, v59
	s_cmp_gt_i32 s8, s5
	s_waitcnt lgkmcnt(13)
	v_fma_f64 v[14:15], -v[116:117], v[62:63], v[14:15]
	v_fma_f64 v[12:13], -v[116:117], v[60:61], v[12:13]
	s_waitcnt lgkmcnt(12)
	v_fma_f64 v[16:17], -v[116:117], v[66:67], v[16:17]
	v_fma_f64 v[18:19], -v[116:117], v[64:65], v[18:19]
	;; [unrolled: 3-line block ×14, first 2 shown]
	s_cbranch_scc1 .LBB102_31
.LBB102_32:
	s_add_i32 s7, s5, -1
	s_lshl_b32 s8, s7, 3
	s_add_i32 s9, s8, s6
	v_mov_b32_e32 v59, s9
	ds_read2_b64 v[60:63], v59 offset1:1
	s_lshl_b32 s7, s7, 8
	s_add_i32 s9, s5, -3
	s_add_i32 s8, s8, s7
	s_lshl_b32 s12, s9, 3
	v_mov_b32_e32 v59, s8
	s_waitcnt lgkmcnt(0)
	v_mul_f64 v[14:15], v[62:63], v[14:15]
	s_add_i32 s8, s12, s6
	ds_write_b64 v58, v[14:15]
	v_mov_b32_e32 v58, s8
	s_add_i32 s8, s12, s7
	ds_read_b64 v[66:67], v59
	v_mov_b32_e32 v62, s8
	v_fma_f64 v[12:13], -v[14:15], v[60:61], v[12:13]
	ds_read2_b64 v[58:61], v58 offset1:1
	ds_read2_b64 v[62:65], v62 offset1:1
	s_add_i32 s8, s6, 0xfffffe00
	s_add_i32 s13, s12, s8
	s_waitcnt lgkmcnt(2)
	v_mul_f64 v[12:13], v[66:67], v[12:13]
	v_add_u32_e32 v66, s7, v1
	s_waitcnt lgkmcnt(1)
	v_fma_f64 v[16:17], -v[14:15], v[60:61], v[16:17]
	v_mov_b32_e32 v60, s13
	s_lshl_b32 s9, s9, 8
	ds_write_b64 v66, v[12:13]
	s_waitcnt lgkmcnt(1)
	v_fma_f64 v[16:17], -v[12:13], v[64:65], v[16:17]
	ds_read2_b64 v[64:67], v60 offset1:1
	s_add_i32 s12, s12, s9
	v_mov_b32_e32 v60, s12
	ds_read_b64 v[60:61], v60
	s_add_i32 s13, s5, -5
	s_lshl_b32 s14, s13, 3
	v_fma_f64 v[18:19], -v[14:15], v[58:59], v[18:19]
	s_add_i32 s12, s14, s6
	s_waitcnt lgkmcnt(1)
	v_mul_f64 v[16:17], v[66:67], v[16:17]
	v_add_u32_e32 v66, s8, v1
	v_fma_f64 v[18:19], -v[12:13], v[62:63], v[18:19]
	v_mov_b32_e32 v58, s12
	s_add_i32 s12, s14, s7
	ds_write_b64 v66, v[16:17]
	v_fma_f64 v[18:19], -v[16:17], v[64:65], v[18:19]
	v_mov_b32_e32 v62, s12
	s_add_i32 s12, s14, s8
	s_waitcnt lgkmcnt(1)
	v_mul_f64 v[18:19], v[60:61], v[18:19]
	ds_read2_b64 v[58:61], v58 offset1:1
	ds_read2_b64 v[62:65], v62 offset1:1
	v_mov_b32_e32 v66, s12
	s_add_i32 s12, s14, s9
	v_mov_b32_e32 v70, s12
	ds_read2_b64 v[66:69], v66 offset1:1
	ds_read2_b64 v[70:73], v70 offset1:1
	s_waitcnt lgkmcnt(3)
	v_fma_f64 v[20:21], -v[14:15], v[60:61], v[20:21]
	s_add_i32 s12, s6, 0xfffffc00
	s_waitcnt lgkmcnt(2)
	v_fma_f64 v[20:21], -v[12:13], v[64:65], v[20:21]
	s_add_i32 s15, s14, s12
	v_add_u32_e32 v74, s9, v1
	s_waitcnt lgkmcnt(1)
	v_fma_f64 v[20:21], -v[16:17], v[68:69], v[20:21]
	v_mov_b32_e32 v60, s15
	s_lshl_b32 s13, s13, 8
	ds_write_b64 v74, v[18:19]
	s_waitcnt lgkmcnt(1)
	v_fma_f64 v[20:21], -v[18:19], v[72:73], v[20:21]
	ds_read2_b64 v[72:75], v60 offset1:1
	s_add_i32 s14, s14, s13
	v_mov_b32_e32 v60, s14
	ds_read_b64 v[60:61], v60
	v_fma_f64 v[22:23], -v[14:15], v[58:59], v[22:23]
	v_fma_f64 v[22:23], -v[12:13], v[62:63], v[22:23]
	s_add_i32 s15, s5, -7
	v_fma_f64 v[22:23], -v[16:17], v[66:67], v[22:23]
	s_lshl_b32 s17, s15, 3
	s_waitcnt lgkmcnt(1)
	v_mul_f64 v[20:21], v[74:75], v[20:21]
	v_fma_f64 v[22:23], -v[18:19], v[70:71], v[22:23]
	s_add_i32 s14, s17, s6
	v_fma_f64 v[22:23], -v[20:21], v[72:73], v[22:23]
	v_mov_b32_e32 v58, s14
	s_waitcnt lgkmcnt(0)
	v_mul_f64 v[22:23], v[60:61], v[22:23]
	ds_read2_b64 v[58:61], v58 offset1:1
	v_add_u32_e32 v62, s13, v1
	s_add_i32 s14, s17, s7
	v_add_u32_e32 v64, s12, v1
	ds_write_b64 v62, v[22:23]
	v_mov_b32_e32 v62, s14
	ds_write_b64 v64, v[20:21]
	ds_read2_b64 v[62:65], v62 offset1:1
	s_add_i32 s14, s17, s8
	s_waitcnt lgkmcnt(3)
	v_fma_f64 v[26:27], -v[14:15], v[60:61], v[26:27]
	v_mov_b32_e32 v60, s14
	s_add_i32 s14, s17, s9
	v_mov_b32_e32 v61, s14
	ds_read2_b64 v[66:69], v60 offset1:1
	ds_read2_b64 v[70:73], v61 offset1:1
	s_add_i32 s14, s17, s12
	v_mov_b32_e32 v60, s14
	s_add_i32 s14, s17, s13
	v_mov_b32_e32 v61, s14
	ds_read2_b64 v[74:77], v60 offset1:1
	ds_read2_b64 v[78:81], v61 offset1:1
	s_waitcnt lgkmcnt(4)
	v_fma_f64 v[26:27], -v[12:13], v[64:65], v[26:27]
	s_waitcnt lgkmcnt(3)
	v_fma_f64 v[26:27], -v[16:17], v[68:69], v[26:27]
	s_add_i32 s14, s6, 0xfffffa00
	s_waitcnt lgkmcnt(2)
	v_fma_f64 v[26:27], -v[18:19], v[72:73], v[26:27]
	s_add_i32 s18, s17, s14
	s_waitcnt lgkmcnt(1)
	v_fma_f64 v[26:27], -v[20:21], v[76:77], v[26:27]
	v_mov_b32_e32 v60, s18
	s_lshl_b32 s15, s15, 8
	s_waitcnt lgkmcnt(0)
	v_fma_f64 v[26:27], -v[22:23], v[80:81], v[26:27]
	ds_read2_b64 v[80:83], v60 offset1:1
	s_add_i32 s17, s17, s15
	v_fma_f64 v[28:29], -v[14:15], v[58:59], v[28:29]
	v_mov_b32_e32 v60, s17
	v_fma_f64 v[28:29], -v[12:13], v[62:63], v[28:29]
	ds_read_b64 v[60:61], v60
	v_fma_f64 v[28:29], -v[16:17], v[66:67], v[28:29]
	v_fma_f64 v[28:29], -v[18:19], v[70:71], v[28:29]
	s_add_i32 s18, s5, -9
	v_fma_f64 v[28:29], -v[20:21], v[74:75], v[28:29]
	s_lshl_b32 s19, s18, 3
	s_waitcnt lgkmcnt(1)
	v_mul_f64 v[26:27], v[82:83], v[26:27]
	v_fma_f64 v[28:29], -v[22:23], v[78:79], v[28:29]
	s_add_i32 s17, s19, s6
	v_fma_f64 v[28:29], -v[26:27], v[80:81], v[28:29]
	v_mov_b32_e32 v58, s17
	s_waitcnt lgkmcnt(0)
	v_mul_f64 v[28:29], v[60:61], v[28:29]
	ds_read2_b64 v[58:61], v58 offset1:1
	v_add_u32_e32 v62, s15, v1
	s_add_i32 s17, s19, s7
	v_add_u32_e32 v64, s14, v1
	ds_write_b64 v62, v[28:29]
	v_mov_b32_e32 v62, s17
	s_add_i32 s17, s19, s8
	ds_write_b64 v64, v[26:27]
	ds_read2_b64 v[62:65], v62 offset1:1
	s_waitcnt lgkmcnt(3)
	v_fma_f64 v[30:31], -v[14:15], v[60:61], v[30:31]
	v_mov_b32_e32 v60, s17
	s_add_i32 s17, s19, s9
	ds_read2_b64 v[66:69], v60 offset1:1
	v_mov_b32_e32 v60, s17
	ds_read2_b64 v[70:73], v60 offset1:1
	s_add_i32 s17, s19, s12
	v_mov_b32_e32 v60, s17
	s_add_i32 s17, s19, s13
	v_mov_b32_e32 v61, s17
	ds_read2_b64 v[74:77], v60 offset1:1
	ds_read2_b64 v[78:81], v61 offset1:1
	s_add_i32 s17, s19, s14
	s_waitcnt lgkmcnt(4)
	v_fma_f64 v[30:31], -v[12:13], v[64:65], v[30:31]
	v_mov_b32_e32 v60, s17
	s_add_i32 s17, s19, s15
	s_waitcnt lgkmcnt(3)
	v_fma_f64 v[30:31], -v[16:17], v[68:69], v[30:31]
	v_mov_b32_e32 v61, s17
	ds_read2_b64 v[82:85], v60 offset1:1
	ds_read2_b64 v[86:89], v61 offset1:1
	s_waitcnt lgkmcnt(4)
	v_fma_f64 v[30:31], -v[18:19], v[72:73], v[30:31]
	s_waitcnt lgkmcnt(3)
	v_fma_f64 v[30:31], -v[20:21], v[76:77], v[30:31]
	s_add_i32 s17, s6, 0xfffff800
	s_waitcnt lgkmcnt(2)
	v_fma_f64 v[30:31], -v[22:23], v[80:81], v[30:31]
	s_add_i32 s20, s19, s17
	v_fma_f64 v[32:33], -v[14:15], v[58:59], v[32:33]
	s_waitcnt lgkmcnt(1)
	v_fma_f64 v[30:31], -v[26:27], v[84:85], v[30:31]
	v_mov_b32_e32 v60, s20
	s_lshl_b32 s18, s18, 8
	v_fma_f64 v[32:33], -v[12:13], v[62:63], v[32:33]
	s_waitcnt lgkmcnt(0)
	v_fma_f64 v[30:31], -v[28:29], v[88:89], v[30:31]
	ds_read2_b64 v[88:91], v60 offset1:1
	s_add_i32 s19, s19, s18
	v_fma_f64 v[32:33], -v[16:17], v[66:67], v[32:33]
	v_mov_b32_e32 v60, s19
	v_fma_f64 v[32:33], -v[18:19], v[70:71], v[32:33]
	ds_read_b64 v[60:61], v60
	v_fma_f64 v[32:33], -v[20:21], v[74:75], v[32:33]
	v_fma_f64 v[32:33], -v[22:23], v[78:79], v[32:33]
	s_add_i32 s20, s5, -11
	v_fma_f64 v[32:33], -v[26:27], v[82:83], v[32:33]
	s_lshl_b32 s21, s20, 3
	s_waitcnt lgkmcnt(1)
	v_mul_f64 v[30:31], v[90:91], v[30:31]
	v_fma_f64 v[32:33], -v[28:29], v[86:87], v[32:33]
	s_add_i32 s19, s21, s6
	v_fma_f64 v[32:33], -v[30:31], v[88:89], v[32:33]
	v_mov_b32_e32 v58, s19
	s_waitcnt lgkmcnt(0)
	v_mul_f64 v[32:33], v[60:61], v[32:33]
	ds_read2_b64 v[58:61], v58 offset1:1
	v_add_u32_e32 v62, s18, v1
	s_add_i32 s19, s21, s7
	v_add_u32_e32 v64, s17, v1
	ds_write_b64 v62, v[32:33]
	v_mov_b32_e32 v62, s19
	s_add_i32 s19, s21, s8
	ds_write_b64 v64, v[30:31]
	ds_read2_b64 v[62:65], v62 offset1:1
	s_waitcnt lgkmcnt(3)
	v_fma_f64 v[34:35], -v[14:15], v[60:61], v[34:35]
	v_mov_b32_e32 v60, s19
	s_add_i32 s19, s21, s9
	ds_read2_b64 v[66:69], v60 offset1:1
	v_mov_b32_e32 v60, s19
	s_add_i32 s19, s21, s12
	ds_read2_b64 v[70:73], v60 offset1:1
	;; [unrolled: 3-line block ×3, first 2 shown]
	v_mov_b32_e32 v60, s19
	ds_read2_b64 v[78:81], v60 offset1:1
	s_add_i32 s19, s21, s14
	s_waitcnt lgkmcnt(4)
	v_fma_f64 v[34:35], -v[12:13], v[64:65], v[34:35]
	v_mov_b32_e32 v60, s19
	s_add_i32 s19, s21, s15
	s_waitcnt lgkmcnt(3)
	v_fma_f64 v[34:35], -v[16:17], v[68:69], v[34:35]
	v_mov_b32_e32 v61, s19
	ds_read2_b64 v[82:85], v60 offset1:1
	ds_read2_b64 v[86:89], v61 offset1:1
	s_add_i32 s19, s21, s17
	s_waitcnt lgkmcnt(4)
	v_fma_f64 v[34:35], -v[18:19], v[72:73], v[34:35]
	v_mov_b32_e32 v60, s19
	s_add_i32 s19, s21, s18
	s_waitcnt lgkmcnt(3)
	v_fma_f64 v[34:35], -v[20:21], v[76:77], v[34:35]
	v_mov_b32_e32 v61, s19
	ds_read2_b64 v[90:93], v60 offset1:1
	ds_read2_b64 v[94:97], v61 offset1:1
	s_waitcnt lgkmcnt(4)
	v_fma_f64 v[34:35], -v[22:23], v[80:81], v[34:35]
	v_fma_f64 v[36:37], -v[14:15], v[58:59], v[36:37]
	s_waitcnt lgkmcnt(3)
	v_fma_f64 v[34:35], -v[26:27], v[84:85], v[34:35]
	s_add_i32 s19, s6, 0xfffff600
	v_fma_f64 v[36:37], -v[12:13], v[62:63], v[36:37]
	s_waitcnt lgkmcnt(2)
	v_fma_f64 v[34:35], -v[28:29], v[88:89], v[34:35]
	s_add_i32 s23, s21, s19
	v_fma_f64 v[36:37], -v[16:17], v[66:67], v[36:37]
	s_waitcnt lgkmcnt(1)
	v_fma_f64 v[34:35], -v[30:31], v[92:93], v[34:35]
	v_mov_b32_e32 v60, s23
	s_lshl_b32 s20, s20, 8
	v_fma_f64 v[36:37], -v[18:19], v[70:71], v[36:37]
	s_waitcnt lgkmcnt(0)
	v_fma_f64 v[34:35], -v[32:33], v[96:97], v[34:35]
	ds_read2_b64 v[96:99], v60 offset1:1
	s_add_i32 s21, s21, s20
	v_fma_f64 v[36:37], -v[20:21], v[74:75], v[36:37]
	v_mov_b32_e32 v60, s21
	v_fma_f64 v[36:37], -v[22:23], v[78:79], v[36:37]
	ds_read_b64 v[60:61], v60
	v_fma_f64 v[36:37], -v[26:27], v[82:83], v[36:37]
	v_fma_f64 v[36:37], -v[28:29], v[86:87], v[36:37]
	s_add_i32 s23, s5, -13
	v_fma_f64 v[36:37], -v[30:31], v[90:91], v[36:37]
	s_lshl_b32 s24, s23, 3
	s_waitcnt lgkmcnt(1)
	v_mul_f64 v[34:35], v[98:99], v[34:35]
	v_fma_f64 v[36:37], -v[32:33], v[94:95], v[36:37]
	s_add_i32 s21, s24, s6
	v_fma_f64 v[36:37], -v[34:35], v[96:97], v[36:37]
	v_mov_b32_e32 v58, s21
	s_waitcnt lgkmcnt(0)
	v_mul_f64 v[36:37], v[60:61], v[36:37]
	ds_read2_b64 v[58:61], v58 offset1:1
	v_add_u32_e32 v62, s20, v1
	s_add_i32 s21, s24, s7
	v_add_u32_e32 v64, s19, v1
	ds_write_b64 v62, v[36:37]
	v_mov_b32_e32 v62, s21
	s_add_i32 s21, s24, s8
	ds_write_b64 v64, v[34:35]
	ds_read2_b64 v[62:65], v62 offset1:1
	s_waitcnt lgkmcnt(3)
	v_fma_f64 v[40:41], -v[14:15], v[60:61], v[40:41]
	v_mov_b32_e32 v60, s21
	s_add_i32 s21, s24, s9
	ds_read2_b64 v[66:69], v60 offset1:1
	v_mov_b32_e32 v60, s21
	s_add_i32 s21, s24, s12
	ds_read2_b64 v[70:73], v60 offset1:1
	;; [unrolled: 3-line block ×4, first 2 shown]
	v_mov_b32_e32 v60, s21
	s_add_i32 s21, s24, s15
	s_waitcnt lgkmcnt(4)
	v_fma_f64 v[40:41], -v[12:13], v[64:65], v[40:41]
	ds_read2_b64 v[82:85], v60 offset1:1
	v_mov_b32_e32 v60, s21
	s_waitcnt lgkmcnt(4)
	v_fma_f64 v[40:41], -v[16:17], v[68:69], v[40:41]
	ds_read2_b64 v[86:89], v60 offset1:1
	s_add_i32 s21, s24, s17
	s_waitcnt lgkmcnt(4)
	v_fma_f64 v[40:41], -v[18:19], v[72:73], v[40:41]
	v_mov_b32_e32 v60, s21
	s_add_i32 s21, s24, s18
	s_waitcnt lgkmcnt(3)
	v_fma_f64 v[40:41], -v[20:21], v[76:77], v[40:41]
	v_mov_b32_e32 v61, s21
	ds_read2_b64 v[90:93], v60 offset1:1
	ds_read2_b64 v[94:97], v61 offset1:1
	s_add_i32 s21, s24, s19
	s_waitcnt lgkmcnt(4)
	v_fma_f64 v[40:41], -v[22:23], v[80:81], v[40:41]
	v_mov_b32_e32 v60, s21
	s_add_i32 s21, s24, s20
	v_fma_f64 v[42:43], -v[14:15], v[58:59], v[42:43]
	s_waitcnt lgkmcnt(3)
	v_fma_f64 v[40:41], -v[26:27], v[84:85], v[40:41]
	v_mov_b32_e32 v61, s21
	ds_read2_b64 v[98:101], v60 offset1:1
	ds_read2_b64 v[102:105], v61 offset1:1
	v_fma_f64 v[42:43], -v[12:13], v[62:63], v[42:43]
	s_waitcnt lgkmcnt(4)
	v_fma_f64 v[40:41], -v[28:29], v[88:89], v[40:41]
	v_fma_f64 v[42:43], -v[16:17], v[66:67], v[42:43]
	s_waitcnt lgkmcnt(3)
	v_fma_f64 v[40:41], -v[30:31], v[92:93], v[40:41]
	s_add_i32 s21, s6, 0xfffff400
	v_fma_f64 v[42:43], -v[18:19], v[70:71], v[42:43]
	s_waitcnt lgkmcnt(2)
	v_fma_f64 v[40:41], -v[32:33], v[96:97], v[40:41]
	s_add_i32 s25, s24, s21
	v_fma_f64 v[42:43], -v[20:21], v[74:75], v[42:43]
	s_waitcnt lgkmcnt(1)
	v_fma_f64 v[40:41], -v[34:35], v[100:101], v[40:41]
	v_mov_b32_e32 v60, s25
	s_lshl_b32 s23, s23, 8
	v_fma_f64 v[42:43], -v[22:23], v[78:79], v[42:43]
	s_waitcnt lgkmcnt(0)
	v_fma_f64 v[40:41], -v[36:37], v[104:105], v[40:41]
	ds_read2_b64 v[104:107], v60 offset1:1
	s_add_i32 s24, s24, s23
	v_fma_f64 v[42:43], -v[26:27], v[82:83], v[42:43]
	v_mov_b32_e32 v60, s24
	v_fma_f64 v[42:43], -v[28:29], v[86:87], v[42:43]
	ds_read_b64 v[60:61], v60
	v_fma_f64 v[42:43], -v[30:31], v[90:91], v[42:43]
	v_fma_f64 v[42:43], -v[32:33], v[94:95], v[42:43]
	s_add_i32 s25, s5, -15
	v_fma_f64 v[42:43], -v[34:35], v[98:99], v[42:43]
	s_lshl_b32 s26, s25, 3
	s_waitcnt lgkmcnt(1)
	v_mul_f64 v[40:41], v[106:107], v[40:41]
	v_fma_f64 v[42:43], -v[36:37], v[102:103], v[42:43]
	s_add_i32 s24, s26, s6
	v_fma_f64 v[42:43], -v[40:41], v[104:105], v[42:43]
	v_mov_b32_e32 v58, s24
	s_waitcnt lgkmcnt(0)
	v_mul_f64 v[42:43], v[60:61], v[42:43]
	ds_read2_b64 v[58:61], v58 offset1:1
	v_add_u32_e32 v62, s23, v1
	s_add_i32 s24, s26, s7
	v_add_u32_e32 v64, s21, v1
	ds_write_b64 v62, v[42:43]
	v_mov_b32_e32 v62, s24
	s_add_i32 s24, s26, s8
	ds_write_b64 v64, v[40:41]
	ds_read2_b64 v[62:65], v62 offset1:1
	s_waitcnt lgkmcnt(3)
	v_fma_f64 v[48:49], -v[14:15], v[60:61], v[48:49]
	v_mov_b32_e32 v60, s24
	s_add_i32 s24, s26, s9
	ds_read2_b64 v[66:69], v60 offset1:1
	v_mov_b32_e32 v60, s24
	s_add_i32 s24, s26, s12
	ds_read2_b64 v[70:73], v60 offset1:1
	;; [unrolled: 3-line block ×4, first 2 shown]
	v_mov_b32_e32 v60, s24
	s_add_i32 s24, s26, s15
	s_waitcnt lgkmcnt(4)
	v_fma_f64 v[48:49], -v[12:13], v[64:65], v[48:49]
	ds_read2_b64 v[82:85], v60 offset1:1
	v_mov_b32_e32 v60, s24
	s_add_i32 s24, s26, s17
	s_waitcnt lgkmcnt(4)
	v_fma_f64 v[48:49], -v[16:17], v[68:69], v[48:49]
	ds_read2_b64 v[86:89], v60 offset1:1
	;; [unrolled: 5-line block ×3, first 2 shown]
	v_mov_b32_e32 v60, s24
	s_waitcnt lgkmcnt(4)
	v_fma_f64 v[48:49], -v[20:21], v[76:77], v[48:49]
	ds_read2_b64 v[94:97], v60 offset1:1
	s_add_i32 s24, s26, s19
	s_waitcnt lgkmcnt(4)
	v_fma_f64 v[48:49], -v[22:23], v[80:81], v[48:49]
	v_mov_b32_e32 v60, s24
	s_add_i32 s24, s26, s20
	v_fma_f64 v[50:51], -v[14:15], v[58:59], v[50:51]
	s_waitcnt lgkmcnt(3)
	v_fma_f64 v[48:49], -v[26:27], v[84:85], v[48:49]
	v_mov_b32_e32 v61, s24
	ds_read2_b64 v[98:101], v60 offset1:1
	ds_read2_b64 v[102:105], v61 offset1:1
	s_add_i32 s24, s26, s21
	v_fma_f64 v[50:51], -v[12:13], v[62:63], v[50:51]
	s_waitcnt lgkmcnt(4)
	v_fma_f64 v[48:49], -v[28:29], v[88:89], v[48:49]
	v_mov_b32_e32 v60, s24
	s_add_i32 s24, s26, s23
	v_fma_f64 v[50:51], -v[16:17], v[66:67], v[50:51]
	s_waitcnt lgkmcnt(3)
	v_fma_f64 v[48:49], -v[30:31], v[92:93], v[48:49]
	v_mov_b32_e32 v61, s24
	ds_read2_b64 v[106:109], v60 offset1:1
	ds_read2_b64 v[110:113], v61 offset1:1
	v_fma_f64 v[50:51], -v[18:19], v[70:71], v[50:51]
	s_waitcnt lgkmcnt(4)
	v_fma_f64 v[48:49], -v[32:33], v[96:97], v[48:49]
	v_fma_f64 v[50:51], -v[20:21], v[74:75], v[50:51]
	s_waitcnt lgkmcnt(3)
	v_fma_f64 v[48:49], -v[34:35], v[100:101], v[48:49]
	s_add_i32 s24, s6, 0xfffff200
	v_fma_f64 v[50:51], -v[22:23], v[78:79], v[50:51]
	s_waitcnt lgkmcnt(2)
	v_fma_f64 v[48:49], -v[36:37], v[104:105], v[48:49]
	s_add_i32 s27, s26, s24
	v_fma_f64 v[50:51], -v[26:27], v[82:83], v[50:51]
	s_waitcnt lgkmcnt(1)
	v_fma_f64 v[48:49], -v[40:41], v[108:109], v[48:49]
	v_mov_b32_e32 v60, s27
	s_lshl_b32 s25, s25, 8
	v_fma_f64 v[50:51], -v[28:29], v[86:87], v[50:51]
	s_waitcnt lgkmcnt(0)
	v_fma_f64 v[48:49], -v[42:43], v[112:113], v[48:49]
	ds_read2_b64 v[112:115], v60 offset1:1
	s_add_i32 s26, s26, s25
	v_fma_f64 v[50:51], -v[30:31], v[90:91], v[50:51]
	v_mov_b32_e32 v60, s26
	v_fma_f64 v[50:51], -v[32:33], v[94:95], v[50:51]
	ds_read_b64 v[60:61], v60
	v_fma_f64 v[50:51], -v[34:35], v[98:99], v[50:51]
	v_fma_f64 v[50:51], -v[36:37], v[102:103], v[50:51]
	s_sub_i32 s27, s5, 17
	v_fma_f64 v[50:51], -v[40:41], v[106:107], v[50:51]
	s_lshl_b32 s28, s27, 3
	s_waitcnt lgkmcnt(1)
	v_mul_f64 v[48:49], v[114:115], v[48:49]
	v_fma_f64 v[50:51], -v[42:43], v[110:111], v[50:51]
	s_add_i32 s26, s28, s6
	v_fma_f64 v[50:51], -v[48:49], v[112:113], v[50:51]
	v_mov_b32_e32 v58, s26
	s_waitcnt lgkmcnt(0)
	v_mul_f64 v[50:51], v[60:61], v[50:51]
	ds_read2_b64 v[58:61], v58 offset1:1
	v_add_u32_e32 v62, s25, v1
	s_add_i32 s26, s28, s7
	v_add_u32_e32 v64, s24, v1
	ds_write_b64 v62, v[50:51]
	v_mov_b32_e32 v62, s26
	s_add_i32 s26, s28, s8
	ds_write_b64 v64, v[48:49]
	ds_read2_b64 v[62:65], v62 offset1:1
	s_waitcnt lgkmcnt(3)
	v_fma_f64 v[56:57], -v[14:15], v[60:61], v[56:57]
	v_mov_b32_e32 v60, s26
	s_add_i32 s26, s28, s9
	ds_read2_b64 v[66:69], v60 offset1:1
	v_mov_b32_e32 v60, s26
	s_add_i32 s26, s28, s12
	ds_read2_b64 v[70:73], v60 offset1:1
	;; [unrolled: 3-line block ×4, first 2 shown]
	v_mov_b32_e32 v60, s26
	s_add_i32 s26, s28, s15
	s_waitcnt lgkmcnt(4)
	v_fma_f64 v[56:57], -v[12:13], v[64:65], v[56:57]
	ds_read2_b64 v[82:85], v60 offset1:1
	v_mov_b32_e32 v60, s26
	s_add_i32 s26, s28, s17
	s_waitcnt lgkmcnt(4)
	v_fma_f64 v[56:57], -v[16:17], v[68:69], v[56:57]
	ds_read2_b64 v[86:89], v60 offset1:1
	;; [unrolled: 5-line block ×5, first 2 shown]
	v_mov_b32_e32 v60, s26
	v_fma_f64 v[54:55], -v[14:15], v[58:59], v[54:55]
	s_waitcnt lgkmcnt(4)
	v_fma_f64 v[56:57], -v[26:27], v[84:85], v[56:57]
	ds_read2_b64 v[102:105], v60 offset1:1
	s_add_i32 s26, s28, s21
	v_fma_f64 v[54:55], -v[12:13], v[62:63], v[54:55]
	s_waitcnt lgkmcnt(4)
	v_fma_f64 v[56:57], -v[28:29], v[88:89], v[56:57]
	v_mov_b32_e32 v60, s26
	s_add_i32 s26, s28, s23
	v_fma_f64 v[54:55], -v[16:17], v[66:67], v[54:55]
	s_waitcnt lgkmcnt(3)
	v_fma_f64 v[56:57], -v[30:31], v[92:93], v[56:57]
	v_mov_b32_e32 v61, s26
	ds_read2_b64 v[106:109], v60 offset1:1
	ds_read2_b64 v[110:113], v61 offset1:1
	s_add_i32 s26, s28, s24
	v_fma_f64 v[54:55], -v[18:19], v[70:71], v[54:55]
	s_waitcnt lgkmcnt(4)
	v_fma_f64 v[56:57], -v[32:33], v[96:97], v[56:57]
	v_mov_b32_e32 v60, s26
	s_add_i32 s26, s28, s25
	v_fma_f64 v[54:55], -v[20:21], v[74:75], v[54:55]
	s_waitcnt lgkmcnt(3)
	v_fma_f64 v[56:57], -v[34:35], v[100:101], v[56:57]
	v_mov_b32_e32 v61, s26
	ds_read2_b64 v[114:117], v60 offset1:1
	ds_read2_b64 v[118:121], v61 offset1:1
	v_fma_f64 v[54:55], -v[22:23], v[78:79], v[54:55]
	s_waitcnt lgkmcnt(4)
	v_fma_f64 v[56:57], -v[36:37], v[104:105], v[56:57]
	v_fma_f64 v[54:55], -v[26:27], v[82:83], v[54:55]
	s_waitcnt lgkmcnt(3)
	v_fma_f64 v[56:57], -v[40:41], v[108:109], v[56:57]
	s_add_i32 s26, s6, 0xfffff000
	v_fma_f64 v[54:55], -v[28:29], v[86:87], v[54:55]
	s_waitcnt lgkmcnt(2)
	v_fma_f64 v[56:57], -v[42:43], v[112:113], v[56:57]
	s_add_i32 s29, s28, s26
	v_fma_f64 v[54:55], -v[30:31], v[90:91], v[54:55]
	s_waitcnt lgkmcnt(1)
	v_fma_f64 v[56:57], -v[48:49], v[116:117], v[56:57]
	v_mov_b32_e32 v60, s29
	s_lshl_b32 s27, s27, 8
	v_fma_f64 v[54:55], -v[32:33], v[94:95], v[54:55]
	s_waitcnt lgkmcnt(0)
	v_fma_f64 v[56:57], -v[50:51], v[120:121], v[56:57]
	ds_read2_b64 v[120:123], v60 offset1:1
	s_add_i32 s28, s28, s27
	v_fma_f64 v[54:55], -v[34:35], v[98:99], v[54:55]
	v_mov_b32_e32 v60, s28
	v_fma_f64 v[54:55], -v[36:37], v[102:103], v[54:55]
	ds_read_b64 v[60:61], v60
	v_fma_f64 v[54:55], -v[40:41], v[106:107], v[54:55]
	v_fma_f64 v[54:55], -v[42:43], v[110:111], v[54:55]
	s_sub_i32 s29, s5, 19
	v_fma_f64 v[54:55], -v[48:49], v[114:115], v[54:55]
	s_lshl_b32 s30, s29, 3
	s_waitcnt lgkmcnt(1)
	v_mul_f64 v[56:57], v[122:123], v[56:57]
	v_fma_f64 v[54:55], -v[50:51], v[118:119], v[54:55]
	s_add_i32 s28, s30, s6
	v_fma_f64 v[54:55], -v[56:57], v[120:121], v[54:55]
	v_mov_b32_e32 v58, s28
	s_waitcnt lgkmcnt(0)
	v_mul_f64 v[54:55], v[60:61], v[54:55]
	ds_read2_b64 v[58:61], v58 offset1:1
	v_add_u32_e32 v62, s27, v1
	s_add_i32 s28, s30, s7
	v_add_u32_e32 v64, s26, v1
	ds_write_b64 v62, v[54:55]
	v_mov_b32_e32 v62, s28
	s_add_i32 s28, s30, s8
	ds_write_b64 v64, v[56:57]
	ds_read2_b64 v[62:65], v62 offset1:1
	s_waitcnt lgkmcnt(3)
	v_fma_f64 v[52:53], -v[14:15], v[60:61], v[52:53]
	v_mov_b32_e32 v60, s28
	s_add_i32 s28, s30, s9
	ds_read2_b64 v[66:69], v60 offset1:1
	v_mov_b32_e32 v60, s28
	s_add_i32 s28, s30, s12
	ds_read2_b64 v[70:73], v60 offset1:1
	;; [unrolled: 3-line block ×4, first 2 shown]
	v_mov_b32_e32 v60, s28
	s_add_i32 s28, s30, s15
	s_waitcnt lgkmcnt(4)
	v_fma_f64 v[52:53], -v[12:13], v[64:65], v[52:53]
	ds_read2_b64 v[82:85], v60 offset1:1
	v_mov_b32_e32 v60, s28
	s_add_i32 s28, s30, s17
	s_waitcnt lgkmcnt(4)
	v_fma_f64 v[52:53], -v[16:17], v[68:69], v[52:53]
	ds_read2_b64 v[86:89], v60 offset1:1
	;; [unrolled: 5-line block ×5, first 2 shown]
	v_mov_b32_e32 v60, s28
	s_add_i32 s28, s30, s21
	v_fma_f64 v[46:47], -v[14:15], v[58:59], v[46:47]
	s_waitcnt lgkmcnt(4)
	v_fma_f64 v[52:53], -v[26:27], v[84:85], v[52:53]
	ds_read2_b64 v[102:105], v60 offset1:1
	v_mov_b32_e32 v60, s28
	s_add_i32 s28, s30, s23
	v_fma_f64 v[46:47], -v[12:13], v[62:63], v[46:47]
	s_waitcnt lgkmcnt(4)
	v_fma_f64 v[52:53], -v[28:29], v[88:89], v[52:53]
	ds_read2_b64 v[106:109], v60 offset1:1
	v_mov_b32_e32 v60, s28
	v_fma_f64 v[46:47], -v[16:17], v[66:67], v[46:47]
	s_waitcnt lgkmcnt(4)
	v_fma_f64 v[52:53], -v[30:31], v[92:93], v[52:53]
	ds_read2_b64 v[110:113], v60 offset1:1
	s_add_i32 s28, s30, s24
	v_fma_f64 v[46:47], -v[18:19], v[70:71], v[46:47]
	s_waitcnt lgkmcnt(4)
	v_fma_f64 v[52:53], -v[32:33], v[96:97], v[52:53]
	v_mov_b32_e32 v60, s28
	s_add_i32 s28, s30, s25
	v_fma_f64 v[46:47], -v[20:21], v[74:75], v[46:47]
	s_waitcnt lgkmcnt(3)
	v_fma_f64 v[52:53], -v[34:35], v[100:101], v[52:53]
	v_mov_b32_e32 v61, s28
	ds_read2_b64 v[114:117], v60 offset1:1
	ds_read2_b64 v[118:121], v61 offset1:1
	s_add_i32 s28, s30, s26
	v_fma_f64 v[46:47], -v[22:23], v[78:79], v[46:47]
	s_waitcnt lgkmcnt(4)
	v_fma_f64 v[52:53], -v[36:37], v[104:105], v[52:53]
	v_mov_b32_e32 v60, s28
	s_add_i32 s28, s30, s27
	v_fma_f64 v[46:47], -v[26:27], v[82:83], v[46:47]
	s_waitcnt lgkmcnt(3)
	v_fma_f64 v[52:53], -v[40:41], v[108:109], v[52:53]
	v_mov_b32_e32 v61, s28
	ds_read2_b64 v[122:125], v60 offset1:1
	ds_read2_b64 v[126:129], v61 offset1:1
	v_fma_f64 v[46:47], -v[28:29], v[86:87], v[46:47]
	s_waitcnt lgkmcnt(4)
	v_fma_f64 v[52:53], -v[42:43], v[112:113], v[52:53]
	v_fma_f64 v[46:47], -v[30:31], v[90:91], v[46:47]
	s_waitcnt lgkmcnt(3)
	v_fma_f64 v[52:53], -v[48:49], v[116:117], v[52:53]
	s_add_i32 s28, s6, 0xffffee00
	v_fma_f64 v[46:47], -v[32:33], v[94:95], v[46:47]
	s_waitcnt lgkmcnt(2)
	v_fma_f64 v[52:53], -v[50:51], v[120:121], v[52:53]
	s_add_i32 s31, s30, s28
	v_fma_f64 v[46:47], -v[34:35], v[98:99], v[46:47]
	s_waitcnt lgkmcnt(1)
	v_fma_f64 v[52:53], -v[56:57], v[124:125], v[52:53]
	v_mov_b32_e32 v60, s31
	s_lshl_b32 s29, s29, 8
	v_fma_f64 v[46:47], -v[36:37], v[102:103], v[46:47]
	s_waitcnt lgkmcnt(0)
	v_fma_f64 v[52:53], -v[54:55], v[128:129], v[52:53]
	ds_read2_b64 v[128:131], v60 offset1:1
	s_add_i32 s30, s30, s29
	v_fma_f64 v[46:47], -v[40:41], v[106:107], v[46:47]
	v_mov_b32_e32 v60, s30
	v_fma_f64 v[46:47], -v[42:43], v[110:111], v[46:47]
	ds_read_b64 v[60:61], v60
	v_fma_f64 v[46:47], -v[48:49], v[114:115], v[46:47]
	v_fma_f64 v[46:47], -v[50:51], v[118:119], v[46:47]
	s_sub_i32 s31, s5, 21
	v_fma_f64 v[46:47], -v[56:57], v[122:123], v[46:47]
	s_lshl_b32 s33, s31, 3
	s_waitcnt lgkmcnt(1)
	v_mul_f64 v[52:53], v[130:131], v[52:53]
	v_fma_f64 v[46:47], -v[54:55], v[126:127], v[46:47]
	s_add_i32 s30, s33, s6
	v_fma_f64 v[46:47], -v[52:53], v[128:129], v[46:47]
	v_mov_b32_e32 v58, s30
	s_waitcnt lgkmcnt(0)
	v_mul_f64 v[46:47], v[60:61], v[46:47]
	ds_read2_b64 v[58:61], v58 offset1:1
	v_add_u32_e32 v62, s29, v1
	s_add_i32 s30, s33, s7
	v_add_u32_e32 v64, s28, v1
	ds_write_b64 v62, v[46:47]
	v_mov_b32_e32 v62, s30
	s_add_i32 s30, s33, s8
	ds_write_b64 v64, v[52:53]
	ds_read2_b64 v[62:65], v62 offset1:1
	s_waitcnt lgkmcnt(3)
	v_fma_f64 v[44:45], -v[14:15], v[60:61], v[44:45]
	v_mov_b32_e32 v60, s30
	s_add_i32 s30, s33, s9
	ds_read2_b64 v[66:69], v60 offset1:1
	v_mov_b32_e32 v60, s30
	s_add_i32 s30, s33, s12
	ds_read2_b64 v[70:73], v60 offset1:1
	;; [unrolled: 3-line block ×4, first 2 shown]
	v_mov_b32_e32 v60, s30
	s_add_i32 s30, s33, s15
	s_waitcnt lgkmcnt(4)
	v_fma_f64 v[44:45], -v[12:13], v[64:65], v[44:45]
	ds_read2_b64 v[82:85], v60 offset1:1
	v_mov_b32_e32 v60, s30
	s_add_i32 s30, s33, s17
	s_waitcnt lgkmcnt(4)
	v_fma_f64 v[44:45], -v[16:17], v[68:69], v[44:45]
	ds_read2_b64 v[86:89], v60 offset1:1
	;; [unrolled: 5-line block ×5, first 2 shown]
	v_mov_b32_e32 v60, s30
	s_add_i32 s30, s33, s21
	v_fma_f64 v[38:39], -v[14:15], v[58:59], v[38:39]
	s_waitcnt lgkmcnt(4)
	v_fma_f64 v[44:45], -v[26:27], v[84:85], v[44:45]
	ds_read2_b64 v[102:105], v60 offset1:1
	v_mov_b32_e32 v60, s30
	s_add_i32 s30, s33, s23
	v_fma_f64 v[38:39], -v[12:13], v[62:63], v[38:39]
	s_waitcnt lgkmcnt(4)
	v_fma_f64 v[44:45], -v[28:29], v[88:89], v[44:45]
	ds_read2_b64 v[106:109], v60 offset1:1
	;; [unrolled: 6-line block ×4, first 2 shown]
	v_mov_b32_e32 v60, s30
	v_fma_f64 v[38:39], -v[20:21], v[74:75], v[38:39]
	s_waitcnt lgkmcnt(4)
	v_fma_f64 v[44:45], -v[34:35], v[100:101], v[44:45]
	ds_read2_b64 v[118:121], v60 offset1:1
	s_add_i32 s30, s33, s26
	v_fma_f64 v[38:39], -v[22:23], v[78:79], v[38:39]
	s_waitcnt lgkmcnt(4)
	v_fma_f64 v[44:45], -v[36:37], v[104:105], v[44:45]
	v_mov_b32_e32 v60, s30
	s_add_i32 s30, s33, s27
	v_fma_f64 v[38:39], -v[26:27], v[82:83], v[38:39]
	s_waitcnt lgkmcnt(3)
	v_fma_f64 v[44:45], -v[40:41], v[108:109], v[44:45]
	v_mov_b32_e32 v61, s30
	ds_read2_b64 v[122:125], v60 offset1:1
	ds_read2_b64 v[126:129], v61 offset1:1
	s_add_i32 s30, s33, s28
	v_fma_f64 v[38:39], -v[28:29], v[86:87], v[38:39]
	s_waitcnt lgkmcnt(4)
	v_fma_f64 v[44:45], -v[42:43], v[112:113], v[44:45]
	v_mov_b32_e32 v60, s30
	s_add_i32 s30, s33, s29
	v_fma_f64 v[38:39], -v[30:31], v[90:91], v[38:39]
	s_waitcnt lgkmcnt(3)
	v_fma_f64 v[44:45], -v[48:49], v[116:117], v[44:45]
	v_mov_b32_e32 v61, s30
	ds_read2_b64 v[130:133], v60 offset1:1
	ds_read2_b64 v[134:137], v61 offset1:1
	v_fma_f64 v[38:39], -v[32:33], v[94:95], v[38:39]
	s_waitcnt lgkmcnt(4)
	v_fma_f64 v[44:45], -v[50:51], v[120:121], v[44:45]
	v_fma_f64 v[38:39], -v[34:35], v[98:99], v[38:39]
	s_waitcnt lgkmcnt(3)
	v_fma_f64 v[44:45], -v[56:57], v[124:125], v[44:45]
	s_add_i32 s30, s6, 0xffffec00
	v_fma_f64 v[38:39], -v[36:37], v[102:103], v[38:39]
	s_waitcnt lgkmcnt(2)
	v_fma_f64 v[44:45], -v[54:55], v[128:129], v[44:45]
	s_add_i32 s34, s33, s30
	v_fma_f64 v[38:39], -v[40:41], v[106:107], v[38:39]
	s_waitcnt lgkmcnt(1)
	v_fma_f64 v[44:45], -v[52:53], v[132:133], v[44:45]
	v_mov_b32_e32 v60, s34
	s_lshl_b32 s31, s31, 8
	v_fma_f64 v[38:39], -v[42:43], v[110:111], v[38:39]
	s_waitcnt lgkmcnt(0)
	v_fma_f64 v[44:45], -v[46:47], v[136:137], v[44:45]
	ds_read2_b64 v[136:139], v60 offset1:1
	s_add_i32 s33, s33, s31
	v_fma_f64 v[38:39], -v[48:49], v[114:115], v[38:39]
	v_mov_b32_e32 v60, s33
	v_fma_f64 v[38:39], -v[50:51], v[118:119], v[38:39]
	ds_read_b64 v[60:61], v60
	v_fma_f64 v[38:39], -v[56:57], v[122:123], v[38:39]
	v_fma_f64 v[38:39], -v[54:55], v[126:127], v[38:39]
	;; [unrolled: 1-line block ×3, first 2 shown]
	s_sub_i32 s34, s5, 23
	s_waitcnt lgkmcnt(1)
	v_mul_f64 v[44:45], v[138:139], v[44:45]
	v_fma_f64 v[38:39], -v[46:47], v[134:135], v[38:39]
	s_lshl_b32 s35, s34, 3
	v_fma_f64 v[38:39], -v[44:45], v[136:137], v[38:39]
	s_add_i32 s33, s35, s6
	s_waitcnt lgkmcnt(0)
	v_mul_f64 v[38:39], v[60:61], v[38:39]
	v_add_u32_e32 v58, s31, v1
	v_mov_b32_e32 v59, s33
	s_add_i32 s33, s35, s7
	v_add_u32_e32 v64, s30, v1
	ds_read2_b64 v[60:63], v59 offset1:1
	ds_write_b64 v58, v[38:39]
	v_mov_b32_e32 v58, s33
	s_add_i32 s33, s35, s8
	ds_write_b64 v64, v[44:45]
	ds_read2_b64 v[64:67], v58 offset1:1
	v_mov_b32_e32 v58, s33
	s_add_i32 s33, s35, s9
	ds_read2_b64 v[68:71], v58 offset1:1
	v_mov_b32_e32 v58, s33
	s_add_i32 s33, s35, s12
	;; [unrolled: 3-line block ×4, first 2 shown]
	s_waitcnt lgkmcnt(6)
	v_fma_f64 v[4:5], -v[14:15], v[62:63], v[4:5]
	ds_read2_b64 v[80:83], v58 offset1:1
	v_mov_b32_e32 v58, s33
	s_add_i32 s33, s35, s15
	s_waitcnt lgkmcnt(4)
	v_fma_f64 v[4:5], -v[12:13], v[66:67], v[4:5]
	ds_read2_b64 v[84:87], v58 offset1:1
	v_mov_b32_e32 v58, s33
	s_add_i32 s33, s35, s17
	;; [unrolled: 5-line block ×6, first 2 shown]
	v_fma_f64 v[2:3], -v[14:15], v[60:61], v[2:3]
	s_waitcnt lgkmcnt(4)
	v_fma_f64 v[4:5], -v[26:27], v[86:87], v[4:5]
	ds_read2_b64 v[104:107], v58 offset1:1
	v_mov_b32_e32 v58, s33
	s_add_i32 s33, s35, s23
	v_fma_f64 v[2:3], -v[12:13], v[64:65], v[2:3]
	s_waitcnt lgkmcnt(4)
	v_fma_f64 v[4:5], -v[28:29], v[90:91], v[4:5]
	ds_read2_b64 v[108:111], v58 offset1:1
	v_mov_b32_e32 v58, s33
	s_add_i32 s33, s35, s24
	;; [unrolled: 6-line block ×5, first 2 shown]
	v_fma_f64 v[2:3], -v[22:23], v[80:81], v[2:3]
	s_waitcnt lgkmcnt(4)
	v_fma_f64 v[4:5], -v[36:37], v[106:107], v[4:5]
	ds_read2_b64 v[124:127], v58 offset1:1
	v_mov_b32_e32 v58, s33
	v_fma_f64 v[2:3], -v[26:27], v[84:85], v[2:3]
	s_waitcnt lgkmcnt(4)
	v_fma_f64 v[4:5], -v[40:41], v[110:111], v[4:5]
	ds_read2_b64 v[128:131], v58 offset1:1
	s_add_i32 s33, s35, s28
	v_fma_f64 v[2:3], -v[28:29], v[88:89], v[2:3]
	s_waitcnt lgkmcnt(4)
	v_fma_f64 v[4:5], -v[42:43], v[114:115], v[4:5]
	v_mov_b32_e32 v58, s33
	s_add_i32 s33, s35, s29
	v_fma_f64 v[2:3], -v[30:31], v[92:93], v[2:3]
	s_waitcnt lgkmcnt(3)
	v_fma_f64 v[4:5], -v[48:49], v[118:119], v[4:5]
	v_mov_b32_e32 v59, s33
	ds_read2_b64 v[132:135], v58 offset1:1
	ds_read2_b64 v[136:139], v59 offset1:1
	s_add_i32 s33, s35, s30
	v_fma_f64 v[2:3], -v[32:33], v[96:97], v[2:3]
	s_waitcnt lgkmcnt(4)
	v_fma_f64 v[4:5], -v[50:51], v[122:123], v[4:5]
	v_mov_b32_e32 v58, s33
	s_add_i32 s33, s35, s31
	v_fma_f64 v[2:3], -v[34:35], v[100:101], v[2:3]
	s_waitcnt lgkmcnt(3)
	v_fma_f64 v[4:5], -v[56:57], v[126:127], v[4:5]
	v_mov_b32_e32 v59, s33
	ds_read2_b64 v[140:143], v58 offset1:1
	ds_read2_b64 v[144:147], v59 offset1:1
	v_fma_f64 v[2:3], -v[36:37], v[104:105], v[2:3]
	s_waitcnt lgkmcnt(4)
	v_fma_f64 v[4:5], -v[54:55], v[130:131], v[4:5]
	v_fma_f64 v[2:3], -v[40:41], v[108:109], v[2:3]
	s_waitcnt lgkmcnt(3)
	v_fma_f64 v[4:5], -v[52:53], v[134:135], v[4:5]
	s_add_i32 s33, s6, 0xffffea00
	v_fma_f64 v[2:3], -v[42:43], v[112:113], v[2:3]
	s_waitcnt lgkmcnt(2)
	v_fma_f64 v[4:5], -v[46:47], v[138:139], v[4:5]
	s_add_i32 s36, s35, s33
	v_fma_f64 v[2:3], -v[48:49], v[116:117], v[2:3]
	s_waitcnt lgkmcnt(1)
	v_fma_f64 v[4:5], -v[44:45], v[142:143], v[4:5]
	v_mov_b32_e32 v58, s36
	s_lshl_b32 s34, s34, 8
	v_fma_f64 v[2:3], -v[50:51], v[120:121], v[2:3]
	s_waitcnt lgkmcnt(0)
	v_fma_f64 v[4:5], -v[38:39], v[146:147], v[4:5]
	ds_read2_b64 v[146:149], v58 offset1:1
	s_add_i32 s35, s35, s34
	v_fma_f64 v[2:3], -v[56:57], v[124:125], v[2:3]
	v_mov_b32_e32 v58, s35
	v_fma_f64 v[2:3], -v[54:55], v[128:129], v[2:3]
	ds_read_b64 v[62:63], v58
	v_fma_f64 v[2:3], -v[52:53], v[132:133], v[2:3]
	v_fma_f64 v[2:3], -v[46:47], v[136:137], v[2:3]
	;; [unrolled: 1-line block ×3, first 2 shown]
	s_sub_i32 s36, s5, 25
	s_waitcnt lgkmcnt(1)
	v_mul_f64 v[58:59], v[148:149], v[4:5]
	v_fma_f64 v[2:3], -v[38:39], v[144:145], v[2:3]
	s_lshl_b32 s35, s36, 3
	v_fma_f64 v[2:3], -v[58:59], v[146:147], v[2:3]
	s_add_i32 s37, s35, s6
	v_add_u32_e32 v4, s33, v1
	s_waitcnt lgkmcnt(0)
	v_mul_f64 v[60:61], v[62:63], v[2:3]
	v_mov_b32_e32 v2, s37
	ds_write_b64 v4, v[58:59]
	ds_read2_b64 v[2:5], v2 offset1:1
	v_add_u32_e32 v62, s34, v1
	s_add_i32 s37, s35, s7
	ds_write_b64 v62, v[60:61]
	v_mov_b32_e32 v62, s37
	s_add_i32 s37, s35, s8
	ds_read2_b64 v[62:65], v62 offset1:1
	s_waitcnt lgkmcnt(2)
	v_fma_f64 v[4:5], -v[14:15], v[4:5], v[24:25]
	v_mov_b32_e32 v24, s37
	s_add_i32 s37, s35, s9
	ds_read2_b64 v[66:69], v24 offset1:1
	v_mov_b32_e32 v24, s37
	s_add_i32 s37, s35, s12
	ds_read2_b64 v[70:73], v24 offset1:1
	;; [unrolled: 3-line block ×4, first 2 shown]
	v_mov_b32_e32 v24, s37
	s_add_i32 s37, s35, s15
	s_waitcnt lgkmcnt(4)
	v_fma_f64 v[4:5], -v[12:13], v[64:65], v[4:5]
	ds_read2_b64 v[82:85], v24 offset1:1
	v_mov_b32_e32 v24, s37
	s_add_i32 s37, s35, s17
	s_waitcnt lgkmcnt(4)
	v_fma_f64 v[4:5], -v[16:17], v[68:69], v[4:5]
	ds_read2_b64 v[86:89], v24 offset1:1
	;; [unrolled: 5-line block ×5, first 2 shown]
	v_mov_b32_e32 v24, s37
	s_add_i32 s37, s35, s21
	v_fma_f64 v[2:3], -v[14:15], v[2:3], v[8:9]
	s_waitcnt lgkmcnt(4)
	v_fma_f64 v[4:5], -v[26:27], v[84:85], v[4:5]
	ds_read2_b64 v[102:105], v24 offset1:1
	v_mov_b32_e32 v24, s37
	s_add_i32 s37, s35, s23
	v_fma_f64 v[2:3], -v[12:13], v[62:63], v[2:3]
	s_waitcnt lgkmcnt(4)
	v_fma_f64 v[4:5], -v[28:29], v[88:89], v[4:5]
	ds_read2_b64 v[106:109], v24 offset1:1
	;; [unrolled: 6-line block ×8, first 2 shown]
	v_mov_b32_e32 v24, s37
	v_fma_f64 v[2:3], -v[30:31], v[90:91], v[2:3]
	s_waitcnt lgkmcnt(4)
	v_fma_f64 v[4:5], -v[48:49], v[116:117], v[4:5]
	ds_read2_b64 v[134:137], v24 offset1:1
	s_add_i32 s37, s35, s30
	v_fma_f64 v[2:3], -v[32:33], v[94:95], v[2:3]
	s_waitcnt lgkmcnt(4)
	v_fma_f64 v[4:5], -v[50:51], v[120:121], v[4:5]
	v_mov_b32_e32 v24, s37
	s_add_i32 s37, s35, s31
	v_fma_f64 v[2:3], -v[34:35], v[98:99], v[2:3]
	s_waitcnt lgkmcnt(3)
	v_fma_f64 v[4:5], -v[56:57], v[124:125], v[4:5]
	v_mov_b32_e32 v25, s37
	ds_read2_b64 v[138:141], v24 offset1:1
	ds_read2_b64 v[142:145], v25 offset1:1
	s_add_i32 s37, s35, s33
	v_fma_f64 v[2:3], -v[36:37], v[102:103], v[2:3]
	s_waitcnt lgkmcnt(4)
	v_fma_f64 v[4:5], -v[54:55], v[128:129], v[4:5]
	v_mov_b32_e32 v24, s37
	s_add_i32 s37, s35, s34
	v_fma_f64 v[2:3], -v[40:41], v[106:107], v[2:3]
	s_waitcnt lgkmcnt(3)
	v_fma_f64 v[4:5], -v[52:53], v[132:133], v[4:5]
	v_mov_b32_e32 v25, s37
	ds_read2_b64 v[146:149], v24 offset1:1
	ds_read2_b64 v[150:153], v25 offset1:1
	v_fma_f64 v[2:3], -v[42:43], v[110:111], v[2:3]
	s_waitcnt lgkmcnt(4)
	v_fma_f64 v[4:5], -v[46:47], v[136:137], v[4:5]
	v_fma_f64 v[2:3], -v[48:49], v[114:115], v[2:3]
	s_waitcnt lgkmcnt(3)
	v_fma_f64 v[4:5], -v[44:45], v[140:141], v[4:5]
	s_add_i32 s37, s6, 0xffffe800
	v_fma_f64 v[2:3], -v[50:51], v[118:119], v[2:3]
	s_waitcnt lgkmcnt(2)
	v_fma_f64 v[4:5], -v[38:39], v[144:145], v[4:5]
	s_add_i32 s35, s35, s37
	v_fma_f64 v[2:3], -v[56:57], v[122:123], v[2:3]
	s_waitcnt lgkmcnt(1)
	v_fma_f64 v[4:5], -v[58:59], v[148:149], v[4:5]
	v_mov_b32_e32 v24, s35
	s_mul_i32 s35, s5, 0x108
	v_fma_f64 v[2:3], -v[54:55], v[126:127], v[2:3]
	s_waitcnt lgkmcnt(0)
	v_fma_f64 v[4:5], -v[60:61], v[152:153], v[4:5]
	ds_read2_b64 v[152:155], v24 offset1:1
	s_add_i32 s38, s35, 0xffffe638
	v_fma_f64 v[2:3], -v[52:53], v[130:131], v[2:3]
	v_mov_b32_e32 v24, s38
	v_fma_f64 v[2:3], -v[46:47], v[134:135], v[2:3]
	ds_read_b64 v[64:65], v24
	v_fma_f64 v[2:3], -v[44:45], v[138:139], v[2:3]
	v_fma_f64 v[2:3], -v[38:39], v[142:143], v[2:3]
	;; [unrolled: 1-line block ×3, first 2 shown]
	s_lshl_b32 s39, s36, 8
	s_sub_i32 s36, s5, 27
	s_waitcnt lgkmcnt(1)
	v_mul_f64 v[24:25], v[154:155], v[4:5]
	v_fma_f64 v[2:3], -v[60:61], v[150:151], v[2:3]
	s_lshl_b32 s38, s36, 3
	v_fma_f64 v[2:3], -v[24:25], v[152:153], v[2:3]
	s_add_i32 s40, s38, s6
	s_waitcnt lgkmcnt(0)
	v_mul_f64 v[62:63], v[64:65], v[2:3]
	v_mov_b32_e32 v3, s40
	ds_read2_b64 v[64:67], v3 offset1:1
	v_add_u32_e32 v2, s39, v1
	s_add_i32 s7, s38, s7
	v_add_u32_e32 v4, s37, v1
	ds_write_b64 v2, v[62:63]
	v_mov_b32_e32 v2, s7
	s_add_i32 s7, s38, s8
	ds_write_b64 v4, v[24:25]
	ds_read2_b64 v[2:5], v2 offset1:1
	s_waitcnt lgkmcnt(3)
	v_fma_f64 v[66:67], -v[14:15], v[66:67], v[6:7]
	v_mov_b32_e32 v6, s7
	ds_read2_b64 v[6:9], v6 offset1:1
	s_add_i32 s7, s38, s9
	s_waitcnt lgkmcnt(1)
	v_fma_f64 v[4:5], -v[12:13], v[4:5], v[66:67]
	v_mov_b32_e32 v66, s7
	s_add_i32 s7, s38, s12
	ds_read2_b64 v[66:69], v66 offset1:1
	s_waitcnt lgkmcnt(1)
	v_fma_f64 v[4:5], -v[16:17], v[8:9], v[4:5]
	v_mov_b32_e32 v8, s7
	s_add_i32 s7, s38, s13
	ds_read2_b64 v[70:73], v8 offset1:1
	v_mov_b32_e32 v8, s7
	s_add_i32 s7, s38, s14
	ds_read2_b64 v[74:77], v8 offset1:1
	;; [unrolled: 3-line block ×3, first 2 shown]
	v_mov_b32_e32 v8, s7
	s_add_i32 s7, s38, s17
	v_fma_f64 v[14:15], -v[14:15], v[64:65], v[10:11]
	ds_read2_b64 v[82:85], v8 offset1:1
	v_mov_b32_e32 v8, s7
	s_add_i32 s7, s38, s18
	v_fma_f64 v[2:3], -v[12:13], v[2:3], v[14:15]
	s_waitcnt lgkmcnt(4)
	v_fma_f64 v[4:5], -v[18:19], v[68:69], v[4:5]
	ds_read2_b64 v[86:89], v8 offset1:1
	v_mov_b32_e32 v8, s7
	s_add_i32 s7, s38, s19
	v_fma_f64 v[2:3], -v[16:17], v[6:7], v[2:3]
	s_waitcnt lgkmcnt(4)
	;; [unrolled: 6-line block ×16, first 2 shown]
	v_fma_f64 v[4:5], -v[52:53], v[128:129], v[4:5]
	ds_read2_b64 v[146:149], v8 offset1:1
	v_mov_b32_e32 v8, s7
	s_add_i32 s7, s38, s39
	s_addk_i32 s6, 0xe600
	v_fma_f64 v[2:3], -v[54:55], v[122:123], v[2:3]
	s_waitcnt lgkmcnt(4)
	v_fma_f64 v[4:5], -v[46:47], v[132:133], v[4:5]
	ds_read2_b64 v[150:153], v8 offset1:1
	v_mov_b32_e32 v8, s7
	s_add_i32 s7, s38, s6
	v_fma_f64 v[2:3], -v[52:53], v[126:127], v[2:3]
	s_waitcnt lgkmcnt(4)
	v_fma_f64 v[4:5], -v[44:45], v[136:137], v[4:5]
	ds_read2_b64 v[154:157], v8 offset1:1
	v_mov_b32_e32 v8, s7
	v_fma_f64 v[2:3], -v[46:47], v[130:131], v[2:3]
	s_waitcnt lgkmcnt(4)
	v_fma_f64 v[4:5], -v[38:39], v[140:141], v[4:5]
	ds_read2_b64 v[8:11], v8 offset1:1
	s_add_i32 s7, s35, 0xffffe428
	v_fma_f64 v[2:3], -v[44:45], v[134:135], v[2:3]
	s_waitcnt lgkmcnt(4)
	v_fma_f64 v[4:5], -v[58:59], v[144:145], v[4:5]
	v_mov_b32_e32 v64, s7
	v_fma_f64 v[2:3], -v[38:39], v[138:139], v[2:3]
	s_waitcnt lgkmcnt(3)
	v_fma_f64 v[4:5], -v[60:61], v[148:149], v[4:5]
	ds_read_b64 v[64:65], v64
	v_fma_f64 v[2:3], -v[58:59], v[142:143], v[2:3]
	s_waitcnt lgkmcnt(3)
	v_fma_f64 v[4:5], -v[24:25], v[152:153], v[4:5]
	v_fma_f64 v[2:3], -v[60:61], v[146:147], v[2:3]
	s_waitcnt lgkmcnt(2)
	v_fma_f64 v[4:5], -v[62:63], v[156:157], v[4:5]
	v_fma_f64 v[2:3], -v[24:25], v[150:151], v[2:3]
	s_waitcnt lgkmcnt(1)
	v_mul_f64 v[4:5], v[10:11], v[4:5]
	v_fma_f64 v[2:3], -v[62:63], v[154:155], v[2:3]
	v_add_u32_e32 v10, s6, v1
	v_fma_f64 v[2:3], -v[4:5], v[8:9], v[2:3]
	ds_write_b64 v10, v[4:5]
	s_waitcnt lgkmcnt(1)
	v_mul_f64 v[2:3], v[64:65], v[2:3]
	v_lshl_add_u32 v4, s36, 8, v1
	s_sub_i32 s5, s5, 28
	ds_write_b64 v4, v[2:3]
.LBB102_33:
	s_cmp_lt_i32 s5, 0
	s_cbranch_scc1 .LBB102_50
; %bb.34:
	s_and_b32 s6, s5, 3
	s_cmp_eq_u32 s6, 3
	s_mov_b32 s6, s5
	s_cbranch_scc1 .LBB102_39
; %bb.35:
	s_add_i32 s6, s5, 1
	s_and_b32 s7, s6, 3
	s_lshl_b32 s6, s22, 8
	s_lshl_b32 s8, s5, 3
	s_add_i32 s8, s6, s8
	v_lshl_or_b32 v2, v0, 3, s6
	s_addk_i32 s8, 0xff00
	v_add_u32_e32 v4, 0x1f00, v2
	s_mov_b32 s9, 0
	s_mov_b32 s6, s5
	s_branch .LBB102_37
.LBB102_36:                             ;   in Loop: Header=BB102_37 Depth=1
	s_mul_i32 s12, s6, 0x108
	v_mov_b32_e32 v6, s12
	ds_read_b64 v[6:7], v6
	s_add_i32 s6, s6, -1
	s_add_i32 s9, s9, 1
	s_add_i32 s8, s8, -8
	s_cmp_lg_u32 s9, s7
	s_waitcnt lgkmcnt(0)
	v_mul_f64 v[2:3], v[6:7], v[2:3]
	ds_write_b64 v5, v[2:3]
	s_cbranch_scc0 .LBB102_39
.LBB102_37:                             ; =>This Loop Header: Depth=1
                                        ;     Child Loop BB102_38 Depth 2
	s_lshl_b32 s12, s6, 8
	v_add_u32_e32 v5, s12, v1
	ds_read_b64 v[2:3], v5
	s_cmp_le_i32 s4, s6
	v_mov_b32_e32 v6, v4
	s_mov_b32 s12, s8
	s_mov_b32 s13, s4
	s_cbranch_scc1 .LBB102_36
.LBB102_38:                             ;   Parent Loop BB102_37 Depth=1
                                        ; =>  This Inner Loop Header: Depth=2
	v_mov_b32_e32 v7, s12
	ds_read_b64 v[8:9], v6
	ds_read_b64 v[10:11], v7
	s_add_i32 s13, s13, -1
	s_addk_i32 s12, 0xff00
	v_add_u32_e32 v6, 0xffffff00, v6
	s_cmp_gt_i32 s13, s6
	s_waitcnt lgkmcnt(0)
	v_fma_f64 v[2:3], -v[8:9], v[10:11], v[2:3]
	s_cbranch_scc1 .LBB102_38
	s_branch .LBB102_36
.LBB102_39:
	s_cmp_lt_u32 s5, 3
	s_cbranch_scc1 .LBB102_50
; %bb.40:
	s_lshl_b32 s7, s22, 8
	s_lshl_b32 s5, s6, 3
	s_add_i32 s9, s7, s5
	v_lshl_or_b32 v2, v0, 3, s7
	s_add_i32 s5, s9, 0xffffff00
	v_add_u32_e32 v6, 0x1f00, v2
	s_add_i32 s7, s9, 0xfffffef8
	s_add_i32 s8, s9, 0xfffffef0
	s_addk_i32 s9, 0xfee8
	s_branch .LBB102_42
.LBB102_41:                             ;   in Loop: Header=BB102_42 Depth=1
	s_addk_i32 s12, 0xfef8
	v_mov_b32_e32 v2, s12
	ds_read_b64 v[2:3], v2
	s_add_i32 s12, s6, -4
	s_sub_i32 s5, s5, 32
	s_sub_i32 s7, s7, 32
	s_sub_i32 s8, s8, 32
	s_sub_i32 s9, s9, 32
	s_waitcnt lgkmcnt(0)
	v_mul_f64 v[2:3], v[2:3], v[4:5]
	s_cmp_lt_i32 s6, 4
	s_mov_b32 s6, s12
	ds_write_b64 v7, v[2:3]
	s_cbranch_scc1 .LBB102_50
.LBB102_42:                             ; =>This Loop Header: Depth=1
                                        ;     Child Loop BB102_43 Depth 2
                                        ;     Child Loop BB102_45 Depth 2
                                        ;     Child Loop BB102_47 Depth 2
                                        ;     Child Loop BB102_49 Depth 2
	s_lshl_b32 s13, s6, 8
	v_add_u32_e32 v8, s13, v1
	ds_read_b64 v[2:3], v8
	s_cmp_le_i32 s4, s6
	v_mov_b32_e32 v4, v6
	s_mov_b32 s12, s5
	s_mov_b32 s14, s4
	s_cbranch_scc1 .LBB102_44
.LBB102_43:                             ;   Parent Loop BB102_42 Depth=1
                                        ; =>  This Inner Loop Header: Depth=2
	v_mov_b32_e32 v5, s12
	ds_read_b64 v[10:11], v4
	ds_read_b64 v[12:13], v5
	s_add_i32 s14, s14, -1
	s_addk_i32 s12, 0xff00
	v_add_u32_e32 v4, 0xffffff00, v4
	s_cmp_gt_i32 s14, s6
	s_waitcnt lgkmcnt(0)
	v_fma_f64 v[2:3], -v[10:11], v[12:13], v[2:3]
	s_cbranch_scc1 .LBB102_43
.LBB102_44:                             ;   in Loop: Header=BB102_42 Depth=1
	s_mul_i32 s12, s6, 0x108
	v_mov_b32_e32 v4, s12
	ds_read_b64 v[10:11], v4
	s_addk_i32 s13, 0xff00
	v_add_u32_e32 v7, s13, v1
	ds_read_b64 v[4:5], v7
	s_cmp_le_i32 s22, s6
	s_waitcnt lgkmcnt(1)
	v_mul_f64 v[2:3], v[10:11], v[2:3]
	ds_write_b64 v8, v[2:3]
	v_mov_b32_e32 v2, v6
	s_mov_b32 s13, s7
	s_mov_b32 s14, s22
	s_cbranch_scc1 .LBB102_46
.LBB102_45:                             ;   Parent Loop BB102_42 Depth=1
                                        ; =>  This Inner Loop Header: Depth=2
	v_mov_b32_e32 v3, s13
	ds_read_b64 v[8:9], v2
	ds_read_b64 v[10:11], v3
	s_add_i32 s14, s14, -1
	s_addk_i32 s13, 0xff00
	v_add_u32_e32 v2, 0xffffff00, v2
	s_cmp_gt_i32 s14, s6
	s_waitcnt lgkmcnt(0)
	v_fma_f64 v[4:5], -v[8:9], v[10:11], v[4:5]
	s_cbranch_scc1 .LBB102_45
.LBB102_46:                             ;   in Loop: Header=BB102_42 Depth=1
	s_addk_i32 s12, 0xfef8
	v_mov_b32_e32 v2, s12
	s_add_i32 s13, s6, -2
	ds_read_b64 v[10:11], v2
	s_lshl_b32 s14, s13, 8
	v_add_u32_e32 v8, s14, v1
	ds_read_b64 v[2:3], v8
	s_cmp_le_i32 s4, s13
	s_waitcnt lgkmcnt(1)
	v_mul_f64 v[4:5], v[10:11], v[4:5]
	ds_write_b64 v7, v[4:5]
	v_mov_b32_e32 v4, v6
	s_mov_b32 s14, s8
	s_mov_b32 s15, s4
	s_cbranch_scc1 .LBB102_48
.LBB102_47:                             ;   Parent Loop BB102_42 Depth=1
                                        ; =>  This Inner Loop Header: Depth=2
	v_mov_b32_e32 v5, s14
	ds_read_b64 v[10:11], v4
	ds_read_b64 v[12:13], v5
	s_add_i32 s15, s15, -1
	s_addk_i32 s14, 0xff00
	v_add_u32_e32 v4, 0xffffff00, v4
	s_cmp_gt_i32 s15, s13
	s_waitcnt lgkmcnt(0)
	v_fma_f64 v[2:3], -v[10:11], v[12:13], v[2:3]
	s_cbranch_scc1 .LBB102_47
.LBB102_48:                             ;   in Loop: Header=BB102_42 Depth=1
	s_addk_i32 s12, 0xfef8
	v_mov_b32_e32 v4, s12
	s_add_i32 s13, s6, -3
	ds_read_b64 v[10:11], v4
	s_lshl_b32 s14, s13, 8
	v_add_u32_e32 v7, s14, v1
	ds_read_b64 v[4:5], v7
	s_cmp_le_i32 s4, s13
	s_waitcnt lgkmcnt(1)
	v_mul_f64 v[2:3], v[10:11], v[2:3]
	ds_write_b64 v8, v[2:3]
	v_mov_b32_e32 v2, v6
	s_mov_b32 s14, s9
	s_mov_b32 s15, s4
	s_cbranch_scc1 .LBB102_41
.LBB102_49:                             ;   Parent Loop BB102_42 Depth=1
                                        ; =>  This Inner Loop Header: Depth=2
	v_mov_b32_e32 v3, s14
	ds_read_b64 v[8:9], v2
	ds_read_b64 v[10:11], v3
	s_add_i32 s15, s15, -1
	s_addk_i32 s14, 0xff00
	v_add_u32_e32 v2, 0xffffff00, v2
	s_cmp_gt_i32 s15, s13
	s_waitcnt lgkmcnt(0)
	v_fma_f64 v[4:5], -v[8:9], v[10:11], v[4:5]
	s_cbranch_scc1 .LBB102_49
	s_branch .LBB102_41
.LBB102_50:
	s_waitcnt lgkmcnt(0)
	; wave barrier
	s_and_saveexec_b64 s[4:5], s[0:1]
	s_cbranch_execz .LBB102_54
; %bb.51:
	s_andn2_b64 vcc, exec, s[10:11]
	s_cbranch_vccnz .LBB102_54
; %bb.52:
	v_mad_i64_i32 v[2:3], s[0:1], s16, v0, 0
	v_mov_b32_e32 v1, 0x2000
	v_lshl_add_u64 v[2:3], v[2:3], 3, s[2:3]
	v_lshl_or_b32 v0, v0, 3, v1
.LBB102_53:                             ; =>This Inner Loop Header: Depth=1
	ds_read_b64 v[4:5], v0
	s_add_i32 s22, s22, -1
	v_add_u32_e32 v0, 0x100, v0
	s_cmp_lg_u32 s22, 0
	s_waitcnt lgkmcnt(0)
	flat_store_dwordx2 v[2:3], v[4:5]
	v_lshl_add_u64 v[2:3], v[2:3], 0, 8
	s_cbranch_scc1 .LBB102_53
.LBB102_54:
	s_endpgm
	.section	.rodata,"a",@progbits
	.p2align	6, 0x0
	.amdhsa_kernel _ZL38rocblas_trsm_small_left_device_sharedBILi32ELi32ELb0EddPKPKdPKPdEv13rocblas_fill_18rocblas_operation_17rocblas_diagonal_iiT3_T4_lilT5_lili
		.amdhsa_group_segment_fixed_size 16384
		.amdhsa_private_segment_fixed_size 0
		.amdhsa_kernarg_size 360
		.amdhsa_user_sgpr_count 2
		.amdhsa_user_sgpr_dispatch_ptr 0
		.amdhsa_user_sgpr_queue_ptr 0
		.amdhsa_user_sgpr_kernarg_segment_ptr 1
		.amdhsa_user_sgpr_dispatch_id 0
		.amdhsa_user_sgpr_kernarg_preload_length 0
		.amdhsa_user_sgpr_kernarg_preload_offset 0
		.amdhsa_user_sgpr_private_segment_size 0
		.amdhsa_uses_dynamic_stack 0
		.amdhsa_enable_private_segment 0
		.amdhsa_system_sgpr_workgroup_id_x 1
		.amdhsa_system_sgpr_workgroup_id_y 0
		.amdhsa_system_sgpr_workgroup_id_z 1
		.amdhsa_system_sgpr_workgroup_info 0
		.amdhsa_system_vgpr_workitem_id 0
		.amdhsa_next_free_vgpr 174
		.amdhsa_next_free_sgpr 96
		.amdhsa_accum_offset 176
		.amdhsa_reserve_vcc 1
		.amdhsa_float_round_mode_32 0
		.amdhsa_float_round_mode_16_64 0
		.amdhsa_float_denorm_mode_32 3
		.amdhsa_float_denorm_mode_16_64 3
		.amdhsa_dx10_clamp 1
		.amdhsa_ieee_mode 1
		.amdhsa_fp16_overflow 0
		.amdhsa_tg_split 0
		.amdhsa_exception_fp_ieee_invalid_op 0
		.amdhsa_exception_fp_denorm_src 0
		.amdhsa_exception_fp_ieee_div_zero 0
		.amdhsa_exception_fp_ieee_overflow 0
		.amdhsa_exception_fp_ieee_underflow 0
		.amdhsa_exception_fp_ieee_inexact 0
		.amdhsa_exception_int_div_zero 0
	.end_amdhsa_kernel
	.section	.text._ZL38rocblas_trsm_small_left_device_sharedBILi32ELi32ELb0EddPKPKdPKPdEv13rocblas_fill_18rocblas_operation_17rocblas_diagonal_iiT3_T4_lilT5_lili,"axG",@progbits,_ZL38rocblas_trsm_small_left_device_sharedBILi32ELi32ELb0EddPKPKdPKPdEv13rocblas_fill_18rocblas_operation_17rocblas_diagonal_iiT3_T4_lilT5_lili,comdat
.Lfunc_end102:
	.size	_ZL38rocblas_trsm_small_left_device_sharedBILi32ELi32ELb0EddPKPKdPKPdEv13rocblas_fill_18rocblas_operation_17rocblas_diagonal_iiT3_T4_lilT5_lili, .Lfunc_end102-_ZL38rocblas_trsm_small_left_device_sharedBILi32ELi32ELb0EddPKPKdPKPdEv13rocblas_fill_18rocblas_operation_17rocblas_diagonal_iiT3_T4_lilT5_lili
                                        ; -- End function
	.set _ZL38rocblas_trsm_small_left_device_sharedBILi32ELi32ELb0EddPKPKdPKPdEv13rocblas_fill_18rocblas_operation_17rocblas_diagonal_iiT3_T4_lilT5_lili.num_vgpr, 174
	.set _ZL38rocblas_trsm_small_left_device_sharedBILi32ELi32ELb0EddPKPKdPKPdEv13rocblas_fill_18rocblas_operation_17rocblas_diagonal_iiT3_T4_lilT5_lili.num_agpr, 0
	.set _ZL38rocblas_trsm_small_left_device_sharedBILi32ELi32ELb0EddPKPKdPKPdEv13rocblas_fill_18rocblas_operation_17rocblas_diagonal_iiT3_T4_lilT5_lili.numbered_sgpr, 41
	.set _ZL38rocblas_trsm_small_left_device_sharedBILi32ELi32ELb0EddPKPKdPKPdEv13rocblas_fill_18rocblas_operation_17rocblas_diagonal_iiT3_T4_lilT5_lili.num_named_barrier, 0
	.set _ZL38rocblas_trsm_small_left_device_sharedBILi32ELi32ELb0EddPKPKdPKPdEv13rocblas_fill_18rocblas_operation_17rocblas_diagonal_iiT3_T4_lilT5_lili.private_seg_size, 0
	.set _ZL38rocblas_trsm_small_left_device_sharedBILi32ELi32ELb0EddPKPKdPKPdEv13rocblas_fill_18rocblas_operation_17rocblas_diagonal_iiT3_T4_lilT5_lili.uses_vcc, 1
	.set _ZL38rocblas_trsm_small_left_device_sharedBILi32ELi32ELb0EddPKPKdPKPdEv13rocblas_fill_18rocblas_operation_17rocblas_diagonal_iiT3_T4_lilT5_lili.uses_flat_scratch, 0
	.set _ZL38rocblas_trsm_small_left_device_sharedBILi32ELi32ELb0EddPKPKdPKPdEv13rocblas_fill_18rocblas_operation_17rocblas_diagonal_iiT3_T4_lilT5_lili.has_dyn_sized_stack, 0
	.set _ZL38rocblas_trsm_small_left_device_sharedBILi32ELi32ELb0EddPKPKdPKPdEv13rocblas_fill_18rocblas_operation_17rocblas_diagonal_iiT3_T4_lilT5_lili.has_recursion, 0
	.set _ZL38rocblas_trsm_small_left_device_sharedBILi32ELi32ELb0EddPKPKdPKPdEv13rocblas_fill_18rocblas_operation_17rocblas_diagonal_iiT3_T4_lilT5_lili.has_indirect_call, 0
	.section	.AMDGPU.csdata,"",@progbits
; Kernel info:
; codeLenInByte = 33136
; TotalNumSgprs: 47
; NumVgprs: 174
; NumAgprs: 0
; TotalNumVgprs: 174
; ScratchSize: 0
; MemoryBound: 0
; FloatMode: 240
; IeeeMode: 1
; LDSByteSize: 16384 bytes/workgroup (compile time only)
; SGPRBlocks: 12
; VGPRBlocks: 21
; NumSGPRsForWavesPerEU: 102
; NumVGPRsForWavesPerEU: 174
; AccumOffset: 176
; Occupancy: 2
; WaveLimiterHint : 0
; COMPUTE_PGM_RSRC2:SCRATCH_EN: 0
; COMPUTE_PGM_RSRC2:USER_SGPR: 2
; COMPUTE_PGM_RSRC2:TRAP_HANDLER: 0
; COMPUTE_PGM_RSRC2:TGID_X_EN: 1
; COMPUTE_PGM_RSRC2:TGID_Y_EN: 0
; COMPUTE_PGM_RSRC2:TGID_Z_EN: 1
; COMPUTE_PGM_RSRC2:TIDIG_COMP_CNT: 0
; COMPUTE_PGM_RSRC3_GFX90A:ACCUM_OFFSET: 43
; COMPUTE_PGM_RSRC3_GFX90A:TG_SPLIT: 0
	.section	.text._ZL30rocblas_trsm_small_left_deviceILi32ELi32ELb0EddPKPKdPKPdEv13rocblas_fill_18rocblas_operation_17rocblas_diagonal_iiT3_T4_lilT5_lili,"axG",@progbits,_ZL30rocblas_trsm_small_left_deviceILi32ELi32ELb0EddPKPKdPKPdEv13rocblas_fill_18rocblas_operation_17rocblas_diagonal_iiT3_T4_lilT5_lili,comdat
	.globl	_ZL30rocblas_trsm_small_left_deviceILi32ELi32ELb0EddPKPKdPKPdEv13rocblas_fill_18rocblas_operation_17rocblas_diagonal_iiT3_T4_lilT5_lili ; -- Begin function _ZL30rocblas_trsm_small_left_deviceILi32ELi32ELb0EddPKPKdPKPdEv13rocblas_fill_18rocblas_operation_17rocblas_diagonal_iiT3_T4_lilT5_lili
	.p2align	8
	.type	_ZL30rocblas_trsm_small_left_deviceILi32ELi32ELb0EddPKPKdPKPdEv13rocblas_fill_18rocblas_operation_17rocblas_diagonal_iiT3_T4_lilT5_lili,@function
_ZL30rocblas_trsm_small_left_deviceILi32ELi32ELb0EddPKPKdPKPdEv13rocblas_fill_18rocblas_operation_17rocblas_diagonal_iiT3_T4_lilT5_lili: ; @_ZL30rocblas_trsm_small_left_deviceILi32ELi32ELb0EddPKPKdPKPdEv13rocblas_fill_18rocblas_operation_17rocblas_diagonal_iiT3_T4_lilT5_lili
; %bb.0:
	s_load_dwordx2 s[18:19], s[0:1], 0x28
	s_load_dwordx4 s[12:15], s[0:1], 0x40
	s_load_dwordx4 s[8:11], s[0:1], 0x4
	;; [unrolled: 1-line block ×3, first 2 shown]
	s_mov_b32 s16, s3
	s_mov_b32 s17, 0
	s_lshl_b64 s[20:21], s[16:17], 3
	s_waitcnt lgkmcnt(0)
	s_add_u32 s12, s12, s20
	s_addc_u32 s13, s13, s21
	s_load_dwordx2 s[12:13], s[12:13], 0x0
	s_min_i32 s22, s10, 32
	v_cmp_gt_i32_e32 vcc, s22, v0
	s_and_saveexec_b64 s[16:17], vcc
	s_cbranch_execz .LBB103_6
; %bb.1:
	s_load_dword s24, s[0:1], 0x30
	v_lshlrev_b32_e32 v2, 3, v0
	v_mov_b32_e32 v3, 0
	v_mov_b32_e32 v1, v2
	s_mov_b32 s3, s22
	s_waitcnt lgkmcnt(0)
	s_ashr_i32 s25, s24, 31
	s_add_u32 s6, s6, s20
	s_addc_u32 s7, s7, s21
	s_load_dwordx2 s[6:7], s[6:7], 0x0
	s_lshl_b64 s[18:19], s[18:19], 3
	s_waitcnt lgkmcnt(0)
	s_add_u32 s18, s6, s18
	s_addc_u32 s19, s7, s19
	s_lshl_b64 s[6:7], s[24:25], 3
	v_lshl_add_u64 v[4:5], s[18:19], 0, v[2:3]
.LBB103_2:                              ; =>This Inner Loop Header: Depth=1
	flat_load_dwordx2 v[6:7], v[4:5]
	s_add_i32 s3, s3, -1
	v_lshl_add_u64 v[4:5], v[4:5], 0, s[6:7]
	s_cmp_eq_u32 s3, 0
	s_waitcnt vmcnt(0) lgkmcnt(0)
	ds_write_b64 v1, v[6:7]
	v_add_u32_e32 v1, 0x100, v1
	s_cbranch_scc0 .LBB103_2
; %bb.3:
	v_lshlrev_b32_e32 v1, 8, v0
	s_cmpk_lg_i32 s9, 0x84
	v_mov_b64_e32 v[4:5], 1.0
	v_add_u32_e32 v1, v2, v1
	s_cbranch_scc0 .LBB103_5
; %bb.4:
	ds_read_b64 v[2:3], v1
	s_waitcnt lgkmcnt(0)
	v_div_scale_f64 v[4:5], s[6:7], v[2:3], v[2:3], 1.0
	v_rcp_f64_e32 v[6:7], v[4:5]
	v_div_scale_f64 v[8:9], vcc, 1.0, v[2:3], 1.0
	v_fma_f64 v[10:11], -v[4:5], v[6:7], 1.0
	v_fmac_f64_e32 v[6:7], v[6:7], v[10:11]
	v_fma_f64 v[10:11], -v[4:5], v[6:7], 1.0
	v_fmac_f64_e32 v[6:7], v[6:7], v[10:11]
	v_mul_f64 v[10:11], v[8:9], v[6:7]
	v_fma_f64 v[4:5], -v[4:5], v[10:11], v[8:9]
	v_div_fmas_f64 v[4:5], v[4:5], v[6:7], v[10:11]
	v_div_fixup_f64 v[4:5], v[4:5], v[2:3], 1.0
.LBB103_5:
	ds_write_b64 v1, v[4:5]
.LBB103_6:
	s_or_b64 exec, exec, s[16:17]
	s_load_dword s3, s[0:1], 0x68
	s_waitcnt lgkmcnt(0)
	; wave barrier
	s_add_i32 s6, s3, -1
	s_lshl_b32 s3, s2, 5
	s_sub_i32 s7, s11, s3
	s_cmp_ge_u32 s2, s6
	s_cselect_b32 s2, s7, 32
	v_cmp_gt_i32_e32 vcc, s2, v0
	s_and_saveexec_b64 s[6:7], vcc
	s_cbranch_execz .LBB103_51
; %bb.7:
	s_load_dword s2, s[0:1], 0x50
	s_lshl_b64 s[0:1], s[14:15], 3
	s_add_u32 s0, s12, s0
	v_add_u32_e32 v0, s3, v0
	s_addc_u32 s1, s13, s1
	s_waitcnt lgkmcnt(0)
	v_mad_i64_i32 v[0:1], s[2:3], s2, v0, 0
	v_lshl_add_u64 v[56:57], v[0:1], 3, s[0:1]
	s_cmpk_eq_i32 s8, 0x6f
	s_mov_b64 s[0:1], -1
	s_cbranch_scc1 .LBB103_25
; %bb.8:
	s_cmp_lt_i32 s10, 32
	s_cselect_b64 s[0:1], -1, 0
	s_cmp_gt_i32 s10, 31
	s_mov_b32 s2, 0
	s_cbranch_scc0 .LBB103_10
; %bb.9:
	flat_load_dwordx4 v[0:3], v[56:57]
	flat_load_dwordx4 v[4:7], v[56:57] offset:16
	flat_load_dwordx4 v[44:47], v[56:57] offset:32
	;; [unrolled: 1-line block ×3, first 2 shown]
	v_mov_b32_e32 v66, 0
	ds_read_b64 v[8:9], v66
	flat_load_dwordx4 v[52:55], v[56:57] offset:64
	s_mov_b32 s2, 32
	s_waitcnt vmcnt(0) lgkmcnt(0)
	v_mul_f64 v[0:1], s[4:5], v[0:1]
	v_mul_f64 v[36:37], v[8:9], v[0:1]
	flat_store_dwordx2 v[56:57], v[36:37]
	ds_read_b128 v[8:11], v66 offset:256
	s_waitcnt lgkmcnt(0)
	v_mul_f64 v[0:1], v[36:37], v[8:9]
	v_fma_f64 v[0:1], s[4:5], v[2:3], -v[0:1]
	v_mul_f64 v[38:39], v[10:11], v[0:1]
	flat_store_dwordx2 v[56:57], v[38:39] offset:8
	ds_read_b128 v[0:3], v66 offset:512
	ds_read_b64 v[8:9], v66 offset:528
	s_waitcnt lgkmcnt(0)
	v_mul_f64 v[0:1], v[36:37], v[0:1]
	v_fma_f64 v[0:1], s[4:5], v[4:5], -v[0:1]
	v_fma_f64 v[0:1], -v[38:39], v[2:3], v[0:1]
	v_mul_f64 v[40:41], v[8:9], v[0:1]
	flat_store_dwordx2 v[56:57], v[40:41] offset:16
	ds_read_b128 v[0:3], v66 offset:768
	flat_load_dwordx4 v[32:35], v[56:57] offset:80
	flat_load_dwordx4 v[28:31], v[56:57] offset:96
	ds_read_b128 v[8:11], v66 offset:784
	flat_load_dwordx4 v[24:27], v[56:57] offset:112
	s_waitcnt lgkmcnt(0)
	v_mul_f64 v[0:1], v[36:37], v[0:1]
	v_fma_f64 v[0:1], s[4:5], v[6:7], -v[0:1]
	v_fma_f64 v[0:1], -v[38:39], v[2:3], v[0:1]
	v_fma_f64 v[0:1], -v[40:41], v[8:9], v[0:1]
	v_mul_f64 v[42:43], v[10:11], v[0:1]
	flat_store_dwordx2 v[56:57], v[42:43] offset:24
	ds_read_b128 v[0:3], v66 offset:1024
	flat_load_dwordx4 v[20:23], v[56:57] offset:128
	flat_load_dwordx4 v[16:19], v[56:57] offset:144
	ds_read_b128 v[4:7], v66 offset:1040
	ds_read_b64 v[8:9], v66 offset:1056
	s_waitcnt lgkmcnt(0)
	v_mul_f64 v[0:1], v[36:37], v[0:1]
	v_fma_f64 v[0:1], s[4:5], v[44:45], -v[0:1]
	v_fma_f64 v[0:1], -v[38:39], v[2:3], v[0:1]
	v_fma_f64 v[0:1], -v[40:41], v[4:5], v[0:1]
	;; [unrolled: 1-line block ×3, first 2 shown]
	v_mul_f64 v[44:45], v[8:9], v[0:1]
	flat_store_dwordx2 v[56:57], v[44:45] offset:32
	ds_read_b128 v[0:3], v66 offset:1280
	flat_load_dwordx4 v[12:15], v[56:57] offset:160
	flat_load_dwordx4 v[8:11], v[56:57] offset:176
	ds_read_b128 v[4:7], v66 offset:1296
	ds_read_b128 v[58:61], v66 offset:1312
	s_waitcnt lgkmcnt(0)
	v_mul_f64 v[0:1], v[36:37], v[0:1]
	v_fma_f64 v[0:1], s[4:5], v[46:47], -v[0:1]
	v_fma_f64 v[0:1], -v[38:39], v[2:3], v[0:1]
	v_fma_f64 v[0:1], -v[40:41], v[4:5], v[0:1]
	v_fma_f64 v[0:1], -v[42:43], v[6:7], v[0:1]
	v_fma_f64 v[0:1], -v[44:45], v[58:59], v[0:1]
	v_mul_f64 v[46:47], v[60:61], v[0:1]
	flat_store_dwordx2 v[56:57], v[46:47] offset:40
	ds_read_b128 v[0:3], v66 offset:1536
	flat_load_dwordx4 v[4:7], v[56:57] offset:192
	ds_read_b128 v[58:61], v66 offset:1552
	ds_read_b128 v[62:65], v66 offset:1568
	ds_read_b64 v[68:69], v66 offset:1584
	s_waitcnt lgkmcnt(0)
	v_mul_f64 v[0:1], v[36:37], v[0:1]
	v_fma_f64 v[0:1], s[4:5], v[48:49], -v[0:1]
	v_fma_f64 v[0:1], -v[38:39], v[2:3], v[0:1]
	v_fma_f64 v[0:1], -v[40:41], v[58:59], v[0:1]
	;; [unrolled: 1-line block ×5, first 2 shown]
	v_mul_f64 v[48:49], v[68:69], v[0:1]
	flat_store_dwordx2 v[56:57], v[48:49] offset:48
	ds_read_b128 v[58:61], v66 offset:1792
	flat_load_dwordx4 v[0:3], v[56:57] offset:208
	ds_read_b128 v[62:65], v66 offset:1808
	ds_read_b128 v[68:71], v66 offset:1824
	;; [unrolled: 1-line block ×3, first 2 shown]
	s_waitcnt lgkmcnt(0)
	v_mul_f64 v[58:59], v[36:37], v[58:59]
	v_fma_f64 v[50:51], s[4:5], v[50:51], -v[58:59]
	v_fma_f64 v[50:51], -v[38:39], v[60:61], v[50:51]
	v_fma_f64 v[50:51], -v[40:41], v[62:63], v[50:51]
	;; [unrolled: 1-line block ×6, first 2 shown]
	v_mul_f64 v[50:51], v[74:75], v[50:51]
	flat_store_dwordx2 v[56:57], v[50:51] offset:56
	ds_read_b128 v[58:61], v66 offset:2048
	ds_read_b128 v[62:65], v66 offset:2064
	;; [unrolled: 1-line block ×4, first 2 shown]
	ds_read_b64 v[76:77], v66 offset:2112
	s_waitcnt lgkmcnt(0)
	v_mul_f64 v[58:59], v[36:37], v[58:59]
	v_fma_f64 v[52:53], s[4:5], v[52:53], -v[58:59]
	v_fma_f64 v[52:53], -v[38:39], v[60:61], v[52:53]
	v_fma_f64 v[52:53], -v[40:41], v[62:63], v[52:53]
	;; [unrolled: 1-line block ×7, first 2 shown]
	v_mul_f64 v[52:53], v[76:77], v[52:53]
	flat_store_dwordx2 v[56:57], v[52:53] offset:64
	ds_read_b128 v[58:61], v66 offset:2304
	ds_read_b128 v[62:65], v66 offset:2320
	;; [unrolled: 1-line block ×5, first 2 shown]
	s_waitcnt lgkmcnt(0)
	v_mul_f64 v[58:59], v[36:37], v[58:59]
	v_fma_f64 v[54:55], s[4:5], v[54:55], -v[58:59]
	v_fma_f64 v[54:55], -v[38:39], v[60:61], v[54:55]
	v_fma_f64 v[54:55], -v[40:41], v[62:63], v[54:55]
	;; [unrolled: 1-line block ×8, first 2 shown]
	v_mul_f64 v[54:55], v[78:79], v[54:55]
	flat_store_dwordx2 v[56:57], v[54:55] offset:72
	ds_read_b128 v[58:61], v66 offset:2560
	ds_read_b128 v[62:65], v66 offset:2576
	;; [unrolled: 1-line block ×5, first 2 shown]
	ds_read_b64 v[80:81], v66 offset:2640
	s_waitcnt lgkmcnt(0)
	v_mul_f64 v[58:59], v[36:37], v[58:59]
	s_waitcnt vmcnt(0)
	v_fma_f64 v[32:33], s[4:5], v[32:33], -v[58:59]
	v_fma_f64 v[32:33], -v[38:39], v[60:61], v[32:33]
	v_fma_f64 v[32:33], -v[40:41], v[62:63], v[32:33]
	;; [unrolled: 1-line block ×9, first 2 shown]
	v_mul_f64 v[32:33], v[80:81], v[32:33]
	flat_store_dwordx2 v[56:57], v[32:33] offset:80
	ds_read_b128 v[58:61], v66 offset:2816
	ds_read_b128 v[62:65], v66 offset:2832
	;; [unrolled: 1-line block ×5, first 2 shown]
	s_waitcnt lgkmcnt(0)
	v_mul_f64 v[58:59], v[36:37], v[58:59]
	v_fma_f64 v[34:35], s[4:5], v[34:35], -v[58:59]
	v_fma_f64 v[34:35], -v[38:39], v[60:61], v[34:35]
	v_fma_f64 v[34:35], -v[40:41], v[62:63], v[34:35]
	v_fma_f64 v[34:35], -v[42:43], v[64:65], v[34:35]
	v_fma_f64 v[34:35], -v[44:45], v[68:69], v[34:35]
	ds_read_b128 v[80:83], v66 offset:2896
	v_fma_f64 v[34:35], -v[46:47], v[70:71], v[34:35]
	v_fma_f64 v[34:35], -v[48:49], v[72:73], v[34:35]
	;; [unrolled: 1-line block ×5, first 2 shown]
	s_waitcnt lgkmcnt(0)
	v_fma_f64 v[34:35], -v[32:33], v[80:81], v[34:35]
	v_mul_f64 v[34:35], v[82:83], v[34:35]
	flat_store_dwordx2 v[56:57], v[34:35] offset:88
	ds_read_b128 v[58:61], v66 offset:3072
	ds_read_b128 v[62:65], v66 offset:3088
	;; [unrolled: 1-line block ×6, first 2 shown]
	s_waitcnt lgkmcnt(0)
	v_mul_f64 v[58:59], v[36:37], v[58:59]
	v_fma_f64 v[28:29], s[4:5], v[28:29], -v[58:59]
	v_fma_f64 v[28:29], -v[38:39], v[60:61], v[28:29]
	v_fma_f64 v[28:29], -v[40:41], v[62:63], v[28:29]
	;; [unrolled: 1-line block ×6, first 2 shown]
	ds_read_b64 v[58:59], v66 offset:3168
	v_fma_f64 v[28:29], -v[50:51], v[74:75], v[28:29]
	v_fma_f64 v[28:29], -v[52:53], v[76:77], v[28:29]
	;; [unrolled: 1-line block ×5, first 2 shown]
	s_waitcnt lgkmcnt(0)
	v_mul_f64 v[28:29], v[58:59], v[28:29]
	flat_store_dwordx2 v[56:57], v[28:29] offset:96
	ds_read_b128 v[58:61], v66 offset:3328
	ds_read_b128 v[62:65], v66 offset:3344
	;; [unrolled: 1-line block ×5, first 2 shown]
	s_waitcnt lgkmcnt(0)
	v_mul_f64 v[58:59], v[36:37], v[58:59]
	v_fma_f64 v[30:31], s[4:5], v[30:31], -v[58:59]
	v_fma_f64 v[30:31], -v[38:39], v[60:61], v[30:31]
	v_fma_f64 v[30:31], -v[40:41], v[62:63], v[30:31]
	;; [unrolled: 1-line block ×4, first 2 shown]
	ds_read_b128 v[80:83], v66 offset:3408
	ds_read_b128 v[58:61], v66 offset:3424
	v_fma_f64 v[30:31], -v[46:47], v[70:71], v[30:31]
	v_fma_f64 v[30:31], -v[48:49], v[72:73], v[30:31]
	;; [unrolled: 1-line block ×5, first 2 shown]
	s_waitcnt lgkmcnt(0)
	v_fma_f64 v[30:31], -v[32:33], v[80:81], v[30:31]
	v_fma_f64 v[30:31], -v[34:35], v[82:83], v[30:31]
	;; [unrolled: 1-line block ×3, first 2 shown]
	v_mul_f64 v[30:31], v[60:61], v[30:31]
	flat_store_dwordx2 v[56:57], v[30:31] offset:104
	ds_read_b128 v[58:61], v66 offset:3584
	ds_read_b128 v[62:65], v66 offset:3600
	;; [unrolled: 1-line block ×6, first 2 shown]
	s_waitcnt lgkmcnt(0)
	v_mul_f64 v[58:59], v[36:37], v[58:59]
	v_fma_f64 v[24:25], s[4:5], v[24:25], -v[58:59]
	v_fma_f64 v[24:25], -v[38:39], v[60:61], v[24:25]
	v_fma_f64 v[24:25], -v[40:41], v[62:63], v[24:25]
	;; [unrolled: 1-line block ×6, first 2 shown]
	ds_read_b128 v[58:61], v66 offset:3680
	ds_read_b64 v[62:63], v66 offset:3696
	v_fma_f64 v[24:25], -v[50:51], v[74:75], v[24:25]
	v_fma_f64 v[24:25], -v[52:53], v[76:77], v[24:25]
	;; [unrolled: 1-line block ×5, first 2 shown]
	s_waitcnt lgkmcnt(0)
	v_fma_f64 v[24:25], -v[28:29], v[58:59], v[24:25]
	v_fma_f64 v[24:25], -v[30:31], v[60:61], v[24:25]
	v_mul_f64 v[24:25], v[62:63], v[24:25]
	flat_store_dwordx2 v[56:57], v[24:25] offset:112
	ds_read_b128 v[58:61], v66 offset:3840
	ds_read_b128 v[62:65], v66 offset:3856
	;; [unrolled: 1-line block ×5, first 2 shown]
	s_waitcnt lgkmcnt(0)
	v_mul_f64 v[58:59], v[36:37], v[58:59]
	v_fma_f64 v[26:27], s[4:5], v[26:27], -v[58:59]
	v_fma_f64 v[26:27], -v[38:39], v[60:61], v[26:27]
	v_fma_f64 v[26:27], -v[40:41], v[62:63], v[26:27]
	;; [unrolled: 1-line block ×4, first 2 shown]
	ds_read_b128 v[80:83], v66 offset:3920
	ds_read_b128 v[58:61], v66 offset:3936
	v_fma_f64 v[26:27], -v[46:47], v[70:71], v[26:27]
	v_fma_f64 v[26:27], -v[48:49], v[72:73], v[26:27]
	;; [unrolled: 1-line block ×4, first 2 shown]
	ds_read_b128 v[62:65], v66 offset:3952
	v_fma_f64 v[26:27], -v[54:55], v[78:79], v[26:27]
	s_waitcnt lgkmcnt(0)
	v_fma_f64 v[26:27], -v[32:33], v[80:81], v[26:27]
	v_fma_f64 v[26:27], -v[34:35], v[82:83], v[26:27]
	;; [unrolled: 1-line block ×5, first 2 shown]
	v_mul_f64 v[26:27], v[64:65], v[26:27]
	flat_store_dwordx2 v[56:57], v[26:27] offset:120
	ds_read_b128 v[58:61], v66 offset:4096
	ds_read_b128 v[62:65], v66 offset:4112
	;; [unrolled: 1-line block ×6, first 2 shown]
	s_waitcnt lgkmcnt(0)
	v_mul_f64 v[58:59], v[36:37], v[58:59]
	v_fma_f64 v[20:21], s[4:5], v[20:21], -v[58:59]
	v_fma_f64 v[20:21], -v[38:39], v[60:61], v[20:21]
	v_fma_f64 v[20:21], -v[40:41], v[62:63], v[20:21]
	;; [unrolled: 1-line block ×6, first 2 shown]
	ds_read_b128 v[58:61], v66 offset:4192
	ds_read_b128 v[62:65], v66 offset:4208
	v_fma_f64 v[20:21], -v[50:51], v[74:75], v[20:21]
	v_fma_f64 v[20:21], -v[52:53], v[76:77], v[20:21]
	;; [unrolled: 1-line block ×4, first 2 shown]
	ds_read_b64 v[68:69], v66 offset:4224
	v_fma_f64 v[20:21], -v[34:35], v[82:83], v[20:21]
	s_waitcnt lgkmcnt(0)
	v_fma_f64 v[20:21], -v[28:29], v[58:59], v[20:21]
	v_fma_f64 v[20:21], -v[30:31], v[60:61], v[20:21]
	;; [unrolled: 1-line block ×4, first 2 shown]
	v_mul_f64 v[20:21], v[68:69], v[20:21]
	flat_store_dwordx2 v[56:57], v[20:21] offset:128
	ds_read_b128 v[58:61], v66 offset:4352
	ds_read_b128 v[62:65], v66 offset:4368
	;; [unrolled: 1-line block ×5, first 2 shown]
	s_waitcnt lgkmcnt(0)
	v_mul_f64 v[58:59], v[36:37], v[58:59]
	v_fma_f64 v[22:23], s[4:5], v[22:23], -v[58:59]
	v_fma_f64 v[22:23], -v[38:39], v[60:61], v[22:23]
	v_fma_f64 v[22:23], -v[40:41], v[62:63], v[22:23]
	;; [unrolled: 1-line block ×4, first 2 shown]
	ds_read_b128 v[80:83], v66 offset:4432
	ds_read_b128 v[58:61], v66 offset:4448
	v_fma_f64 v[22:23], -v[46:47], v[70:71], v[22:23]
	v_fma_f64 v[22:23], -v[48:49], v[72:73], v[22:23]
	;; [unrolled: 1-line block ×4, first 2 shown]
	ds_read_b128 v[62:65], v66 offset:4464
	ds_read_b128 v[68:71], v66 offset:4480
	v_fma_f64 v[22:23], -v[54:55], v[78:79], v[22:23]
	s_waitcnt lgkmcnt(0)
	v_fma_f64 v[22:23], -v[32:33], v[80:81], v[22:23]
	v_fma_f64 v[22:23], -v[34:35], v[82:83], v[22:23]
	;; [unrolled: 1-line block ×7, first 2 shown]
	v_mul_f64 v[22:23], v[70:71], v[22:23]
	flat_store_dwordx2 v[56:57], v[22:23] offset:136
	ds_read_b128 v[58:61], v66 offset:4608
	ds_read_b128 v[62:65], v66 offset:4624
	;; [unrolled: 1-line block ×6, first 2 shown]
	s_waitcnt lgkmcnt(0)
	v_mul_f64 v[58:59], v[36:37], v[58:59]
	v_fma_f64 v[16:17], s[4:5], v[16:17], -v[58:59]
	v_fma_f64 v[16:17], -v[38:39], v[60:61], v[16:17]
	v_fma_f64 v[16:17], -v[40:41], v[62:63], v[16:17]
	;; [unrolled: 1-line block ×6, first 2 shown]
	ds_read_b128 v[58:61], v66 offset:4704
	ds_read_b128 v[62:65], v66 offset:4720
	v_fma_f64 v[16:17], -v[50:51], v[74:75], v[16:17]
	v_fma_f64 v[16:17], -v[52:53], v[76:77], v[16:17]
	;; [unrolled: 1-line block ×4, first 2 shown]
	ds_read_b128 v[68:71], v66 offset:4736
	ds_read_b64 v[72:73], v66 offset:4752
	v_fma_f64 v[16:17], -v[34:35], v[82:83], v[16:17]
	s_waitcnt lgkmcnt(0)
	v_fma_f64 v[16:17], -v[28:29], v[58:59], v[16:17]
	v_fma_f64 v[16:17], -v[30:31], v[60:61], v[16:17]
	;; [unrolled: 1-line block ×6, first 2 shown]
	v_mul_f64 v[16:17], v[72:73], v[16:17]
	flat_store_dwordx2 v[56:57], v[16:17] offset:144
	ds_read_b128 v[58:61], v66 offset:4864
	ds_read_b128 v[62:65], v66 offset:4880
	;; [unrolled: 1-line block ×5, first 2 shown]
	s_waitcnt lgkmcnt(0)
	v_mul_f64 v[58:59], v[36:37], v[58:59]
	v_fma_f64 v[18:19], s[4:5], v[18:19], -v[58:59]
	v_fma_f64 v[18:19], -v[38:39], v[60:61], v[18:19]
	v_fma_f64 v[18:19], -v[40:41], v[62:63], v[18:19]
	;; [unrolled: 1-line block ×4, first 2 shown]
	ds_read_b128 v[80:83], v66 offset:4944
	ds_read_b128 v[58:61], v66 offset:4960
	v_fma_f64 v[18:19], -v[46:47], v[70:71], v[18:19]
	v_fma_f64 v[18:19], -v[48:49], v[72:73], v[18:19]
	;; [unrolled: 1-line block ×4, first 2 shown]
	ds_read_b128 v[62:65], v66 offset:4976
	ds_read_b128 v[68:71], v66 offset:4992
	v_fma_f64 v[18:19], -v[54:55], v[78:79], v[18:19]
	s_waitcnt lgkmcnt(0)
	v_fma_f64 v[18:19], -v[32:33], v[80:81], v[18:19]
	v_fma_f64 v[18:19], -v[34:35], v[82:83], v[18:19]
	;; [unrolled: 1-line block ×3, first 2 shown]
	ds_read_b128 v[72:75], v66 offset:5008
	v_fma_f64 v[18:19], -v[30:31], v[60:61], v[18:19]
	v_fma_f64 v[18:19], -v[24:25], v[62:63], v[18:19]
	;; [unrolled: 1-line block ×5, first 2 shown]
	s_waitcnt lgkmcnt(0)
	v_fma_f64 v[18:19], -v[16:17], v[72:73], v[18:19]
	v_mul_f64 v[18:19], v[74:75], v[18:19]
	flat_store_dwordx2 v[56:57], v[18:19] offset:152
	ds_read_b128 v[58:61], v66 offset:5120
	ds_read_b128 v[62:65], v66 offset:5136
	;; [unrolled: 1-line block ×6, first 2 shown]
	s_waitcnt lgkmcnt(0)
	v_mul_f64 v[58:59], v[36:37], v[58:59]
	v_fma_f64 v[12:13], s[4:5], v[12:13], -v[58:59]
	v_fma_f64 v[12:13], -v[38:39], v[60:61], v[12:13]
	v_fma_f64 v[12:13], -v[40:41], v[62:63], v[12:13]
	;; [unrolled: 1-line block ×6, first 2 shown]
	ds_read_b128 v[58:61], v66 offset:5216
	ds_read_b128 v[62:65], v66 offset:5232
	v_fma_f64 v[12:13], -v[50:51], v[74:75], v[12:13]
	v_fma_f64 v[12:13], -v[52:53], v[76:77], v[12:13]
	;; [unrolled: 1-line block ×4, first 2 shown]
	ds_read_b128 v[68:71], v66 offset:5248
	ds_read_b128 v[72:75], v66 offset:5264
	v_fma_f64 v[12:13], -v[34:35], v[82:83], v[12:13]
	s_waitcnt lgkmcnt(0)
	v_fma_f64 v[12:13], -v[28:29], v[58:59], v[12:13]
	v_fma_f64 v[12:13], -v[30:31], v[60:61], v[12:13]
	v_fma_f64 v[12:13], -v[24:25], v[62:63], v[12:13]
	ds_read_b64 v[76:77], v66 offset:5280
	v_fma_f64 v[12:13], -v[26:27], v[64:65], v[12:13]
	v_fma_f64 v[12:13], -v[20:21], v[68:69], v[12:13]
	v_fma_f64 v[12:13], -v[22:23], v[70:71], v[12:13]
	v_fma_f64 v[12:13], -v[16:17], v[72:73], v[12:13]
	v_fma_f64 v[12:13], -v[18:19], v[74:75], v[12:13]
	s_waitcnt lgkmcnt(0)
	v_mul_f64 v[12:13], v[76:77], v[12:13]
	flat_store_dwordx2 v[56:57], v[12:13] offset:160
	ds_read_b128 v[58:61], v66 offset:5376
	ds_read_b128 v[62:65], v66 offset:5392
	;; [unrolled: 1-line block ×5, first 2 shown]
	s_waitcnt lgkmcnt(0)
	v_mul_f64 v[58:59], v[36:37], v[58:59]
	v_fma_f64 v[14:15], s[4:5], v[14:15], -v[58:59]
	v_fma_f64 v[14:15], -v[38:39], v[60:61], v[14:15]
	v_fma_f64 v[14:15], -v[40:41], v[62:63], v[14:15]
	;; [unrolled: 1-line block ×4, first 2 shown]
	ds_read_b128 v[80:83], v66 offset:5456
	ds_read_b128 v[58:61], v66 offset:5472
	v_fma_f64 v[14:15], -v[46:47], v[70:71], v[14:15]
	v_fma_f64 v[14:15], -v[48:49], v[72:73], v[14:15]
	;; [unrolled: 1-line block ×4, first 2 shown]
	ds_read_b128 v[62:65], v66 offset:5488
	ds_read_b128 v[68:71], v66 offset:5504
	v_fma_f64 v[14:15], -v[54:55], v[78:79], v[14:15]
	s_waitcnt lgkmcnt(0)
	v_fma_f64 v[14:15], -v[32:33], v[80:81], v[14:15]
	v_fma_f64 v[14:15], -v[34:35], v[82:83], v[14:15]
	;; [unrolled: 1-line block ×3, first 2 shown]
	ds_read_b128 v[72:75], v66 offset:5520
	ds_read_b128 v[76:79], v66 offset:5536
	v_fma_f64 v[14:15], -v[30:31], v[60:61], v[14:15]
	v_fma_f64 v[14:15], -v[24:25], v[62:63], v[14:15]
	;; [unrolled: 1-line block ×5, first 2 shown]
	s_waitcnt lgkmcnt(0)
	v_fma_f64 v[14:15], -v[16:17], v[72:73], v[14:15]
	v_fma_f64 v[14:15], -v[18:19], v[74:75], v[14:15]
	;; [unrolled: 1-line block ×3, first 2 shown]
	v_mul_f64 v[14:15], v[78:79], v[14:15]
	flat_store_dwordx2 v[56:57], v[14:15] offset:168
	ds_read_b128 v[58:61], v66 offset:5632
	ds_read_b128 v[62:65], v66 offset:5648
	;; [unrolled: 1-line block ×6, first 2 shown]
	s_waitcnt lgkmcnt(0)
	v_mul_f64 v[58:59], v[36:37], v[58:59]
	v_fma_f64 v[8:9], s[4:5], v[8:9], -v[58:59]
	v_fma_f64 v[8:9], -v[38:39], v[60:61], v[8:9]
	v_fma_f64 v[8:9], -v[40:41], v[62:63], v[8:9]
	;; [unrolled: 1-line block ×6, first 2 shown]
	ds_read_b128 v[58:61], v66 offset:5728
	ds_read_b128 v[62:65], v66 offset:5744
	v_fma_f64 v[8:9], -v[50:51], v[74:75], v[8:9]
	v_fma_f64 v[8:9], -v[52:53], v[76:77], v[8:9]
	;; [unrolled: 1-line block ×4, first 2 shown]
	ds_read_b128 v[68:71], v66 offset:5760
	ds_read_b128 v[72:75], v66 offset:5776
	v_fma_f64 v[8:9], -v[34:35], v[82:83], v[8:9]
	s_waitcnt lgkmcnt(0)
	v_fma_f64 v[8:9], -v[28:29], v[58:59], v[8:9]
	v_fma_f64 v[8:9], -v[30:31], v[60:61], v[8:9]
	;; [unrolled: 1-line block ×3, first 2 shown]
	ds_read_b128 v[76:79], v66 offset:5792
	ds_read_b64 v[80:81], v66 offset:5808
	v_fma_f64 v[8:9], -v[26:27], v[64:65], v[8:9]
	v_fma_f64 v[8:9], -v[20:21], v[68:69], v[8:9]
	v_fma_f64 v[8:9], -v[22:23], v[70:71], v[8:9]
	v_fma_f64 v[8:9], -v[16:17], v[72:73], v[8:9]
	v_fma_f64 v[8:9], -v[18:19], v[74:75], v[8:9]
	s_waitcnt lgkmcnt(0)
	v_fma_f64 v[8:9], -v[12:13], v[76:77], v[8:9]
	v_fma_f64 v[8:9], -v[14:15], v[78:79], v[8:9]
	v_mul_f64 v[58:59], v[80:81], v[8:9]
	flat_store_dwordx2 v[56:57], v[58:59] offset:176
	ds_read_b128 v[60:63], v66 offset:5888
	ds_read_b128 v[68:71], v66 offset:5904
	;; [unrolled: 1-line block ×5, first 2 shown]
	s_waitcnt lgkmcnt(0)
	v_mul_f64 v[8:9], v[36:37], v[60:61]
	v_fma_f64 v[60:61], s[4:5], v[10:11], -v[8:9]
	v_fma_f64 v[64:65], -v[38:39], v[62:63], v[60:61]
	v_fma_f64 v[64:65], -v[40:41], v[68:69], v[64:65]
	;; [unrolled: 1-line block ×4, first 2 shown]
	ds_read_b128 v[8:11], v66 offset:5968
	ds_read_b128 v[60:63], v66 offset:5984
	v_fma_f64 v[64:65], -v[46:47], v[74:75], v[64:65]
	v_fma_f64 v[64:65], -v[48:49], v[76:77], v[64:65]
	;; [unrolled: 1-line block ×4, first 2 shown]
	ds_read_b128 v[68:71], v66 offset:6000
	ds_read_b128 v[72:75], v66 offset:6016
	v_fma_f64 v[64:65], -v[54:55], v[82:83], v[64:65]
	s_waitcnt lgkmcnt(0)
	v_fma_f64 v[8:9], -v[32:33], v[8:9], v[64:65]
	v_fma_f64 v[64:65], -v[34:35], v[10:11], v[8:9]
	;; [unrolled: 1-line block ×3, first 2 shown]
	ds_read_b128 v[76:79], v66 offset:6032
	ds_read_b128 v[80:83], v66 offset:6048
	v_fma_f64 v[60:61], -v[30:31], v[62:63], v[60:61]
	v_fma_f64 v[60:61], -v[24:25], v[68:69], v[60:61]
	;; [unrolled: 1-line block ×4, first 2 shown]
	ds_read_b128 v[8:11], v66 offset:6064
	v_fma_f64 v[60:61], -v[22:23], v[74:75], v[60:61]
	s_waitcnt lgkmcnt(0)
	v_fma_f64 v[60:61], -v[16:17], v[76:77], v[60:61]
	v_fma_f64 v[60:61], -v[18:19], v[78:79], v[60:61]
	v_fma_f64 v[60:61], -v[12:13], v[80:81], v[60:61]
	v_fma_f64 v[60:61], -v[14:15], v[82:83], v[60:61]
	v_fma_f64 v[8:9], -v[58:59], v[8:9], v[60:61]
	v_mul_f64 v[60:61], v[10:11], v[8:9]
	flat_store_dwordx2 v[56:57], v[60:61] offset:184
	ds_read_b128 v[8:11], v66 offset:6144
	ds_read_b128 v[62:65], v66 offset:6160
	;; [unrolled: 1-line block ×6, first 2 shown]
	s_waitcnt lgkmcnt(0)
	v_mul_f64 v[8:9], v[36:37], v[8:9]
	v_fma_f64 v[4:5], s[4:5], v[4:5], -v[8:9]
	v_fma_f64 v[4:5], -v[38:39], v[10:11], v[4:5]
	v_fma_f64 v[4:5], -v[40:41], v[62:63], v[4:5]
	;; [unrolled: 1-line block ×6, first 2 shown]
	ds_read_b128 v[8:11], v66 offset:6240
	ds_read_b128 v[62:65], v66 offset:6256
	v_fma_f64 v[4:5], -v[50:51], v[74:75], v[4:5]
	v_fma_f64 v[4:5], -v[52:53], v[76:77], v[4:5]
	v_fma_f64 v[4:5], -v[54:55], v[78:79], v[4:5]
	v_fma_f64 v[4:5], -v[32:33], v[80:81], v[4:5]
	ds_read_b128 v[68:71], v66 offset:6272
	ds_read_b128 v[72:75], v66 offset:6288
	v_fma_f64 v[4:5], -v[34:35], v[82:83], v[4:5]
	s_waitcnt lgkmcnt(0)
	v_fma_f64 v[4:5], -v[28:29], v[8:9], v[4:5]
	v_fma_f64 v[4:5], -v[30:31], v[10:11], v[4:5]
	v_fma_f64 v[4:5], -v[24:25], v[62:63], v[4:5]
	ds_read_b128 v[76:79], v66 offset:6304
	ds_read_b128 v[80:83], v66 offset:6320
	v_fma_f64 v[4:5], -v[26:27], v[64:65], v[4:5]
	v_fma_f64 v[4:5], -v[20:21], v[68:69], v[4:5]
	;; [unrolled: 1-line block ×4, first 2 shown]
	ds_read_b64 v[8:9], v66 offset:6336
	v_fma_f64 v[4:5], -v[18:19], v[74:75], v[4:5]
	s_waitcnt lgkmcnt(0)
	v_fma_f64 v[4:5], -v[12:13], v[76:77], v[4:5]
	v_fma_f64 v[4:5], -v[14:15], v[78:79], v[4:5]
	;; [unrolled: 1-line block ×4, first 2 shown]
	v_mul_f64 v[4:5], v[8:9], v[4:5]
	flat_store_dwordx2 v[56:57], v[4:5] offset:192
	ds_read_b128 v[62:65], v66 offset:6400
	flat_load_dwordx4 v[8:11], v[56:57] offset:224
	ds_read_b128 v[68:71], v66 offset:6416
	ds_read_b128 v[72:75], v66 offset:6432
	;; [unrolled: 1-line block ×4, first 2 shown]
	s_waitcnt lgkmcnt(0)
	v_mul_f64 v[62:63], v[36:37], v[62:63]
	v_fma_f64 v[6:7], s[4:5], v[6:7], -v[62:63]
	v_fma_f64 v[6:7], -v[38:39], v[64:65], v[6:7]
	v_fma_f64 v[6:7], -v[40:41], v[68:69], v[6:7]
	;; [unrolled: 1-line block ×4, first 2 shown]
	ds_read_b128 v[62:65], v66 offset:6480
	v_fma_f64 v[6:7], -v[46:47], v[74:75], v[6:7]
	v_fma_f64 v[6:7], -v[48:49], v[76:77], v[6:7]
	ds_read_b128 v[68:71], v66 offset:6496
	ds_read_b128 v[72:75], v66 offset:6512
	v_fma_f64 v[6:7], -v[50:51], v[78:79], v[6:7]
	v_fma_f64 v[6:7], -v[52:53], v[80:81], v[6:7]
	;; [unrolled: 1-line block ×3, first 2 shown]
	s_waitcnt lgkmcnt(0)
	v_fma_f64 v[6:7], -v[32:33], v[62:63], v[6:7]
	ds_read_b128 v[76:79], v66 offset:6528
	ds_read_b128 v[80:83], v66 offset:6544
	v_fma_f64 v[6:7], -v[34:35], v[64:65], v[6:7]
	v_fma_f64 v[6:7], -v[28:29], v[68:69], v[6:7]
	;; [unrolled: 1-line block ×4, first 2 shown]
	ds_read_b128 v[62:65], v66 offset:6560
	ds_read_b128 v[68:71], v66 offset:6576
	v_fma_f64 v[6:7], -v[26:27], v[74:75], v[6:7]
	s_waitcnt lgkmcnt(0)
	v_fma_f64 v[6:7], -v[20:21], v[76:77], v[6:7]
	v_fma_f64 v[6:7], -v[22:23], v[78:79], v[6:7]
	;; [unrolled: 1-line block ×3, first 2 shown]
	ds_read_b128 v[72:75], v66 offset:6592
	v_fma_f64 v[6:7], -v[18:19], v[82:83], v[6:7]
	v_fma_f64 v[6:7], -v[12:13], v[62:63], v[6:7]
	v_fma_f64 v[6:7], -v[14:15], v[64:65], v[6:7]
	v_fma_f64 v[6:7], -v[58:59], v[68:69], v[6:7]
	v_fma_f64 v[6:7], -v[60:61], v[70:71], v[6:7]
	s_waitcnt lgkmcnt(0)
	v_fma_f64 v[6:7], -v[4:5], v[72:73], v[6:7]
	v_mul_f64 v[6:7], v[74:75], v[6:7]
	flat_store_dwordx2 v[56:57], v[6:7] offset:200
	ds_read_b128 v[62:65], v66 offset:6656
	ds_read_b128 v[68:71], v66 offset:6672
	;; [unrolled: 1-line block ×5, first 2 shown]
	s_waitcnt lgkmcnt(0)
	v_mul_f64 v[62:63], v[36:37], v[62:63]
	v_fma_f64 v[0:1], s[4:5], v[0:1], -v[62:63]
	v_fma_f64 v[0:1], -v[38:39], v[64:65], v[0:1]
	v_fma_f64 v[0:1], -v[40:41], v[68:69], v[0:1]
	;; [unrolled: 1-line block ×4, first 2 shown]
	ds_read_b128 v[62:65], v66 offset:6736
	ds_read_b128 v[68:71], v66 offset:6752
	v_fma_f64 v[0:1], -v[46:47], v[74:75], v[0:1]
	v_fma_f64 v[0:1], -v[48:49], v[76:77], v[0:1]
	;; [unrolled: 1-line block ×4, first 2 shown]
	ds_read_b128 v[72:75], v66 offset:6768
	ds_read_b128 v[76:79], v66 offset:6784
	v_fma_f64 v[0:1], -v[54:55], v[82:83], v[0:1]
	s_waitcnt lgkmcnt(0)
	v_fma_f64 v[0:1], -v[32:33], v[62:63], v[0:1]
	v_fma_f64 v[0:1], -v[34:35], v[64:65], v[0:1]
	;; [unrolled: 1-line block ×3, first 2 shown]
	ds_read_b128 v[80:83], v66 offset:6800
	ds_read_b128 v[62:65], v66 offset:6816
	v_fma_f64 v[0:1], -v[30:31], v[70:71], v[0:1]
	v_fma_f64 v[0:1], -v[24:25], v[72:73], v[0:1]
	;; [unrolled: 1-line block ×4, first 2 shown]
	ds_read_b128 v[68:71], v66 offset:6832
	ds_read_b128 v[72:75], v66 offset:6848
	v_fma_f64 v[0:1], -v[22:23], v[78:79], v[0:1]
	s_waitcnt lgkmcnt(0)
	v_fma_f64 v[0:1], -v[16:17], v[80:81], v[0:1]
	v_fma_f64 v[0:1], -v[18:19], v[82:83], v[0:1]
	;; [unrolled: 1-line block ×4, first 2 shown]
	ds_read_b64 v[62:63], v66 offset:6864
	v_fma_f64 v[0:1], -v[58:59], v[68:69], v[0:1]
	v_fma_f64 v[0:1], -v[60:61], v[70:71], v[0:1]
	;; [unrolled: 1-line block ×4, first 2 shown]
	s_waitcnt lgkmcnt(0)
	v_mul_f64 v[62:63], v[62:63], v[0:1]
	flat_store_dwordx2 v[56:57], v[62:63] offset:208
	ds_read_b128 v[68:71], v66 offset:6912
	ds_read_b128 v[72:75], v66 offset:6928
	;; [unrolled: 1-line block ×4, first 2 shown]
	s_waitcnt lgkmcnt(0)
	v_mul_f64 v[0:1], v[36:37], v[68:69]
	v_fma_f64 v[0:1], s[4:5], v[2:3], -v[0:1]
	v_fma_f64 v[0:1], -v[38:39], v[70:71], v[0:1]
	v_fma_f64 v[0:1], -v[40:41], v[72:73], v[0:1]
	;; [unrolled: 1-line block ×4, first 2 shown]
	ds_read_b128 v[0:3], v66 offset:6976
	ds_read_b128 v[68:71], v66 offset:6992
	v_fma_f64 v[64:65], -v[46:47], v[78:79], v[64:65]
	v_fma_f64 v[64:65], -v[48:49], v[80:81], v[64:65]
	;; [unrolled: 1-line block ×3, first 2 shown]
	s_waitcnt lgkmcnt(0)
	v_fma_f64 v[0:1], -v[52:53], v[0:1], v[64:65]
	ds_read_b128 v[72:75], v66 offset:7008
	v_fma_f64 v[0:1], -v[54:55], v[2:3], v[0:1]
	v_fma_f64 v[64:65], -v[32:33], v[68:69], v[0:1]
	ds_read_b128 v[0:3], v66 offset:7024
	v_fma_f64 v[64:65], -v[34:35], v[70:71], v[64:65]
	ds_read_b128 v[68:71], v66 offset:7040
	s_waitcnt lgkmcnt(0)
	v_fma_f64 v[64:65], -v[28:29], v[72:73], v[64:65]
	v_fma_f64 v[64:65], -v[30:31], v[74:75], v[64:65]
	;; [unrolled: 1-line block ×3, first 2 shown]
	ds_read_b128 v[72:75], v66 offset:7056
	v_fma_f64 v[0:1], -v[26:27], v[2:3], v[0:1]
	v_fma_f64 v[64:65], -v[20:21], v[68:69], v[0:1]
	ds_read_b128 v[0:3], v66 offset:7072
	v_fma_f64 v[64:65], -v[22:23], v[70:71], v[64:65]
	ds_read_b128 v[68:71], v66 offset:7088
	s_waitcnt lgkmcnt(0)
	v_fma_f64 v[64:65], -v[16:17], v[72:73], v[64:65]
	v_fma_f64 v[64:65], -v[18:19], v[74:75], v[64:65]
	ds_read_b128 v[72:75], v66 offset:7104
	v_fma_f64 v[0:1], -v[12:13], v[0:1], v[64:65]
	v_fma_f64 v[64:65], -v[14:15], v[2:3], v[0:1]
	ds_read_b128 v[0:3], v66 offset:7120
	v_fma_f64 v[64:65], -v[58:59], v[68:69], v[64:65]
	v_fma_f64 v[64:65], -v[60:61], v[70:71], v[64:65]
	s_waitcnt lgkmcnt(0)
	v_fma_f64 v[64:65], -v[4:5], v[72:73], v[64:65]
	v_fma_f64 v[64:65], -v[6:7], v[74:75], v[64:65]
	;; [unrolled: 1-line block ×3, first 2 shown]
	v_mul_f64 v[64:65], v[2:3], v[0:1]
	flat_load_dwordx4 v[0:3], v[56:57] offset:240
	s_nop 0
	flat_store_dwordx2 v[56:57], v[64:65] offset:216
	ds_read_b128 v[68:71], v66 offset:7168
	ds_read_b128 v[72:75], v66 offset:7184
	;; [unrolled: 1-line block ×4, first 2 shown]
	s_waitcnt lgkmcnt(0)
	v_mul_f64 v[68:69], v[36:37], v[68:69]
	s_waitcnt vmcnt(0)
	v_fma_f64 v[8:9], s[4:5], v[8:9], -v[68:69]
	v_fma_f64 v[8:9], -v[38:39], v[70:71], v[8:9]
	v_fma_f64 v[8:9], -v[40:41], v[72:73], v[8:9]
	;; [unrolled: 1-line block ×3, first 2 shown]
	ds_read_b128 v[68:71], v66 offset:7232
	ds_read_b128 v[72:75], v66 offset:7248
	v_fma_f64 v[8:9], -v[44:45], v[76:77], v[8:9]
	v_fma_f64 v[8:9], -v[46:47], v[78:79], v[8:9]
	;; [unrolled: 1-line block ×4, first 2 shown]
	ds_read_b128 v[76:79], v66 offset:7264
	s_waitcnt lgkmcnt(2)
	v_fma_f64 v[8:9], -v[52:53], v[68:69], v[8:9]
	v_fma_f64 v[8:9], -v[54:55], v[70:71], v[8:9]
	ds_read_b128 v[68:71], v66 offset:7280
	s_waitcnt lgkmcnt(2)
	v_fma_f64 v[8:9], -v[32:33], v[72:73], v[8:9]
	v_fma_f64 v[8:9], -v[34:35], v[74:75], v[8:9]
	;; [unrolled: 4-line block ×5, first 2 shown]
	s_waitcnt lgkmcnt(1)
	v_fma_f64 v[8:9], -v[16:17], v[76:77], v[8:9]
	ds_read_b128 v[72:75], v66 offset:7344
	v_fma_f64 v[8:9], -v[18:19], v[78:79], v[8:9]
	s_waitcnt lgkmcnt(1)
	v_fma_f64 v[8:9], -v[12:13], v[68:69], v[8:9]
	v_fma_f64 v[8:9], -v[14:15], v[70:71], v[8:9]
	ds_read_b128 v[68:71], v66 offset:7360
	ds_read_b128 v[76:79], v66 offset:7376
	s_waitcnt lgkmcnt(2)
	v_fma_f64 v[8:9], -v[58:59], v[72:73], v[8:9]
	v_fma_f64 v[8:9], -v[60:61], v[74:75], v[8:9]
	ds_read_b64 v[72:73], v66 offset:7392
	s_waitcnt lgkmcnt(2)
	v_fma_f64 v[8:9], -v[4:5], v[68:69], v[8:9]
	v_fma_f64 v[8:9], -v[6:7], v[70:71], v[8:9]
	s_waitcnt lgkmcnt(1)
	v_fma_f64 v[8:9], -v[62:63], v[76:77], v[8:9]
	v_fma_f64 v[8:9], -v[64:65], v[78:79], v[8:9]
	s_waitcnt lgkmcnt(0)
	v_mul_f64 v[8:9], v[72:73], v[8:9]
	flat_store_dwordx2 v[56:57], v[8:9] offset:224
	ds_read_b128 v[68:71], v66 offset:7424
	ds_read_b128 v[72:75], v66 offset:7440
	;; [unrolled: 1-line block ×4, first 2 shown]
	s_waitcnt lgkmcnt(0)
	v_mul_f64 v[68:69], v[36:37], v[68:69]
	v_fma_f64 v[10:11], s[4:5], v[10:11], -v[68:69]
	v_fma_f64 v[10:11], -v[38:39], v[70:71], v[10:11]
	v_fma_f64 v[10:11], -v[40:41], v[72:73], v[10:11]
	;; [unrolled: 1-line block ×3, first 2 shown]
	ds_read_b128 v[68:71], v66 offset:7488
	v_fma_f64 v[10:11], -v[44:45], v[76:77], v[10:11]
	v_fma_f64 v[10:11], -v[46:47], v[78:79], v[10:11]
	ds_read_b128 v[72:75], v66 offset:7504
	ds_read_b128 v[76:79], v66 offset:7520
	v_fma_f64 v[10:11], -v[48:49], v[80:81], v[10:11]
	v_fma_f64 v[10:11], -v[50:51], v[82:83], v[10:11]
	s_waitcnt lgkmcnt(0)
	v_fma_f64 v[10:11], -v[52:53], v[68:69], v[10:11]
	v_fma_f64 v[10:11], -v[54:55], v[70:71], v[10:11]
	ds_read_b128 v[68:71], v66 offset:7536
	v_fma_f64 v[10:11], -v[32:33], v[72:73], v[10:11]
	v_fma_f64 v[10:11], -v[34:35], v[74:75], v[10:11]
	ds_read_b128 v[72:75], v66 offset:7552
	v_fma_f64 v[10:11], -v[28:29], v[76:77], v[10:11]
	v_fma_f64 v[10:11], -v[30:31], v[78:79], v[10:11]
	ds_read_b128 v[76:79], v66 offset:7568
	s_waitcnt lgkmcnt(0)
	v_fma_f64 v[10:11], -v[24:25], v[68:69], v[10:11]
	v_fma_f64 v[10:11], -v[26:27], v[70:71], v[10:11]
	ds_read_b128 v[68:71], v66 offset:7584
	v_fma_f64 v[10:11], -v[20:21], v[72:73], v[10:11]
	v_fma_f64 v[10:11], -v[22:23], v[74:75], v[10:11]
	;; [unrolled: 1-line block ×3, first 2 shown]
	ds_read_b128 v[72:75], v66 offset:7600
	v_fma_f64 v[10:11], -v[18:19], v[78:79], v[10:11]
	s_waitcnt lgkmcnt(0)
	v_fma_f64 v[10:11], -v[12:13], v[68:69], v[10:11]
	v_fma_f64 v[10:11], -v[14:15], v[70:71], v[10:11]
	ds_read_b128 v[68:71], v66 offset:7616
	ds_read_b128 v[76:79], v66 offset:7632
	v_fma_f64 v[10:11], -v[58:59], v[72:73], v[10:11]
	v_fma_f64 v[10:11], -v[60:61], v[74:75], v[10:11]
	ds_read_b128 v[72:75], v66 offset:7648
	s_waitcnt lgkmcnt(0)
	v_fma_f64 v[10:11], -v[4:5], v[68:69], v[10:11]
	v_fma_f64 v[10:11], -v[6:7], v[70:71], v[10:11]
	;; [unrolled: 1-line block ×5, first 2 shown]
	v_mul_f64 v[10:11], v[74:75], v[10:11]
	flat_store_dwordx2 v[56:57], v[10:11] offset:232
	ds_read_b128 v[68:71], v66 offset:7680
	ds_read_b128 v[72:75], v66 offset:7696
	;; [unrolled: 1-line block ×4, first 2 shown]
	s_waitcnt lgkmcnt(0)
	v_mul_f64 v[68:69], v[36:37], v[68:69]
	v_fma_f64 v[0:1], s[4:5], v[0:1], -v[68:69]
	v_fma_f64 v[0:1], -v[38:39], v[70:71], v[0:1]
	v_fma_f64 v[0:1], -v[40:41], v[72:73], v[0:1]
	;; [unrolled: 1-line block ×3, first 2 shown]
	ds_read_b128 v[68:71], v66 offset:7744
	ds_read_b128 v[72:75], v66 offset:7760
	v_fma_f64 v[0:1], -v[44:45], v[76:77], v[0:1]
	v_fma_f64 v[0:1], -v[46:47], v[78:79], v[0:1]
	;; [unrolled: 1-line block ×4, first 2 shown]
	ds_read_b128 v[76:79], v66 offset:7776
	s_waitcnt lgkmcnt(0)
	v_fma_f64 v[0:1], -v[52:53], v[68:69], v[0:1]
	v_fma_f64 v[0:1], -v[54:55], v[70:71], v[0:1]
	ds_read_b128 v[68:71], v66 offset:7792
	v_fma_f64 v[0:1], -v[32:33], v[72:73], v[0:1]
	v_fma_f64 v[0:1], -v[34:35], v[74:75], v[0:1]
	ds_read_b128 v[72:75], v66 offset:7808
	v_fma_f64 v[0:1], -v[28:29], v[76:77], v[0:1]
	v_fma_f64 v[0:1], -v[30:31], v[78:79], v[0:1]
	ds_read_b128 v[76:79], v66 offset:7824
	s_waitcnt lgkmcnt(0)
	v_fma_f64 v[0:1], -v[24:25], v[68:69], v[0:1]
	v_fma_f64 v[0:1], -v[26:27], v[70:71], v[0:1]
	ds_read_b128 v[68:71], v66 offset:7840
	v_fma_f64 v[0:1], -v[20:21], v[72:73], v[0:1]
	v_fma_f64 v[0:1], -v[22:23], v[74:75], v[0:1]
	ds_read_b128 v[72:75], v66 offset:7856
	v_fma_f64 v[0:1], -v[16:17], v[76:77], v[0:1]
	v_fma_f64 v[0:1], -v[18:19], v[78:79], v[0:1]
	;; [unrolled: 10-line block ×3, first 2 shown]
	ds_read_b64 v[76:77], v66 offset:7920
	s_waitcnt lgkmcnt(0)
	v_fma_f64 v[0:1], -v[62:63], v[68:69], v[0:1]
	v_fma_f64 v[0:1], -v[64:65], v[70:71], v[0:1]
	;; [unrolled: 1-line block ×4, first 2 shown]
	v_mul_f64 v[84:85], v[76:77], v[0:1]
	flat_store_dwordx2 v[56:57], v[84:85] offset:240
	ds_read_b128 v[68:71], v66 offset:7936
	ds_read_b128 v[72:75], v66 offset:7952
	;; [unrolled: 1-line block ×4, first 2 shown]
	s_waitcnt lgkmcnt(0)
	v_mul_f64 v[0:1], v[36:37], v[68:69]
	v_fma_f64 v[0:1], s[4:5], v[2:3], -v[0:1]
	v_fma_f64 v[0:1], -v[38:39], v[70:71], v[0:1]
	v_fma_f64 v[0:1], -v[40:41], v[72:73], v[0:1]
	;; [unrolled: 1-line block ×4, first 2 shown]
	ds_read_b128 v[0:3], v66 offset:8000
	v_fma_f64 v[36:37], -v[46:47], v[78:79], v[36:37]
	v_fma_f64 v[40:41], -v[48:49], v[80:81], v[36:37]
	ds_read_b128 v[36:39], v66 offset:8016
	v_fma_f64 v[40:41], -v[50:51], v[82:83], v[40:41]
	s_waitcnt lgkmcnt(0)
	v_fma_f64 v[0:1], -v[52:53], v[0:1], v[40:41]
	ds_read_b128 v[40:43], v66 offset:8032
	v_fma_f64 v[0:1], -v[54:55], v[2:3], v[0:1]
	v_fma_f64 v[32:33], -v[32:33], v[36:37], v[0:1]
	ds_read_b128 v[0:3], v66 offset:8048
	v_fma_f64 v[32:33], -v[34:35], v[38:39], v[32:33]
	s_waitcnt lgkmcnt(0)
	v_fma_f64 v[28:29], -v[28:29], v[40:41], v[32:33]
	;; [unrolled: 7-line block ×4, first 2 shown]
	ds_read_b128 v[16:19], v66 offset:8128
	v_fma_f64 v[0:1], -v[14:15], v[2:3], v[0:1]
	v_fma_f64 v[0:1], -v[58:59], v[20:21], v[0:1]
	;; [unrolled: 1-line block ×3, first 2 shown]
	ds_read_b128 v[0:3], v66 offset:8144
	s_waitcnt lgkmcnt(0)
	v_fma_f64 v[4:5], -v[4:5], v[16:17], v[12:13]
	ds_read_b128 v[12:15], v66 offset:8160
	v_fma_f64 v[16:17], -v[6:7], v[18:19], v[4:5]
	ds_read_b128 v[4:7], v66 offset:8176
	v_fma_f64 v[0:1], -v[62:63], v[0:1], v[16:17]
	v_fma_f64 v[0:1], -v[64:65], v[2:3], v[0:1]
	s_waitcnt lgkmcnt(0)
	v_fma_f64 v[0:1], -v[8:9], v[12:13], v[0:1]
	v_fma_f64 v[0:1], -v[10:11], v[14:15], v[0:1]
	;; [unrolled: 1-line block ×3, first 2 shown]
	v_mul_f64 v[0:1], v[6:7], v[0:1]
	flat_store_dwordx2 v[56:57], v[0:1] offset:248
.LBB103_10:
	s_cmp_lt_i32 s2, s22
	s_cbranch_scc0 .LBB103_24
; %bb.11:
	s_or_b32 s8, s2, 27
	s_cmp_ge_u32 s8, s22
	s_cbranch_scc1 .LBB103_19
; %bb.12:
	s_lshl_b32 s6, s2, 3
	s_mov_b32 s7, 0
	v_lshl_add_u64 v[58:59], v[56:57], 0, s[6:7]
	flat_load_dwordx4 v[0:3], v[58:59]
	flat_load_dwordx4 v[4:7], v[58:59] offset:16
	flat_load_dwordx4 v[8:11], v[58:59] offset:32
	;; [unrolled: 1-line block ×13, first 2 shown]
	s_andn2_b64 vcc, exec, s[0:1]
	s_cbranch_vccnz .LBB103_14
; %bb.13:
	s_lshl_b32 s7, s2, 8
	s_lshl_b32 s3, s8, 8
	s_mov_b64 s[0:1], 0
	s_branch .LBB103_15
.LBB103_14:
	s_mov_b64 s[0:1], -1
                                        ; implicit-def: $sgpr7
                                        ; implicit-def: $sgpr3
.LBB103_15:
	s_waitcnt vmcnt(0) lgkmcnt(0)
	v_mul_f64 v[96:97], s[4:5], v[0:1]
	v_mul_f64 v[94:95], s[4:5], v[2:3]
	;; [unrolled: 1-line block ×27, first 2 shown]
	s_andn2_b64 vcc, exec, s[0:1]
	v_mul_f64 v[4:5], s[4:5], v[50:51]
	s_cbranch_vccnz .LBB103_18
; %bb.16:
	s_lshl_b32 s7, s2, 8
	s_lshl_b32 s3, s8, 8
	s_mov_b32 s0, s2
	v_mov_b64_e32 v[16:17], v[56:57]
	s_mov_b32 s1, s7
.LBB103_17:                             ; =>This Inner Loop Header: Depth=1
	flat_load_dwordx4 v[0:3], v[16:17]
	v_mov_b32_e32 v44, s1
	ds_read_b128 v[18:21], v44
	ds_read_b128 v[22:25], v44 offset:256
	ds_read_b128 v[28:31], v44 offset:512
	ds_read_b128 v[34:37], v44 offset:768
	ds_read_b128 v[40:43], v44 offset:1024
	s_add_i32 s1, s1, 16
	s_add_i32 s0, s0, -2
	v_lshl_add_u64 v[16:17], v[16:17], 0, 16
	s_cmp_lg_u32 s0, 0
	s_waitcnt vmcnt(0) lgkmcnt(0)
	v_fma_f64 v[18:19], -v[0:1], v[18:19], v[96:97]
	v_fma_f64 v[22:23], -v[0:1], v[22:23], v[94:95]
	;; [unrolled: 1-line block ×4, first 2 shown]
	ds_read_b128 v[18:21], v44 offset:1280
	v_fma_f64 v[94:95], -v[2:3], v[24:25], v[22:23]
	ds_read_b128 v[22:25], v44 offset:1536
	v_fma_f64 v[92:93], -v[2:3], v[30:31], v[28:29]
	;; [unrolled: 2-line block ×3, first 2 shown]
	v_fma_f64 v[90:91], -v[2:3], v[36:37], v[34:35]
	ds_read_b128 v[34:37], v44 offset:2048
	v_fma_f64 v[40:41], -v[0:1], v[40:41], v[88:89]
	s_waitcnt lgkmcnt(3)
	v_fma_f64 v[18:19], -v[0:1], v[18:19], v[86:87]
	s_waitcnt lgkmcnt(2)
	;; [unrolled: 2-line block ×3, first 2 shown]
	v_fma_f64 v[28:29], -v[0:1], v[28:29], v[82:83]
	v_fma_f64 v[88:89], -v[2:3], v[42:43], v[40:41]
	ds_read_b128 v[40:43], v44 offset:2304
	v_fma_f64 v[86:87], -v[2:3], v[20:21], v[18:19]
	ds_read_b128 v[18:21], v44 offset:2560
	;; [unrolled: 2-line block ×4, first 2 shown]
	s_waitcnt lgkmcnt(4)
	v_fma_f64 v[34:35], -v[0:1], v[34:35], v[80:81]
	v_fma_f64 v[80:81], -v[2:3], v[36:37], v[34:35]
	ds_read_b128 v[34:37], v44 offset:3328
	s_waitcnt lgkmcnt(4)
	v_fma_f64 v[40:41], -v[0:1], v[40:41], v[78:79]
	s_waitcnt lgkmcnt(3)
	v_fma_f64 v[18:19], -v[0:1], v[18:19], v[76:77]
	;; [unrolled: 2-line block ×4, first 2 shown]
	v_fma_f64 v[78:79], -v[2:3], v[42:43], v[40:41]
	ds_read_b128 v[40:43], v44 offset:3584
	v_fma_f64 v[76:77], -v[2:3], v[20:21], v[18:19]
	ds_read_b128 v[18:21], v44 offset:3840
	;; [unrolled: 2-line block ×4, first 2 shown]
	s_waitcnt lgkmcnt(4)
	v_fma_f64 v[34:35], -v[0:1], v[34:35], v[70:71]
	v_fma_f64 v[70:71], -v[2:3], v[36:37], v[34:35]
	ds_read_b128 v[34:37], v44 offset:4608
	s_waitcnt lgkmcnt(4)
	v_fma_f64 v[40:41], -v[0:1], v[40:41], v[68:69]
	s_waitcnt lgkmcnt(3)
	v_fma_f64 v[18:19], -v[0:1], v[18:19], v[66:67]
	;; [unrolled: 2-line block ×4, first 2 shown]
	v_fma_f64 v[68:69], -v[2:3], v[42:43], v[40:41]
	ds_read_b128 v[40:43], v44 offset:4864
	v_fma_f64 v[66:67], -v[2:3], v[20:21], v[18:19]
	ds_read_b128 v[18:21], v44 offset:5120
	;; [unrolled: 2-line block ×4, first 2 shown]
	s_waitcnt lgkmcnt(4)
	v_fma_f64 v[34:35], -v[0:1], v[34:35], v[60:61]
	s_waitcnt lgkmcnt(3)
	v_fma_f64 v[38:39], -v[0:1], v[40:41], v[38:39]
	;; [unrolled: 2-line block ×5, first 2 shown]
	v_fma_f64 v[60:61], -v[2:3], v[36:37], v[34:35]
	ds_read_b128 v[34:37], v44 offset:5888
	v_fma_f64 v[38:39], -v[2:3], v[42:43], v[38:39]
	ds_read_b128 v[40:43], v44 offset:6144
	;; [unrolled: 2-line block ×5, first 2 shown]
	s_waitcnt lgkmcnt(4)
	v_fma_f64 v[12:13], -v[0:1], v[34:35], v[12:13]
	s_waitcnt lgkmcnt(3)
	v_fma_f64 v[10:11], -v[0:1], v[40:41], v[10:11]
	;; [unrolled: 2-line block ×5, first 2 shown]
	v_fma_f64 v[12:13], -v[2:3], v[36:37], v[12:13]
	v_fma_f64 v[10:11], -v[2:3], v[42:43], v[10:11]
	;; [unrolled: 1-line block ×5, first 2 shown]
	s_cbranch_scc1 .LBB103_17
.LBB103_18:
	s_add_i32 s0, s6, s7
	v_mov_b32_e32 v98, s0
	ds_read_b64 v[0:1], v98
	s_lshl_b32 s0, s2, 8
	s_add_i32 s0, s6, s0
	v_mov_b32_e32 v99, s0
	s_add_i32 s0, s6, s3
	s_waitcnt lgkmcnt(0)
	v_mul_f64 v[0:1], v[0:1], v[96:97]
	flat_store_dwordx2 v[58:59], v[0:1]
	ds_read_b128 v[16:19], v99 offset:256
	s_or_b32 s2, s2, 28
	s_waitcnt lgkmcnt(0)
	v_fma_f64 v[2:3], -v[0:1], v[16:17], v[94:95]
	v_mul_f64 v[2:3], v[18:19], v[2:3]
	flat_store_dwordx2 v[58:59], v[2:3] offset:8
	ds_read_b128 v[16:19], v99 offset:512
	ds_read_b64 v[20:21], v98 offset:528
	s_waitcnt lgkmcnt(0)
	v_fma_f64 v[16:17], -v[0:1], v[16:17], v[92:93]
	v_fma_f64 v[16:17], -v[2:3], v[18:19], v[16:17]
	v_mul_f64 v[16:17], v[20:21], v[16:17]
	flat_store_dwordx2 v[58:59], v[16:17] offset:16
	ds_read_b128 v[18:21], v99 offset:768
	ds_read_b128 v[22:25], v99 offset:784
	s_waitcnt lgkmcnt(0)
	v_fma_f64 v[18:19], -v[0:1], v[18:19], v[90:91]
	v_fma_f64 v[18:19], -v[2:3], v[20:21], v[18:19]
	;; [unrolled: 1-line block ×3, first 2 shown]
	v_mul_f64 v[18:19], v[24:25], v[18:19]
	flat_store_dwordx2 v[58:59], v[18:19] offset:24
	ds_read_b128 v[20:23], v99 offset:1024
	ds_read_b128 v[28:31], v99 offset:1040
	ds_read_b64 v[24:25], v98 offset:1056
	s_waitcnt lgkmcnt(0)
	v_fma_f64 v[20:21], -v[0:1], v[20:21], v[88:89]
	v_fma_f64 v[20:21], -v[2:3], v[22:23], v[20:21]
	;; [unrolled: 1-line block ×4, first 2 shown]
	v_mul_f64 v[20:21], v[24:25], v[20:21]
	flat_store_dwordx2 v[58:59], v[20:21] offset:32
	ds_read_b128 v[22:25], v99 offset:1280
	ds_read_b128 v[28:31], v99 offset:1296
	;; [unrolled: 1-line block ×3, first 2 shown]
	s_waitcnt lgkmcnt(0)
	v_fma_f64 v[22:23], -v[0:1], v[22:23], v[86:87]
	v_fma_f64 v[22:23], -v[2:3], v[24:25], v[22:23]
	;; [unrolled: 1-line block ×5, first 2 shown]
	v_mul_f64 v[22:23], v[36:37], v[22:23]
	flat_store_dwordx2 v[58:59], v[22:23] offset:40
	ds_read_b128 v[28:31], v99 offset:1536
	ds_read_b128 v[34:37], v99 offset:1552
	;; [unrolled: 1-line block ×3, first 2 shown]
	ds_read_b64 v[24:25], v98 offset:1584
	s_waitcnt lgkmcnt(0)
	v_fma_f64 v[28:29], -v[0:1], v[28:29], v[84:85]
	v_fma_f64 v[28:29], -v[2:3], v[30:31], v[28:29]
	v_fma_f64 v[28:29], -v[16:17], v[34:35], v[28:29]
	v_fma_f64 v[28:29], -v[18:19], v[36:37], v[28:29]
	v_fma_f64 v[28:29], -v[20:21], v[40:41], v[28:29]
	v_fma_f64 v[28:29], -v[22:23], v[42:43], v[28:29]
	v_mul_f64 v[24:25], v[24:25], v[28:29]
	flat_store_dwordx2 v[58:59], v[24:25] offset:48
	ds_read_b128 v[28:31], v99 offset:1792
	ds_read_b128 v[34:37], v99 offset:1808
	;; [unrolled: 1-line block ×4, first 2 shown]
	s_waitcnt lgkmcnt(0)
	v_fma_f64 v[28:29], -v[0:1], v[28:29], v[82:83]
	v_fma_f64 v[28:29], -v[2:3], v[30:31], v[28:29]
	;; [unrolled: 1-line block ×7, first 2 shown]
	v_mul_f64 v[28:29], v[46:47], v[28:29]
	flat_store_dwordx2 v[58:59], v[28:29] offset:56
	ds_read_b128 v[34:37], v99 offset:2048
	ds_read_b128 v[40:43], v99 offset:2064
	;; [unrolled: 1-line block ×4, first 2 shown]
	ds_read_b64 v[30:31], v98 offset:2112
	s_waitcnt lgkmcnt(0)
	v_fma_f64 v[34:35], -v[0:1], v[34:35], v[80:81]
	v_fma_f64 v[34:35], -v[2:3], v[36:37], v[34:35]
	;; [unrolled: 1-line block ×8, first 2 shown]
	v_mul_f64 v[30:31], v[30:31], v[34:35]
	flat_store_dwordx2 v[58:59], v[30:31] offset:64
	ds_read_b128 v[34:37], v99 offset:2304
	ds_read_b128 v[40:43], v99 offset:2320
	;; [unrolled: 1-line block ×5, first 2 shown]
	s_waitcnt lgkmcnt(0)
	v_fma_f64 v[34:35], -v[0:1], v[34:35], v[78:79]
	v_fma_f64 v[34:35], -v[2:3], v[36:37], v[34:35]
	;; [unrolled: 1-line block ×9, first 2 shown]
	v_mul_f64 v[34:35], v[54:55], v[34:35]
	flat_store_dwordx2 v[58:59], v[34:35] offset:72
	ds_read_b128 v[40:43], v99 offset:2560
	ds_read_b128 v[44:47], v99 offset:2576
	;; [unrolled: 1-line block ×5, first 2 shown]
	ds_read_b64 v[36:37], v98 offset:2640
	s_waitcnt lgkmcnt(0)
	v_fma_f64 v[40:41], -v[0:1], v[40:41], v[76:77]
	v_fma_f64 v[40:41], -v[2:3], v[42:43], v[40:41]
	;; [unrolled: 1-line block ×10, first 2 shown]
	v_mul_f64 v[36:37], v[36:37], v[40:41]
	flat_store_dwordx2 v[58:59], v[36:37] offset:80
	ds_read_b128 v[40:43], v99 offset:2816
	ds_read_b128 v[44:47], v99 offset:2832
	;; [unrolled: 1-line block ×6, first 2 shown]
	s_waitcnt lgkmcnt(0)
	v_fma_f64 v[40:41], -v[0:1], v[40:41], v[74:75]
	v_fma_f64 v[40:41], -v[2:3], v[42:43], v[40:41]
	;; [unrolled: 1-line block ×11, first 2 shown]
	v_mul_f64 v[40:41], v[82:83], v[40:41]
	flat_store_dwordx2 v[58:59], v[40:41] offset:88
	ds_read_b128 v[42:45], v99 offset:3072
	ds_read_b128 v[46:49], v99 offset:3088
	;; [unrolled: 1-line block ×6, first 2 shown]
	s_waitcnt lgkmcnt(0)
	v_fma_f64 v[42:43], -v[0:1], v[42:43], v[72:73]
	v_fma_f64 v[42:43], -v[2:3], v[44:45], v[42:43]
	;; [unrolled: 1-line block ×7, first 2 shown]
	ds_read_b64 v[44:45], v98 offset:3168
	v_fma_f64 v[42:43], -v[28:29], v[76:77], v[42:43]
	v_fma_f64 v[42:43], -v[30:31], v[78:79], v[42:43]
	;; [unrolled: 1-line block ×5, first 2 shown]
	s_waitcnt lgkmcnt(0)
	v_mul_f64 v[42:43], v[44:45], v[42:43]
	flat_store_dwordx2 v[58:59], v[42:43] offset:96
	ds_read_b128 v[44:47], v99 offset:3328
	ds_read_b128 v[48:51], v99 offset:3344
	;; [unrolled: 1-line block ×6, first 2 shown]
	s_waitcnt lgkmcnt(0)
	v_fma_f64 v[44:45], -v[0:1], v[44:45], v[70:71]
	v_fma_f64 v[70:71], -v[2:3], v[46:47], v[44:45]
	;; [unrolled: 1-line block ×7, first 2 shown]
	ds_read_b128 v[44:47], v99 offset:3424
	v_fma_f64 v[48:49], -v[28:29], v[74:75], v[48:49]
	v_fma_f64 v[48:49], -v[30:31], v[76:77], v[48:49]
	;; [unrolled: 1-line block ×5, first 2 shown]
	s_waitcnt lgkmcnt(0)
	v_fma_f64 v[44:45], -v[42:43], v[44:45], v[48:49]
	v_mul_f64 v[44:45], v[46:47], v[44:45]
	flat_store_dwordx2 v[58:59], v[44:45] offset:104
	ds_read_b128 v[46:49], v99 offset:3584
	ds_read_b128 v[50:53], v99 offset:3600
	ds_read_b128 v[70:73], v99 offset:3616
	ds_read_b128 v[74:77], v99 offset:3632
	ds_read_b128 v[78:81], v99 offset:3648
	ds_read_b128 v[82:85], v99 offset:3664
	s_waitcnt lgkmcnt(0)
	v_fma_f64 v[46:47], -v[0:1], v[46:47], v[68:69]
	v_fma_f64 v[54:55], -v[2:3], v[48:49], v[46:47]
	;; [unrolled: 1-line block ×7, first 2 shown]
	ds_read_b128 v[46:49], v99 offset:3680
	v_fma_f64 v[50:51], -v[28:29], v[76:77], v[50:51]
	v_fma_f64 v[50:51], -v[30:31], v[78:79], v[50:51]
	ds_read_b64 v[52:53], v98 offset:3696
	v_fma_f64 v[50:51], -v[34:35], v[80:81], v[50:51]
	v_fma_f64 v[50:51], -v[36:37], v[82:83], v[50:51]
	;; [unrolled: 1-line block ×3, first 2 shown]
	s_waitcnt lgkmcnt(0)
	v_fma_f64 v[46:47], -v[42:43], v[46:47], v[50:51]
	v_fma_f64 v[46:47], -v[44:45], v[48:49], v[46:47]
	v_mul_f64 v[46:47], v[52:53], v[46:47]
	flat_store_dwordx2 v[58:59], v[46:47] offset:112
	ds_read_b128 v[48:51], v99 offset:3840
	ds_read_b128 v[52:55], v99 offset:3856
	;; [unrolled: 1-line block ×6, first 2 shown]
	s_waitcnt lgkmcnt(0)
	v_fma_f64 v[48:49], -v[0:1], v[48:49], v[66:67]
	v_fma_f64 v[66:67], -v[2:3], v[50:51], v[48:49]
	;; [unrolled: 1-line block ×7, first 2 shown]
	ds_read_b128 v[48:51], v99 offset:3936
	ds_read_b128 v[52:55], v99 offset:3952
	v_fma_f64 v[66:67], -v[28:29], v[74:75], v[66:67]
	v_fma_f64 v[66:67], -v[30:31], v[76:77], v[66:67]
	;; [unrolled: 1-line block ×5, first 2 shown]
	s_waitcnt lgkmcnt(0)
	v_fma_f64 v[48:49], -v[42:43], v[48:49], v[66:67]
	v_fma_f64 v[48:49], -v[44:45], v[50:51], v[48:49]
	;; [unrolled: 1-line block ×3, first 2 shown]
	v_mul_f64 v[48:49], v[54:55], v[48:49]
	flat_store_dwordx2 v[58:59], v[48:49] offset:120
	ds_read_b128 v[50:53], v99 offset:4096
	ds_read_b128 v[66:69], v99 offset:4112
	;; [unrolled: 1-line block ×6, first 2 shown]
	s_waitcnt lgkmcnt(0)
	v_fma_f64 v[50:51], -v[0:1], v[50:51], v[64:65]
	v_fma_f64 v[54:55], -v[2:3], v[52:53], v[50:51]
	;; [unrolled: 1-line block ×7, first 2 shown]
	ds_read_b128 v[50:53], v99 offset:4192
	ds_read_b128 v[64:67], v99 offset:4208
	v_fma_f64 v[54:55], -v[28:29], v[76:77], v[54:55]
	v_fma_f64 v[54:55], -v[30:31], v[78:79], v[54:55]
	;; [unrolled: 1-line block ×4, first 2 shown]
	ds_read_b64 v[68:69], v98 offset:4224
	v_fma_f64 v[54:55], -v[40:41], v[84:85], v[54:55]
	s_waitcnt lgkmcnt(0)
	v_fma_f64 v[50:51], -v[42:43], v[50:51], v[54:55]
	v_fma_f64 v[50:51], -v[44:45], v[52:53], v[50:51]
	;; [unrolled: 1-line block ×4, first 2 shown]
	v_mul_f64 v[50:51], v[68:69], v[50:51]
	flat_store_dwordx2 v[58:59], v[50:51] offset:128
	ds_read_b128 v[52:55], v99 offset:4352
	ds_read_b128 v[64:67], v99 offset:4368
	ds_read_b128 v[68:71], v99 offset:4384
	ds_read_b128 v[72:75], v99 offset:4400
	ds_read_b128 v[76:79], v99 offset:4416
	ds_read_b128 v[80:83], v99 offset:4432
	s_waitcnt lgkmcnt(0)
	v_fma_f64 v[52:53], -v[0:1], v[52:53], v[62:63]
	v_fma_f64 v[52:53], -v[2:3], v[54:55], v[52:53]
	;; [unrolled: 1-line block ×10, first 2 shown]
	ds_read_b128 v[52:55], v99 offset:4448
	v_fma_f64 v[66:67], -v[36:37], v[80:81], v[62:63]
	ds_read_b128 v[62:65], v99 offset:4464
	v_fma_f64 v[70:71], -v[40:41], v[82:83], v[66:67]
	ds_read_b128 v[66:69], v99 offset:4480
	s_waitcnt lgkmcnt(0)
	v_fma_f64 v[52:53], -v[42:43], v[52:53], v[70:71]
	v_fma_f64 v[52:53], -v[44:45], v[54:55], v[52:53]
	;; [unrolled: 1-line block ×5, first 2 shown]
	v_mul_f64 v[52:53], v[68:69], v[52:53]
	flat_store_dwordx2 v[58:59], v[52:53] offset:136
	ds_read_b128 v[62:65], v99 offset:4608
	ds_read_b128 v[66:69], v99 offset:4624
	;; [unrolled: 1-line block ×4, first 2 shown]
	s_waitcnt lgkmcnt(0)
	v_fma_f64 v[54:55], -v[0:1], v[62:63], v[60:61]
	v_fma_f64 v[54:55], -v[2:3], v[64:65], v[54:55]
	;; [unrolled: 1-line block ×4, first 2 shown]
	ds_read_b128 v[60:63], v99 offset:4672
	ds_read_b128 v[64:67], v99 offset:4688
	v_fma_f64 v[54:55], -v[20:21], v[70:71], v[54:55]
	v_fma_f64 v[54:55], -v[22:23], v[72:73], v[54:55]
	;; [unrolled: 1-line block ×4, first 2 shown]
	ds_read_b128 v[68:71], v99 offset:4704
	s_waitcnt lgkmcnt(0)
	v_fma_f64 v[54:55], -v[30:31], v[60:61], v[54:55]
	v_fma_f64 v[54:55], -v[34:35], v[62:63], v[54:55]
	ds_read_b128 v[60:63], v99 offset:4720
	v_fma_f64 v[54:55], -v[36:37], v[64:65], v[54:55]
	v_fma_f64 v[54:55], -v[40:41], v[66:67], v[54:55]
	ds_read_b128 v[64:67], v99 offset:4736
	v_fma_f64 v[54:55], -v[42:43], v[68:69], v[54:55]
	v_fma_f64 v[54:55], -v[44:45], v[70:71], v[54:55]
	ds_read_b64 v[68:69], v98 offset:4752
	s_waitcnt lgkmcnt(0)
	v_fma_f64 v[54:55], -v[46:47], v[60:61], v[54:55]
	v_fma_f64 v[54:55], -v[48:49], v[62:63], v[54:55]
	;; [unrolled: 1-line block ×4, first 2 shown]
	v_mul_f64 v[54:55], v[68:69], v[54:55]
	flat_store_dwordx2 v[58:59], v[54:55] offset:144
	ds_read_b128 v[60:63], v99 offset:4864
	ds_read_b128 v[64:67], v99 offset:4880
	;; [unrolled: 1-line block ×4, first 2 shown]
	s_waitcnt lgkmcnt(0)
	v_fma_f64 v[38:39], -v[0:1], v[60:61], v[38:39]
	v_fma_f64 v[38:39], -v[2:3], v[62:63], v[38:39]
	;; [unrolled: 1-line block ×4, first 2 shown]
	ds_read_b128 v[60:63], v99 offset:4928
	ds_read_b128 v[64:67], v99 offset:4944
	v_fma_f64 v[38:39], -v[20:21], v[68:69], v[38:39]
	v_fma_f64 v[38:39], -v[22:23], v[70:71], v[38:39]
	;; [unrolled: 1-line block ×4, first 2 shown]
	ds_read_b128 v[68:71], v99 offset:4960
	s_waitcnt lgkmcnt(0)
	v_fma_f64 v[38:39], -v[30:31], v[60:61], v[38:39]
	v_fma_f64 v[38:39], -v[34:35], v[62:63], v[38:39]
	ds_read_b128 v[60:63], v99 offset:4976
	v_fma_f64 v[38:39], -v[36:37], v[64:65], v[38:39]
	v_fma_f64 v[38:39], -v[40:41], v[66:67], v[38:39]
	ds_read_b128 v[64:67], v99 offset:4992
	;; [unrolled: 3-line block ×3, first 2 shown]
	s_waitcnt lgkmcnt(0)
	v_fma_f64 v[38:39], -v[46:47], v[60:61], v[38:39]
	v_fma_f64 v[38:39], -v[48:49], v[62:63], v[38:39]
	v_fma_f64 v[38:39], -v[50:51], v[64:65], v[38:39]
	v_fma_f64 v[38:39], -v[52:53], v[66:67], v[38:39]
	v_fma_f64 v[38:39], -v[54:55], v[68:69], v[38:39]
	v_mul_f64 v[38:39], v[70:71], v[38:39]
	flat_store_dwordx2 v[58:59], v[38:39] offset:152
	ds_read_b128 v[60:63], v99 offset:5120
	ds_read_b128 v[64:67], v99 offset:5136
	;; [unrolled: 1-line block ×4, first 2 shown]
	s_waitcnt lgkmcnt(0)
	v_fma_f64 v[32:33], -v[0:1], v[60:61], v[32:33]
	v_fma_f64 v[32:33], -v[2:3], v[62:63], v[32:33]
	;; [unrolled: 1-line block ×4, first 2 shown]
	ds_read_b128 v[60:63], v99 offset:5184
	ds_read_b128 v[64:67], v99 offset:5200
	v_fma_f64 v[32:33], -v[20:21], v[68:69], v[32:33]
	v_fma_f64 v[32:33], -v[22:23], v[70:71], v[32:33]
	;; [unrolled: 1-line block ×4, first 2 shown]
	ds_read_b128 v[68:71], v99 offset:5216
	s_waitcnt lgkmcnt(0)
	v_fma_f64 v[32:33], -v[30:31], v[60:61], v[32:33]
	v_fma_f64 v[32:33], -v[34:35], v[62:63], v[32:33]
	ds_read_b128 v[60:63], v99 offset:5232
	v_fma_f64 v[32:33], -v[36:37], v[64:65], v[32:33]
	v_fma_f64 v[32:33], -v[40:41], v[66:67], v[32:33]
	ds_read_b128 v[64:67], v99 offset:5248
	;; [unrolled: 3-line block ×3, first 2 shown]
	s_waitcnt lgkmcnt(0)
	v_fma_f64 v[32:33], -v[46:47], v[60:61], v[32:33]
	v_fma_f64 v[32:33], -v[48:49], v[62:63], v[32:33]
	ds_read_b64 v[60:61], v98 offset:5280
	v_fma_f64 v[32:33], -v[50:51], v[64:65], v[32:33]
	v_fma_f64 v[32:33], -v[52:53], v[66:67], v[32:33]
	;; [unrolled: 1-line block ×4, first 2 shown]
	s_waitcnt lgkmcnt(0)
	v_mul_f64 v[32:33], v[60:61], v[32:33]
	flat_store_dwordx2 v[58:59], v[32:33] offset:160
	ds_read_b128 v[60:63], v99 offset:5376
	ds_read_b128 v[64:67], v99 offset:5392
	;; [unrolled: 1-line block ×4, first 2 shown]
	s_waitcnt lgkmcnt(0)
	v_fma_f64 v[26:27], -v[0:1], v[60:61], v[26:27]
	v_fma_f64 v[26:27], -v[2:3], v[62:63], v[26:27]
	;; [unrolled: 1-line block ×4, first 2 shown]
	ds_read_b128 v[60:63], v99 offset:5440
	ds_read_b128 v[64:67], v99 offset:5456
	v_fma_f64 v[26:27], -v[20:21], v[68:69], v[26:27]
	v_fma_f64 v[26:27], -v[22:23], v[70:71], v[26:27]
	;; [unrolled: 1-line block ×4, first 2 shown]
	ds_read_b128 v[68:71], v99 offset:5472
	s_waitcnt lgkmcnt(0)
	v_fma_f64 v[26:27], -v[30:31], v[60:61], v[26:27]
	v_fma_f64 v[26:27], -v[34:35], v[62:63], v[26:27]
	ds_read_b128 v[60:63], v99 offset:5488
	v_fma_f64 v[26:27], -v[36:37], v[64:65], v[26:27]
	v_fma_f64 v[26:27], -v[40:41], v[66:67], v[26:27]
	ds_read_b128 v[64:67], v99 offset:5504
	;; [unrolled: 3-line block ×3, first 2 shown]
	s_waitcnt lgkmcnt(0)
	v_fma_f64 v[26:27], -v[46:47], v[60:61], v[26:27]
	v_fma_f64 v[26:27], -v[48:49], v[62:63], v[26:27]
	ds_read_b128 v[60:63], v99 offset:5536
	v_fma_f64 v[26:27], -v[50:51], v[64:65], v[26:27]
	v_fma_f64 v[26:27], -v[52:53], v[66:67], v[26:27]
	;; [unrolled: 1-line block ×4, first 2 shown]
	s_waitcnt lgkmcnt(0)
	v_fma_f64 v[26:27], -v[32:33], v[60:61], v[26:27]
	v_mul_f64 v[26:27], v[62:63], v[26:27]
	flat_store_dwordx2 v[58:59], v[26:27] offset:168
	ds_read_b128 v[60:63], v99 offset:5632
	ds_read_b128 v[64:67], v99 offset:5648
	;; [unrolled: 1-line block ×4, first 2 shown]
	s_waitcnt lgkmcnt(0)
	v_fma_f64 v[14:15], -v[0:1], v[60:61], v[14:15]
	v_fma_f64 v[14:15], -v[2:3], v[62:63], v[14:15]
	;; [unrolled: 1-line block ×4, first 2 shown]
	ds_read_b128 v[60:63], v99 offset:5696
	ds_read_b128 v[64:67], v99 offset:5712
	v_fma_f64 v[14:15], -v[20:21], v[68:69], v[14:15]
	v_fma_f64 v[14:15], -v[22:23], v[70:71], v[14:15]
	;; [unrolled: 1-line block ×4, first 2 shown]
	ds_read_b128 v[68:71], v99 offset:5728
	s_waitcnt lgkmcnt(0)
	v_fma_f64 v[14:15], -v[30:31], v[60:61], v[14:15]
	v_fma_f64 v[14:15], -v[34:35], v[62:63], v[14:15]
	ds_read_b128 v[60:63], v99 offset:5744
	v_fma_f64 v[14:15], -v[36:37], v[64:65], v[14:15]
	v_fma_f64 v[14:15], -v[40:41], v[66:67], v[14:15]
	v_fma_f64 v[14:15], -v[42:43], v[68:69], v[14:15]
	ds_read_b128 v[64:67], v99 offset:5760
	v_fma_f64 v[14:15], -v[44:45], v[70:71], v[14:15]
	s_waitcnt lgkmcnt(0)
	v_fma_f64 v[14:15], -v[46:47], v[60:61], v[14:15]
	v_fma_f64 v[14:15], -v[48:49], v[62:63], v[14:15]
	ds_read_b128 v[60:63], v99 offset:5776
	ds_read_b128 v[68:71], v99 offset:5792
	v_fma_f64 v[14:15], -v[50:51], v[64:65], v[14:15]
	v_fma_f64 v[14:15], -v[52:53], v[66:67], v[14:15]
	ds_read_b64 v[64:65], v98 offset:5808
	s_waitcnt lgkmcnt(0)
	v_fma_f64 v[14:15], -v[54:55], v[60:61], v[14:15]
	v_fma_f64 v[14:15], -v[38:39], v[62:63], v[14:15]
	v_fma_f64 v[14:15], -v[32:33], v[68:69], v[14:15]
	v_fma_f64 v[14:15], -v[26:27], v[70:71], v[14:15]
	v_mul_f64 v[14:15], v[64:65], v[14:15]
	flat_store_dwordx2 v[58:59], v[14:15] offset:176
	ds_read_b128 v[60:63], v99 offset:5888
	ds_read_b128 v[64:67], v99 offset:5904
	;; [unrolled: 1-line block ×4, first 2 shown]
	s_waitcnt lgkmcnt(0)
	v_fma_f64 v[12:13], -v[0:1], v[60:61], v[12:13]
	v_fma_f64 v[12:13], -v[2:3], v[62:63], v[12:13]
	v_fma_f64 v[12:13], -v[16:17], v[64:65], v[12:13]
	v_fma_f64 v[12:13], -v[18:19], v[66:67], v[12:13]
	ds_read_b128 v[60:63], v99 offset:5952
	ds_read_b128 v[64:67], v99 offset:5968
	v_fma_f64 v[12:13], -v[20:21], v[68:69], v[12:13]
	v_fma_f64 v[12:13], -v[22:23], v[70:71], v[12:13]
	;; [unrolled: 1-line block ×4, first 2 shown]
	ds_read_b128 v[68:71], v99 offset:5984
	s_waitcnt lgkmcnt(0)
	v_fma_f64 v[12:13], -v[30:31], v[60:61], v[12:13]
	v_fma_f64 v[12:13], -v[34:35], v[62:63], v[12:13]
	ds_read_b128 v[60:63], v99 offset:6000
	v_fma_f64 v[12:13], -v[36:37], v[64:65], v[12:13]
	v_fma_f64 v[12:13], -v[40:41], v[66:67], v[12:13]
	;; [unrolled: 1-line block ×3, first 2 shown]
	ds_read_b128 v[64:67], v99 offset:6016
	v_fma_f64 v[12:13], -v[44:45], v[70:71], v[12:13]
	s_waitcnt lgkmcnt(0)
	v_fma_f64 v[12:13], -v[46:47], v[60:61], v[12:13]
	v_fma_f64 v[12:13], -v[48:49], v[62:63], v[12:13]
	ds_read_b128 v[60:63], v99 offset:6032
	ds_read_b128 v[68:71], v99 offset:6048
	v_fma_f64 v[12:13], -v[50:51], v[64:65], v[12:13]
	v_fma_f64 v[12:13], -v[52:53], v[66:67], v[12:13]
	ds_read_b128 v[64:67], v99 offset:6064
	s_waitcnt lgkmcnt(0)
	v_fma_f64 v[12:13], -v[54:55], v[60:61], v[12:13]
	v_fma_f64 v[12:13], -v[38:39], v[62:63], v[12:13]
	;; [unrolled: 1-line block ×5, first 2 shown]
	v_mul_f64 v[12:13], v[66:67], v[12:13]
	flat_store_dwordx2 v[58:59], v[12:13] offset:184
	ds_read_b128 v[60:63], v99 offset:6144
	ds_read_b128 v[64:67], v99 offset:6160
	;; [unrolled: 1-line block ×4, first 2 shown]
	s_waitcnt lgkmcnt(0)
	v_fma_f64 v[10:11], -v[0:1], v[60:61], v[10:11]
	v_fma_f64 v[10:11], -v[2:3], v[62:63], v[10:11]
	;; [unrolled: 1-line block ×4, first 2 shown]
	ds_read_b128 v[60:63], v99 offset:6208
	ds_read_b128 v[64:67], v99 offset:6224
	v_fma_f64 v[10:11], -v[20:21], v[68:69], v[10:11]
	v_fma_f64 v[10:11], -v[22:23], v[70:71], v[10:11]
	;; [unrolled: 1-line block ×4, first 2 shown]
	ds_read_b128 v[68:71], v99 offset:6240
	s_waitcnt lgkmcnt(0)
	v_fma_f64 v[10:11], -v[30:31], v[60:61], v[10:11]
	v_fma_f64 v[10:11], -v[34:35], v[62:63], v[10:11]
	ds_read_b128 v[60:63], v99 offset:6256
	v_fma_f64 v[10:11], -v[36:37], v[64:65], v[10:11]
	v_fma_f64 v[10:11], -v[40:41], v[66:67], v[10:11]
	ds_read_b128 v[64:67], v99 offset:6272
	;; [unrolled: 3-line block ×3, first 2 shown]
	s_waitcnt lgkmcnt(0)
	v_fma_f64 v[10:11], -v[46:47], v[60:61], v[10:11]
	v_fma_f64 v[10:11], -v[48:49], v[62:63], v[10:11]
	ds_read_b128 v[60:63], v99 offset:6304
	v_fma_f64 v[10:11], -v[50:51], v[64:65], v[10:11]
	v_fma_f64 v[10:11], -v[52:53], v[66:67], v[10:11]
	ds_read_b128 v[64:67], v99 offset:6320
	v_fma_f64 v[10:11], -v[54:55], v[68:69], v[10:11]
	v_fma_f64 v[10:11], -v[38:39], v[70:71], v[10:11]
	ds_read_b64 v[68:69], v98 offset:6336
	s_waitcnt lgkmcnt(0)
	v_fma_f64 v[10:11], -v[32:33], v[60:61], v[10:11]
	v_fma_f64 v[10:11], -v[26:27], v[62:63], v[10:11]
	;; [unrolled: 1-line block ×4, first 2 shown]
	v_mul_f64 v[10:11], v[68:69], v[10:11]
	flat_store_dwordx2 v[58:59], v[10:11] offset:192
	ds_read_b128 v[60:63], v99 offset:6400
	ds_read_b128 v[64:67], v99 offset:6416
	;; [unrolled: 1-line block ×4, first 2 shown]
	s_waitcnt lgkmcnt(0)
	v_fma_f64 v[8:9], -v[0:1], v[60:61], v[8:9]
	v_fma_f64 v[8:9], -v[2:3], v[62:63], v[8:9]
	;; [unrolled: 1-line block ×4, first 2 shown]
	ds_read_b128 v[60:63], v99 offset:6464
	ds_read_b128 v[64:67], v99 offset:6480
	v_fma_f64 v[8:9], -v[20:21], v[68:69], v[8:9]
	v_fma_f64 v[8:9], -v[22:23], v[70:71], v[8:9]
	;; [unrolled: 1-line block ×4, first 2 shown]
	ds_read_b128 v[68:71], v99 offset:6496
	s_waitcnt lgkmcnt(0)
	v_fma_f64 v[8:9], -v[30:31], v[60:61], v[8:9]
	v_fma_f64 v[8:9], -v[34:35], v[62:63], v[8:9]
	ds_read_b128 v[60:63], v99 offset:6512
	v_fma_f64 v[8:9], -v[36:37], v[64:65], v[8:9]
	v_fma_f64 v[8:9], -v[40:41], v[66:67], v[8:9]
	ds_read_b128 v[64:67], v99 offset:6528
	;; [unrolled: 3-line block ×3, first 2 shown]
	s_waitcnt lgkmcnt(0)
	v_fma_f64 v[8:9], -v[46:47], v[60:61], v[8:9]
	v_fma_f64 v[8:9], -v[48:49], v[62:63], v[8:9]
	ds_read_b128 v[60:63], v99 offset:6560
	v_fma_f64 v[8:9], -v[50:51], v[64:65], v[8:9]
	v_fma_f64 v[8:9], -v[52:53], v[66:67], v[8:9]
	ds_read_b128 v[64:67], v99 offset:6576
	;; [unrolled: 3-line block ×3, first 2 shown]
	s_waitcnt lgkmcnt(0)
	v_fma_f64 v[8:9], -v[32:33], v[60:61], v[8:9]
	v_fma_f64 v[8:9], -v[26:27], v[62:63], v[8:9]
	;; [unrolled: 1-line block ×5, first 2 shown]
	v_mul_f64 v[76:77], v[70:71], v[8:9]
	flat_store_dwordx2 v[58:59], v[76:77] offset:200
	ds_read_b128 v[60:63], v99 offset:6656
	ds_read_b128 v[64:67], v99 offset:6672
	;; [unrolled: 1-line block ×4, first 2 shown]
	s_waitcnt lgkmcnt(0)
	v_fma_f64 v[6:7], -v[0:1], v[60:61], v[6:7]
	v_fma_f64 v[6:7], -v[2:3], v[62:63], v[6:7]
	;; [unrolled: 1-line block ×5, first 2 shown]
	ds_read_b128 v[6:9], v99 offset:6720
	v_fma_f64 v[60:61], -v[22:23], v[70:71], v[60:61]
	v_fma_f64 v[64:65], -v[24:25], v[72:73], v[60:61]
	ds_read_b128 v[60:63], v99 offset:6736
	v_fma_f64 v[64:65], -v[28:29], v[74:75], v[64:65]
	s_waitcnt lgkmcnt(0)
	v_fma_f64 v[6:7], -v[30:31], v[6:7], v[64:65]
	ds_read_b128 v[64:67], v99 offset:6752
	v_fma_f64 v[6:7], -v[34:35], v[8:9], v[6:7]
	v_fma_f64 v[60:61], -v[36:37], v[60:61], v[6:7]
	ds_read_b128 v[6:9], v99 offset:6768
	v_fma_f64 v[60:61], -v[40:41], v[62:63], v[60:61]
	s_waitcnt lgkmcnt(0)
	v_fma_f64 v[64:65], -v[42:43], v[64:65], v[60:61]
	;; [unrolled: 7-line block ×3, first 2 shown]
	ds_read_b128 v[6:9], v99 offset:6816
	v_fma_f64 v[60:61], -v[52:53], v[62:63], v[60:61]
	v_fma_f64 v[60:61], -v[54:55], v[64:65], v[60:61]
	;; [unrolled: 1-line block ×3, first 2 shown]
	ds_read_b128 v[60:63], v99 offset:6832
	s_waitcnt lgkmcnt(0)
	v_fma_f64 v[6:7], -v[32:33], v[6:7], v[64:65]
	ds_read_b128 v[64:67], v99 offset:6848
	v_fma_f64 v[6:7], -v[26:27], v[8:9], v[6:7]
	ds_read_b64 v[8:9], v98 offset:6864
	v_fma_f64 v[6:7], -v[14:15], v[60:61], v[6:7]
	v_fma_f64 v[6:7], -v[12:13], v[62:63], v[6:7]
	s_waitcnt lgkmcnt(0)
	v_fma_f64 v[6:7], -v[10:11], v[64:65], v[6:7]
	v_fma_f64 v[6:7], -v[76:77], v[66:67], v[6:7]
	v_mul_f64 v[72:73], v[8:9], v[6:7]
	flat_store_dwordx2 v[58:59], v[72:73] offset:208
	v_mov_b32_e32 v74, s0
	ds_read_b128 v[6:9], v74
	ds_read_b128 v[60:63], v74 offset:16
	ds_read_b128 v[64:67], v74 offset:32
	;; [unrolled: 1-line block ×3, first 2 shown]
	s_waitcnt lgkmcnt(0)
	v_fma_f64 v[0:1], -v[0:1], v[6:7], v[4:5]
	v_fma_f64 v[0:1], -v[2:3], v[8:9], v[0:1]
	;; [unrolled: 1-line block ×5, first 2 shown]
	ds_read_b128 v[0:3], v74 offset:64
	v_fma_f64 v[4:5], -v[22:23], v[66:67], v[4:5]
	v_fma_f64 v[8:9], -v[24:25], v[68:69], v[4:5]
	ds_read_b128 v[4:7], v74 offset:80
	v_fma_f64 v[8:9], -v[28:29], v[70:71], v[8:9]
	ds_read_b128 v[16:19], v74 offset:96
	s_waitcnt lgkmcnt(0)
	v_fma_f64 v[0:1], -v[30:31], v[0:1], v[8:9]
	v_fma_f64 v[0:1], -v[34:35], v[2:3], v[0:1]
	;; [unrolled: 1-line block ×3, first 2 shown]
	ds_read_b128 v[0:3], v74 offset:112
	v_fma_f64 v[4:5], -v[40:41], v[6:7], v[4:5]
	v_fma_f64 v[8:9], -v[42:43], v[16:17], v[4:5]
	ds_read_b128 v[4:7], v74 offset:128
	v_fma_f64 v[8:9], -v[44:45], v[18:19], v[8:9]
	ds_read_b128 v[16:19], v74 offset:144
	s_waitcnt lgkmcnt(0)
	v_fma_f64 v[0:1], -v[46:47], v[0:1], v[8:9]
	v_fma_f64 v[0:1], -v[48:49], v[2:3], v[0:1]
	v_fma_f64 v[4:5], -v[50:51], v[4:5], v[0:1]
	ds_read_b128 v[0:3], v74 offset:160
	v_fma_f64 v[4:5], -v[52:53], v[6:7], v[4:5]
	v_fma_f64 v[4:5], -v[54:55], v[16:17], v[4:5]
	;; [unrolled: 1-line block ×3, first 2 shown]
	ds_read_b128 v[4:7], v74 offset:176
	ds_read_b128 v[16:19], v74 offset:192
	s_waitcnt lgkmcnt(0)
	v_fma_f64 v[0:1], -v[32:33], v[0:1], v[8:9]
	v_fma_f64 v[8:9], -v[26:27], v[2:3], v[0:1]
	ds_read_b128 v[0:3], v74 offset:208
	v_fma_f64 v[4:5], -v[14:15], v[4:5], v[8:9]
	v_fma_f64 v[4:5], -v[12:13], v[6:7], v[4:5]
	v_fma_f64 v[4:5], -v[10:11], v[16:17], v[4:5]
	v_fma_f64 v[4:5], -v[76:77], v[18:19], v[4:5]
	s_waitcnt lgkmcnt(0)
	v_fma_f64 v[0:1], -v[72:73], v[0:1], v[4:5]
	v_mul_f64 v[0:1], v[2:3], v[0:1]
	flat_store_dwordx2 v[58:59], v[0:1] offset:216
.LBB103_19:
	s_cmp_ge_i32 s2, s22
	s_cbranch_scc1 .LBB103_24
; %bb.20:
	s_lshl_b32 s0, s2, 8
	s_mov_b32 s3, 0
	s_branch .LBB103_22
.LBB103_21:                             ;   in Loop: Header=BB103_22 Depth=1
	s_mul_i32 s1, s2, 0x108
	v_mov_b32_e32 v4, s1
	ds_read_b64 v[4:5], v4
	s_add_i32 s2, s2, 1
	s_addk_i32 s0, 0x100
	s_cmp_ge_i32 s2, s22
	s_waitcnt lgkmcnt(0)
	v_mul_f64 v[2:3], v[4:5], v[2:3]
	flat_store_dwordx2 v[0:1], v[2:3]
	s_cbranch_scc1 .LBB103_24
.LBB103_22:                             ; =>This Loop Header: Depth=1
                                        ;     Child Loop BB103_23 Depth 2
	v_lshl_add_u64 v[0:1], s[2:3], 3, v[56:57]
	flat_load_dwordx2 v[2:3], v[0:1]
	s_cmp_eq_u32 s2, 0
	v_mov_b64_e32 v[4:5], v[56:57]
	s_mov_b32 s1, s2
	s_mov_b32 s6, s0
	s_waitcnt vmcnt(0) lgkmcnt(0)
	v_mul_f64 v[2:3], s[4:5], v[2:3]
	s_cbranch_scc1 .LBB103_21
.LBB103_23:                             ;   Parent Loop BB103_22 Depth=1
                                        ; =>  This Inner Loop Header: Depth=2
	flat_load_dwordx2 v[6:7], v[4:5]
	v_mov_b32_e32 v8, s6
	ds_read_b64 v[8:9], v8
	s_add_i32 s6, s6, 8
	s_add_i32 s1, s1, -1
	v_lshl_add_u64 v[4:5], v[4:5], 0, 8
	s_cmp_lg_u32 s1, 0
	s_waitcnt vmcnt(0) lgkmcnt(0)
	v_fma_f64 v[2:3], -v[6:7], v[8:9], v[2:3]
	s_cbranch_scc1 .LBB103_23
	s_branch .LBB103_21
.LBB103_24:
	s_mov_b64 s[0:1], 0
.LBB103_25:
	s_and_b64 vcc, exec, s[0:1]
	s_cbranch_vccz .LBB103_51
; %bb.26:
	s_add_i32 s8, s22, -1
	s_cmp_gt_i32 s10, 31
	s_mov_b32 s0, s8
	s_cbranch_scc0 .LBB103_28
; %bb.27:
	flat_load_dwordx4 v[0:3], v[56:57] offset:240
	flat_load_dwordx4 v[22:25], v[56:57] offset:224
	;; [unrolled: 1-line block ×4, first 2 shown]
	v_mov_b32_e32 v66, 0
	ds_read_b64 v[4:5], v66 offset:8184
	s_mov_b32 s0, -1
	s_waitcnt vmcnt(0) lgkmcnt(0)
	v_mul_f64 v[2:3], s[4:5], v[2:3]
	v_mul_f64 v[16:17], v[4:5], v[2:3]
	flat_store_dwordx2 v[56:57], v[16:17] offset:248
	ds_read_b64 v[2:3], v66 offset:8176
	ds_read_b64 v[4:5], v66 offset:7920
	flat_load_dwordx4 v[34:37], v[56:57] offset:176
	flat_load_dwordx4 v[38:41], v[56:57] offset:160
	s_waitcnt lgkmcnt(0)
	v_mul_f64 v[2:3], v[16:17], v[2:3]
	v_fma_f64 v[0:1], s[4:5], v[0:1], -v[2:3]
	v_mul_f64 v[18:19], v[4:5], v[0:1]
	flat_store_dwordx2 v[56:57], v[18:19] offset:240
	ds_read_b64 v[0:1], v66 offset:8168
	ds_read_b64 v[2:3], v66 offset:7912
	;; [unrolled: 1-line block ×3, first 2 shown]
	flat_load_dwordx4 v[12:15], v[56:57] offset:144
	flat_load_dwordx4 v[8:11], v[56:57] offset:128
	s_waitcnt lgkmcnt(0)
	v_mul_f64 v[0:1], v[16:17], v[0:1]
	v_fma_f64 v[0:1], s[4:5], v[24:25], -v[0:1]
	v_fma_f64 v[0:1], -v[18:19], v[2:3], v[0:1]
	v_mul_f64 v[20:21], v[4:5], v[0:1]
	flat_store_dwordx2 v[56:57], v[20:21] offset:232
	ds_read_b64 v[24:25], v66 offset:8160
	flat_load_dwordx4 v[4:7], v[56:57] offset:112
	flat_load_dwordx4 v[0:3], v[56:57] offset:96
	ds_read_b64 v[42:43], v66 offset:7904
	ds_read_b64 v[44:45], v66 offset:7648
	;; [unrolled: 1-line block ×3, first 2 shown]
	s_waitcnt lgkmcnt(0)
	v_mul_f64 v[24:25], v[16:17], v[24:25]
	v_fma_f64 v[22:23], s[4:5], v[22:23], -v[24:25]
	v_fma_f64 v[22:23], -v[18:19], v[42:43], v[22:23]
	v_fma_f64 v[22:23], -v[20:21], v[44:45], v[22:23]
	v_mul_f64 v[22:23], v[46:47], v[22:23]
	flat_store_dwordx2 v[56:57], v[22:23] offset:224
	ds_read_b64 v[24:25], v66 offset:8152
	ds_read_b64 v[42:43], v66 offset:7896
	;; [unrolled: 1-line block ×5, first 2 shown]
	s_waitcnt lgkmcnt(0)
	v_mul_f64 v[24:25], v[16:17], v[24:25]
	v_fma_f64 v[24:25], s[4:5], v[28:29], -v[24:25]
	v_fma_f64 v[24:25], -v[18:19], v[42:43], v[24:25]
	v_fma_f64 v[24:25], -v[20:21], v[44:45], v[24:25]
	;; [unrolled: 1-line block ×3, first 2 shown]
	v_mul_f64 v[24:25], v[48:49], v[24:25]
	flat_store_dwordx2 v[56:57], v[24:25] offset:216
	ds_read_b64 v[28:29], v66 offset:8144
	ds_read_b64 v[42:43], v66 offset:7888
	ds_read_b64 v[44:45], v66 offset:7632
	ds_read_b64 v[46:47], v66 offset:7376
	ds_read_b64 v[48:49], v66 offset:7120
	ds_read_b64 v[50:51], v66 offset:6864
	s_waitcnt lgkmcnt(0)
	v_mul_f64 v[28:29], v[16:17], v[28:29]
	v_fma_f64 v[26:27], s[4:5], v[26:27], -v[28:29]
	v_fma_f64 v[26:27], -v[18:19], v[42:43], v[26:27]
	v_fma_f64 v[26:27], -v[20:21], v[44:45], v[26:27]
	;; [unrolled: 1-line block ×4, first 2 shown]
	v_mul_f64 v[26:27], v[50:51], v[26:27]
	flat_store_dwordx2 v[56:57], v[26:27] offset:208
	ds_read_b64 v[28:29], v66 offset:8136
	ds_read_b64 v[42:43], v66 offset:7880
	;; [unrolled: 1-line block ×7, first 2 shown]
	s_waitcnt lgkmcnt(0)
	v_mul_f64 v[28:29], v[16:17], v[28:29]
	v_fma_f64 v[28:29], s[4:5], v[32:33], -v[28:29]
	v_fma_f64 v[28:29], -v[18:19], v[42:43], v[28:29]
	v_fma_f64 v[28:29], -v[20:21], v[44:45], v[28:29]
	v_fma_f64 v[28:29], -v[22:23], v[46:47], v[28:29]
	v_fma_f64 v[28:29], -v[24:25], v[48:49], v[28:29]
	v_fma_f64 v[28:29], -v[26:27], v[50:51], v[28:29]
	v_mul_f64 v[28:29], v[52:53], v[28:29]
	flat_store_dwordx2 v[56:57], v[28:29] offset:200
	ds_read_b64 v[32:33], v66 offset:8128
	ds_read_b64 v[42:43], v66 offset:7872
	;; [unrolled: 1-line block ×8, first 2 shown]
	s_waitcnt lgkmcnt(0)
	v_mul_f64 v[32:33], v[16:17], v[32:33]
	v_fma_f64 v[30:31], s[4:5], v[30:31], -v[32:33]
	v_fma_f64 v[30:31], -v[18:19], v[42:43], v[30:31]
	v_fma_f64 v[30:31], -v[20:21], v[44:45], v[30:31]
	;; [unrolled: 1-line block ×6, first 2 shown]
	v_mul_f64 v[30:31], v[54:55], v[30:31]
	flat_store_dwordx2 v[56:57], v[30:31] offset:192
	ds_read_b64 v[32:33], v66 offset:8120
	ds_read_b64 v[42:43], v66 offset:7864
	;; [unrolled: 1-line block ×9, first 2 shown]
	s_waitcnt lgkmcnt(0)
	v_mul_f64 v[32:33], v[16:17], v[32:33]
	s_waitcnt vmcnt(0)
	v_fma_f64 v[32:33], s[4:5], v[36:37], -v[32:33]
	v_fma_f64 v[32:33], -v[18:19], v[42:43], v[32:33]
	v_fma_f64 v[32:33], -v[20:21], v[44:45], v[32:33]
	;; [unrolled: 1-line block ×7, first 2 shown]
	v_mul_f64 v[32:33], v[58:59], v[32:33]
	flat_store_dwordx2 v[56:57], v[32:33] offset:184
	ds_read_b64 v[36:37], v66 offset:8112
	ds_read_b64 v[42:43], v66 offset:7856
	;; [unrolled: 1-line block ×10, first 2 shown]
	s_waitcnt lgkmcnt(0)
	v_mul_f64 v[36:37], v[16:17], v[36:37]
	v_fma_f64 v[34:35], s[4:5], v[34:35], -v[36:37]
	v_fma_f64 v[34:35], -v[18:19], v[42:43], v[34:35]
	v_fma_f64 v[34:35], -v[20:21], v[44:45], v[34:35]
	;; [unrolled: 1-line block ×8, first 2 shown]
	v_mul_f64 v[34:35], v[60:61], v[34:35]
	flat_store_dwordx2 v[56:57], v[34:35] offset:176
	ds_read_b64 v[36:37], v66 offset:8104
	ds_read_b64 v[42:43], v66 offset:7848
	;; [unrolled: 1-line block ×11, first 2 shown]
	s_waitcnt lgkmcnt(0)
	v_mul_f64 v[36:37], v[16:17], v[36:37]
	v_fma_f64 v[36:37], s[4:5], v[40:41], -v[36:37]
	v_fma_f64 v[36:37], -v[18:19], v[42:43], v[36:37]
	v_fma_f64 v[36:37], -v[20:21], v[44:45], v[36:37]
	;; [unrolled: 1-line block ×9, first 2 shown]
	v_mul_f64 v[36:37], v[62:63], v[36:37]
	flat_store_dwordx2 v[56:57], v[36:37] offset:168
	ds_read_b64 v[40:41], v66 offset:8096
	ds_read_b64 v[42:43], v66 offset:7840
	;; [unrolled: 1-line block ×12, first 2 shown]
	s_waitcnt lgkmcnt(0)
	v_mul_f64 v[40:41], v[16:17], v[40:41]
	v_fma_f64 v[38:39], s[4:5], v[38:39], -v[40:41]
	v_fma_f64 v[38:39], -v[18:19], v[42:43], v[38:39]
	v_fma_f64 v[38:39], -v[20:21], v[44:45], v[38:39]
	;; [unrolled: 1-line block ×10, first 2 shown]
	v_mul_f64 v[38:39], v[64:65], v[38:39]
	flat_store_dwordx2 v[56:57], v[38:39] offset:160
	ds_read_b64 v[40:41], v66 offset:8088
	ds_read_b64 v[42:43], v66 offset:7832
	;; [unrolled: 1-line block ×13, first 2 shown]
	s_waitcnt lgkmcnt(0)
	v_mul_f64 v[40:41], v[16:17], v[40:41]
	v_fma_f64 v[14:15], s[4:5], v[14:15], -v[40:41]
	v_fma_f64 v[14:15], -v[18:19], v[42:43], v[14:15]
	v_fma_f64 v[14:15], -v[20:21], v[44:45], v[14:15]
	;; [unrolled: 1-line block ×11, first 2 shown]
	v_mul_f64 v[14:15], v[68:69], v[14:15]
	flat_store_dwordx2 v[56:57], v[14:15] offset:152
	ds_read_b64 v[40:41], v66 offset:8080
	ds_read_b64 v[42:43], v66 offset:7824
	ds_read_b64 v[44:45], v66 offset:7568
	ds_read_b64 v[46:47], v66 offset:7312
	ds_read_b64 v[48:49], v66 offset:7056
	ds_read_b64 v[50:51], v66 offset:6800
	ds_read_b64 v[52:53], v66 offset:6544
	ds_read_b64 v[54:55], v66 offset:6288
	ds_read_b64 v[58:59], v66 offset:6032
	ds_read_b64 v[60:61], v66 offset:5776
	ds_read_b64 v[62:63], v66 offset:5520
	ds_read_b64 v[64:65], v66 offset:5264
	ds_read_b64 v[68:69], v66 offset:5008
	ds_read_b64 v[70:71], v66 offset:4752
	s_waitcnt lgkmcnt(0)
	v_mul_f64 v[40:41], v[16:17], v[40:41]
	v_fma_f64 v[12:13], s[4:5], v[12:13], -v[40:41]
	v_fma_f64 v[12:13], -v[18:19], v[42:43], v[12:13]
	v_fma_f64 v[12:13], -v[20:21], v[44:45], v[12:13]
	v_fma_f64 v[12:13], -v[22:23], v[46:47], v[12:13]
	v_fma_f64 v[12:13], -v[24:25], v[48:49], v[12:13]
	v_fma_f64 v[12:13], -v[26:27], v[50:51], v[12:13]
	v_fma_f64 v[12:13], -v[28:29], v[52:53], v[12:13]
	v_fma_f64 v[12:13], -v[30:31], v[54:55], v[12:13]
	v_fma_f64 v[12:13], -v[32:33], v[58:59], v[12:13]
	v_fma_f64 v[12:13], -v[34:35], v[60:61], v[12:13]
	v_fma_f64 v[12:13], -v[36:37], v[62:63], v[12:13]
	v_fma_f64 v[12:13], -v[38:39], v[64:65], v[12:13]
	v_fma_f64 v[12:13], -v[14:15], v[68:69], v[12:13]
	v_mul_f64 v[12:13], v[70:71], v[12:13]
	flat_store_dwordx2 v[56:57], v[12:13] offset:144
	ds_read_b64 v[40:41], v66 offset:8072
	ds_read_b64 v[42:43], v66 offset:7816
	;; [unrolled: 1-line block ×15, first 2 shown]
	s_waitcnt lgkmcnt(0)
	v_mul_f64 v[40:41], v[16:17], v[40:41]
	v_fma_f64 v[10:11], s[4:5], v[10:11], -v[40:41]
	v_fma_f64 v[10:11], -v[18:19], v[42:43], v[10:11]
	v_fma_f64 v[10:11], -v[20:21], v[44:45], v[10:11]
	v_fma_f64 v[10:11], -v[22:23], v[46:47], v[10:11]
	v_fma_f64 v[10:11], -v[24:25], v[48:49], v[10:11]
	v_fma_f64 v[10:11], -v[26:27], v[50:51], v[10:11]
	v_fma_f64 v[10:11], -v[28:29], v[52:53], v[10:11]
	v_fma_f64 v[10:11], -v[30:31], v[54:55], v[10:11]
	v_fma_f64 v[10:11], -v[32:33], v[58:59], v[10:11]
	v_fma_f64 v[10:11], -v[34:35], v[60:61], v[10:11]
	v_fma_f64 v[10:11], -v[36:37], v[62:63], v[10:11]
	v_fma_f64 v[10:11], -v[38:39], v[64:65], v[10:11]
	v_fma_f64 v[10:11], -v[14:15], v[68:69], v[10:11]
	v_fma_f64 v[10:11], -v[12:13], v[70:71], v[10:11]
	v_mul_f64 v[10:11], v[72:73], v[10:11]
	flat_store_dwordx2 v[56:57], v[10:11] offset:136
	ds_read_b64 v[40:41], v66 offset:8064
	ds_read_b64 v[42:43], v66 offset:7808
	;; [unrolled: 1-line block ×16, first 2 shown]
	s_waitcnt lgkmcnt(0)
	v_mul_f64 v[40:41], v[16:17], v[40:41]
	v_fma_f64 v[8:9], s[4:5], v[8:9], -v[40:41]
	v_fma_f64 v[8:9], -v[18:19], v[42:43], v[8:9]
	v_fma_f64 v[8:9], -v[20:21], v[44:45], v[8:9]
	;; [unrolled: 1-line block ×14, first 2 shown]
	v_mul_f64 v[8:9], v[74:75], v[8:9]
	flat_store_dwordx2 v[56:57], v[8:9] offset:128
	ds_read_b64 v[40:41], v66 offset:8056
	ds_read_b64 v[42:43], v66 offset:7800
	;; [unrolled: 1-line block ×13, first 2 shown]
	s_waitcnt lgkmcnt(0)
	v_mul_f64 v[40:41], v[16:17], v[40:41]
	v_fma_f64 v[6:7], s[4:5], v[6:7], -v[40:41]
	v_fma_f64 v[6:7], -v[18:19], v[42:43], v[6:7]
	v_fma_f64 v[6:7], -v[20:21], v[44:45], v[6:7]
	;; [unrolled: 1-line block ×11, first 2 shown]
	ds_read_b64 v[40:41], v66 offset:4728
	ds_read_b64 v[42:43], v66 offset:4472
	;; [unrolled: 1-line block ×4, first 2 shown]
	v_fma_f64 v[6:7], -v[14:15], v[68:69], v[6:7]
	s_waitcnt lgkmcnt(0)
	v_fma_f64 v[6:7], -v[12:13], v[40:41], v[6:7]
	v_fma_f64 v[6:7], -v[10:11], v[42:43], v[6:7]
	;; [unrolled: 1-line block ×3, first 2 shown]
	v_mul_f64 v[40:41], v[46:47], v[6:7]
	flat_store_dwordx2 v[56:57], v[40:41] offset:120
	ds_read_b64 v[6:7], v66 offset:8048
	ds_read_b64 v[42:43], v66 offset:7792
	;; [unrolled: 1-line block ×3, first 2 shown]
	s_waitcnt lgkmcnt(0)
	v_mul_f64 v[6:7], v[16:17], v[6:7]
	v_fma_f64 v[4:5], s[4:5], v[4:5], -v[6:7]
	ds_read_b64 v[6:7], v66 offset:7280
	v_fma_f64 v[4:5], -v[18:19], v[42:43], v[4:5]
	v_fma_f64 v[4:5], -v[20:21], v[44:45], v[4:5]
	ds_read_b64 v[42:43], v66 offset:7024
	ds_read_b64 v[44:45], v66 offset:6768
	;; [unrolled: 1-line block ×3, first 2 shown]
	s_waitcnt lgkmcnt(0)
	v_fma_f64 v[4:5], -v[22:23], v[6:7], v[4:5]
	ds_read_b64 v[6:7], v66 offset:6256
	v_fma_f64 v[4:5], -v[24:25], v[42:43], v[4:5]
	ds_read_b64 v[42:43], v66 offset:6000
	v_fma_f64 v[4:5], -v[26:27], v[44:45], v[4:5]
	v_fma_f64 v[4:5], -v[28:29], v[46:47], v[4:5]
	s_waitcnt lgkmcnt(0)
	v_fma_f64 v[4:5], -v[30:31], v[6:7], v[4:5]
	ds_read_b64 v[6:7], v66 offset:5744
	ds_read_b64 v[44:45], v66 offset:5488
	;; [unrolled: 1-line block ×3, first 2 shown]
	v_fma_f64 v[4:5], -v[32:33], v[42:43], v[4:5]
	ds_read_b64 v[42:43], v66 offset:4976
	s_waitcnt lgkmcnt(0)
	v_fma_f64 v[4:5], -v[34:35], v[6:7], v[4:5]
	ds_read_b64 v[6:7], v66 offset:4720
	v_fma_f64 v[4:5], -v[36:37], v[44:45], v[4:5]
	v_fma_f64 v[4:5], -v[38:39], v[46:47], v[4:5]
	;; [unrolled: 1-line block ×3, first 2 shown]
	ds_read_b64 v[42:43], v66 offset:4464
	ds_read_b64 v[44:45], v66 offset:4208
	;; [unrolled: 1-line block ×4, first 2 shown]
	s_waitcnt lgkmcnt(0)
	v_fma_f64 v[4:5], -v[12:13], v[6:7], v[4:5]
	v_fma_f64 v[4:5], -v[10:11], v[42:43], v[4:5]
	;; [unrolled: 1-line block ×4, first 2 shown]
	v_mul_f64 v[42:43], v[48:49], v[4:5]
	flat_load_dwordx4 v[4:7], v[56:57] offset:80
	s_nop 0
	flat_store_dwordx2 v[56:57], v[42:43] offset:112
	ds_read_b64 v[44:45], v66 offset:8040
	ds_read_b64 v[46:47], v66 offset:7784
	;; [unrolled: 1-line block ×4, first 2 shown]
	s_waitcnt lgkmcnt(0)
	v_mul_f64 v[44:45], v[16:17], v[44:45]
	v_fma_f64 v[2:3], s[4:5], v[2:3], -v[44:45]
	ds_read_b64 v[44:45], v66 offset:7016
	v_fma_f64 v[2:3], -v[18:19], v[46:47], v[2:3]
	v_fma_f64 v[2:3], -v[20:21], v[48:49], v[2:3]
	v_fma_f64 v[2:3], -v[22:23], v[50:51], v[2:3]
	ds_read_b64 v[46:47], v66 offset:6760
	ds_read_b64 v[48:49], v66 offset:6504
	;; [unrolled: 1-line block ×3, first 2 shown]
	s_waitcnt lgkmcnt(0)
	v_fma_f64 v[2:3], -v[24:25], v[44:45], v[2:3]
	ds_read_b64 v[44:45], v66 offset:5992
	v_fma_f64 v[2:3], -v[26:27], v[46:47], v[2:3]
	ds_read_b64 v[46:47], v66 offset:5736
	v_fma_f64 v[2:3], -v[28:29], v[48:49], v[2:3]
	v_fma_f64 v[2:3], -v[30:31], v[50:51], v[2:3]
	s_waitcnt lgkmcnt(0)
	v_fma_f64 v[2:3], -v[32:33], v[44:45], v[2:3]
	ds_read_b64 v[44:45], v66 offset:5480
	ds_read_b64 v[48:49], v66 offset:5224
	;; [unrolled: 1-line block ×3, first 2 shown]
	v_fma_f64 v[2:3], -v[34:35], v[46:47], v[2:3]
	ds_read_b64 v[46:47], v66 offset:4712
	s_waitcnt lgkmcnt(0)
	v_fma_f64 v[2:3], -v[36:37], v[44:45], v[2:3]
	ds_read_b64 v[44:45], v66 offset:4456
	v_fma_f64 v[2:3], -v[38:39], v[48:49], v[2:3]
	v_fma_f64 v[2:3], -v[14:15], v[50:51], v[2:3]
	;; [unrolled: 1-line block ×3, first 2 shown]
	ds_read_b64 v[46:47], v66 offset:4200
	ds_read_b64 v[48:49], v66 offset:3944
	;; [unrolled: 1-line block ×4, first 2 shown]
	s_waitcnt lgkmcnt(0)
	v_fma_f64 v[2:3], -v[10:11], v[44:45], v[2:3]
	v_fma_f64 v[2:3], -v[8:9], v[46:47], v[2:3]
	;; [unrolled: 1-line block ×4, first 2 shown]
	v_mul_f64 v[44:45], v[52:53], v[2:3]
	flat_store_dwordx2 v[56:57], v[44:45] offset:104
	ds_read_b64 v[2:3], v66 offset:8032
	ds_read_b64 v[46:47], v66 offset:7776
	;; [unrolled: 1-line block ×4, first 2 shown]
	s_waitcnt lgkmcnt(0)
	v_mul_f64 v[2:3], v[16:17], v[2:3]
	v_fma_f64 v[0:1], s[4:5], v[0:1], -v[2:3]
	ds_read_b64 v[2:3], v66 offset:7008
	v_fma_f64 v[0:1], -v[18:19], v[46:47], v[0:1]
	ds_read_b64 v[46:47], v66 offset:6752
	v_fma_f64 v[0:1], -v[20:21], v[48:49], v[0:1]
	v_fma_f64 v[0:1], -v[22:23], v[50:51], v[0:1]
	s_waitcnt lgkmcnt(0)
	v_fma_f64 v[0:1], -v[24:25], v[2:3], v[0:1]
	ds_read_b64 v[2:3], v66 offset:6496
	ds_read_b64 v[48:49], v66 offset:6240
	;; [unrolled: 1-line block ×3, first 2 shown]
	v_fma_f64 v[0:1], -v[26:27], v[46:47], v[0:1]
	ds_read_b64 v[46:47], v66 offset:5728
	s_waitcnt lgkmcnt(0)
	v_fma_f64 v[0:1], -v[28:29], v[2:3], v[0:1]
	ds_read_b64 v[2:3], v66 offset:5472
	v_fma_f64 v[0:1], -v[30:31], v[48:49], v[0:1]
	v_fma_f64 v[0:1], -v[32:33], v[50:51], v[0:1]
	;; [unrolled: 1-line block ×3, first 2 shown]
	ds_read_b64 v[46:47], v66 offset:5216
	ds_read_b64 v[48:49], v66 offset:4960
	;; [unrolled: 1-line block ×3, first 2 shown]
	s_waitcnt lgkmcnt(0)
	v_fma_f64 v[0:1], -v[36:37], v[2:3], v[0:1]
	ds_read_b64 v[2:3], v66 offset:4448
	v_fma_f64 v[0:1], -v[38:39], v[46:47], v[0:1]
	ds_read_b64 v[46:47], v66 offset:4192
	v_fma_f64 v[0:1], -v[14:15], v[48:49], v[0:1]
	v_fma_f64 v[0:1], -v[12:13], v[50:51], v[0:1]
	s_waitcnt lgkmcnt(0)
	v_fma_f64 v[0:1], -v[10:11], v[2:3], v[0:1]
	ds_read_b64 v[2:3], v66 offset:3936
	ds_read_b64 v[48:49], v66 offset:3680
	;; [unrolled: 1-line block ×4, first 2 shown]
	v_fma_f64 v[0:1], -v[8:9], v[46:47], v[0:1]
	s_waitcnt lgkmcnt(0)
	v_fma_f64 v[0:1], -v[40:41], v[2:3], v[0:1]
	v_fma_f64 v[0:1], -v[42:43], v[48:49], v[0:1]
	;; [unrolled: 1-line block ×3, first 2 shown]
	v_mul_f64 v[46:47], v[52:53], v[0:1]
	flat_load_dwordx4 v[0:3], v[56:57] offset:64
	s_nop 0
	flat_store_dwordx2 v[56:57], v[46:47] offset:96
	ds_read_b64 v[48:49], v66 offset:8024
	ds_read_b64 v[50:51], v66 offset:7768
	s_waitcnt lgkmcnt(0)
	v_mul_f64 v[48:49], v[16:17], v[48:49]
	s_waitcnt vmcnt(0)
	v_fma_f64 v[6:7], s[4:5], v[6:7], -v[48:49]
	ds_read_b64 v[48:49], v66 offset:7512
	ds_read_b64 v[52:53], v66 offset:7256
	;; [unrolled: 1-line block ×3, first 2 shown]
	v_fma_f64 v[6:7], -v[18:19], v[50:51], v[6:7]
	ds_read_b64 v[50:51], v66 offset:6744
	s_waitcnt lgkmcnt(3)
	v_fma_f64 v[6:7], -v[20:21], v[48:49], v[6:7]
	ds_read_b64 v[48:49], v66 offset:6488
	s_waitcnt lgkmcnt(3)
	v_fma_f64 v[6:7], -v[22:23], v[52:53], v[6:7]
	s_waitcnt lgkmcnt(2)
	v_fma_f64 v[6:7], -v[24:25], v[54:55], v[6:7]
	;; [unrolled: 2-line block ×3, first 2 shown]
	ds_read_b64 v[50:51], v66 offset:6232
	ds_read_b64 v[52:53], v66 offset:5976
	;; [unrolled: 1-line block ×3, first 2 shown]
	s_waitcnt lgkmcnt(3)
	v_fma_f64 v[6:7], -v[28:29], v[48:49], v[6:7]
	ds_read_b64 v[48:49], v66 offset:5464
	s_waitcnt lgkmcnt(3)
	v_fma_f64 v[6:7], -v[30:31], v[50:51], v[6:7]
	ds_read_b64 v[50:51], v66 offset:5208
	s_waitcnt lgkmcnt(3)
	v_fma_f64 v[6:7], -v[32:33], v[52:53], v[6:7]
	s_waitcnt lgkmcnt(2)
	v_fma_f64 v[6:7], -v[34:35], v[54:55], v[6:7]
	;; [unrolled: 2-line block ×3, first 2 shown]
	ds_read_b64 v[48:49], v66 offset:4952
	ds_read_b64 v[52:53], v66 offset:4696
	;; [unrolled: 1-line block ×3, first 2 shown]
	s_waitcnt lgkmcnt(3)
	v_fma_f64 v[6:7], -v[38:39], v[50:51], v[6:7]
	ds_read_b64 v[50:51], v66 offset:4184
	s_waitcnt lgkmcnt(3)
	v_fma_f64 v[6:7], -v[14:15], v[48:49], v[6:7]
	ds_read_b64 v[48:49], v66 offset:3928
	s_waitcnt lgkmcnt(3)
	v_fma_f64 v[6:7], -v[12:13], v[52:53], v[6:7]
	s_waitcnt lgkmcnt(2)
	v_fma_f64 v[6:7], -v[10:11], v[54:55], v[6:7]
	;; [unrolled: 2-line block ×3, first 2 shown]
	ds_read_b64 v[50:51], v66 offset:3672
	ds_read_b64 v[52:53], v66 offset:3416
	;; [unrolled: 1-line block ×4, first 2 shown]
	s_waitcnt lgkmcnt(4)
	v_fma_f64 v[6:7], -v[40:41], v[48:49], v[6:7]
	s_waitcnt lgkmcnt(3)
	v_fma_f64 v[6:7], -v[42:43], v[50:51], v[6:7]
	s_waitcnt lgkmcnt(2)
	v_fma_f64 v[6:7], -v[44:45], v[52:53], v[6:7]
	s_waitcnt lgkmcnt(1)
	v_fma_f64 v[6:7], -v[46:47], v[54:55], v[6:7]
	s_waitcnt lgkmcnt(0)
	v_mul_f64 v[48:49], v[58:59], v[6:7]
	flat_store_dwordx2 v[56:57], v[48:49] offset:88
	ds_read_b64 v[6:7], v66 offset:8016
	ds_read_b64 v[50:51], v66 offset:7760
	s_waitcnt lgkmcnt(0)
	v_mul_f64 v[6:7], v[16:17], v[6:7]
	v_fma_f64 v[4:5], s[4:5], v[4:5], -v[6:7]
	ds_read_b64 v[6:7], v66 offset:7504
	v_fma_f64 v[4:5], -v[18:19], v[50:51], v[4:5]
	ds_read_b64 v[50:51], v66 offset:7248
	ds_read_b64 v[52:53], v66 offset:6992
	;; [unrolled: 1-line block ×3, first 2 shown]
	s_waitcnt lgkmcnt(0)
	v_fma_f64 v[4:5], -v[20:21], v[6:7], v[4:5]
	ds_read_b64 v[6:7], v66 offset:6480
	v_fma_f64 v[4:5], -v[22:23], v[50:51], v[4:5]
	ds_read_b64 v[50:51], v66 offset:6224
	v_fma_f64 v[4:5], -v[24:25], v[52:53], v[4:5]
	v_fma_f64 v[4:5], -v[26:27], v[54:55], v[4:5]
	s_waitcnt lgkmcnt(0)
	v_fma_f64 v[4:5], -v[28:29], v[6:7], v[4:5]
	ds_read_b64 v[6:7], v66 offset:5968
	ds_read_b64 v[52:53], v66 offset:5712
	;; [unrolled: 1-line block ×3, first 2 shown]
	v_fma_f64 v[4:5], -v[30:31], v[50:51], v[4:5]
	ds_read_b64 v[50:51], v66 offset:5200
	s_waitcnt lgkmcnt(0)
	v_fma_f64 v[4:5], -v[32:33], v[6:7], v[4:5]
	ds_read_b64 v[6:7], v66 offset:4944
	v_fma_f64 v[4:5], -v[34:35], v[52:53], v[4:5]
	v_fma_f64 v[4:5], -v[36:37], v[54:55], v[4:5]
	v_fma_f64 v[4:5], -v[38:39], v[50:51], v[4:5]
	ds_read_b64 v[50:51], v66 offset:4688
	ds_read_b64 v[52:53], v66 offset:4432
	;; [unrolled: 1-line block ×3, first 2 shown]
	s_waitcnt lgkmcnt(0)
	v_fma_f64 v[4:5], -v[14:15], v[6:7], v[4:5]
	ds_read_b64 v[6:7], v66 offset:3920
	v_fma_f64 v[4:5], -v[12:13], v[50:51], v[4:5]
	ds_read_b64 v[50:51], v66 offset:3664
	v_fma_f64 v[4:5], -v[10:11], v[52:53], v[4:5]
	v_fma_f64 v[4:5], -v[8:9], v[54:55], v[4:5]
	s_waitcnt lgkmcnt(0)
	v_fma_f64 v[4:5], -v[40:41], v[6:7], v[4:5]
	ds_read_b64 v[6:7], v66 offset:3408
	ds_read_b64 v[52:53], v66 offset:3152
	;; [unrolled: 1-line block ×4, first 2 shown]
	v_fma_f64 v[4:5], -v[42:43], v[50:51], v[4:5]
	s_waitcnt lgkmcnt(0)
	v_fma_f64 v[4:5], -v[44:45], v[6:7], v[4:5]
	v_fma_f64 v[4:5], -v[46:47], v[52:53], v[4:5]
	;; [unrolled: 1-line block ×3, first 2 shown]
	v_mul_f64 v[50:51], v[58:59], v[4:5]
	flat_store_dwordx2 v[56:57], v[50:51] offset:80
	ds_read_b64 v[52:53], v66 offset:8008
	ds_read_b64 v[54:55], v66 offset:7752
	flat_load_dwordx4 v[4:7], v[56:57] offset:48
	ds_read_b64 v[58:59], v66 offset:7496
	s_waitcnt lgkmcnt(0)
	v_mul_f64 v[52:53], v[16:17], v[52:53]
	v_fma_f64 v[2:3], s[4:5], v[2:3], -v[52:53]
	ds_read_b64 v[52:53], v66 offset:7240
	v_fma_f64 v[2:3], -v[18:19], v[54:55], v[2:3]
	v_fma_f64 v[2:3], -v[20:21], v[58:59], v[2:3]
	ds_read_b64 v[54:55], v66 offset:6984
	ds_read_b64 v[58:59], v66 offset:6728
	;; [unrolled: 1-line block ×3, first 2 shown]
	s_waitcnt lgkmcnt(0)
	v_fma_f64 v[2:3], -v[22:23], v[52:53], v[2:3]
	ds_read_b64 v[52:53], v66 offset:6216
	v_fma_f64 v[2:3], -v[24:25], v[54:55], v[2:3]
	ds_read_b64 v[54:55], v66 offset:5960
	v_fma_f64 v[2:3], -v[26:27], v[58:59], v[2:3]
	v_fma_f64 v[2:3], -v[28:29], v[60:61], v[2:3]
	s_waitcnt lgkmcnt(0)
	v_fma_f64 v[2:3], -v[30:31], v[52:53], v[2:3]
	ds_read_b64 v[52:53], v66 offset:5704
	ds_read_b64 v[58:59], v66 offset:5448
	;; [unrolled: 1-line block ×3, first 2 shown]
	v_fma_f64 v[2:3], -v[32:33], v[54:55], v[2:3]
	ds_read_b64 v[54:55], v66 offset:4936
	s_waitcnt lgkmcnt(0)
	v_fma_f64 v[2:3], -v[34:35], v[52:53], v[2:3]
	ds_read_b64 v[52:53], v66 offset:4680
	v_fma_f64 v[2:3], -v[36:37], v[58:59], v[2:3]
	v_fma_f64 v[2:3], -v[38:39], v[60:61], v[2:3]
	;; [unrolled: 1-line block ×3, first 2 shown]
	ds_read_b64 v[54:55], v66 offset:4424
	ds_read_b64 v[58:59], v66 offset:4168
	;; [unrolled: 1-line block ×3, first 2 shown]
	s_waitcnt lgkmcnt(0)
	v_fma_f64 v[2:3], -v[12:13], v[52:53], v[2:3]
	ds_read_b64 v[52:53], v66 offset:3656
	v_fma_f64 v[2:3], -v[10:11], v[54:55], v[2:3]
	ds_read_b64 v[54:55], v66 offset:3400
	v_fma_f64 v[2:3], -v[8:9], v[58:59], v[2:3]
	v_fma_f64 v[2:3], -v[40:41], v[60:61], v[2:3]
	s_waitcnt lgkmcnt(0)
	v_fma_f64 v[2:3], -v[42:43], v[52:53], v[2:3]
	ds_read_b64 v[52:53], v66 offset:3144
	ds_read_b64 v[58:59], v66 offset:2888
	;; [unrolled: 1-line block ×4, first 2 shown]
	v_fma_f64 v[2:3], -v[44:45], v[54:55], v[2:3]
	s_waitcnt lgkmcnt(0)
	v_fma_f64 v[2:3], -v[46:47], v[52:53], v[2:3]
	v_fma_f64 v[2:3], -v[48:49], v[58:59], v[2:3]
	;; [unrolled: 1-line block ×3, first 2 shown]
	v_mul_f64 v[52:53], v[62:63], v[2:3]
	flat_store_dwordx2 v[56:57], v[52:53] offset:72
	ds_read_b64 v[2:3], v66 offset:8000
	ds_read_b64 v[54:55], v66 offset:7744
	;; [unrolled: 1-line block ×4, first 2 shown]
	s_waitcnt lgkmcnt(0)
	v_mul_f64 v[2:3], v[16:17], v[2:3]
	v_fma_f64 v[0:1], s[4:5], v[0:1], -v[2:3]
	ds_read_b64 v[2:3], v66 offset:6976
	v_fma_f64 v[0:1], -v[18:19], v[54:55], v[0:1]
	v_fma_f64 v[0:1], -v[20:21], v[58:59], v[0:1]
	;; [unrolled: 1-line block ×3, first 2 shown]
	ds_read_b64 v[54:55], v66 offset:6720
	ds_read_b64 v[58:59], v66 offset:6464
	;; [unrolled: 1-line block ×3, first 2 shown]
	s_waitcnt lgkmcnt(0)
	v_fma_f64 v[0:1], -v[24:25], v[2:3], v[0:1]
	ds_read_b64 v[2:3], v66 offset:5952
	v_fma_f64 v[0:1], -v[26:27], v[54:55], v[0:1]
	ds_read_b64 v[54:55], v66 offset:5696
	v_fma_f64 v[0:1], -v[28:29], v[58:59], v[0:1]
	v_fma_f64 v[0:1], -v[30:31], v[60:61], v[0:1]
	s_waitcnt lgkmcnt(0)
	v_fma_f64 v[0:1], -v[32:33], v[2:3], v[0:1]
	ds_read_b64 v[2:3], v66 offset:5440
	ds_read_b64 v[58:59], v66 offset:5184
	;; [unrolled: 1-line block ×3, first 2 shown]
	v_fma_f64 v[0:1], -v[34:35], v[54:55], v[0:1]
	ds_read_b64 v[54:55], v66 offset:4672
	s_waitcnt lgkmcnt(0)
	v_fma_f64 v[0:1], -v[36:37], v[2:3], v[0:1]
	ds_read_b64 v[2:3], v66 offset:4416
	v_fma_f64 v[0:1], -v[38:39], v[58:59], v[0:1]
	v_fma_f64 v[0:1], -v[14:15], v[60:61], v[0:1]
	;; [unrolled: 1-line block ×3, first 2 shown]
	ds_read_b64 v[54:55], v66 offset:4160
	ds_read_b64 v[58:59], v66 offset:3904
	;; [unrolled: 1-line block ×3, first 2 shown]
	s_waitcnt lgkmcnt(0)
	v_fma_f64 v[0:1], -v[10:11], v[2:3], v[0:1]
	ds_read_b64 v[2:3], v66 offset:3392
	v_fma_f64 v[0:1], -v[8:9], v[54:55], v[0:1]
	ds_read_b64 v[54:55], v66 offset:3136
	v_fma_f64 v[0:1], -v[40:41], v[58:59], v[0:1]
	v_fma_f64 v[0:1], -v[42:43], v[60:61], v[0:1]
	s_waitcnt lgkmcnt(0)
	v_fma_f64 v[0:1], -v[44:45], v[2:3], v[0:1]
	ds_read_b64 v[2:3], v66 offset:2880
	ds_read_b64 v[58:59], v66 offset:2624
	;; [unrolled: 1-line block ×4, first 2 shown]
	v_fma_f64 v[0:1], -v[46:47], v[54:55], v[0:1]
	s_waitcnt lgkmcnt(0)
	v_fma_f64 v[0:1], -v[48:49], v[2:3], v[0:1]
	v_fma_f64 v[0:1], -v[50:51], v[58:59], v[0:1]
	;; [unrolled: 1-line block ×3, first 2 shown]
	v_mul_f64 v[54:55], v[62:63], v[0:1]
	flat_store_dwordx2 v[56:57], v[54:55] offset:64
	ds_read_b64 v[58:59], v66 offset:7992
	flat_load_dwordx4 v[0:3], v[56:57] offset:32
	ds_read_b64 v[60:61], v66 offset:7736
	ds_read_b64 v[62:63], v66 offset:7480
	;; [unrolled: 1-line block ×3, first 2 shown]
	s_waitcnt lgkmcnt(0)
	v_mul_f64 v[58:59], v[16:17], v[58:59]
	s_waitcnt vmcnt(0)
	v_fma_f64 v[6:7], s[4:5], v[6:7], -v[58:59]
	ds_read_b64 v[58:59], v66 offset:6968
	v_fma_f64 v[6:7], -v[18:19], v[60:61], v[6:7]
	ds_read_b64 v[60:61], v66 offset:6712
	v_fma_f64 v[6:7], -v[20:21], v[62:63], v[6:7]
	v_fma_f64 v[6:7], -v[22:23], v[64:65], v[6:7]
	s_waitcnt lgkmcnt(1)
	v_fma_f64 v[6:7], -v[24:25], v[58:59], v[6:7]
	ds_read_b64 v[58:59], v66 offset:6456
	ds_read_b64 v[62:63], v66 offset:6200
	ds_read_b64 v[64:65], v66 offset:5944
	s_waitcnt lgkmcnt(3)
	v_fma_f64 v[6:7], -v[26:27], v[60:61], v[6:7]
	ds_read_b64 v[60:61], v66 offset:5688
	s_waitcnt lgkmcnt(3)
	v_fma_f64 v[6:7], -v[28:29], v[58:59], v[6:7]
	ds_read_b64 v[58:59], v66 offset:5432
	s_waitcnt lgkmcnt(3)
	v_fma_f64 v[6:7], -v[30:31], v[62:63], v[6:7]
	s_waitcnt lgkmcnt(2)
	v_fma_f64 v[6:7], -v[32:33], v[64:65], v[6:7]
	s_waitcnt lgkmcnt(1)
	v_fma_f64 v[6:7], -v[34:35], v[60:61], v[6:7]
	ds_read_b64 v[60:61], v66 offset:5176
	ds_read_b64 v[62:63], v66 offset:4920
	ds_read_b64 v[64:65], v66 offset:4664
	s_waitcnt lgkmcnt(3)
	v_fma_f64 v[6:7], -v[36:37], v[58:59], v[6:7]
	ds_read_b64 v[58:59], v66 offset:4408
	s_waitcnt lgkmcnt(3)
	v_fma_f64 v[6:7], -v[38:39], v[60:61], v[6:7]
	ds_read_b64 v[60:61], v66 offset:4152
	s_waitcnt lgkmcnt(3)
	v_fma_f64 v[6:7], -v[14:15], v[62:63], v[6:7]
	s_waitcnt lgkmcnt(2)
	;; [unrolled: 15-line block ×3, first 2 shown]
	v_fma_f64 v[6:7], -v[44:45], v[64:65], v[6:7]
	s_waitcnt lgkmcnt(1)
	v_fma_f64 v[6:7], -v[46:47], v[60:61], v[6:7]
	ds_read_b64 v[60:61], v66 offset:2616
	ds_read_b64 v[62:63], v66 offset:2360
	;; [unrolled: 1-line block ×4, first 2 shown]
	s_waitcnt lgkmcnt(4)
	v_fma_f64 v[6:7], -v[48:49], v[58:59], v[6:7]
	s_waitcnt lgkmcnt(3)
	v_fma_f64 v[6:7], -v[50:51], v[60:61], v[6:7]
	s_waitcnt lgkmcnt(2)
	v_fma_f64 v[6:7], -v[52:53], v[62:63], v[6:7]
	s_waitcnt lgkmcnt(1)
	v_fma_f64 v[6:7], -v[54:55], v[64:65], v[6:7]
	s_waitcnt lgkmcnt(0)
	v_mul_f64 v[58:59], v[68:69], v[6:7]
	flat_store_dwordx2 v[56:57], v[58:59] offset:56
	ds_read_b64 v[6:7], v66 offset:7984
	ds_read_b64 v[60:61], v66 offset:7728
	s_waitcnt lgkmcnt(0)
	v_mul_f64 v[6:7], v[16:17], v[6:7]
	v_fma_f64 v[4:5], s[4:5], v[4:5], -v[6:7]
	ds_read_b64 v[6:7], v66 offset:7472
	ds_read_b64 v[62:63], v66 offset:7216
	ds_read_b64 v[64:65], v66 offset:6960
	v_fma_f64 v[4:5], -v[18:19], v[60:61], v[4:5]
	ds_read_b64 v[60:61], v66 offset:6704
	s_waitcnt lgkmcnt(0)
	v_fma_f64 v[4:5], -v[20:21], v[6:7], v[4:5]
	ds_read_b64 v[6:7], v66 offset:6448
	v_fma_f64 v[4:5], -v[22:23], v[62:63], v[4:5]
	v_fma_f64 v[4:5], -v[24:25], v[64:65], v[4:5]
	;; [unrolled: 1-line block ×3, first 2 shown]
	ds_read_b64 v[60:61], v66 offset:6192
	ds_read_b64 v[62:63], v66 offset:5936
	;; [unrolled: 1-line block ×3, first 2 shown]
	s_waitcnt lgkmcnt(0)
	v_fma_f64 v[4:5], -v[28:29], v[6:7], v[4:5]
	ds_read_b64 v[6:7], v66 offset:5424
	v_fma_f64 v[4:5], -v[30:31], v[60:61], v[4:5]
	ds_read_b64 v[60:61], v66 offset:5168
	v_fma_f64 v[4:5], -v[32:33], v[62:63], v[4:5]
	v_fma_f64 v[4:5], -v[34:35], v[64:65], v[4:5]
	s_waitcnt lgkmcnt(0)
	v_fma_f64 v[4:5], -v[36:37], v[6:7], v[4:5]
	ds_read_b64 v[6:7], v66 offset:4912
	ds_read_b64 v[62:63], v66 offset:4656
	ds_read_b64 v[64:65], v66 offset:4400
	v_fma_f64 v[4:5], -v[38:39], v[60:61], v[4:5]
	ds_read_b64 v[60:61], v66 offset:4144
	s_waitcnt lgkmcnt(0)
	v_fma_f64 v[4:5], -v[14:15], v[6:7], v[4:5]
	ds_read_b64 v[6:7], v66 offset:3888
	v_fma_f64 v[4:5], -v[12:13], v[62:63], v[4:5]
	v_fma_f64 v[4:5], -v[10:11], v[64:65], v[4:5]
	;; [unrolled: 1-line block ×3, first 2 shown]
	ds_read_b64 v[60:61], v66 offset:3632
	ds_read_b64 v[62:63], v66 offset:3376
	;; [unrolled: 1-line block ×3, first 2 shown]
	s_waitcnt lgkmcnt(0)
	v_fma_f64 v[4:5], -v[40:41], v[6:7], v[4:5]
	ds_read_b64 v[6:7], v66 offset:2864
	v_fma_f64 v[4:5], -v[42:43], v[60:61], v[4:5]
	ds_read_b64 v[60:61], v66 offset:2608
	v_fma_f64 v[4:5], -v[44:45], v[62:63], v[4:5]
	v_fma_f64 v[4:5], -v[46:47], v[64:65], v[4:5]
	s_waitcnt lgkmcnt(0)
	v_fma_f64 v[4:5], -v[48:49], v[6:7], v[4:5]
	ds_read_b64 v[6:7], v66 offset:2352
	ds_read_b64 v[62:63], v66 offset:2096
	;; [unrolled: 1-line block ×4, first 2 shown]
	v_fma_f64 v[4:5], -v[50:51], v[60:61], v[4:5]
	s_waitcnt lgkmcnt(0)
	v_fma_f64 v[4:5], -v[52:53], v[6:7], v[4:5]
	v_fma_f64 v[4:5], -v[54:55], v[62:63], v[4:5]
	;; [unrolled: 1-line block ×3, first 2 shown]
	v_mul_f64 v[60:61], v[68:69], v[4:5]
	flat_store_dwordx2 v[56:57], v[60:61] offset:48
	ds_read_b64 v[62:63], v66 offset:7976
	ds_read_b64 v[64:65], v66 offset:7720
	flat_load_dwordx4 v[4:7], v[56:57] offset:16
	s_waitcnt lgkmcnt(0)
	v_mul_f64 v[62:63], v[16:17], v[62:63]
	v_fma_f64 v[2:3], s[4:5], v[2:3], -v[62:63]
	ds_read_b64 v[62:63], v66 offset:7464
	v_fma_f64 v[2:3], -v[18:19], v[64:65], v[2:3]
	ds_read_b64 v[64:65], v66 offset:7208
	ds_read_b64 v[68:69], v66 offset:6952
	;; [unrolled: 1-line block ×3, first 2 shown]
	s_waitcnt lgkmcnt(0)
	v_fma_f64 v[2:3], -v[20:21], v[62:63], v[2:3]
	ds_read_b64 v[62:63], v66 offset:6440
	v_fma_f64 v[2:3], -v[22:23], v[64:65], v[2:3]
	ds_read_b64 v[64:65], v66 offset:6184
	v_fma_f64 v[2:3], -v[24:25], v[68:69], v[2:3]
	v_fma_f64 v[2:3], -v[26:27], v[70:71], v[2:3]
	s_waitcnt lgkmcnt(0)
	v_fma_f64 v[2:3], -v[28:29], v[62:63], v[2:3]
	ds_read_b64 v[62:63], v66 offset:5928
	ds_read_b64 v[68:69], v66 offset:5672
	;; [unrolled: 1-line block ×3, first 2 shown]
	v_fma_f64 v[2:3], -v[30:31], v[64:65], v[2:3]
	ds_read_b64 v[64:65], v66 offset:5160
	s_waitcnt lgkmcnt(0)
	v_fma_f64 v[2:3], -v[32:33], v[62:63], v[2:3]
	ds_read_b64 v[62:63], v66 offset:4904
	v_fma_f64 v[2:3], -v[34:35], v[68:69], v[2:3]
	v_fma_f64 v[2:3], -v[36:37], v[70:71], v[2:3]
	;; [unrolled: 1-line block ×3, first 2 shown]
	ds_read_b64 v[64:65], v66 offset:4648
	ds_read_b64 v[68:69], v66 offset:4392
	;; [unrolled: 1-line block ×3, first 2 shown]
	s_waitcnt lgkmcnt(0)
	v_fma_f64 v[2:3], -v[14:15], v[62:63], v[2:3]
	ds_read_b64 v[62:63], v66 offset:3880
	v_fma_f64 v[2:3], -v[12:13], v[64:65], v[2:3]
	ds_read_b64 v[64:65], v66 offset:3624
	v_fma_f64 v[2:3], -v[10:11], v[68:69], v[2:3]
	v_fma_f64 v[2:3], -v[8:9], v[70:71], v[2:3]
	s_waitcnt lgkmcnt(0)
	v_fma_f64 v[2:3], -v[40:41], v[62:63], v[2:3]
	ds_read_b64 v[62:63], v66 offset:3368
	ds_read_b64 v[68:69], v66 offset:3112
	;; [unrolled: 1-line block ×3, first 2 shown]
	v_fma_f64 v[2:3], -v[42:43], v[64:65], v[2:3]
	ds_read_b64 v[64:65], v66 offset:2600
	s_waitcnt lgkmcnt(0)
	v_fma_f64 v[2:3], -v[44:45], v[62:63], v[2:3]
	ds_read_b64 v[62:63], v66 offset:2344
	v_fma_f64 v[2:3], -v[46:47], v[68:69], v[2:3]
	v_fma_f64 v[2:3], -v[48:49], v[70:71], v[2:3]
	v_fma_f64 v[2:3], -v[50:51], v[64:65], v[2:3]
	ds_read_b64 v[64:65], v66 offset:2088
	ds_read_b64 v[68:69], v66 offset:1832
	;; [unrolled: 1-line block ×4, first 2 shown]
	s_waitcnt lgkmcnt(0)
	v_fma_f64 v[2:3], -v[52:53], v[62:63], v[2:3]
	v_fma_f64 v[2:3], -v[54:55], v[64:65], v[2:3]
	;; [unrolled: 1-line block ×4, first 2 shown]
	v_mul_f64 v[62:63], v[72:73], v[2:3]
	flat_store_dwordx2 v[56:57], v[62:63] offset:40
	ds_read_b64 v[2:3], v66 offset:7968
	ds_read_b64 v[64:65], v66 offset:7712
	;; [unrolled: 1-line block ×3, first 2 shown]
	s_waitcnt lgkmcnt(0)
	v_mul_f64 v[2:3], v[16:17], v[2:3]
	v_fma_f64 v[0:1], s[4:5], v[0:1], -v[2:3]
	ds_read_b64 v[2:3], v66 offset:7200
	v_fma_f64 v[0:1], -v[18:19], v[64:65], v[0:1]
	v_fma_f64 v[0:1], -v[20:21], v[68:69], v[0:1]
	ds_read_b64 v[64:65], v66 offset:6944
	ds_read_b64 v[68:69], v66 offset:6688
	;; [unrolled: 1-line block ×3, first 2 shown]
	s_waitcnt lgkmcnt(0)
	v_fma_f64 v[0:1], -v[22:23], v[2:3], v[0:1]
	ds_read_b64 v[2:3], v66 offset:6176
	v_fma_f64 v[0:1], -v[24:25], v[64:65], v[0:1]
	ds_read_b64 v[64:65], v66 offset:5920
	v_fma_f64 v[0:1], -v[26:27], v[68:69], v[0:1]
	v_fma_f64 v[0:1], -v[28:29], v[70:71], v[0:1]
	s_waitcnt lgkmcnt(0)
	v_fma_f64 v[0:1], -v[30:31], v[2:3], v[0:1]
	ds_read_b64 v[2:3], v66 offset:5664
	ds_read_b64 v[68:69], v66 offset:5408
	;; [unrolled: 1-line block ×3, first 2 shown]
	v_fma_f64 v[0:1], -v[32:33], v[64:65], v[0:1]
	ds_read_b64 v[64:65], v66 offset:4896
	s_waitcnt lgkmcnt(0)
	v_fma_f64 v[0:1], -v[34:35], v[2:3], v[0:1]
	ds_read_b64 v[2:3], v66 offset:4640
	v_fma_f64 v[0:1], -v[36:37], v[68:69], v[0:1]
	v_fma_f64 v[0:1], -v[38:39], v[70:71], v[0:1]
	;; [unrolled: 1-line block ×3, first 2 shown]
	ds_read_b64 v[64:65], v66 offset:4384
	ds_read_b64 v[68:69], v66 offset:4128
	;; [unrolled: 1-line block ×3, first 2 shown]
	s_waitcnt lgkmcnt(0)
	v_fma_f64 v[0:1], -v[12:13], v[2:3], v[0:1]
	ds_read_b64 v[2:3], v66 offset:3616
	v_fma_f64 v[0:1], -v[10:11], v[64:65], v[0:1]
	ds_read_b64 v[64:65], v66 offset:3360
	v_fma_f64 v[0:1], -v[8:9], v[68:69], v[0:1]
	v_fma_f64 v[0:1], -v[40:41], v[70:71], v[0:1]
	s_waitcnt lgkmcnt(0)
	v_fma_f64 v[0:1], -v[42:43], v[2:3], v[0:1]
	ds_read_b64 v[2:3], v66 offset:3104
	ds_read_b64 v[68:69], v66 offset:2848
	;; [unrolled: 1-line block ×3, first 2 shown]
	v_fma_f64 v[0:1], -v[44:45], v[64:65], v[0:1]
	ds_read_b64 v[64:65], v66 offset:2336
	s_waitcnt lgkmcnt(0)
	v_fma_f64 v[0:1], -v[46:47], v[2:3], v[0:1]
	ds_read_b64 v[2:3], v66 offset:2080
	v_fma_f64 v[0:1], -v[48:49], v[68:69], v[0:1]
	v_fma_f64 v[0:1], -v[50:51], v[70:71], v[0:1]
	;; [unrolled: 1-line block ×3, first 2 shown]
	ds_read_b64 v[64:65], v66 offset:1824
	ds_read_b64 v[68:69], v66 offset:1568
	;; [unrolled: 1-line block ×4, first 2 shown]
	s_waitcnt lgkmcnt(0)
	v_fma_f64 v[0:1], -v[54:55], v[2:3], v[0:1]
	v_fma_f64 v[0:1], -v[58:59], v[64:65], v[0:1]
	;; [unrolled: 1-line block ×4, first 2 shown]
	v_mul_f64 v[64:65], v[72:73], v[0:1]
	flat_store_dwordx2 v[56:57], v[64:65] offset:32
	ds_read_b64 v[68:69], v66 offset:7960
	flat_load_dwordx4 v[0:3], v[56:57]
	ds_read_b64 v[70:71], v66 offset:7704
	ds_read_b64 v[72:73], v66 offset:7448
	;; [unrolled: 1-line block ×3, first 2 shown]
	s_waitcnt lgkmcnt(0)
	v_mul_f64 v[68:69], v[16:17], v[68:69]
	s_waitcnt vmcnt(0)
	v_fma_f64 v[6:7], s[4:5], v[6:7], -v[68:69]
	ds_read_b64 v[68:69], v66 offset:6936
	v_fma_f64 v[6:7], -v[18:19], v[70:71], v[6:7]
	v_fma_f64 v[6:7], -v[20:21], v[72:73], v[6:7]
	;; [unrolled: 1-line block ×3, first 2 shown]
	ds_read_b64 v[70:71], v66 offset:6680
	ds_read_b64 v[72:73], v66 offset:6424
	ds_read_b64 v[74:75], v66 offset:6168
	s_waitcnt lgkmcnt(3)
	v_fma_f64 v[6:7], -v[24:25], v[68:69], v[6:7]
	ds_read_b64 v[68:69], v66 offset:5912
	s_waitcnt lgkmcnt(3)
	v_fma_f64 v[6:7], -v[26:27], v[70:71], v[6:7]
	ds_read_b64 v[70:71], v66 offset:5656
	s_waitcnt lgkmcnt(3)
	v_fma_f64 v[6:7], -v[28:29], v[72:73], v[6:7]
	s_waitcnt lgkmcnt(2)
	v_fma_f64 v[6:7], -v[30:31], v[74:75], v[6:7]
	s_waitcnt lgkmcnt(1)
	v_fma_f64 v[6:7], -v[32:33], v[68:69], v[6:7]
	ds_read_b64 v[68:69], v66 offset:5400
	ds_read_b64 v[72:73], v66 offset:5144
	ds_read_b64 v[74:75], v66 offset:4888
	s_waitcnt lgkmcnt(3)
	v_fma_f64 v[6:7], -v[34:35], v[70:71], v[6:7]
	ds_read_b64 v[70:71], v66 offset:4632
	s_waitcnt lgkmcnt(3)
	v_fma_f64 v[6:7], -v[36:37], v[68:69], v[6:7]
	ds_read_b64 v[68:69], v66 offset:4376
	s_waitcnt lgkmcnt(3)
	v_fma_f64 v[6:7], -v[38:39], v[72:73], v[6:7]
	s_waitcnt lgkmcnt(2)
	v_fma_f64 v[6:7], -v[14:15], v[74:75], v[6:7]
	s_waitcnt lgkmcnt(1)
	v_fma_f64 v[6:7], -v[12:13], v[70:71], v[6:7]
	;; [unrolled: 15-line block ×4, first 2 shown]
	ds_read_b64 v[70:71], v66 offset:1560
	ds_read_b64 v[72:73], v66 offset:1304
	;; [unrolled: 1-line block ×4, first 2 shown]
	s_waitcnt lgkmcnt(4)
	v_fma_f64 v[6:7], -v[58:59], v[68:69], v[6:7]
	s_waitcnt lgkmcnt(3)
	v_fma_f64 v[6:7], -v[60:61], v[70:71], v[6:7]
	;; [unrolled: 2-line block ×4, first 2 shown]
	s_waitcnt lgkmcnt(0)
	v_mul_f64 v[6:7], v[76:77], v[6:7]
	flat_store_dwordx2 v[56:57], v[6:7] offset:24
	ds_read_b64 v[68:69], v66 offset:7952
	ds_read_b64 v[70:71], v66 offset:7696
	ds_read_b64 v[72:73], v66 offset:7440
	ds_read_b64 v[74:75], v66 offset:7184
	s_waitcnt lgkmcnt(0)
	v_mul_f64 v[68:69], v[16:17], v[68:69]
	v_fma_f64 v[4:5], s[4:5], v[4:5], -v[68:69]
	ds_read_b64 v[68:69], v66 offset:6928
	v_fma_f64 v[4:5], -v[18:19], v[70:71], v[4:5]
	ds_read_b64 v[70:71], v66 offset:6672
	v_fma_f64 v[4:5], -v[20:21], v[72:73], v[4:5]
	v_fma_f64 v[4:5], -v[22:23], v[74:75], v[4:5]
	s_waitcnt lgkmcnt(0)
	v_fma_f64 v[4:5], -v[24:25], v[68:69], v[4:5]
	ds_read_b64 v[68:69], v66 offset:6416
	ds_read_b64 v[72:73], v66 offset:6160
	;; [unrolled: 1-line block ×3, first 2 shown]
	v_fma_f64 v[4:5], -v[26:27], v[70:71], v[4:5]
	ds_read_b64 v[70:71], v66 offset:5648
	s_waitcnt lgkmcnt(0)
	v_fma_f64 v[4:5], -v[28:29], v[68:69], v[4:5]
	ds_read_b64 v[68:69], v66 offset:5392
	v_fma_f64 v[4:5], -v[30:31], v[72:73], v[4:5]
	v_fma_f64 v[4:5], -v[32:33], v[74:75], v[4:5]
	;; [unrolled: 1-line block ×3, first 2 shown]
	ds_read_b64 v[70:71], v66 offset:5136
	ds_read_b64 v[72:73], v66 offset:4880
	;; [unrolled: 1-line block ×3, first 2 shown]
	s_waitcnt lgkmcnt(0)
	v_fma_f64 v[4:5], -v[36:37], v[68:69], v[4:5]
	ds_read_b64 v[68:69], v66 offset:4368
	v_fma_f64 v[4:5], -v[38:39], v[70:71], v[4:5]
	ds_read_b64 v[70:71], v66 offset:4112
	v_fma_f64 v[4:5], -v[14:15], v[72:73], v[4:5]
	v_fma_f64 v[4:5], -v[12:13], v[74:75], v[4:5]
	s_waitcnt lgkmcnt(0)
	v_fma_f64 v[4:5], -v[10:11], v[68:69], v[4:5]
	ds_read_b64 v[68:69], v66 offset:3856
	ds_read_b64 v[72:73], v66 offset:3600
	;; [unrolled: 1-line block ×3, first 2 shown]
	v_fma_f64 v[4:5], -v[8:9], v[70:71], v[4:5]
	ds_read_b64 v[70:71], v66 offset:3088
	s_waitcnt lgkmcnt(0)
	v_fma_f64 v[4:5], -v[40:41], v[68:69], v[4:5]
	ds_read_b64 v[68:69], v66 offset:2832
	v_fma_f64 v[4:5], -v[42:43], v[72:73], v[4:5]
	v_fma_f64 v[4:5], -v[44:45], v[74:75], v[4:5]
	;; [unrolled: 1-line block ×3, first 2 shown]
	ds_read_b64 v[70:71], v66 offset:2576
	ds_read_b64 v[72:73], v66 offset:2320
	ds_read_b64 v[74:75], v66 offset:2064
	s_waitcnt lgkmcnt(0)
	v_fma_f64 v[4:5], -v[48:49], v[68:69], v[4:5]
	ds_read_b64 v[68:69], v66 offset:1808
	v_fma_f64 v[4:5], -v[50:51], v[70:71], v[4:5]
	ds_read_b64 v[70:71], v66 offset:1552
	v_fma_f64 v[4:5], -v[52:53], v[72:73], v[4:5]
	v_fma_f64 v[4:5], -v[54:55], v[74:75], v[4:5]
	s_waitcnt lgkmcnt(0)
	v_fma_f64 v[4:5], -v[58:59], v[68:69], v[4:5]
	ds_read_b64 v[68:69], v66 offset:1296
	ds_read_b64 v[72:73], v66 offset:1040
	;; [unrolled: 1-line block ×4, first 2 shown]
	v_fma_f64 v[4:5], -v[60:61], v[70:71], v[4:5]
	s_waitcnt lgkmcnt(0)
	v_fma_f64 v[4:5], -v[62:63], v[68:69], v[4:5]
	v_fma_f64 v[4:5], -v[64:65], v[72:73], v[4:5]
	;; [unrolled: 1-line block ×3, first 2 shown]
	v_mul_f64 v[4:5], v[76:77], v[4:5]
	flat_store_dwordx2 v[56:57], v[4:5] offset:16
	ds_read_b64 v[68:69], v66 offset:7944
	ds_read_b64 v[70:71], v66 offset:7688
	s_waitcnt lgkmcnt(0)
	v_mul_f64 v[68:69], v[16:17], v[68:69]
	v_fma_f64 v[2:3], s[4:5], v[2:3], -v[68:69]
	ds_read_b64 v[68:69], v66 offset:7432
	ds_read_b64 v[72:73], v66 offset:7176
	;; [unrolled: 1-line block ×3, first 2 shown]
	v_fma_f64 v[2:3], -v[18:19], v[70:71], v[2:3]
	ds_read_b64 v[70:71], v66 offset:6664
	s_waitcnt lgkmcnt(0)
	v_fma_f64 v[2:3], -v[20:21], v[68:69], v[2:3]
	ds_read_b64 v[68:69], v66 offset:6408
	v_fma_f64 v[2:3], -v[22:23], v[72:73], v[2:3]
	v_fma_f64 v[2:3], -v[24:25], v[74:75], v[2:3]
	;; [unrolled: 1-line block ×3, first 2 shown]
	ds_read_b64 v[70:71], v66 offset:6152
	ds_read_b64 v[72:73], v66 offset:5896
	;; [unrolled: 1-line block ×3, first 2 shown]
	s_waitcnt lgkmcnt(0)
	v_fma_f64 v[2:3], -v[28:29], v[68:69], v[2:3]
	ds_read_b64 v[68:69], v66 offset:5384
	v_fma_f64 v[2:3], -v[30:31], v[70:71], v[2:3]
	ds_read_b64 v[70:71], v66 offset:5128
	v_fma_f64 v[2:3], -v[32:33], v[72:73], v[2:3]
	v_fma_f64 v[2:3], -v[34:35], v[74:75], v[2:3]
	s_waitcnt lgkmcnt(0)
	v_fma_f64 v[2:3], -v[36:37], v[68:69], v[2:3]
	ds_read_b64 v[68:69], v66 offset:4872
	ds_read_b64 v[72:73], v66 offset:4616
	;; [unrolled: 1-line block ×3, first 2 shown]
	v_fma_f64 v[2:3], -v[38:39], v[70:71], v[2:3]
	ds_read_b64 v[70:71], v66 offset:4104
	s_waitcnt lgkmcnt(0)
	v_fma_f64 v[2:3], -v[14:15], v[68:69], v[2:3]
	ds_read_b64 v[68:69], v66 offset:3848
	v_fma_f64 v[2:3], -v[12:13], v[72:73], v[2:3]
	v_fma_f64 v[2:3], -v[10:11], v[74:75], v[2:3]
	;; [unrolled: 1-line block ×3, first 2 shown]
	ds_read_b64 v[70:71], v66 offset:3592
	ds_read_b64 v[72:73], v66 offset:3336
	;; [unrolled: 1-line block ×3, first 2 shown]
	s_waitcnt lgkmcnt(0)
	v_fma_f64 v[2:3], -v[40:41], v[68:69], v[2:3]
	ds_read_b64 v[68:69], v66 offset:2824
	v_fma_f64 v[2:3], -v[42:43], v[70:71], v[2:3]
	ds_read_b64 v[70:71], v66 offset:2568
	v_fma_f64 v[2:3], -v[44:45], v[72:73], v[2:3]
	v_fma_f64 v[2:3], -v[46:47], v[74:75], v[2:3]
	s_waitcnt lgkmcnt(0)
	v_fma_f64 v[2:3], -v[48:49], v[68:69], v[2:3]
	ds_read_b64 v[68:69], v66 offset:2312
	ds_read_b64 v[72:73], v66 offset:2056
	;; [unrolled: 1-line block ×3, first 2 shown]
	v_fma_f64 v[2:3], -v[50:51], v[70:71], v[2:3]
	ds_read_b64 v[70:71], v66 offset:1544
	s_waitcnt lgkmcnt(0)
	v_fma_f64 v[2:3], -v[52:53], v[68:69], v[2:3]
	ds_read_b64 v[68:69], v66 offset:1288
	v_fma_f64 v[2:3], -v[54:55], v[72:73], v[2:3]
	v_fma_f64 v[2:3], -v[58:59], v[74:75], v[2:3]
	;; [unrolled: 1-line block ×3, first 2 shown]
	ds_read_b64 v[70:71], v66 offset:1032
	ds_read_b64 v[72:73], v66 offset:776
	;; [unrolled: 1-line block ×4, first 2 shown]
	s_waitcnt lgkmcnt(0)
	v_fma_f64 v[2:3], -v[62:63], v[68:69], v[2:3]
	v_fma_f64 v[2:3], -v[64:65], v[70:71], v[2:3]
	;; [unrolled: 1-line block ×4, first 2 shown]
	v_mul_f64 v[68:69], v[76:77], v[2:3]
	flat_store_dwordx2 v[56:57], v[68:69] offset:8
	ds_read_b64 v[2:3], v66 offset:7936
	ds_read_b64 v[70:71], v66 offset:7680
	s_waitcnt lgkmcnt(0)
	v_mul_f64 v[2:3], v[16:17], v[2:3]
	v_fma_f64 v[0:1], s[4:5], v[0:1], -v[2:3]
	ds_read_b64 v[2:3], v66 offset:7424
	ds_read_b64 v[16:17], v66 offset:7168
	ds_read_b64 v[72:73], v66 offset:6912
	v_fma_f64 v[0:1], -v[18:19], v[70:71], v[0:1]
	ds_read_b64 v[18:19], v66 offset:6656
	s_waitcnt lgkmcnt(0)
	v_fma_f64 v[0:1], -v[20:21], v[2:3], v[0:1]
	ds_read_b64 v[2:3], v66 offset:6400
	v_fma_f64 v[0:1], -v[22:23], v[16:17], v[0:1]
	v_fma_f64 v[0:1], -v[24:25], v[72:73], v[0:1]
	;; [unrolled: 1-line block ×3, first 2 shown]
	ds_read_b64 v[16:17], v66 offset:6144
	ds_read_b64 v[18:19], v66 offset:5888
	ds_read_b64 v[20:21], v66 offset:5632
	s_waitcnt lgkmcnt(0)
	v_fma_f64 v[0:1], -v[28:29], v[2:3], v[0:1]
	ds_read_b64 v[2:3], v66 offset:5376
	v_fma_f64 v[0:1], -v[30:31], v[16:17], v[0:1]
	ds_read_b64 v[16:17], v66 offset:5120
	v_fma_f64 v[0:1], -v[32:33], v[18:19], v[0:1]
	v_fma_f64 v[0:1], -v[34:35], v[20:21], v[0:1]
	s_waitcnt lgkmcnt(0)
	v_fma_f64 v[0:1], -v[36:37], v[2:3], v[0:1]
	ds_read_b64 v[2:3], v66 offset:4864
	ds_read_b64 v[18:19], v66 offset:4608
	;; [unrolled: 1-line block ×3, first 2 shown]
	v_fma_f64 v[0:1], -v[38:39], v[16:17], v[0:1]
	ds_read_b64 v[16:17], v66 offset:4096
	s_waitcnt lgkmcnt(0)
	v_fma_f64 v[0:1], -v[14:15], v[2:3], v[0:1]
	ds_read_b64 v[2:3], v66 offset:3840
	v_fma_f64 v[0:1], -v[12:13], v[18:19], v[0:1]
	v_fma_f64 v[0:1], -v[10:11], v[20:21], v[0:1]
	;; [unrolled: 1-line block ×3, first 2 shown]
	ds_read_b64 v[8:9], v66 offset:3584
	ds_read_b64 v[10:11], v66 offset:3328
	;; [unrolled: 1-line block ×3, first 2 shown]
	s_waitcnt lgkmcnt(0)
	v_fma_f64 v[0:1], -v[40:41], v[2:3], v[0:1]
	ds_read_b64 v[2:3], v66 offset:2816
	v_fma_f64 v[0:1], -v[42:43], v[8:9], v[0:1]
	ds_read_b64 v[8:9], v66 offset:2560
	v_fma_f64 v[0:1], -v[44:45], v[10:11], v[0:1]
	v_fma_f64 v[0:1], -v[46:47], v[12:13], v[0:1]
	s_waitcnt lgkmcnt(0)
	v_fma_f64 v[0:1], -v[48:49], v[2:3], v[0:1]
	ds_read_b64 v[2:3], v66 offset:2304
	ds_read_b64 v[10:11], v66 offset:2048
	;; [unrolled: 1-line block ×4, first 2 shown]
	v_fma_f64 v[0:1], -v[50:51], v[8:9], v[0:1]
	s_waitcnt lgkmcnt(0)
	v_fma_f64 v[0:1], -v[52:53], v[2:3], v[0:1]
	v_fma_f64 v[0:1], -v[54:55], v[10:11], v[0:1]
	v_fma_f64 v[0:1], -v[58:59], v[12:13], v[0:1]
	v_fma_f64 v[8:9], -v[60:61], v[14:15], v[0:1]
	ds_read_b64 v[10:11], v66 offset:1280
	ds_read_b64 v[12:13], v66 offset:1024
	;; [unrolled: 1-line block ×4, first 2 shown]
	ds_read2_b64 v[0:3], v66 offset1:32
	s_waitcnt lgkmcnt(0)
	v_fma_f64 v[8:9], -v[62:63], v[10:11], v[8:9]
	v_fma_f64 v[8:9], -v[64:65], v[12:13], v[8:9]
	v_fma_f64 v[6:7], -v[6:7], v[14:15], v[8:9]
	v_fma_f64 v[4:5], -v[4:5], v[16:17], v[6:7]
	v_fma_f64 v[2:3], -v[68:69], v[2:3], v[4:5]
	v_mul_f64 v[0:1], v[0:1], v[2:3]
	flat_store_dwordx2 v[56:57], v[0:1]
.LBB103_28:
	s_cmp_gt_i32 s0, -1
	s_cbranch_scc0 .LBB103_51
; %bb.29:
	s_cmp_lt_u32 s0, 27
	s_cbranch_scc1 .LBB103_34
; %bb.30:
	s_mov_b32 s3, 0
	s_mov_b32 s1, s3
	v_lshl_add_u64 v[8:9], s[0:1], 3, v[56:57]
	v_add_co_u32_e32 v4, vcc, -8, v8
	s_cmp_le_i32 s8, s0
	s_nop 0
	v_addc_co_u32_e32 v5, vcc, -1, v9, vcc
	v_add_co_u32_e32 v6, vcc, 0xffffffe8, v8
	s_nop 1
	v_addc_co_u32_e32 v7, vcc, -1, v9, vcc
	flat_load_dwordx4 v[0:3], v[4:5]
	flat_load_dwordx4 v[12:15], v[6:7]
	v_add_co_u32_e32 v4, vcc, 0xffffffd8, v8
	s_waitcnt vmcnt(0) lgkmcnt(0)
	v_mul_f64 v[58:59], s[4:5], v[0:1]
	v_addc_co_u32_e32 v5, vcc, -1, v9, vcc
	v_add_co_u32_e32 v6, vcc, 0xffffffc8, v8
	v_mul_f64 v[10:11], s[4:5], v[14:15]
	s_nop 0
	v_addc_co_u32_e32 v7, vcc, -1, v9, vcc
	flat_load_dwordx4 v[16:19], v[4:5]
	flat_load_dwordx4 v[22:25], v[6:7]
	v_add_co_u32_e32 v4, vcc, 0xffffffb8, v8
	v_mul_f64 v[12:13], s[4:5], v[12:13]
	s_nop 0
	v_addc_co_u32_e32 v5, vcc, -1, v9, vcc
	v_add_co_u32_e32 v6, vcc, 0xffffffa8, v8
	s_waitcnt vmcnt(0) lgkmcnt(0)
	v_mul_f64 v[14:15], s[4:5], v[18:19]
	v_addc_co_u32_e32 v7, vcc, -1, v9, vcc
	flat_load_dwordx4 v[28:31], v[4:5]
	flat_load_dwordx4 v[34:37], v[6:7]
	v_add_co_u32_e32 v4, vcc, 0xffffff98, v8
	v_mul_f64 v[18:19], s[4:5], v[16:17]
	s_nop 0
	v_addc_co_u32_e32 v5, vcc, -1, v9, vcc
	v_add_co_u32_e32 v6, vcc, 0xffffff88, v8
	v_mul_f64 v[20:21], s[4:5], v[24:25]
	s_nop 0
	v_addc_co_u32_e32 v7, vcc, -1, v9, vcc
	flat_load_dwordx4 v[40:43], v[4:5]
	flat_load_dwordx4 v[46:49], v[6:7]
	v_add_co_u32_e32 v4, vcc, 0xffffff78, v8
	v_mul_f64 v[22:23], s[4:5], v[22:23]
	s_nop 0
	v_addc_co_u32_e32 v5, vcc, -1, v9, vcc
	v_add_co_u32_e32 v6, vcc, 0xffffff68, v8
	s_waitcnt vmcnt(0) lgkmcnt(0)
	v_mul_f64 v[26:27], s[4:5], v[30:31]
	v_addc_co_u32_e32 v7, vcc, -1, v9, vcc
	flat_load_dwordx4 v[50:53], v[4:5]
	flat_load_dwordx4 v[60:63], v[6:7]
	v_add_co_u32_e32 v4, vcc, 0xffffff58, v8
	v_mul_f64 v[28:29], s[4:5], v[28:29]
	s_nop 0
	v_addc_co_u32_e32 v5, vcc, -1, v9, vcc
	v_add_co_u32_e32 v6, vcc, 0xffffff48, v8
	v_mul_f64 v[32:33], s[4:5], v[36:37]
	s_nop 0
	v_addc_co_u32_e32 v7, vcc, -1, v9, vcc
	flat_load_dwordx4 v[64:67], v[4:5]
	flat_load_dwordx4 v[68:71], v[6:7]
	v_add_co_u32_e32 v4, vcc, 0xffffff38, v8
	v_mul_f64 v[6:7], s[4:5], v[2:3]
	s_nop 0
	v_addc_co_u32_e32 v5, vcc, -1, v9, vcc
	flat_load_dwordx4 v[72:75], v[4:5]
	v_add_co_u32_e32 v4, vcc, 0xffffff28, v8
	v_mul_f64 v[34:35], s[4:5], v[34:35]
	s_nop 0
	v_addc_co_u32_e32 v5, vcc, -1, v9, vcc
	flat_load_dwordx4 v[76:79], v[4:5]
	v_mul_f64 v[38:39], s[4:5], v[42:43]
	v_mul_f64 v[40:41], s[4:5], v[40:41]
	;; [unrolled: 1-line block ×4, first 2 shown]
	s_waitcnt vmcnt(0) lgkmcnt(0)
	v_mul_f64 v[52:53], s[4:5], v[52:53]
	v_mul_f64 v[54:55], s[4:5], v[50:51]
	;; [unrolled: 1-line block ×12, first 2 shown]
	s_cbranch_scc1 .LBB103_33
; %bb.31:
	s_lshl_b32 s1, s22, 8
	s_lshl_b32 s2, s0, 3
	s_add_i32 s1, s1, s2
	s_addk_i32 s1, 0xfe28
	s_mov_b32 s2, s8
.LBB103_32:                             ; =>This Inner Loop Header: Depth=1
	v_lshl_add_u64 v[60:61], s[2:3], 3, v[56:57]
	flat_load_dwordx2 v[92:93], v[60:61]
	v_mov_b32_e32 v88, s1
	ds_read2_b64 v[60:63], v88 offset0:26 offset1:27
	ds_read2_b64 v[64:67], v88 offset0:24 offset1:25
	;; [unrolled: 1-line block ×7, first 2 shown]
	s_add_i32 s2, s2, -1
	s_addk_i32 s1, 0xff00
	s_cmp_gt_i32 s2, s0
	s_waitcnt vmcnt(0) lgkmcnt(0)
	v_fma_f64 v[6:7], -v[92:93], v[62:63], v[6:7]
	v_fma_f64 v[58:59], -v[92:93], v[60:61], v[58:59]
	ds_read2_b64 v[60:63], v88 offset0:12 offset1:13
	v_fma_f64 v[10:11], -v[92:93], v[66:67], v[10:11]
	v_fma_f64 v[12:13], -v[92:93], v[64:65], v[12:13]
	ds_read2_b64 v[64:67], v88 offset0:10 offset1:11
	;; [unrolled: 3-line block ×6, first 2 shown]
	ds_read2_b64 v[88:91], v88 offset1:1
	v_fma_f64 v[38:39], -v[92:93], v[86:87], v[38:39]
	v_fma_f64 v[40:41], -v[92:93], v[84:85], v[40:41]
	s_waitcnt lgkmcnt(6)
	v_fma_f64 v[44:45], -v[92:93], v[62:63], v[44:45]
	v_fma_f64 v[48:49], -v[92:93], v[60:61], v[48:49]
	s_waitcnt lgkmcnt(5)
	;; [unrolled: 3-line block ×7, first 2 shown]
	v_fma_f64 v[2:3], -v[92:93], v[90:91], v[2:3]
	v_fma_f64 v[0:1], -v[92:93], v[88:89], v[0:1]
	s_cbranch_scc1 .LBB103_32
.LBB103_33:
	s_mul_i32 s1, s0, 0x108
	v_mov_b32_e32 v60, s1
	ds_read_b64 v[60:61], v60
	s_add_i32 s2, s0, -1
	s_lshl_b32 s9, s0, 8
	s_lshl_b32 s3, s2, 3
	;; [unrolled: 1-line block ×3, first 2 shown]
	s_add_i32 s6, s3, s9
	s_waitcnt lgkmcnt(0)
	v_mul_f64 v[6:7], v[60:61], v[6:7]
	s_add_i32 s3, s3, s10
	flat_store_dwordx2 v[8:9], v[6:7]
	v_mov_b32_e32 v8, s6
	v_mov_b32_e32 v60, s3
	ds_read_b64 v[8:9], v8
	ds_read_b64 v[60:61], v60
	s_mov_b32 s3, 0
	s_waitcnt lgkmcnt(0)
	v_fma_f64 v[8:9], -v[6:7], v[8:9], v[58:59]
	v_lshl_add_u64 v[58:59], s[2:3], 3, v[56:57]
	s_add_i32 s2, s0, -2
	s_lshl_b32 s6, s2, 3
	v_mul_f64 v[8:9], v[60:61], v[8:9]
	s_add_i32 s7, s6, s9
	s_lshl_b32 s11, s2, 8
	flat_store_dwordx2 v[58:59], v[8:9]
	v_mov_b32_e32 v58, s7
	s_add_i32 s7, s6, s10
	s_add_i32 s6, s6, s11
	v_mov_b32_e32 v60, s7
	v_mov_b32_e32 v62, s6
	ds_read_b64 v[58:59], v58
	ds_read_b64 v[60:61], v60
	;; [unrolled: 1-line block ×3, first 2 shown]
	s_waitcnt lgkmcnt(0)
	v_fma_f64 v[10:11], -v[6:7], v[58:59], v[10:11]
	v_lshl_add_u64 v[58:59], s[2:3], 3, v[56:57]
	s_add_i32 s2, s0, -3
	v_fma_f64 v[10:11], -v[8:9], v[60:61], v[10:11]
	s_lshl_b32 s6, s2, 3
	v_mul_f64 v[10:11], v[62:63], v[10:11]
	s_add_i32 s7, s6, s9
	flat_store_dwordx2 v[58:59], v[10:11]
	v_mov_b32_e32 v58, s7
	s_add_i32 s7, s6, s10
	s_lshl_b32 s12, s2, 8
	v_mov_b32_e32 v60, s7
	s_add_i32 s7, s6, s11
	s_add_i32 s6, s6, s12
	v_mov_b32_e32 v62, s7
	v_mov_b32_e32 v64, s6
	ds_read_b64 v[58:59], v58
	ds_read_b64 v[60:61], v60
	;; [unrolled: 1-line block ×4, first 2 shown]
	s_waitcnt lgkmcnt(0)
	v_fma_f64 v[12:13], -v[6:7], v[58:59], v[12:13]
	v_fma_f64 v[12:13], -v[8:9], v[60:61], v[12:13]
	v_lshl_add_u64 v[58:59], s[2:3], 3, v[56:57]
	s_add_i32 s2, s0, -4
	v_fma_f64 v[12:13], -v[10:11], v[62:63], v[12:13]
	s_lshl_b32 s6, s2, 3
	v_mul_f64 v[12:13], v[64:65], v[12:13]
	s_add_i32 s7, s6, s9
	flat_store_dwordx2 v[58:59], v[12:13]
	v_mov_b32_e32 v58, s7
	s_add_i32 s7, s6, s10
	v_mov_b32_e32 v60, s7
	s_add_i32 s7, s6, s11
	;; [unrolled: 2-line block ×3, first 2 shown]
	s_lshl_b32 s13, s2, 8
	v_mov_b32_e32 v64, s7
	s_add_i32 s6, s6, s13
	ds_read_b64 v[58:59], v58
	ds_read_b64 v[60:61], v60
	;; [unrolled: 1-line block ×4, first 2 shown]
	v_mov_b32_e32 v66, s6
	ds_read_b64 v[66:67], v66
	s_waitcnt lgkmcnt(0)
	v_fma_f64 v[14:15], -v[6:7], v[58:59], v[14:15]
	v_fma_f64 v[14:15], -v[8:9], v[60:61], v[14:15]
	;; [unrolled: 1-line block ×3, first 2 shown]
	v_lshl_add_u64 v[58:59], s[2:3], 3, v[56:57]
	s_add_i32 s2, s0, -5
	v_fma_f64 v[14:15], -v[12:13], v[64:65], v[14:15]
	s_lshl_b32 s6, s2, 3
	v_mul_f64 v[14:15], v[66:67], v[14:15]
	s_add_i32 s7, s6, s9
	flat_store_dwordx2 v[58:59], v[14:15]
	v_mov_b32_e32 v58, s7
	ds_read_b64 v[58:59], v58
	s_add_i32 s7, s6, s10
	v_mov_b32_e32 v60, s7
	s_add_i32 s7, s6, s11
	v_mov_b32_e32 v62, s7
	s_add_i32 s7, s6, s12
	v_mov_b32_e32 v64, s7
	s_lshl_b32 s14, s2, 8
	ds_read_b64 v[60:61], v60
	ds_read_b64 v[62:63], v62
	;; [unrolled: 1-line block ×3, first 2 shown]
	s_add_i32 s7, s6, s13
	s_add_i32 s6, s6, s14
	s_waitcnt lgkmcnt(0)
	v_fma_f64 v[18:19], -v[6:7], v[58:59], v[18:19]
	v_mov_b32_e32 v58, s7
	v_mov_b32_e32 v66, s6
	ds_read_b64 v[58:59], v58
	ds_read_b64 v[66:67], v66
	v_fma_f64 v[18:19], -v[8:9], v[60:61], v[18:19]
	v_fma_f64 v[18:19], -v[10:11], v[62:63], v[18:19]
	;; [unrolled: 1-line block ×3, first 2 shown]
	s_waitcnt lgkmcnt(0)
	v_fma_f64 v[18:19], -v[14:15], v[58:59], v[18:19]
	v_lshl_add_u64 v[58:59], s[2:3], 3, v[56:57]
	s_add_i32 s2, s0, -6
	s_lshl_b32 s6, s2, 3
	v_mul_f64 v[18:19], v[66:67], v[18:19]
	s_add_i32 s7, s6, s9
	flat_store_dwordx2 v[58:59], v[18:19]
	v_mov_b32_e32 v58, s7
	s_add_i32 s7, s6, s10
	v_mov_b32_e32 v60, s7
	ds_read_b64 v[58:59], v58
	ds_read_b64 v[60:61], v60
	s_add_i32 s7, s6, s11
	v_mov_b32_e32 v62, s7
	s_add_i32 s7, s6, s12
	v_mov_b32_e32 v64, s7
	ds_read_b64 v[62:63], v62
	ds_read_b64 v[64:65], v64
	s_add_i32 s7, s6, s13
	s_lshl_b32 s15, s2, 8
	s_waitcnt lgkmcnt(0)
	v_fma_f64 v[20:21], -v[6:7], v[58:59], v[20:21]
	v_mov_b32_e32 v58, s7
	s_add_i32 s7, s6, s14
	s_add_i32 s6, s6, s15
	v_fma_f64 v[20:21], -v[8:9], v[60:61], v[20:21]
	v_mov_b32_e32 v60, s7
	v_mov_b32_e32 v66, s6
	ds_read_b64 v[58:59], v58
	ds_read_b64 v[60:61], v60
	;; [unrolled: 1-line block ×3, first 2 shown]
	v_fma_f64 v[20:21], -v[10:11], v[62:63], v[20:21]
	v_fma_f64 v[20:21], -v[12:13], v[64:65], v[20:21]
	s_waitcnt lgkmcnt(0)
	v_fma_f64 v[20:21], -v[14:15], v[58:59], v[20:21]
	v_lshl_add_u64 v[58:59], s[2:3], 3, v[56:57]
	s_add_i32 s2, s0, -7
	v_fma_f64 v[20:21], -v[18:19], v[60:61], v[20:21]
	s_lshl_b32 s6, s2, 3
	v_mul_f64 v[20:21], v[66:67], v[20:21]
	s_add_i32 s7, s6, s9
	flat_store_dwordx2 v[58:59], v[20:21]
	v_mov_b32_e32 v58, s7
	s_add_i32 s7, s6, s10
	v_mov_b32_e32 v60, s7
	s_add_i32 s7, s6, s11
	v_mov_b32_e32 v62, s7
	ds_read_b64 v[58:59], v58
	ds_read_b64 v[60:61], v60
	;; [unrolled: 1-line block ×3, first 2 shown]
	s_add_i32 s7, s6, s12
	v_mov_b32_e32 v64, s7
	ds_read_b64 v[64:65], v64
	s_add_i32 s7, s6, s13
	s_waitcnt lgkmcnt(0)
	v_fma_f64 v[22:23], -v[6:7], v[58:59], v[22:23]
	v_mov_b32_e32 v58, s7
	s_add_i32 s7, s6, s14
	s_lshl_b32 s16, s2, 8
	v_fma_f64 v[22:23], -v[8:9], v[60:61], v[22:23]
	v_mov_b32_e32 v60, s7
	s_add_i32 s7, s6, s15
	s_add_i32 s6, s6, s16
	v_fma_f64 v[22:23], -v[10:11], v[62:63], v[22:23]
	v_mov_b32_e32 v62, s7
	v_mov_b32_e32 v66, s6
	ds_read_b64 v[58:59], v58
	ds_read_b64 v[60:61], v60
	;; [unrolled: 1-line block ×4, first 2 shown]
	v_fma_f64 v[22:23], -v[12:13], v[64:65], v[22:23]
	s_waitcnt lgkmcnt(0)
	v_fma_f64 v[22:23], -v[14:15], v[58:59], v[22:23]
	v_fma_f64 v[22:23], -v[18:19], v[60:61], v[22:23]
	v_lshl_add_u64 v[58:59], s[2:3], 3, v[56:57]
	s_add_i32 s2, s0, -8
	v_fma_f64 v[22:23], -v[20:21], v[62:63], v[22:23]
	s_lshl_b32 s6, s2, 3
	v_mul_f64 v[22:23], v[66:67], v[22:23]
	s_add_i32 s7, s6, s9
	flat_store_dwordx2 v[58:59], v[22:23]
	v_mov_b32_e32 v58, s7
	s_add_i32 s7, s6, s10
	v_mov_b32_e32 v60, s7
	s_add_i32 s7, s6, s11
	;; [unrolled: 2-line block ×3, first 2 shown]
	v_mov_b32_e32 v64, s7
	ds_read_b64 v[58:59], v58
	ds_read_b64 v[60:61], v60
	;; [unrolled: 1-line block ×4, first 2 shown]
	s_add_i32 s7, s6, s13
	s_waitcnt lgkmcnt(0)
	v_fma_f64 v[26:27], -v[6:7], v[58:59], v[26:27]
	v_mov_b32_e32 v58, s7
	s_add_i32 s7, s6, s14
	v_fma_f64 v[26:27], -v[8:9], v[60:61], v[26:27]
	v_mov_b32_e32 v60, s7
	s_add_i32 s7, s6, s15
	v_fma_f64 v[26:27], -v[10:11], v[62:63], v[26:27]
	v_mov_b32_e32 v62, s7
	s_add_i32 s7, s6, s16
	s_lshl_b32 s17, s2, 8
	v_fma_f64 v[26:27], -v[12:13], v[64:65], v[26:27]
	v_mov_b32_e32 v64, s7
	s_add_i32 s6, s6, s17
	ds_read_b64 v[58:59], v58
	ds_read_b64 v[60:61], v60
	;; [unrolled: 1-line block ×4, first 2 shown]
	v_mov_b32_e32 v66, s6
	ds_read_b64 v[66:67], v66
	s_waitcnt lgkmcnt(0)
	v_fma_f64 v[26:27], -v[14:15], v[58:59], v[26:27]
	v_fma_f64 v[26:27], -v[18:19], v[60:61], v[26:27]
	;; [unrolled: 1-line block ×3, first 2 shown]
	v_lshl_add_u64 v[58:59], s[2:3], 3, v[56:57]
	s_add_i32 s2, s0, -9
	v_fma_f64 v[26:27], -v[22:23], v[64:65], v[26:27]
	s_lshl_b32 s6, s2, 3
	v_mul_f64 v[26:27], v[66:67], v[26:27]
	s_add_i32 s7, s6, s9
	flat_store_dwordx2 v[58:59], v[26:27]
	v_mov_b32_e32 v58, s7
	s_add_i32 s7, s6, s10
	v_mov_b32_e32 v60, s7
	s_add_i32 s7, s6, s11
	;; [unrolled: 2-line block ×3, first 2 shown]
	v_mov_b32_e32 v64, s7
	ds_read_b64 v[58:59], v58
	ds_read_b64 v[60:61], v60
	;; [unrolled: 1-line block ×4, first 2 shown]
	s_add_i32 s7, s6, s13
	s_waitcnt lgkmcnt(0)
	v_fma_f64 v[28:29], -v[6:7], v[58:59], v[28:29]
	v_mov_b32_e32 v58, s7
	ds_read_b64 v[58:59], v58
	s_add_i32 s7, s6, s14
	v_fma_f64 v[28:29], -v[8:9], v[60:61], v[28:29]
	v_mov_b32_e32 v60, s7
	s_add_i32 s7, s6, s15
	v_fma_f64 v[28:29], -v[10:11], v[62:63], v[28:29]
	v_mov_b32_e32 v62, s7
	;; [unrolled: 3-line block ×3, first 2 shown]
	s_lshl_b32 s18, s2, 8
	ds_read_b64 v[60:61], v60
	ds_read_b64 v[62:63], v62
	;; [unrolled: 1-line block ×3, first 2 shown]
	s_add_i32 s7, s6, s17
	s_add_i32 s6, s6, s18
	s_waitcnt lgkmcnt(0)
	v_fma_f64 v[28:29], -v[14:15], v[58:59], v[28:29]
	v_mov_b32_e32 v58, s7
	v_mov_b32_e32 v66, s6
	ds_read_b64 v[58:59], v58
	ds_read_b64 v[66:67], v66
	v_fma_f64 v[28:29], -v[18:19], v[60:61], v[28:29]
	v_fma_f64 v[28:29], -v[20:21], v[62:63], v[28:29]
	v_fma_f64 v[28:29], -v[22:23], v[64:65], v[28:29]
	s_waitcnt lgkmcnt(0)
	v_fma_f64 v[28:29], -v[26:27], v[58:59], v[28:29]
	v_lshl_add_u64 v[58:59], s[2:3], 3, v[56:57]
	s_add_i32 s2, s0, -10
	s_lshl_b32 s6, s2, 3
	v_mul_f64 v[28:29], v[66:67], v[28:29]
	s_add_i32 s7, s6, s9
	flat_store_dwordx2 v[58:59], v[28:29]
	v_mov_b32_e32 v58, s7
	s_add_i32 s7, s6, s10
	v_mov_b32_e32 v60, s7
	s_add_i32 s7, s6, s11
	;; [unrolled: 2-line block ×3, first 2 shown]
	v_mov_b32_e32 v64, s7
	ds_read_b64 v[58:59], v58
	ds_read_b64 v[60:61], v60
	;; [unrolled: 1-line block ×4, first 2 shown]
	s_add_i32 s7, s6, s13
	s_waitcnt lgkmcnt(0)
	v_fma_f64 v[32:33], -v[6:7], v[58:59], v[32:33]
	v_mov_b32_e32 v58, s7
	s_add_i32 s7, s6, s14
	v_fma_f64 v[32:33], -v[8:9], v[60:61], v[32:33]
	v_mov_b32_e32 v60, s7
	ds_read_b64 v[58:59], v58
	ds_read_b64 v[60:61], v60
	s_add_i32 s7, s6, s15
	v_fma_f64 v[32:33], -v[10:11], v[62:63], v[32:33]
	v_mov_b32_e32 v62, s7
	s_add_i32 s7, s6, s16
	v_fma_f64 v[32:33], -v[12:13], v[64:65], v[32:33]
	v_mov_b32_e32 v64, s7
	ds_read_b64 v[62:63], v62
	ds_read_b64 v[64:65], v64
	s_add_i32 s7, s6, s17
	s_lshl_b32 s19, s2, 8
	s_waitcnt lgkmcnt(0)
	v_fma_f64 v[32:33], -v[14:15], v[58:59], v[32:33]
	v_mov_b32_e32 v58, s7
	s_add_i32 s7, s6, s18
	s_add_i32 s6, s6, s19
	v_fma_f64 v[32:33], -v[18:19], v[60:61], v[32:33]
	v_mov_b32_e32 v60, s7
	v_mov_b32_e32 v66, s6
	ds_read_b64 v[58:59], v58
	ds_read_b64 v[60:61], v60
	;; [unrolled: 1-line block ×3, first 2 shown]
	v_fma_f64 v[32:33], -v[20:21], v[62:63], v[32:33]
	v_fma_f64 v[32:33], -v[22:23], v[64:65], v[32:33]
	s_waitcnt lgkmcnt(0)
	v_fma_f64 v[32:33], -v[26:27], v[58:59], v[32:33]
	v_lshl_add_u64 v[58:59], s[2:3], 3, v[56:57]
	s_add_i32 s2, s0, -11
	v_fma_f64 v[32:33], -v[28:29], v[60:61], v[32:33]
	s_lshl_b32 s6, s2, 3
	v_mul_f64 v[32:33], v[66:67], v[32:33]
	s_add_i32 s7, s6, s9
	flat_store_dwordx2 v[58:59], v[32:33]
	v_mov_b32_e32 v58, s7
	s_add_i32 s7, s6, s10
	v_mov_b32_e32 v60, s7
	s_add_i32 s7, s6, s11
	;; [unrolled: 2-line block ×3, first 2 shown]
	v_mov_b32_e32 v64, s7
	ds_read_b64 v[58:59], v58
	ds_read_b64 v[60:61], v60
	;; [unrolled: 1-line block ×4, first 2 shown]
	s_add_i32 s7, s6, s13
	s_waitcnt lgkmcnt(0)
	v_fma_f64 v[34:35], -v[6:7], v[58:59], v[34:35]
	v_mov_b32_e32 v58, s7
	s_add_i32 s7, s6, s14
	v_fma_f64 v[34:35], -v[8:9], v[60:61], v[34:35]
	v_mov_b32_e32 v60, s7
	s_add_i32 s7, s6, s15
	v_fma_f64 v[34:35], -v[10:11], v[62:63], v[34:35]
	v_mov_b32_e32 v62, s7
	ds_read_b64 v[58:59], v58
	ds_read_b64 v[60:61], v60
	;; [unrolled: 1-line block ×3, first 2 shown]
	s_add_i32 s7, s6, s16
	v_fma_f64 v[34:35], -v[12:13], v[64:65], v[34:35]
	v_mov_b32_e32 v64, s7
	ds_read_b64 v[64:65], v64
	s_add_i32 s7, s6, s17
	s_waitcnt lgkmcnt(0)
	v_fma_f64 v[34:35], -v[14:15], v[58:59], v[34:35]
	v_mov_b32_e32 v58, s7
	s_add_i32 s7, s6, s18
	s_lshl_b32 s20, s2, 8
	v_fma_f64 v[34:35], -v[18:19], v[60:61], v[34:35]
	v_mov_b32_e32 v60, s7
	s_add_i32 s7, s6, s19
	s_add_i32 s6, s6, s20
	v_fma_f64 v[34:35], -v[20:21], v[62:63], v[34:35]
	v_mov_b32_e32 v62, s7
	v_mov_b32_e32 v66, s6
	ds_read_b64 v[58:59], v58
	ds_read_b64 v[60:61], v60
	;; [unrolled: 1-line block ×4, first 2 shown]
	v_fma_f64 v[34:35], -v[22:23], v[64:65], v[34:35]
	s_waitcnt lgkmcnt(0)
	v_fma_f64 v[34:35], -v[26:27], v[58:59], v[34:35]
	v_fma_f64 v[34:35], -v[28:29], v[60:61], v[34:35]
	v_lshl_add_u64 v[58:59], s[2:3], 3, v[56:57]
	s_add_i32 s2, s0, -12
	v_fma_f64 v[34:35], -v[32:33], v[62:63], v[34:35]
	s_lshl_b32 s6, s2, 3
	v_mul_f64 v[34:35], v[66:67], v[34:35]
	s_add_i32 s7, s6, s9
	flat_store_dwordx2 v[58:59], v[34:35]
	v_mov_b32_e32 v58, s7
	s_add_i32 s7, s6, s10
	v_mov_b32_e32 v60, s7
	s_add_i32 s7, s6, s11
	v_mov_b32_e32 v62, s7
	ds_read_b64 v[58:59], v58
	ds_read_b64 v[60:61], v60
	;; [unrolled: 1-line block ×3, first 2 shown]
	s_add_i32 s7, s6, s12
	v_mov_b32_e32 v64, s7
	s_add_i32 s7, s6, s13
	ds_read_b64 v[64:65], v64
	s_waitcnt lgkmcnt(0)
	v_fma_f64 v[38:39], -v[6:7], v[58:59], v[38:39]
	v_mov_b32_e32 v58, s7
	s_add_i32 s7, s6, s14
	v_fma_f64 v[38:39], -v[8:9], v[60:61], v[38:39]
	v_mov_b32_e32 v60, s7
	s_add_i32 s7, s6, s15
	;; [unrolled: 3-line block ×3, first 2 shown]
	v_mov_b32_e32 v66, s7
	ds_read_b64 v[58:59], v58
	ds_read_b64 v[60:61], v60
	;; [unrolled: 1-line block ×4, first 2 shown]
	v_fma_f64 v[38:39], -v[12:13], v[64:65], v[38:39]
	s_add_i32 s7, s6, s17
	s_waitcnt lgkmcnt(0)
	v_fma_f64 v[38:39], -v[14:15], v[58:59], v[38:39]
	v_mov_b32_e32 v58, s7
	s_add_i32 s7, s6, s18
	v_fma_f64 v[38:39], -v[18:19], v[60:61], v[38:39]
	v_mov_b32_e32 v60, s7
	s_add_i32 s7, s6, s19
	v_fma_f64 v[38:39], -v[20:21], v[62:63], v[38:39]
	v_mov_b32_e32 v62, s7
	s_add_i32 s7, s6, s20
	s_lshl_b32 s21, s2, 8
	v_mov_b32_e32 v64, s7
	s_add_i32 s6, s6, s21
	v_fma_f64 v[38:39], -v[22:23], v[66:67], v[38:39]
	ds_read_b64 v[58:59], v58
	ds_read_b64 v[60:61], v60
	;; [unrolled: 1-line block ×4, first 2 shown]
	v_mov_b32_e32 v66, s6
	ds_read_b64 v[66:67], v66
	s_waitcnt lgkmcnt(0)
	v_fma_f64 v[38:39], -v[26:27], v[58:59], v[38:39]
	v_fma_f64 v[38:39], -v[28:29], v[60:61], v[38:39]
	v_fma_f64 v[38:39], -v[32:33], v[62:63], v[38:39]
	v_lshl_add_u64 v[58:59], s[2:3], 3, v[56:57]
	s_add_i32 s2, s0, -13
	v_fma_f64 v[38:39], -v[34:35], v[64:65], v[38:39]
	s_lshl_b32 s6, s2, 3
	v_mul_f64 v[38:39], v[66:67], v[38:39]
	s_add_i32 s7, s6, s9
	flat_store_dwordx2 v[58:59], v[38:39]
	v_mov_b32_e32 v58, s7
	s_add_i32 s7, s6, s10
	v_mov_b32_e32 v60, s7
	s_add_i32 s7, s6, s11
	v_mov_b32_e32 v62, s7
	ds_read_b64 v[58:59], v58
	ds_read_b64 v[60:61], v60
	;; [unrolled: 1-line block ×3, first 2 shown]
	s_add_i32 s7, s6, s12
	v_mov_b32_e32 v64, s7
	s_add_i32 s7, s6, s13
	ds_read_b64 v[64:65], v64
	s_waitcnt lgkmcnt(0)
	v_fma_f64 v[40:41], -v[6:7], v[58:59], v[40:41]
	v_mov_b32_e32 v58, s7
	s_add_i32 s7, s6, s14
	v_fma_f64 v[40:41], -v[8:9], v[60:61], v[40:41]
	v_mov_b32_e32 v60, s7
	s_add_i32 s7, s6, s15
	;; [unrolled: 3-line block ×3, first 2 shown]
	v_mov_b32_e32 v66, s7
	ds_read_b64 v[58:59], v58
	ds_read_b64 v[60:61], v60
	;; [unrolled: 1-line block ×4, first 2 shown]
	v_fma_f64 v[40:41], -v[12:13], v[64:65], v[40:41]
	s_add_i32 s7, s6, s17
	s_waitcnt lgkmcnt(0)
	v_fma_f64 v[40:41], -v[14:15], v[58:59], v[40:41]
	v_mov_b32_e32 v58, s7
	ds_read_b64 v[58:59], v58
	s_add_i32 s7, s6, s18
	v_fma_f64 v[40:41], -v[18:19], v[60:61], v[40:41]
	v_mov_b32_e32 v60, s7
	s_add_i32 s7, s6, s19
	v_fma_f64 v[40:41], -v[20:21], v[62:63], v[40:41]
	v_mov_b32_e32 v62, s7
	s_add_i32 s7, s6, s20
	v_mov_b32_e32 v64, s7
	s_lshl_b32 s23, s2, 8
	v_fma_f64 v[40:41], -v[22:23], v[66:67], v[40:41]
	ds_read_b64 v[60:61], v60
	ds_read_b64 v[62:63], v62
	;; [unrolled: 1-line block ×3, first 2 shown]
	s_add_i32 s7, s6, s21
	s_add_i32 s6, s6, s23
	s_waitcnt lgkmcnt(0)
	v_fma_f64 v[40:41], -v[26:27], v[58:59], v[40:41]
	v_mov_b32_e32 v58, s7
	v_mov_b32_e32 v66, s6
	ds_read_b64 v[58:59], v58
	ds_read_b64 v[66:67], v66
	v_fma_f64 v[40:41], -v[28:29], v[60:61], v[40:41]
	v_fma_f64 v[40:41], -v[32:33], v[62:63], v[40:41]
	;; [unrolled: 1-line block ×3, first 2 shown]
	s_waitcnt lgkmcnt(0)
	v_fma_f64 v[40:41], -v[38:39], v[58:59], v[40:41]
	v_lshl_add_u64 v[58:59], s[2:3], 3, v[56:57]
	s_add_i32 s2, s0, -14
	s_lshl_b32 s6, s2, 3
	v_mul_f64 v[40:41], v[66:67], v[40:41]
	s_add_i32 s7, s6, s9
	flat_store_dwordx2 v[58:59], v[40:41]
	v_mov_b32_e32 v58, s7
	s_add_i32 s7, s6, s10
	v_mov_b32_e32 v60, s7
	s_add_i32 s7, s6, s11
	v_mov_b32_e32 v62, s7
	ds_read_b64 v[58:59], v58
	ds_read_b64 v[60:61], v60
	;; [unrolled: 1-line block ×3, first 2 shown]
	s_add_i32 s7, s6, s12
	v_mov_b32_e32 v64, s7
	s_add_i32 s7, s6, s13
	ds_read_b64 v[64:65], v64
	s_waitcnt lgkmcnt(0)
	v_fma_f64 v[44:45], -v[6:7], v[58:59], v[44:45]
	v_mov_b32_e32 v58, s7
	s_add_i32 s7, s6, s14
	v_fma_f64 v[44:45], -v[8:9], v[60:61], v[44:45]
	v_mov_b32_e32 v60, s7
	s_add_i32 s7, s6, s15
	;; [unrolled: 3-line block ×3, first 2 shown]
	v_mov_b32_e32 v66, s7
	ds_read_b64 v[58:59], v58
	ds_read_b64 v[60:61], v60
	;; [unrolled: 1-line block ×4, first 2 shown]
	v_fma_f64 v[44:45], -v[12:13], v[64:65], v[44:45]
	s_add_i32 s7, s6, s17
	s_waitcnt lgkmcnt(0)
	v_fma_f64 v[44:45], -v[14:15], v[58:59], v[44:45]
	v_mov_b32_e32 v58, s7
	s_add_i32 s7, s6, s18
	v_fma_f64 v[44:45], -v[18:19], v[60:61], v[44:45]
	v_mov_b32_e32 v60, s7
	ds_read_b64 v[58:59], v58
	ds_read_b64 v[60:61], v60
	s_add_i32 s7, s6, s19
	v_fma_f64 v[44:45], -v[20:21], v[62:63], v[44:45]
	v_mov_b32_e32 v62, s7
	s_add_i32 s7, s6, s20
	v_mov_b32_e32 v64, s7
	v_fma_f64 v[44:45], -v[22:23], v[66:67], v[44:45]
	ds_read_b64 v[62:63], v62
	ds_read_b64 v[64:65], v64
	s_add_i32 s7, s6, s21
	s_lshl_b32 s24, s2, 8
	s_waitcnt lgkmcnt(0)
	v_fma_f64 v[44:45], -v[26:27], v[58:59], v[44:45]
	v_mov_b32_e32 v58, s7
	s_add_i32 s7, s6, s23
	s_add_i32 s6, s6, s24
	v_fma_f64 v[44:45], -v[28:29], v[60:61], v[44:45]
	v_mov_b32_e32 v60, s7
	v_mov_b32_e32 v66, s6
	ds_read_b64 v[58:59], v58
	ds_read_b64 v[60:61], v60
	;; [unrolled: 1-line block ×3, first 2 shown]
	v_fma_f64 v[44:45], -v[32:33], v[62:63], v[44:45]
	v_fma_f64 v[44:45], -v[34:35], v[64:65], v[44:45]
	s_waitcnt lgkmcnt(0)
	v_fma_f64 v[44:45], -v[38:39], v[58:59], v[44:45]
	v_lshl_add_u64 v[58:59], s[2:3], 3, v[56:57]
	s_add_i32 s2, s0, -15
	v_fma_f64 v[44:45], -v[40:41], v[60:61], v[44:45]
	s_lshl_b32 s6, s2, 3
	v_mul_f64 v[44:45], v[66:67], v[44:45]
	s_add_i32 s7, s6, s9
	flat_store_dwordx2 v[58:59], v[44:45]
	v_mov_b32_e32 v58, s7
	s_add_i32 s7, s6, s10
	v_mov_b32_e32 v60, s7
	s_add_i32 s7, s6, s11
	v_mov_b32_e32 v62, s7
	ds_read_b64 v[58:59], v58
	ds_read_b64 v[60:61], v60
	;; [unrolled: 1-line block ×3, first 2 shown]
	s_add_i32 s7, s6, s12
	v_mov_b32_e32 v64, s7
	s_add_i32 s7, s6, s13
	ds_read_b64 v[64:65], v64
	s_waitcnt lgkmcnt(0)
	v_fma_f64 v[48:49], -v[6:7], v[58:59], v[48:49]
	v_mov_b32_e32 v58, s7
	s_add_i32 s7, s6, s14
	v_fma_f64 v[48:49], -v[8:9], v[60:61], v[48:49]
	v_mov_b32_e32 v60, s7
	s_add_i32 s7, s6, s15
	;; [unrolled: 3-line block ×3, first 2 shown]
	v_mov_b32_e32 v66, s7
	ds_read_b64 v[58:59], v58
	ds_read_b64 v[60:61], v60
	;; [unrolled: 1-line block ×4, first 2 shown]
	v_fma_f64 v[48:49], -v[12:13], v[64:65], v[48:49]
	s_add_i32 s7, s6, s17
	s_waitcnt lgkmcnt(0)
	v_fma_f64 v[48:49], -v[14:15], v[58:59], v[48:49]
	v_mov_b32_e32 v58, s7
	s_add_i32 s7, s6, s18
	v_fma_f64 v[48:49], -v[18:19], v[60:61], v[48:49]
	v_mov_b32_e32 v60, s7
	s_add_i32 s7, s6, s19
	v_fma_f64 v[48:49], -v[20:21], v[62:63], v[48:49]
	v_mov_b32_e32 v62, s7
	ds_read_b64 v[58:59], v58
	ds_read_b64 v[60:61], v60
	ds_read_b64 v[62:63], v62
	s_add_i32 s7, s6, s20
	v_mov_b32_e32 v64, s7
	v_fma_f64 v[48:49], -v[22:23], v[66:67], v[48:49]
	ds_read_b64 v[64:65], v64
	s_add_i32 s7, s6, s21
	s_waitcnt lgkmcnt(0)
	v_fma_f64 v[48:49], -v[26:27], v[58:59], v[48:49]
	v_mov_b32_e32 v58, s7
	s_add_i32 s7, s6, s23
	s_lshl_b32 s25, s2, 8
	v_fma_f64 v[48:49], -v[28:29], v[60:61], v[48:49]
	v_mov_b32_e32 v60, s7
	s_add_i32 s7, s6, s24
	s_add_i32 s6, s6, s25
	v_fma_f64 v[48:49], -v[32:33], v[62:63], v[48:49]
	v_mov_b32_e32 v62, s7
	v_mov_b32_e32 v66, s6
	ds_read_b64 v[58:59], v58
	ds_read_b64 v[60:61], v60
	;; [unrolled: 1-line block ×4, first 2 shown]
	v_fma_f64 v[48:49], -v[34:35], v[64:65], v[48:49]
	s_waitcnt lgkmcnt(0)
	v_fma_f64 v[48:49], -v[38:39], v[58:59], v[48:49]
	v_fma_f64 v[48:49], -v[40:41], v[60:61], v[48:49]
	v_lshl_add_u64 v[58:59], s[2:3], 3, v[56:57]
	s_add_i32 s2, s0, -16
	v_fma_f64 v[48:49], -v[44:45], v[62:63], v[48:49]
	s_lshl_b32 s6, s2, 3
	v_mul_f64 v[48:49], v[66:67], v[48:49]
	s_add_i32 s7, s6, s9
	flat_store_dwordx2 v[58:59], v[48:49]
	v_mov_b32_e32 v58, s7
	s_add_i32 s7, s6, s10
	v_mov_b32_e32 v60, s7
	s_add_i32 s7, s6, s11
	;; [unrolled: 2-line block ×3, first 2 shown]
	v_mov_b32_e32 v64, s7
	ds_read_b64 v[58:59], v58
	ds_read_b64 v[60:61], v60
	;; [unrolled: 1-line block ×4, first 2 shown]
	s_add_i32 s7, s6, s13
	s_waitcnt lgkmcnt(0)
	v_fma_f64 v[52:53], -v[6:7], v[58:59], v[52:53]
	v_mov_b32_e32 v58, s7
	s_add_i32 s7, s6, s14
	v_fma_f64 v[52:53], -v[8:9], v[60:61], v[52:53]
	v_mov_b32_e32 v60, s7
	s_add_i32 s7, s6, s15
	v_fma_f64 v[52:53], -v[10:11], v[62:63], v[52:53]
	v_mov_b32_e32 v62, s7
	ds_read_b64 v[58:59], v58
	ds_read_b64 v[60:61], v60
	;; [unrolled: 1-line block ×3, first 2 shown]
	s_add_i32 s7, s6, s16
	v_fma_f64 v[52:53], -v[12:13], v[64:65], v[52:53]
	v_mov_b32_e32 v64, s7
	s_add_i32 s7, s6, s17
	ds_read_b64 v[64:65], v64
	s_waitcnt lgkmcnt(0)
	v_fma_f64 v[52:53], -v[14:15], v[58:59], v[52:53]
	v_mov_b32_e32 v58, s7
	s_add_i32 s7, s6, s18
	v_fma_f64 v[52:53], -v[18:19], v[60:61], v[52:53]
	v_mov_b32_e32 v60, s7
	s_add_i32 s7, s6, s19
	;; [unrolled: 3-line block ×3, first 2 shown]
	v_mov_b32_e32 v66, s7
	ds_read_b64 v[58:59], v58
	ds_read_b64 v[60:61], v60
	;; [unrolled: 1-line block ×4, first 2 shown]
	v_fma_f64 v[52:53], -v[22:23], v[64:65], v[52:53]
	s_add_i32 s7, s6, s21
	s_waitcnt lgkmcnt(0)
	v_fma_f64 v[52:53], -v[26:27], v[58:59], v[52:53]
	v_mov_b32_e32 v58, s7
	s_add_i32 s7, s6, s23
	v_fma_f64 v[52:53], -v[28:29], v[60:61], v[52:53]
	v_mov_b32_e32 v60, s7
	s_add_i32 s7, s6, s24
	;; [unrolled: 3-line block ×3, first 2 shown]
	s_lshl_b32 s26, s2, 8
	v_mov_b32_e32 v64, s7
	s_add_i32 s6, s6, s26
	v_fma_f64 v[52:53], -v[34:35], v[66:67], v[52:53]
	ds_read_b64 v[58:59], v58
	ds_read_b64 v[60:61], v60
	ds_read_b64 v[62:63], v62
	ds_read_b64 v[64:65], v64
	v_mov_b32_e32 v66, s6
	ds_read_b64 v[66:67], v66
	s_waitcnt lgkmcnt(0)
	v_fma_f64 v[52:53], -v[38:39], v[58:59], v[52:53]
	v_fma_f64 v[52:53], -v[40:41], v[60:61], v[52:53]
	;; [unrolled: 1-line block ×3, first 2 shown]
	v_lshl_add_u64 v[58:59], s[2:3], 3, v[56:57]
	s_sub_i32 s2, s0, 17
	v_fma_f64 v[52:53], -v[48:49], v[64:65], v[52:53]
	s_lshl_b32 s6, s2, 3
	v_mul_f64 v[52:53], v[66:67], v[52:53]
	s_add_i32 s7, s6, s9
	flat_store_dwordx2 v[58:59], v[52:53]
	v_mov_b32_e32 v58, s7
	s_add_i32 s7, s6, s10
	v_mov_b32_e32 v60, s7
	s_add_i32 s7, s6, s11
	;; [unrolled: 2-line block ×3, first 2 shown]
	v_mov_b32_e32 v64, s7
	ds_read_b64 v[58:59], v58
	ds_read_b64 v[60:61], v60
	;; [unrolled: 1-line block ×4, first 2 shown]
	s_add_i32 s7, s6, s13
	s_waitcnt lgkmcnt(0)
	v_fma_f64 v[54:55], -v[6:7], v[58:59], v[54:55]
	v_mov_b32_e32 v58, s7
	s_add_i32 s7, s6, s14
	v_fma_f64 v[54:55], -v[8:9], v[60:61], v[54:55]
	v_mov_b32_e32 v60, s7
	s_add_i32 s7, s6, s15
	v_fma_f64 v[54:55], -v[10:11], v[62:63], v[54:55]
	v_mov_b32_e32 v62, s7
	ds_read_b64 v[58:59], v58
	ds_read_b64 v[60:61], v60
	;; [unrolled: 1-line block ×3, first 2 shown]
	s_add_i32 s7, s6, s16
	v_fma_f64 v[54:55], -v[12:13], v[64:65], v[54:55]
	v_mov_b32_e32 v64, s7
	s_add_i32 s7, s6, s17
	ds_read_b64 v[64:65], v64
	s_waitcnt lgkmcnt(0)
	v_fma_f64 v[54:55], -v[14:15], v[58:59], v[54:55]
	v_mov_b32_e32 v58, s7
	s_add_i32 s7, s6, s18
	v_fma_f64 v[54:55], -v[18:19], v[60:61], v[54:55]
	v_mov_b32_e32 v60, s7
	s_add_i32 s7, s6, s19
	;; [unrolled: 3-line block ×3, first 2 shown]
	v_mov_b32_e32 v66, s7
	ds_read_b64 v[58:59], v58
	ds_read_b64 v[60:61], v60
	;; [unrolled: 1-line block ×4, first 2 shown]
	v_fma_f64 v[54:55], -v[22:23], v[64:65], v[54:55]
	s_add_i32 s7, s6, s21
	s_waitcnt lgkmcnt(0)
	v_fma_f64 v[54:55], -v[26:27], v[58:59], v[54:55]
	v_mov_b32_e32 v58, s7
	ds_read_b64 v[58:59], v58
	s_add_i32 s7, s6, s23
	v_fma_f64 v[54:55], -v[28:29], v[60:61], v[54:55]
	v_mov_b32_e32 v60, s7
	s_add_i32 s7, s6, s24
	v_fma_f64 v[54:55], -v[32:33], v[62:63], v[54:55]
	v_mov_b32_e32 v62, s7
	s_add_i32 s7, s6, s25
	v_mov_b32_e32 v64, s7
	s_lshl_b32 s27, s2, 8
	v_fma_f64 v[54:55], -v[34:35], v[66:67], v[54:55]
	ds_read_b64 v[60:61], v60
	ds_read_b64 v[62:63], v62
	;; [unrolled: 1-line block ×3, first 2 shown]
	s_add_i32 s7, s6, s26
	s_add_i32 s6, s6, s27
	s_waitcnt lgkmcnt(0)
	v_fma_f64 v[54:55], -v[38:39], v[58:59], v[54:55]
	v_mov_b32_e32 v58, s7
	v_mov_b32_e32 v66, s6
	ds_read_b64 v[58:59], v58
	ds_read_b64 v[66:67], v66
	v_fma_f64 v[54:55], -v[40:41], v[60:61], v[54:55]
	v_fma_f64 v[54:55], -v[44:45], v[62:63], v[54:55]
	;; [unrolled: 1-line block ×3, first 2 shown]
	s_waitcnt lgkmcnt(0)
	v_fma_f64 v[54:55], -v[52:53], v[58:59], v[54:55]
	v_lshl_add_u64 v[58:59], s[2:3], 3, v[56:57]
	s_sub_i32 s2, s0, 18
	s_lshl_b32 s6, s2, 3
	v_mul_f64 v[54:55], v[66:67], v[54:55]
	s_add_i32 s7, s6, s9
	flat_store_dwordx2 v[58:59], v[54:55]
	v_mov_b32_e32 v58, s7
	s_add_i32 s7, s6, s10
	v_mov_b32_e32 v60, s7
	s_add_i32 s7, s6, s11
	;; [unrolled: 2-line block ×3, first 2 shown]
	v_mov_b32_e32 v64, s7
	ds_read_b64 v[58:59], v58
	ds_read_b64 v[60:61], v60
	;; [unrolled: 1-line block ×4, first 2 shown]
	s_add_i32 s7, s6, s13
	s_waitcnt lgkmcnt(0)
	v_fma_f64 v[50:51], -v[6:7], v[58:59], v[50:51]
	v_mov_b32_e32 v58, s7
	s_add_i32 s7, s6, s14
	v_fma_f64 v[50:51], -v[8:9], v[60:61], v[50:51]
	v_mov_b32_e32 v60, s7
	s_add_i32 s7, s6, s15
	v_fma_f64 v[50:51], -v[10:11], v[62:63], v[50:51]
	v_mov_b32_e32 v62, s7
	ds_read_b64 v[58:59], v58
	ds_read_b64 v[60:61], v60
	;; [unrolled: 1-line block ×3, first 2 shown]
	s_add_i32 s7, s6, s16
	v_fma_f64 v[50:51], -v[12:13], v[64:65], v[50:51]
	v_mov_b32_e32 v64, s7
	s_add_i32 s7, s6, s17
	ds_read_b64 v[64:65], v64
	s_waitcnt lgkmcnt(0)
	v_fma_f64 v[50:51], -v[14:15], v[58:59], v[50:51]
	v_mov_b32_e32 v58, s7
	s_add_i32 s7, s6, s18
	v_fma_f64 v[50:51], -v[18:19], v[60:61], v[50:51]
	v_mov_b32_e32 v60, s7
	s_add_i32 s7, s6, s19
	;; [unrolled: 3-line block ×3, first 2 shown]
	v_mov_b32_e32 v66, s7
	ds_read_b64 v[58:59], v58
	ds_read_b64 v[60:61], v60
	;; [unrolled: 1-line block ×4, first 2 shown]
	v_fma_f64 v[50:51], -v[22:23], v[64:65], v[50:51]
	s_add_i32 s7, s6, s21
	s_waitcnt lgkmcnt(0)
	v_fma_f64 v[50:51], -v[26:27], v[58:59], v[50:51]
	v_mov_b32_e32 v58, s7
	s_add_i32 s7, s6, s23
	v_fma_f64 v[50:51], -v[28:29], v[60:61], v[50:51]
	v_mov_b32_e32 v60, s7
	ds_read_b64 v[58:59], v58
	ds_read_b64 v[60:61], v60
	s_add_i32 s7, s6, s24
	v_fma_f64 v[50:51], -v[32:33], v[62:63], v[50:51]
	v_mov_b32_e32 v62, s7
	s_add_i32 s7, s6, s25
	v_mov_b32_e32 v64, s7
	v_fma_f64 v[50:51], -v[34:35], v[66:67], v[50:51]
	ds_read_b64 v[62:63], v62
	ds_read_b64 v[64:65], v64
	s_add_i32 s7, s6, s26
	s_lshl_b32 s28, s2, 8
	s_waitcnt lgkmcnt(0)
	v_fma_f64 v[50:51], -v[38:39], v[58:59], v[50:51]
	v_mov_b32_e32 v58, s7
	s_add_i32 s7, s6, s27
	s_add_i32 s6, s6, s28
	v_fma_f64 v[50:51], -v[40:41], v[60:61], v[50:51]
	v_mov_b32_e32 v60, s7
	v_mov_b32_e32 v66, s6
	ds_read_b64 v[58:59], v58
	ds_read_b64 v[60:61], v60
	ds_read_b64 v[66:67], v66
	v_fma_f64 v[50:51], -v[44:45], v[62:63], v[50:51]
	v_fma_f64 v[50:51], -v[48:49], v[64:65], v[50:51]
	s_waitcnt lgkmcnt(0)
	v_fma_f64 v[50:51], -v[52:53], v[58:59], v[50:51]
	v_lshl_add_u64 v[58:59], s[2:3], 3, v[56:57]
	s_sub_i32 s2, s0, 19
	v_fma_f64 v[50:51], -v[54:55], v[60:61], v[50:51]
	s_lshl_b32 s6, s2, 3
	v_mul_f64 v[50:51], v[66:67], v[50:51]
	s_add_i32 s7, s6, s9
	flat_store_dwordx2 v[58:59], v[50:51]
	v_mov_b32_e32 v58, s7
	s_add_i32 s7, s6, s10
	v_mov_b32_e32 v60, s7
	s_add_i32 s7, s6, s11
	;; [unrolled: 2-line block ×3, first 2 shown]
	v_mov_b32_e32 v64, s7
	ds_read_b64 v[58:59], v58
	ds_read_b64 v[60:61], v60
	;; [unrolled: 1-line block ×4, first 2 shown]
	s_add_i32 s7, s6, s13
	s_waitcnt lgkmcnt(0)
	v_fma_f64 v[46:47], -v[6:7], v[58:59], v[46:47]
	v_mov_b32_e32 v58, s7
	s_add_i32 s7, s6, s14
	v_fma_f64 v[46:47], -v[8:9], v[60:61], v[46:47]
	v_mov_b32_e32 v60, s7
	s_add_i32 s7, s6, s15
	v_fma_f64 v[46:47], -v[10:11], v[62:63], v[46:47]
	v_mov_b32_e32 v62, s7
	ds_read_b64 v[58:59], v58
	ds_read_b64 v[60:61], v60
	ds_read_b64 v[62:63], v62
	s_add_i32 s7, s6, s16
	v_fma_f64 v[46:47], -v[12:13], v[64:65], v[46:47]
	v_mov_b32_e32 v64, s7
	s_add_i32 s7, s6, s17
	ds_read_b64 v[64:65], v64
	s_waitcnt lgkmcnt(0)
	v_fma_f64 v[46:47], -v[14:15], v[58:59], v[46:47]
	v_mov_b32_e32 v58, s7
	s_add_i32 s7, s6, s18
	v_fma_f64 v[46:47], -v[18:19], v[60:61], v[46:47]
	v_mov_b32_e32 v60, s7
	s_add_i32 s7, s6, s19
	;; [unrolled: 3-line block ×3, first 2 shown]
	v_mov_b32_e32 v66, s7
	ds_read_b64 v[58:59], v58
	ds_read_b64 v[60:61], v60
	;; [unrolled: 1-line block ×4, first 2 shown]
	v_fma_f64 v[46:47], -v[22:23], v[64:65], v[46:47]
	s_add_i32 s7, s6, s21
	s_waitcnt lgkmcnt(0)
	v_fma_f64 v[46:47], -v[26:27], v[58:59], v[46:47]
	v_mov_b32_e32 v58, s7
	s_add_i32 s7, s6, s23
	v_fma_f64 v[46:47], -v[28:29], v[60:61], v[46:47]
	v_mov_b32_e32 v60, s7
	s_add_i32 s7, s6, s24
	v_fma_f64 v[46:47], -v[32:33], v[62:63], v[46:47]
	v_mov_b32_e32 v62, s7
	ds_read_b64 v[58:59], v58
	ds_read_b64 v[60:61], v60
	;; [unrolled: 1-line block ×3, first 2 shown]
	s_add_i32 s7, s6, s25
	v_mov_b32_e32 v64, s7
	v_fma_f64 v[46:47], -v[34:35], v[66:67], v[46:47]
	ds_read_b64 v[64:65], v64
	s_add_i32 s7, s6, s26
	s_waitcnt lgkmcnt(0)
	v_fma_f64 v[46:47], -v[38:39], v[58:59], v[46:47]
	v_mov_b32_e32 v58, s7
	s_add_i32 s7, s6, s27
	s_lshl_b32 s29, s2, 8
	v_fma_f64 v[46:47], -v[40:41], v[60:61], v[46:47]
	v_mov_b32_e32 v60, s7
	s_add_i32 s7, s6, s28
	s_add_i32 s6, s6, s29
	v_fma_f64 v[46:47], -v[44:45], v[62:63], v[46:47]
	v_mov_b32_e32 v62, s7
	v_mov_b32_e32 v66, s6
	ds_read_b64 v[58:59], v58
	ds_read_b64 v[60:61], v60
	;; [unrolled: 1-line block ×4, first 2 shown]
	v_fma_f64 v[46:47], -v[48:49], v[64:65], v[46:47]
	s_waitcnt lgkmcnt(0)
	v_fma_f64 v[46:47], -v[52:53], v[58:59], v[46:47]
	v_fma_f64 v[46:47], -v[54:55], v[60:61], v[46:47]
	v_lshl_add_u64 v[58:59], s[2:3], 3, v[56:57]
	s_sub_i32 s2, s0, 20
	v_fma_f64 v[46:47], -v[50:51], v[62:63], v[46:47]
	s_lshl_b32 s6, s2, 3
	v_mul_f64 v[46:47], v[66:67], v[46:47]
	s_add_i32 s7, s6, s9
	flat_store_dwordx2 v[58:59], v[46:47]
	v_mov_b32_e32 v58, s7
	s_add_i32 s7, s6, s10
	v_mov_b32_e32 v60, s7
	s_add_i32 s7, s6, s11
	v_mov_b32_e32 v62, s7
	ds_read_b64 v[58:59], v58
	ds_read_b64 v[60:61], v60
	;; [unrolled: 1-line block ×3, first 2 shown]
	s_add_i32 s7, s6, s12
	v_mov_b32_e32 v64, s7
	s_add_i32 s7, s6, s13
	ds_read_b64 v[64:65], v64
	s_waitcnt lgkmcnt(0)
	v_fma_f64 v[42:43], -v[6:7], v[58:59], v[42:43]
	v_mov_b32_e32 v58, s7
	s_add_i32 s7, s6, s14
	v_fma_f64 v[42:43], -v[8:9], v[60:61], v[42:43]
	v_mov_b32_e32 v60, s7
	s_add_i32 s7, s6, s15
	;; [unrolled: 3-line block ×3, first 2 shown]
	v_mov_b32_e32 v66, s7
	ds_read_b64 v[58:59], v58
	ds_read_b64 v[60:61], v60
	;; [unrolled: 1-line block ×4, first 2 shown]
	v_fma_f64 v[42:43], -v[12:13], v[64:65], v[42:43]
	s_add_i32 s7, s6, s17
	s_waitcnt lgkmcnt(0)
	v_fma_f64 v[42:43], -v[14:15], v[58:59], v[42:43]
	v_mov_b32_e32 v58, s7
	s_add_i32 s7, s6, s18
	v_fma_f64 v[42:43], -v[18:19], v[60:61], v[42:43]
	v_mov_b32_e32 v60, s7
	s_add_i32 s7, s6, s19
	v_fma_f64 v[42:43], -v[20:21], v[62:63], v[42:43]
	v_mov_b32_e32 v62, s7
	ds_read_b64 v[58:59], v58
	ds_read_b64 v[60:61], v60
	;; [unrolled: 1-line block ×3, first 2 shown]
	s_add_i32 s7, s6, s20
	v_fma_f64 v[42:43], -v[22:23], v[66:67], v[42:43]
	v_mov_b32_e32 v64, s7
	s_add_i32 s7, s6, s21
	ds_read_b64 v[64:65], v64
	s_waitcnt lgkmcnt(0)
	v_fma_f64 v[42:43], -v[26:27], v[58:59], v[42:43]
	v_mov_b32_e32 v58, s7
	s_add_i32 s7, s6, s23
	v_fma_f64 v[42:43], -v[28:29], v[60:61], v[42:43]
	v_mov_b32_e32 v60, s7
	s_add_i32 s7, s6, s24
	;; [unrolled: 3-line block ×3, first 2 shown]
	v_mov_b32_e32 v66, s7
	ds_read_b64 v[58:59], v58
	ds_read_b64 v[60:61], v60
	;; [unrolled: 1-line block ×4, first 2 shown]
	v_fma_f64 v[42:43], -v[34:35], v[64:65], v[42:43]
	s_add_i32 s7, s6, s26
	s_waitcnt lgkmcnt(0)
	v_fma_f64 v[42:43], -v[38:39], v[58:59], v[42:43]
	v_mov_b32_e32 v58, s7
	s_add_i32 s7, s6, s27
	v_fma_f64 v[42:43], -v[40:41], v[60:61], v[42:43]
	v_mov_b32_e32 v60, s7
	s_add_i32 s7, s6, s28
	;; [unrolled: 3-line block ×3, first 2 shown]
	s_lshl_b32 s30, s2, 8
	v_mov_b32_e32 v64, s7
	s_add_i32 s6, s6, s30
	v_fma_f64 v[42:43], -v[48:49], v[66:67], v[42:43]
	ds_read_b64 v[58:59], v58
	ds_read_b64 v[60:61], v60
	ds_read_b64 v[62:63], v62
	ds_read_b64 v[64:65], v64
	v_mov_b32_e32 v66, s6
	ds_read_b64 v[66:67], v66
	s_waitcnt lgkmcnt(0)
	v_fma_f64 v[42:43], -v[52:53], v[58:59], v[42:43]
	v_fma_f64 v[42:43], -v[54:55], v[60:61], v[42:43]
	;; [unrolled: 1-line block ×3, first 2 shown]
	v_lshl_add_u64 v[58:59], s[2:3], 3, v[56:57]
	s_sub_i32 s2, s0, 21
	v_fma_f64 v[42:43], -v[46:47], v[64:65], v[42:43]
	s_lshl_b32 s6, s2, 3
	v_mul_f64 v[42:43], v[66:67], v[42:43]
	s_add_i32 s7, s6, s9
	flat_store_dwordx2 v[58:59], v[42:43]
	v_mov_b32_e32 v58, s7
	s_add_i32 s7, s6, s10
	v_mov_b32_e32 v60, s7
	s_add_i32 s7, s6, s11
	v_mov_b32_e32 v62, s7
	ds_read_b64 v[58:59], v58
	ds_read_b64 v[60:61], v60
	ds_read_b64 v[62:63], v62
	s_add_i32 s7, s6, s12
	v_mov_b32_e32 v64, s7
	s_add_i32 s7, s6, s13
	ds_read_b64 v[64:65], v64
	s_waitcnt lgkmcnt(0)
	v_fma_f64 v[36:37], -v[6:7], v[58:59], v[36:37]
	v_mov_b32_e32 v58, s7
	s_add_i32 s7, s6, s14
	v_fma_f64 v[36:37], -v[8:9], v[60:61], v[36:37]
	v_mov_b32_e32 v60, s7
	s_add_i32 s7, s6, s15
	;; [unrolled: 3-line block ×3, first 2 shown]
	v_mov_b32_e32 v66, s7
	ds_read_b64 v[58:59], v58
	ds_read_b64 v[60:61], v60
	;; [unrolled: 1-line block ×4, first 2 shown]
	v_fma_f64 v[36:37], -v[12:13], v[64:65], v[36:37]
	s_add_i32 s7, s6, s17
	s_waitcnt lgkmcnt(0)
	v_fma_f64 v[36:37], -v[14:15], v[58:59], v[36:37]
	v_mov_b32_e32 v58, s7
	s_add_i32 s7, s6, s18
	v_fma_f64 v[36:37], -v[18:19], v[60:61], v[36:37]
	v_mov_b32_e32 v60, s7
	s_add_i32 s7, s6, s19
	v_fma_f64 v[36:37], -v[20:21], v[62:63], v[36:37]
	v_mov_b32_e32 v62, s7
	ds_read_b64 v[58:59], v58
	ds_read_b64 v[60:61], v60
	;; [unrolled: 1-line block ×3, first 2 shown]
	s_add_i32 s7, s6, s20
	v_fma_f64 v[36:37], -v[22:23], v[66:67], v[36:37]
	v_mov_b32_e32 v64, s7
	s_add_i32 s7, s6, s21
	ds_read_b64 v[64:65], v64
	s_waitcnt lgkmcnt(0)
	v_fma_f64 v[36:37], -v[26:27], v[58:59], v[36:37]
	v_mov_b32_e32 v58, s7
	s_add_i32 s7, s6, s23
	v_fma_f64 v[36:37], -v[28:29], v[60:61], v[36:37]
	v_mov_b32_e32 v60, s7
	s_add_i32 s7, s6, s24
	;; [unrolled: 3-line block ×3, first 2 shown]
	v_mov_b32_e32 v66, s7
	ds_read_b64 v[58:59], v58
	ds_read_b64 v[60:61], v60
	;; [unrolled: 1-line block ×4, first 2 shown]
	v_fma_f64 v[36:37], -v[34:35], v[64:65], v[36:37]
	s_add_i32 s7, s6, s26
	s_waitcnt lgkmcnt(0)
	v_fma_f64 v[36:37], -v[38:39], v[58:59], v[36:37]
	v_mov_b32_e32 v58, s7
	ds_read_b64 v[58:59], v58
	s_add_i32 s7, s6, s27
	v_fma_f64 v[36:37], -v[40:41], v[60:61], v[36:37]
	v_mov_b32_e32 v60, s7
	s_add_i32 s7, s6, s28
	v_fma_f64 v[36:37], -v[44:45], v[62:63], v[36:37]
	v_mov_b32_e32 v62, s7
	s_add_i32 s7, s6, s29
	v_mov_b32_e32 v64, s7
	s_lshl_b32 s31, s2, 8
	v_fma_f64 v[36:37], -v[48:49], v[66:67], v[36:37]
	ds_read_b64 v[60:61], v60
	ds_read_b64 v[62:63], v62
	;; [unrolled: 1-line block ×3, first 2 shown]
	s_add_i32 s7, s6, s30
	s_add_i32 s6, s6, s31
	s_waitcnt lgkmcnt(0)
	v_fma_f64 v[36:37], -v[52:53], v[58:59], v[36:37]
	v_mov_b32_e32 v58, s7
	v_mov_b32_e32 v66, s6
	ds_read_b64 v[58:59], v58
	ds_read_b64 v[66:67], v66
	v_fma_f64 v[36:37], -v[54:55], v[60:61], v[36:37]
	v_fma_f64 v[36:37], -v[50:51], v[62:63], v[36:37]
	;; [unrolled: 1-line block ×3, first 2 shown]
	s_waitcnt lgkmcnt(0)
	v_fma_f64 v[36:37], -v[42:43], v[58:59], v[36:37]
	v_lshl_add_u64 v[58:59], s[2:3], 3, v[56:57]
	s_sub_i32 s2, s0, 22
	s_lshl_b32 s6, s2, 3
	v_mul_f64 v[36:37], v[66:67], v[36:37]
	s_add_i32 s7, s6, s9
	flat_store_dwordx2 v[58:59], v[36:37]
	v_mov_b32_e32 v58, s7
	s_add_i32 s7, s6, s10
	v_mov_b32_e32 v60, s7
	s_add_i32 s7, s6, s11
	v_mov_b32_e32 v62, s7
	ds_read_b64 v[58:59], v58
	ds_read_b64 v[60:61], v60
	;; [unrolled: 1-line block ×3, first 2 shown]
	s_add_i32 s7, s6, s12
	v_mov_b32_e32 v64, s7
	s_add_i32 s7, s6, s13
	ds_read_b64 v[64:65], v64
	s_waitcnt lgkmcnt(0)
	v_fma_f64 v[30:31], -v[6:7], v[58:59], v[30:31]
	v_mov_b32_e32 v58, s7
	s_add_i32 s7, s6, s14
	v_fma_f64 v[30:31], -v[8:9], v[60:61], v[30:31]
	v_mov_b32_e32 v60, s7
	s_add_i32 s7, s6, s15
	;; [unrolled: 3-line block ×3, first 2 shown]
	v_mov_b32_e32 v66, s7
	ds_read_b64 v[58:59], v58
	ds_read_b64 v[60:61], v60
	;; [unrolled: 1-line block ×4, first 2 shown]
	v_fma_f64 v[30:31], -v[12:13], v[64:65], v[30:31]
	s_add_i32 s7, s6, s17
	s_waitcnt lgkmcnt(0)
	v_fma_f64 v[30:31], -v[14:15], v[58:59], v[30:31]
	v_mov_b32_e32 v58, s7
	s_add_i32 s7, s6, s18
	v_fma_f64 v[30:31], -v[18:19], v[60:61], v[30:31]
	v_mov_b32_e32 v60, s7
	s_add_i32 s7, s6, s19
	v_fma_f64 v[30:31], -v[20:21], v[62:63], v[30:31]
	v_mov_b32_e32 v62, s7
	ds_read_b64 v[58:59], v58
	ds_read_b64 v[60:61], v60
	;; [unrolled: 1-line block ×3, first 2 shown]
	s_add_i32 s7, s6, s20
	v_fma_f64 v[30:31], -v[22:23], v[66:67], v[30:31]
	v_mov_b32_e32 v64, s7
	s_add_i32 s7, s6, s21
	ds_read_b64 v[64:65], v64
	s_waitcnt lgkmcnt(0)
	v_fma_f64 v[30:31], -v[26:27], v[58:59], v[30:31]
	v_mov_b32_e32 v58, s7
	s_add_i32 s7, s6, s23
	v_fma_f64 v[30:31], -v[28:29], v[60:61], v[30:31]
	v_mov_b32_e32 v60, s7
	s_add_i32 s7, s6, s24
	;; [unrolled: 3-line block ×3, first 2 shown]
	v_mov_b32_e32 v66, s7
	ds_read_b64 v[58:59], v58
	ds_read_b64 v[60:61], v60
	;; [unrolled: 1-line block ×4, first 2 shown]
	v_fma_f64 v[30:31], -v[34:35], v[64:65], v[30:31]
	s_add_i32 s7, s6, s26
	s_waitcnt lgkmcnt(0)
	v_fma_f64 v[30:31], -v[38:39], v[58:59], v[30:31]
	v_mov_b32_e32 v58, s7
	s_add_i32 s7, s6, s27
	v_fma_f64 v[30:31], -v[40:41], v[60:61], v[30:31]
	v_mov_b32_e32 v60, s7
	ds_read_b64 v[58:59], v58
	ds_read_b64 v[60:61], v60
	s_add_i32 s7, s6, s28
	v_fma_f64 v[30:31], -v[44:45], v[62:63], v[30:31]
	v_mov_b32_e32 v62, s7
	s_add_i32 s7, s6, s29
	v_mov_b32_e32 v64, s7
	v_fma_f64 v[30:31], -v[48:49], v[66:67], v[30:31]
	ds_read_b64 v[62:63], v62
	ds_read_b64 v[64:65], v64
	s_add_i32 s7, s6, s30
	s_lshl_b32 s33, s2, 8
	s_waitcnt lgkmcnt(0)
	v_fma_f64 v[30:31], -v[52:53], v[58:59], v[30:31]
	v_mov_b32_e32 v58, s7
	s_add_i32 s7, s6, s31
	s_add_i32 s6, s6, s33
	v_fma_f64 v[30:31], -v[54:55], v[60:61], v[30:31]
	v_mov_b32_e32 v60, s7
	v_mov_b32_e32 v66, s6
	ds_read_b64 v[58:59], v58
	ds_read_b64 v[60:61], v60
	;; [unrolled: 1-line block ×3, first 2 shown]
	v_fma_f64 v[30:31], -v[50:51], v[62:63], v[30:31]
	v_fma_f64 v[30:31], -v[46:47], v[64:65], v[30:31]
	s_waitcnt lgkmcnt(0)
	v_fma_f64 v[30:31], -v[42:43], v[58:59], v[30:31]
	v_lshl_add_u64 v[58:59], s[2:3], 3, v[56:57]
	s_sub_i32 s2, s0, 23
	v_fma_f64 v[30:31], -v[36:37], v[60:61], v[30:31]
	s_lshl_b32 s6, s2, 3
	v_mul_f64 v[30:31], v[66:67], v[30:31]
	s_add_i32 s7, s6, s9
	flat_store_dwordx2 v[58:59], v[30:31]
	v_mov_b32_e32 v58, s7
	s_add_i32 s7, s6, s10
	v_mov_b32_e32 v60, s7
	s_add_i32 s7, s6, s11
	v_mov_b32_e32 v62, s7
	ds_read_b64 v[58:59], v58
	ds_read_b64 v[60:61], v60
	;; [unrolled: 1-line block ×3, first 2 shown]
	s_add_i32 s7, s6, s12
	v_mov_b32_e32 v64, s7
	s_add_i32 s7, s6, s13
	ds_read_b64 v[64:65], v64
	s_waitcnt lgkmcnt(0)
	v_fma_f64 v[24:25], -v[6:7], v[58:59], v[24:25]
	v_mov_b32_e32 v58, s7
	s_add_i32 s7, s6, s14
	v_fma_f64 v[24:25], -v[8:9], v[60:61], v[24:25]
	v_mov_b32_e32 v60, s7
	s_add_i32 s7, s6, s15
	;; [unrolled: 3-line block ×3, first 2 shown]
	v_mov_b32_e32 v66, s7
	ds_read_b64 v[58:59], v58
	ds_read_b64 v[60:61], v60
	;; [unrolled: 1-line block ×4, first 2 shown]
	v_fma_f64 v[24:25], -v[12:13], v[64:65], v[24:25]
	s_add_i32 s7, s6, s17
	s_waitcnt lgkmcnt(0)
	v_fma_f64 v[24:25], -v[14:15], v[58:59], v[24:25]
	v_mov_b32_e32 v58, s7
	s_add_i32 s7, s6, s18
	v_fma_f64 v[24:25], -v[18:19], v[60:61], v[24:25]
	v_mov_b32_e32 v60, s7
	s_add_i32 s7, s6, s19
	v_fma_f64 v[24:25], -v[20:21], v[62:63], v[24:25]
	v_mov_b32_e32 v62, s7
	ds_read_b64 v[58:59], v58
	ds_read_b64 v[60:61], v60
	;; [unrolled: 1-line block ×3, first 2 shown]
	s_add_i32 s7, s6, s20
	v_fma_f64 v[24:25], -v[22:23], v[66:67], v[24:25]
	v_mov_b32_e32 v64, s7
	s_add_i32 s7, s6, s21
	ds_read_b64 v[64:65], v64
	s_waitcnt lgkmcnt(0)
	v_fma_f64 v[24:25], -v[26:27], v[58:59], v[24:25]
	v_mov_b32_e32 v58, s7
	s_add_i32 s7, s6, s23
	v_fma_f64 v[24:25], -v[28:29], v[60:61], v[24:25]
	v_mov_b32_e32 v60, s7
	s_add_i32 s7, s6, s24
	;; [unrolled: 3-line block ×3, first 2 shown]
	v_mov_b32_e32 v66, s7
	ds_read_b64 v[58:59], v58
	ds_read_b64 v[60:61], v60
	;; [unrolled: 1-line block ×4, first 2 shown]
	v_fma_f64 v[24:25], -v[34:35], v[64:65], v[24:25]
	s_add_i32 s7, s6, s26
	s_waitcnt lgkmcnt(0)
	v_fma_f64 v[24:25], -v[38:39], v[58:59], v[24:25]
	v_mov_b32_e32 v58, s7
	s_add_i32 s7, s6, s27
	v_fma_f64 v[24:25], -v[40:41], v[60:61], v[24:25]
	v_mov_b32_e32 v60, s7
	s_add_i32 s7, s6, s28
	v_fma_f64 v[24:25], -v[44:45], v[62:63], v[24:25]
	v_mov_b32_e32 v62, s7
	ds_read_b64 v[58:59], v58
	ds_read_b64 v[60:61], v60
	;; [unrolled: 1-line block ×3, first 2 shown]
	s_add_i32 s7, s6, s29
	v_mov_b32_e32 v64, s7
	v_fma_f64 v[24:25], -v[48:49], v[66:67], v[24:25]
	ds_read_b64 v[64:65], v64
	s_add_i32 s7, s6, s30
	s_waitcnt lgkmcnt(0)
	v_fma_f64 v[24:25], -v[52:53], v[58:59], v[24:25]
	v_mov_b32_e32 v58, s7
	s_add_i32 s7, s6, s31
	s_lshl_b32 s34, s2, 8
	v_fma_f64 v[24:25], -v[54:55], v[60:61], v[24:25]
	v_mov_b32_e32 v60, s7
	s_add_i32 s7, s6, s33
	s_add_i32 s6, s6, s34
	v_fma_f64 v[24:25], -v[50:51], v[62:63], v[24:25]
	v_mov_b32_e32 v62, s7
	v_mov_b32_e32 v66, s6
	ds_read_b64 v[58:59], v58
	ds_read_b64 v[60:61], v60
	;; [unrolled: 1-line block ×4, first 2 shown]
	v_fma_f64 v[24:25], -v[46:47], v[64:65], v[24:25]
	s_waitcnt lgkmcnt(0)
	v_fma_f64 v[24:25], -v[42:43], v[58:59], v[24:25]
	v_fma_f64 v[24:25], -v[36:37], v[60:61], v[24:25]
	v_lshl_add_u64 v[58:59], s[2:3], 3, v[56:57]
	s_sub_i32 s2, s0, 24
	v_fma_f64 v[24:25], -v[30:31], v[62:63], v[24:25]
	s_lshl_b32 s6, s2, 3
	v_mul_f64 v[24:25], v[66:67], v[24:25]
	s_add_i32 s7, s6, s9
	flat_store_dwordx2 v[58:59], v[24:25]
	v_mov_b32_e32 v58, s7
	s_add_i32 s7, s6, s10
	v_mov_b32_e32 v60, s7
	s_add_i32 s7, s6, s11
	v_mov_b32_e32 v62, s7
	s_add_i32 s7, s6, s12
	v_mov_b32_e32 v64, s7
	ds_read_b64 v[58:59], v58
	ds_read_b64 v[60:61], v60
	ds_read_b64 v[62:63], v62
	ds_read_b64 v[64:65], v64
	s_add_i32 s7, s6, s13
	s_waitcnt lgkmcnt(0)
	v_fma_f64 v[16:17], -v[6:7], v[58:59], v[16:17]
	v_mov_b32_e32 v58, s7
	s_add_i32 s7, s6, s14
	v_fma_f64 v[16:17], -v[8:9], v[60:61], v[16:17]
	v_mov_b32_e32 v60, s7
	s_add_i32 s7, s6, s15
	v_fma_f64 v[16:17], -v[10:11], v[62:63], v[16:17]
	v_mov_b32_e32 v62, s7
	ds_read_b64 v[58:59], v58
	ds_read_b64 v[60:61], v60
	ds_read_b64 v[62:63], v62
	s_add_i32 s7, s6, s16
	v_fma_f64 v[16:17], -v[12:13], v[64:65], v[16:17]
	v_mov_b32_e32 v64, s7
	s_add_i32 s7, s6, s17
	ds_read_b64 v[64:65], v64
	s_waitcnt lgkmcnt(0)
	v_fma_f64 v[16:17], -v[14:15], v[58:59], v[16:17]
	v_mov_b32_e32 v58, s7
	s_add_i32 s7, s6, s18
	v_fma_f64 v[16:17], -v[18:19], v[60:61], v[16:17]
	v_mov_b32_e32 v60, s7
	s_add_i32 s7, s6, s19
	;; [unrolled: 3-line block ×3, first 2 shown]
	v_mov_b32_e32 v66, s7
	ds_read_b64 v[58:59], v58
	ds_read_b64 v[60:61], v60
	;; [unrolled: 1-line block ×4, first 2 shown]
	v_fma_f64 v[16:17], -v[22:23], v[64:65], v[16:17]
	s_add_i32 s7, s6, s21
	s_waitcnt lgkmcnt(0)
	v_fma_f64 v[16:17], -v[26:27], v[58:59], v[16:17]
	v_mov_b32_e32 v58, s7
	s_add_i32 s7, s6, s23
	v_fma_f64 v[16:17], -v[28:29], v[60:61], v[16:17]
	v_mov_b32_e32 v60, s7
	s_add_i32 s7, s6, s24
	v_fma_f64 v[16:17], -v[32:33], v[62:63], v[16:17]
	v_mov_b32_e32 v62, s7
	ds_read_b64 v[58:59], v58
	ds_read_b64 v[60:61], v60
	;; [unrolled: 1-line block ×3, first 2 shown]
	s_add_i32 s7, s6, s25
	v_fma_f64 v[16:17], -v[34:35], v[66:67], v[16:17]
	v_mov_b32_e32 v64, s7
	s_add_i32 s7, s6, s26
	ds_read_b64 v[64:65], v64
	s_waitcnt lgkmcnt(0)
	v_fma_f64 v[16:17], -v[38:39], v[58:59], v[16:17]
	v_mov_b32_e32 v58, s7
	s_add_i32 s7, s6, s27
	v_fma_f64 v[16:17], -v[40:41], v[60:61], v[16:17]
	v_mov_b32_e32 v60, s7
	s_add_i32 s7, s6, s28
	;; [unrolled: 3-line block ×3, first 2 shown]
	v_mov_b32_e32 v66, s7
	ds_read_b64 v[58:59], v58
	ds_read_b64 v[60:61], v60
	;; [unrolled: 1-line block ×4, first 2 shown]
	v_fma_f64 v[16:17], -v[48:49], v[64:65], v[16:17]
	s_add_i32 s7, s6, s30
	s_waitcnt lgkmcnt(0)
	v_fma_f64 v[16:17], -v[52:53], v[58:59], v[16:17]
	v_mov_b32_e32 v58, s7
	s_add_i32 s7, s6, s31
	v_fma_f64 v[16:17], -v[54:55], v[60:61], v[16:17]
	v_mov_b32_e32 v60, s7
	s_add_i32 s7, s6, s33
	s_add_i32 s6, s6, s34
	v_fma_f64 v[16:17], -v[50:51], v[62:63], v[16:17]
	v_mov_b32_e32 v62, s7
	v_mov_b32_e32 v64, s6
	s_add_i32 s6, s1, 0xffffe740
	v_fma_f64 v[16:17], -v[46:47], v[66:67], v[16:17]
	ds_read_b64 v[58:59], v58
	ds_read_b64 v[60:61], v60
	ds_read_b64 v[62:63], v62
	ds_read_b64 v[64:65], v64
	v_mov_b32_e32 v66, s6
	ds_read_b64 v[66:67], v66
	s_waitcnt lgkmcnt(0)
	v_fma_f64 v[16:17], -v[42:43], v[58:59], v[16:17]
	v_fma_f64 v[16:17], -v[36:37], v[60:61], v[16:17]
	;; [unrolled: 1-line block ×3, first 2 shown]
	s_sub_i32 s6, s0, 25
	v_fma_f64 v[16:17], -v[24:25], v[64:65], v[16:17]
	s_lshl_b32 s7, s6, 3
	v_mul_f64 v[16:17], v[66:67], v[16:17]
	v_lshl_add_u64 v[58:59], s[2:3], 3, v[56:57]
	s_add_i32 s35, s7, s9
	flat_store_dwordx2 v[58:59], v[16:17]
	v_mov_b32_e32 v58, s35
	s_add_i32 s35, s7, s10
	v_mov_b32_e32 v60, s35
	s_add_i32 s35, s7, s11
	;; [unrolled: 2-line block ×3, first 2 shown]
	v_mov_b32_e32 v64, s35
	ds_read_b64 v[58:59], v58
	ds_read_b64 v[60:61], v60
	;; [unrolled: 1-line block ×4, first 2 shown]
	s_add_i32 s35, s7, s13
	s_waitcnt lgkmcnt(0)
	v_fma_f64 v[4:5], -v[6:7], v[58:59], v[4:5]
	v_mov_b32_e32 v58, s35
	s_add_i32 s35, s7, s14
	v_fma_f64 v[4:5], -v[8:9], v[60:61], v[4:5]
	v_mov_b32_e32 v60, s35
	s_add_i32 s35, s7, s15
	v_fma_f64 v[4:5], -v[10:11], v[62:63], v[4:5]
	v_mov_b32_e32 v62, s35
	ds_read_b64 v[58:59], v58
	ds_read_b64 v[60:61], v60
	;; [unrolled: 1-line block ×3, first 2 shown]
	s_add_i32 s35, s7, s16
	v_fma_f64 v[4:5], -v[12:13], v[64:65], v[4:5]
	v_mov_b32_e32 v64, s35
	s_add_i32 s35, s7, s17
	ds_read_b64 v[64:65], v64
	s_waitcnt lgkmcnt(0)
	v_fma_f64 v[4:5], -v[14:15], v[58:59], v[4:5]
	v_mov_b32_e32 v58, s35
	s_add_i32 s35, s7, s18
	v_fma_f64 v[4:5], -v[18:19], v[60:61], v[4:5]
	v_mov_b32_e32 v60, s35
	s_add_i32 s35, s7, s19
	;; [unrolled: 3-line block ×3, first 2 shown]
	v_mov_b32_e32 v66, s35
	ds_read_b64 v[58:59], v58
	ds_read_b64 v[60:61], v60
	ds_read_b64 v[62:63], v62
	ds_read_b64 v[66:67], v66
	v_fma_f64 v[4:5], -v[22:23], v[64:65], v[4:5]
	s_add_i32 s35, s7, s21
	s_waitcnt lgkmcnt(0)
	v_fma_f64 v[4:5], -v[26:27], v[58:59], v[4:5]
	v_mov_b32_e32 v58, s35
	s_add_i32 s35, s7, s23
	v_fma_f64 v[4:5], -v[28:29], v[60:61], v[4:5]
	v_mov_b32_e32 v60, s35
	s_add_i32 s35, s7, s24
	v_fma_f64 v[4:5], -v[32:33], v[62:63], v[4:5]
	v_mov_b32_e32 v62, s35
	ds_read_b64 v[58:59], v58
	ds_read_b64 v[60:61], v60
	ds_read_b64 v[62:63], v62
	s_add_i32 s35, s7, s25
	v_fma_f64 v[4:5], -v[34:35], v[66:67], v[4:5]
	v_mov_b32_e32 v64, s35
	s_add_i32 s35, s7, s26
	ds_read_b64 v[64:65], v64
	s_waitcnt lgkmcnt(0)
	v_fma_f64 v[4:5], -v[38:39], v[58:59], v[4:5]
	v_mov_b32_e32 v58, s35
	s_add_i32 s35, s7, s27
	v_fma_f64 v[4:5], -v[40:41], v[60:61], v[4:5]
	v_mov_b32_e32 v60, s35
	s_add_i32 s35, s7, s28
	v_fma_f64 v[4:5], -v[44:45], v[62:63], v[4:5]
	v_mov_b32_e32 v62, s35
	s_add_i32 s35, s7, s29
	v_mov_b32_e32 v66, s35
	ds_read_b64 v[58:59], v58
	ds_read_b64 v[60:61], v60
	;; [unrolled: 1-line block ×4, first 2 shown]
	v_fma_f64 v[4:5], -v[48:49], v[64:65], v[4:5]
	s_add_i32 s35, s7, s30
	s_waitcnt lgkmcnt(0)
	v_fma_f64 v[4:5], -v[52:53], v[58:59], v[4:5]
	v_mov_b32_e32 v58, s35
	ds_read_b64 v[58:59], v58
	s_add_i32 s35, s7, s31
	v_fma_f64 v[4:5], -v[54:55], v[60:61], v[4:5]
	v_mov_b32_e32 v60, s35
	s_add_i32 s35, s7, s33
	v_fma_f64 v[4:5], -v[50:51], v[62:63], v[4:5]
	v_mov_b32_e32 v62, s35
	s_add_i32 s35, s7, s34
	v_mov_b32_e32 v64, s35
	s_lshl_b32 s35, s2, 8
	v_fma_f64 v[4:5], -v[46:47], v[66:67], v[4:5]
	s_add_i32 s2, s7, s35
	ds_read_b64 v[60:61], v60
	ds_read_b64 v[62:63], v62
	;; [unrolled: 1-line block ×3, first 2 shown]
	s_waitcnt lgkmcnt(0)
	v_fma_f64 v[4:5], -v[42:43], v[58:59], v[4:5]
	v_mov_b32_e32 v58, s2
	s_add_i32 s2, s1, 0xffffe638
	v_mov_b32_e32 v66, s2
	ds_read_b64 v[58:59], v58
	ds_read_b64 v[66:67], v66
	v_fma_f64 v[4:5], -v[36:37], v[60:61], v[4:5]
	v_fma_f64 v[4:5], -v[30:31], v[62:63], v[4:5]
	;; [unrolled: 1-line block ×3, first 2 shown]
	s_mov_b32 s7, s3
	s_sub_i32 s2, s0, 26
	s_waitcnt lgkmcnt(0)
	v_fma_f64 v[4:5], -v[16:17], v[58:59], v[4:5]
	v_lshl_add_u64 v[58:59], s[6:7], 3, v[56:57]
	s_lshl_b32 s7, s2, 3
	v_mul_f64 v[4:5], v[66:67], v[4:5]
	s_add_i32 s36, s7, s9
	flat_store_dwordx2 v[58:59], v[4:5]
	v_mov_b32_e32 v58, s36
	s_add_i32 s36, s7, s10
	v_mov_b32_e32 v60, s36
	s_add_i32 s36, s7, s11
	;; [unrolled: 2-line block ×3, first 2 shown]
	v_mov_b32_e32 v64, s36
	ds_read_b64 v[58:59], v58
	ds_read_b64 v[60:61], v60
	ds_read_b64 v[62:63], v62
	ds_read_b64 v[64:65], v64
	s_add_i32 s36, s7, s13
	s_waitcnt lgkmcnt(0)
	v_fma_f64 v[2:3], -v[6:7], v[58:59], v[2:3]
	v_mov_b32_e32 v58, s36
	s_add_i32 s36, s7, s14
	v_fma_f64 v[2:3], -v[8:9], v[60:61], v[2:3]
	v_mov_b32_e32 v60, s36
	s_add_i32 s36, s7, s15
	v_fma_f64 v[2:3], -v[10:11], v[62:63], v[2:3]
	v_mov_b32_e32 v62, s36
	ds_read_b64 v[58:59], v58
	ds_read_b64 v[60:61], v60
	;; [unrolled: 1-line block ×3, first 2 shown]
	s_add_i32 s36, s7, s16
	v_fma_f64 v[2:3], -v[12:13], v[64:65], v[2:3]
	v_mov_b32_e32 v64, s36
	s_add_i32 s36, s7, s17
	ds_read_b64 v[64:65], v64
	s_waitcnt lgkmcnt(0)
	v_fma_f64 v[2:3], -v[14:15], v[58:59], v[2:3]
	v_mov_b32_e32 v58, s36
	s_add_i32 s36, s7, s18
	v_fma_f64 v[2:3], -v[18:19], v[60:61], v[2:3]
	v_mov_b32_e32 v60, s36
	s_add_i32 s36, s7, s19
	;; [unrolled: 3-line block ×3, first 2 shown]
	v_mov_b32_e32 v66, s36
	ds_read_b64 v[58:59], v58
	ds_read_b64 v[60:61], v60
	;; [unrolled: 1-line block ×4, first 2 shown]
	v_fma_f64 v[2:3], -v[22:23], v[64:65], v[2:3]
	s_add_i32 s36, s7, s21
	s_waitcnt lgkmcnt(0)
	v_fma_f64 v[2:3], -v[26:27], v[58:59], v[2:3]
	v_mov_b32_e32 v58, s36
	s_add_i32 s36, s7, s23
	v_fma_f64 v[2:3], -v[28:29], v[60:61], v[2:3]
	v_mov_b32_e32 v60, s36
	s_add_i32 s36, s7, s24
	v_fma_f64 v[2:3], -v[32:33], v[62:63], v[2:3]
	v_mov_b32_e32 v62, s36
	ds_read_b64 v[58:59], v58
	ds_read_b64 v[60:61], v60
	;; [unrolled: 1-line block ×3, first 2 shown]
	s_add_i32 s36, s7, s25
	v_fma_f64 v[2:3], -v[34:35], v[66:67], v[2:3]
	v_mov_b32_e32 v64, s36
	s_add_i32 s36, s7, s26
	ds_read_b64 v[64:65], v64
	s_waitcnt lgkmcnt(0)
	v_fma_f64 v[2:3], -v[38:39], v[58:59], v[2:3]
	v_mov_b32_e32 v58, s36
	s_add_i32 s36, s7, s27
	v_fma_f64 v[2:3], -v[40:41], v[60:61], v[2:3]
	v_mov_b32_e32 v60, s36
	s_add_i32 s36, s7, s28
	v_fma_f64 v[2:3], -v[44:45], v[62:63], v[2:3]
	v_mov_b32_e32 v62, s36
	s_add_i32 s36, s7, s29
	v_mov_b32_e32 v66, s36
	ds_read_b64 v[58:59], v58
	ds_read_b64 v[60:61], v60
	;; [unrolled: 1-line block ×4, first 2 shown]
	v_fma_f64 v[2:3], -v[48:49], v[64:65], v[2:3]
	s_add_i32 s36, s7, s30
	s_waitcnt lgkmcnt(0)
	v_fma_f64 v[2:3], -v[52:53], v[58:59], v[2:3]
	v_mov_b32_e32 v58, s36
	s_add_i32 s36, s7, s31
	v_fma_f64 v[2:3], -v[54:55], v[60:61], v[2:3]
	v_mov_b32_e32 v60, s36
	ds_read_b64 v[58:59], v58
	ds_read_b64 v[60:61], v60
	s_add_i32 s36, s7, s33
	v_fma_f64 v[2:3], -v[50:51], v[62:63], v[2:3]
	v_mov_b32_e32 v62, s36
	s_add_i32 s36, s7, s34
	v_fma_f64 v[2:3], -v[46:47], v[66:67], v[2:3]
	v_mov_b32_e32 v64, s36
	s_add_i32 s36, s7, s35
	s_waitcnt lgkmcnt(0)
	v_fma_f64 v[2:3], -v[42:43], v[58:59], v[2:3]
	v_mov_b32_e32 v58, s36
	s_lshl_b32 s36, s6, 8
	ds_read_b64 v[62:63], v62
	ds_read_b64 v[64:65], v64
	s_add_i32 s6, s7, s36
	v_fma_f64 v[2:3], -v[36:37], v[60:61], v[2:3]
	v_mov_b32_e32 v60, s6
	s_add_i32 s6, s1, 0xffffe530
	v_mov_b32_e32 v66, s6
	ds_read_b64 v[58:59], v58
	ds_read_b64 v[60:61], v60
	;; [unrolled: 1-line block ×3, first 2 shown]
	s_waitcnt lgkmcnt(0)
	v_fma_f64 v[2:3], -v[30:31], v[62:63], v[2:3]
	v_fma_f64 v[2:3], -v[24:25], v[64:65], v[2:3]
	;; [unrolled: 1-line block ×3, first 2 shown]
	s_sub_i32 s6, s0, 27
	v_fma_f64 v[2:3], -v[4:5], v[60:61], v[2:3]
	s_lshl_b32 s7, s6, 3
	v_mul_f64 v[2:3], v[66:67], v[2:3]
	v_lshl_add_u64 v[58:59], s[2:3], 3, v[56:57]
	s_add_i32 s9, s7, s9
	flat_store_dwordx2 v[58:59], v[2:3]
	v_mov_b32_e32 v58, s9
	s_add_i32 s9, s7, s10
	v_mov_b32_e32 v60, s9
	s_add_i32 s9, s7, s11
	;; [unrolled: 2-line block ×3, first 2 shown]
	v_mov_b32_e32 v64, s9
	ds_read_b64 v[58:59], v58
	ds_read_b64 v[60:61], v60
	;; [unrolled: 1-line block ×4, first 2 shown]
	s_add_i32 s9, s7, s13
	s_waitcnt lgkmcnt(0)
	v_fma_f64 v[0:1], -v[6:7], v[58:59], v[0:1]
	v_mov_b32_e32 v6, s9
	s_add_i32 s9, s7, s14
	v_fma_f64 v[0:1], -v[8:9], v[60:61], v[0:1]
	v_mov_b32_e32 v8, s9
	s_add_i32 s9, s7, s15
	v_fma_f64 v[0:1], -v[10:11], v[62:63], v[0:1]
	v_mov_b32_e32 v10, s9
	ds_read_b64 v[6:7], v6
	ds_read_b64 v[8:9], v8
	;; [unrolled: 1-line block ×3, first 2 shown]
	s_add_i32 s9, s7, s16
	v_fma_f64 v[0:1], -v[12:13], v[64:65], v[0:1]
	v_mov_b32_e32 v12, s9
	s_add_i32 s9, s7, s17
	ds_read_b64 v[12:13], v12
	s_waitcnt lgkmcnt(0)
	v_fma_f64 v[0:1], -v[14:15], v[6:7], v[0:1]
	v_mov_b32_e32 v6, s9
	s_add_i32 s9, s7, s18
	v_fma_f64 v[0:1], -v[18:19], v[8:9], v[0:1]
	v_mov_b32_e32 v8, s9
	s_add_i32 s9, s7, s19
	;; [unrolled: 3-line block ×3, first 2 shown]
	v_mov_b32_e32 v14, s9
	ds_read_b64 v[6:7], v6
	ds_read_b64 v[8:9], v8
	;; [unrolled: 1-line block ×4, first 2 shown]
	v_fma_f64 v[0:1], -v[22:23], v[12:13], v[0:1]
	s_add_i32 s9, s7, s21
	s_waitcnt lgkmcnt(0)
	v_fma_f64 v[0:1], -v[26:27], v[6:7], v[0:1]
	v_mov_b32_e32 v6, s9
	s_add_i32 s9, s7, s23
	v_fma_f64 v[0:1], -v[28:29], v[8:9], v[0:1]
	v_mov_b32_e32 v8, s9
	s_add_i32 s9, s7, s24
	v_fma_f64 v[0:1], -v[32:33], v[10:11], v[0:1]
	v_mov_b32_e32 v10, s9
	ds_read_b64 v[6:7], v6
	ds_read_b64 v[8:9], v8
	;; [unrolled: 1-line block ×3, first 2 shown]
	s_add_i32 s9, s7, s25
	v_fma_f64 v[0:1], -v[34:35], v[14:15], v[0:1]
	v_mov_b32_e32 v12, s9
	s_add_i32 s9, s7, s26
	ds_read_b64 v[12:13], v12
	s_waitcnt lgkmcnt(0)
	v_fma_f64 v[0:1], -v[38:39], v[6:7], v[0:1]
	v_mov_b32_e32 v6, s9
	s_add_i32 s9, s7, s27
	v_fma_f64 v[0:1], -v[40:41], v[8:9], v[0:1]
	v_mov_b32_e32 v8, s9
	s_add_i32 s9, s7, s28
	;; [unrolled: 3-line block ×3, first 2 shown]
	v_mov_b32_e32 v14, s9
	ds_read_b64 v[6:7], v6
	ds_read_b64 v[8:9], v8
	;; [unrolled: 1-line block ×4, first 2 shown]
	v_fma_f64 v[0:1], -v[48:49], v[12:13], v[0:1]
	s_add_i32 s9, s7, s30
	s_waitcnt lgkmcnt(0)
	v_fma_f64 v[0:1], -v[52:53], v[6:7], v[0:1]
	v_mov_b32_e32 v6, s9
	s_add_i32 s9, s7, s31
	v_fma_f64 v[0:1], -v[54:55], v[8:9], v[0:1]
	v_mov_b32_e32 v8, s9
	s_add_i32 s9, s7, s33
	v_fma_f64 v[0:1], -v[50:51], v[10:11], v[0:1]
	v_mov_b32_e32 v10, s9
	ds_read_b64 v[6:7], v6
	ds_read_b64 v[8:9], v8
	ds_read_b64 v[10:11], v10
	s_add_i32 s9, s7, s34
	v_mov_b32_e32 v12, s9
	v_fma_f64 v[0:1], -v[46:47], v[14:15], v[0:1]
	ds_read_b64 v[12:13], v12
	s_waitcnt lgkmcnt(0)
	v_fma_f64 v[0:1], -v[42:43], v[6:7], v[0:1]
	s_add_i32 s9, s7, s35
	s_lshl_b32 s2, s2, 8
	v_fma_f64 v[0:1], -v[36:37], v[8:9], v[0:1]
	v_mov_b32_e32 v6, s9
	s_add_i32 s9, s7, s36
	s_add_i32 s2, s7, s2
	s_addk_i32 s1, 0xe428
	v_fma_f64 v[0:1], -v[30:31], v[10:11], v[0:1]
	v_mov_b32_e32 v8, s9
	v_mov_b32_e32 v10, s2
	;; [unrolled: 1-line block ×3, first 2 shown]
	ds_read_b64 v[6:7], v6
	ds_read_b64 v[8:9], v8
	;; [unrolled: 1-line block ×4, first 2 shown]
	v_fma_f64 v[0:1], -v[24:25], v[12:13], v[0:1]
	s_waitcnt lgkmcnt(0)
	v_fma_f64 v[0:1], -v[16:17], v[6:7], v[0:1]
	v_fma_f64 v[0:1], -v[4:5], v[8:9], v[0:1]
	v_fma_f64 v[0:1], -v[2:3], v[10:11], v[0:1]
	s_mov_b32 s7, s3
	v_mul_f64 v[0:1], v[14:15], v[0:1]
	v_lshl_add_u64 v[2:3], s[6:7], 3, v[56:57]
	s_sub_i32 s0, s0, 28
	flat_store_dwordx2 v[2:3], v[0:1]
.LBB103_34:
	s_cmp_lt_i32 s0, 0
	s_cbranch_scc1 .LBB103_51
; %bb.35:
	s_and_b32 s1, s0, 3
	s_cmp_eq_u32 s1, 3
	s_mov_b32 s2, s0
	s_cbranch_scc1 .LBB103_40
; %bb.36:
	s_lshl_b32 s2, s22, 8
	s_lshl_b32 s3, s0, 3
	s_add_i32 s1, s0, 1
	s_add_i32 s2, s2, s3
	s_and_b32 s1, s1, 3
	s_add_i32 s9, s2, 0xffffff00
	s_mov_b32 s7, 0
	s_mov_b32 s2, s0
	;; [unrolled: 1-line block ×3, first 2 shown]
	s_branch .LBB103_38
.LBB103_37:                             ;   in Loop: Header=BB103_38 Depth=1
	s_mul_i32 s3, s2, 0x108
	v_mov_b32_e32 v4, s3
	ds_read_b64 v[4:5], v4
	s_add_i32 s2, s2, -1
	s_add_i32 s10, s10, 1
	s_add_i32 s9, s9, -8
	s_cmp_lg_u32 s10, s1
	s_waitcnt lgkmcnt(0)
	v_mul_f64 v[2:3], v[4:5], v[2:3]
	flat_store_dwordx2 v[0:1], v[2:3]
	s_cbranch_scc0 .LBB103_40
.LBB103_38:                             ; =>This Loop Header: Depth=1
                                        ;     Child Loop BB103_39 Depth 2
	s_mov_b32 s3, s7
	v_lshl_add_u64 v[0:1], s[2:3], 3, v[56:57]
	flat_load_dwordx2 v[2:3], v[0:1]
	s_cmp_le_i32 s8, s2
	s_mov_b32 s3, s9
	s_mov_b32 s6, s8
	s_waitcnt vmcnt(0) lgkmcnt(0)
	v_mul_f64 v[2:3], s[4:5], v[2:3]
	s_cbranch_scc1 .LBB103_37
.LBB103_39:                             ;   Parent Loop BB103_38 Depth=1
                                        ; =>  This Inner Loop Header: Depth=2
	v_lshl_add_u64 v[4:5], s[6:7], 3, v[56:57]
	flat_load_dwordx2 v[4:5], v[4:5]
	v_mov_b32_e32 v6, s3
	ds_read_b64 v[6:7], v6
	s_add_i32 s6, s6, -1
	s_addk_i32 s3, 0xff00
	s_cmp_gt_i32 s6, s2
	s_waitcnt vmcnt(0) lgkmcnt(0)
	v_fma_f64 v[2:3], -v[4:5], v[6:7], v[2:3]
	s_cbranch_scc1 .LBB103_39
	s_branch .LBB103_37
.LBB103_40:
	s_cmp_lt_u32 s0, 3
	s_cbranch_scc1 .LBB103_51
; %bb.41:
	s_lshl_b32 s0, s22, 8
	s_lshl_b32 s1, s2, 3
	s_add_i32 s0, s0, s1
	s_add_i32 s9, s0, 0xffffff00
	;; [unrolled: 1-line block ×5, first 2 shown]
	s_mov_b32 s1, 0
	s_branch .LBB103_43
.LBB103_42:                             ;   in Loop: Header=BB103_43 Depth=1
	s_add_i32 s0, s3, 0xfffffef8
	v_mov_b32_e32 v4, s0
	ds_read_b64 v[4:5], v4
	s_add_i32 s0, s2, -4
	s_sub_i32 s9, s9, 32
	s_sub_i32 s10, s10, 32
	;; [unrolled: 1-line block ×4, first 2 shown]
	s_waitcnt lgkmcnt(0)
	v_mul_f64 v[2:3], v[4:5], v[2:3]
	s_cmp_lt_i32 s2, 4
	s_mov_b32 s2, s0
	flat_store_dwordx2 v[0:1], v[2:3]
	s_cbranch_scc1 .LBB103_51
.LBB103_43:                             ; =>This Loop Header: Depth=1
                                        ;     Child Loop BB103_44 Depth 2
                                        ;     Child Loop BB103_46 Depth 2
	;; [unrolled: 1-line block ×4, first 2 shown]
	s_mov_b32 s3, s1
	v_lshl_add_u64 v[2:3], s[2:3], 3, v[56:57]
	flat_load_dwordx2 v[0:1], v[2:3]
	s_cmp_le_i32 s8, s2
	s_mov_b32 s3, s9
	s_mov_b32 s0, s8
	s_waitcnt vmcnt(0) lgkmcnt(0)
	v_mul_f64 v[4:5], s[4:5], v[0:1]
	s_cbranch_scc1 .LBB103_45
.LBB103_44:                             ;   Parent Loop BB103_43 Depth=1
                                        ; =>  This Inner Loop Header: Depth=2
	v_lshl_add_u64 v[0:1], s[0:1], 3, v[56:57]
	flat_load_dwordx2 v[0:1], v[0:1]
	v_mov_b32_e32 v6, s3
	ds_read_b64 v[6:7], v6
	s_add_i32 s0, s0, -1
	s_addk_i32 s3, 0xff00
	s_cmp_gt_i32 s0, s2
	s_waitcnt vmcnt(0) lgkmcnt(0)
	v_fma_f64 v[4:5], -v[0:1], v[6:7], v[4:5]
	s_cbranch_scc1 .LBB103_44
.LBB103_45:                             ;   in Loop: Header=BB103_43 Depth=1
	s_add_i32 s0, s2, -1
	v_lshl_add_u64 v[0:1], s[0:1], 3, v[56:57]
	flat_load_dwordx2 v[6:7], v[0:1]
	s_mul_i32 s3, s2, 0x108
	v_mov_b32_e32 v8, s3
	ds_read_b64 v[8:9], v8
	s_mov_b32 s6, s10
	s_cmp_le_i32 s22, s2
	s_mov_b32 s0, s22
	s_waitcnt lgkmcnt(0)
	v_mul_f64 v[4:5], v[8:9], v[4:5]
	flat_store_dwordx2 v[2:3], v[4:5]
	s_waitcnt vmcnt(0)
	v_mul_f64 v[4:5], s[4:5], v[6:7]
	s_cbranch_scc1 .LBB103_47
.LBB103_46:                             ;   Parent Loop BB103_43 Depth=1
                                        ; =>  This Inner Loop Header: Depth=2
	s_add_i32 s0, s0, -1
	v_lshl_add_u64 v[2:3], s[0:1], 3, v[56:57]
	flat_load_dwordx2 v[2:3], v[2:3]
	v_mov_b32_e32 v6, s6
	ds_read_b64 v[6:7], v6
	s_addk_i32 s6, 0xff00
	s_cmp_gt_i32 s0, s2
	s_waitcnt vmcnt(0) lgkmcnt(0)
	v_fma_f64 v[4:5], -v[2:3], v[6:7], v[4:5]
	s_cbranch_scc1 .LBB103_46
.LBB103_47:                             ;   in Loop: Header=BB103_43 Depth=1
	s_add_i32 s6, s2, -2
	s_mov_b32 s7, s1
	v_lshl_add_u64 v[2:3], s[6:7], 3, v[56:57]
	flat_load_dwordx2 v[6:7], v[2:3]
	s_addk_i32 s3, 0xfef8
	v_mov_b32_e32 v8, s3
	ds_read_b64 v[8:9], v8
	s_mov_b32 s7, s11
	s_cmp_le_i32 s8, s6
	s_mov_b32 s0, s8
	s_waitcnt lgkmcnt(0)
	v_mul_f64 v[4:5], v[8:9], v[4:5]
	flat_store_dwordx2 v[0:1], v[4:5]
	s_waitcnt vmcnt(0)
	v_mul_f64 v[4:5], s[4:5], v[6:7]
	s_cbranch_scc1 .LBB103_49
.LBB103_48:                             ;   Parent Loop BB103_43 Depth=1
                                        ; =>  This Inner Loop Header: Depth=2
	v_lshl_add_u64 v[0:1], s[0:1], 3, v[56:57]
	flat_load_dwordx2 v[0:1], v[0:1]
	v_mov_b32_e32 v6, s7
	ds_read_b64 v[6:7], v6
	s_add_i32 s0, s0, -1
	s_addk_i32 s7, 0xff00
	s_cmp_gt_i32 s0, s6
	s_waitcnt vmcnt(0) lgkmcnt(0)
	v_fma_f64 v[4:5], -v[0:1], v[6:7], v[4:5]
	s_cbranch_scc1 .LBB103_48
.LBB103_49:                             ;   in Loop: Header=BB103_43 Depth=1
	s_add_i32 s6, s2, -3
	s_mov_b32 s7, s1
	v_lshl_add_u64 v[0:1], s[6:7], 3, v[56:57]
	flat_load_dwordx2 v[6:7], v[0:1]
	s_addk_i32 s3, 0xfef8
	v_mov_b32_e32 v8, s3
	ds_read_b64 v[8:9], v8
	s_mov_b32 s7, s12
	s_cmp_le_i32 s8, s6
	s_mov_b32 s0, s8
	s_waitcnt lgkmcnt(0)
	v_mul_f64 v[4:5], v[8:9], v[4:5]
	flat_store_dwordx2 v[2:3], v[4:5]
	s_waitcnt vmcnt(0)
	v_mul_f64 v[2:3], s[4:5], v[6:7]
	s_cbranch_scc1 .LBB103_42
.LBB103_50:                             ;   Parent Loop BB103_43 Depth=1
                                        ; =>  This Inner Loop Header: Depth=2
	v_lshl_add_u64 v[4:5], s[0:1], 3, v[56:57]
	flat_load_dwordx2 v[4:5], v[4:5]
	v_mov_b32_e32 v6, s7
	ds_read_b64 v[6:7], v6
	s_add_i32 s0, s0, -1
	s_addk_i32 s7, 0xff00
	s_cmp_gt_i32 s0, s6
	s_waitcnt vmcnt(0) lgkmcnt(0)
	v_fma_f64 v[2:3], -v[4:5], v[6:7], v[2:3]
	s_cbranch_scc1 .LBB103_50
	s_branch .LBB103_42
.LBB103_51:
	s_endpgm
	.section	.rodata,"a",@progbits
	.p2align	6, 0x0
	.amdhsa_kernel _ZL30rocblas_trsm_small_left_deviceILi32ELi32ELb0EddPKPKdPKPdEv13rocblas_fill_18rocblas_operation_17rocblas_diagonal_iiT3_T4_lilT5_lili
		.amdhsa_group_segment_fixed_size 8192
		.amdhsa_private_segment_fixed_size 0
		.amdhsa_kernarg_size 360
		.amdhsa_user_sgpr_count 2
		.amdhsa_user_sgpr_dispatch_ptr 0
		.amdhsa_user_sgpr_queue_ptr 0
		.amdhsa_user_sgpr_kernarg_segment_ptr 1
		.amdhsa_user_sgpr_dispatch_id 0
		.amdhsa_user_sgpr_kernarg_preload_length 0
		.amdhsa_user_sgpr_kernarg_preload_offset 0
		.amdhsa_user_sgpr_private_segment_size 0
		.amdhsa_uses_dynamic_stack 0
		.amdhsa_enable_private_segment 0
		.amdhsa_system_sgpr_workgroup_id_x 1
		.amdhsa_system_sgpr_workgroup_id_y 0
		.amdhsa_system_sgpr_workgroup_id_z 1
		.amdhsa_system_sgpr_workgroup_info 0
		.amdhsa_system_vgpr_workitem_id 0
		.amdhsa_next_free_vgpr 100
		.amdhsa_next_free_sgpr 96
		.amdhsa_accum_offset 100
		.amdhsa_reserve_vcc 1
		.amdhsa_float_round_mode_32 0
		.amdhsa_float_round_mode_16_64 0
		.amdhsa_float_denorm_mode_32 3
		.amdhsa_float_denorm_mode_16_64 3
		.amdhsa_dx10_clamp 1
		.amdhsa_ieee_mode 1
		.amdhsa_fp16_overflow 0
		.amdhsa_tg_split 0
		.amdhsa_exception_fp_ieee_invalid_op 0
		.amdhsa_exception_fp_denorm_src 0
		.amdhsa_exception_fp_ieee_div_zero 0
		.amdhsa_exception_fp_ieee_overflow 0
		.amdhsa_exception_fp_ieee_underflow 0
		.amdhsa_exception_fp_ieee_inexact 0
		.amdhsa_exception_int_div_zero 0
	.end_amdhsa_kernel
	.section	.text._ZL30rocblas_trsm_small_left_deviceILi32ELi32ELb0EddPKPKdPKPdEv13rocblas_fill_18rocblas_operation_17rocblas_diagonal_iiT3_T4_lilT5_lili,"axG",@progbits,_ZL30rocblas_trsm_small_left_deviceILi32ELi32ELb0EddPKPKdPKPdEv13rocblas_fill_18rocblas_operation_17rocblas_diagonal_iiT3_T4_lilT5_lili,comdat
.Lfunc_end103:
	.size	_ZL30rocblas_trsm_small_left_deviceILi32ELi32ELb0EddPKPKdPKPdEv13rocblas_fill_18rocblas_operation_17rocblas_diagonal_iiT3_T4_lilT5_lili, .Lfunc_end103-_ZL30rocblas_trsm_small_left_deviceILi32ELi32ELb0EddPKPKdPKPdEv13rocblas_fill_18rocblas_operation_17rocblas_diagonal_iiT3_T4_lilT5_lili
                                        ; -- End function
	.set _ZL30rocblas_trsm_small_left_deviceILi32ELi32ELb0EddPKPKdPKPdEv13rocblas_fill_18rocblas_operation_17rocblas_diagonal_iiT3_T4_lilT5_lili.num_vgpr, 100
	.set _ZL30rocblas_trsm_small_left_deviceILi32ELi32ELb0EddPKPKdPKPdEv13rocblas_fill_18rocblas_operation_17rocblas_diagonal_iiT3_T4_lilT5_lili.num_agpr, 0
	.set _ZL30rocblas_trsm_small_left_deviceILi32ELi32ELb0EddPKPKdPKPdEv13rocblas_fill_18rocblas_operation_17rocblas_diagonal_iiT3_T4_lilT5_lili.numbered_sgpr, 37
	.set _ZL30rocblas_trsm_small_left_deviceILi32ELi32ELb0EddPKPKdPKPdEv13rocblas_fill_18rocblas_operation_17rocblas_diagonal_iiT3_T4_lilT5_lili.num_named_barrier, 0
	.set _ZL30rocblas_trsm_small_left_deviceILi32ELi32ELb0EddPKPKdPKPdEv13rocblas_fill_18rocblas_operation_17rocblas_diagonal_iiT3_T4_lilT5_lili.private_seg_size, 0
	.set _ZL30rocblas_trsm_small_left_deviceILi32ELi32ELb0EddPKPKdPKPdEv13rocblas_fill_18rocblas_operation_17rocblas_diagonal_iiT3_T4_lilT5_lili.uses_vcc, 1
	.set _ZL30rocblas_trsm_small_left_deviceILi32ELi32ELb0EddPKPKdPKPdEv13rocblas_fill_18rocblas_operation_17rocblas_diagonal_iiT3_T4_lilT5_lili.uses_flat_scratch, 0
	.set _ZL30rocblas_trsm_small_left_deviceILi32ELi32ELb0EddPKPKdPKPdEv13rocblas_fill_18rocblas_operation_17rocblas_diagonal_iiT3_T4_lilT5_lili.has_dyn_sized_stack, 0
	.set _ZL30rocblas_trsm_small_left_deviceILi32ELi32ELb0EddPKPKdPKPdEv13rocblas_fill_18rocblas_operation_17rocblas_diagonal_iiT3_T4_lilT5_lili.has_recursion, 0
	.set _ZL30rocblas_trsm_small_left_deviceILi32ELi32ELb0EddPKPKdPKPdEv13rocblas_fill_18rocblas_operation_17rocblas_diagonal_iiT3_T4_lilT5_lili.has_indirect_call, 0
	.section	.AMDGPU.csdata,"",@progbits
; Kernel info:
; codeLenInByte = 37452
; TotalNumSgprs: 43
; NumVgprs: 100
; NumAgprs: 0
; TotalNumVgprs: 100
; ScratchSize: 0
; MemoryBound: 1
; FloatMode: 240
; IeeeMode: 1
; LDSByteSize: 8192 bytes/workgroup (compile time only)
; SGPRBlocks: 12
; VGPRBlocks: 12
; NumSGPRsForWavesPerEU: 102
; NumVGPRsForWavesPerEU: 100
; AccumOffset: 100
; Occupancy: 4
; WaveLimiterHint : 1
; COMPUTE_PGM_RSRC2:SCRATCH_EN: 0
; COMPUTE_PGM_RSRC2:USER_SGPR: 2
; COMPUTE_PGM_RSRC2:TRAP_HANDLER: 0
; COMPUTE_PGM_RSRC2:TGID_X_EN: 1
; COMPUTE_PGM_RSRC2:TGID_Y_EN: 0
; COMPUTE_PGM_RSRC2:TGID_Z_EN: 1
; COMPUTE_PGM_RSRC2:TIDIG_COMP_CNT: 0
; COMPUTE_PGM_RSRC3_GFX90A:ACCUM_OFFSET: 24
; COMPUTE_PGM_RSRC3_GFX90A:TG_SPLIT: 0
	.section	.text._ZL38rocblas_trsm_small_left_device_sharedBILi32ELi32ELb1EddPKPKdPKPdEv13rocblas_fill_18rocblas_operation_17rocblas_diagonal_iiT3_T4_lilT5_lili,"axG",@progbits,_ZL38rocblas_trsm_small_left_device_sharedBILi32ELi32ELb1EddPKPKdPKPdEv13rocblas_fill_18rocblas_operation_17rocblas_diagonal_iiT3_T4_lilT5_lili,comdat
	.globl	_ZL38rocblas_trsm_small_left_device_sharedBILi32ELi32ELb1EddPKPKdPKPdEv13rocblas_fill_18rocblas_operation_17rocblas_diagonal_iiT3_T4_lilT5_lili ; -- Begin function _ZL38rocblas_trsm_small_left_device_sharedBILi32ELi32ELb1EddPKPKdPKPdEv13rocblas_fill_18rocblas_operation_17rocblas_diagonal_iiT3_T4_lilT5_lili
	.p2align	8
	.type	_ZL38rocblas_trsm_small_left_device_sharedBILi32ELi32ELb1EddPKPKdPKPdEv13rocblas_fill_18rocblas_operation_17rocblas_diagonal_iiT3_T4_lilT5_lili,@function
_ZL38rocblas_trsm_small_left_device_sharedBILi32ELi32ELb1EddPKPKdPKPdEv13rocblas_fill_18rocblas_operation_17rocblas_diagonal_iiT3_T4_lilT5_lili: ; @_ZL38rocblas_trsm_small_left_device_sharedBILi32ELi32ELb1EddPKPKdPKPdEv13rocblas_fill_18rocblas_operation_17rocblas_diagonal_iiT3_T4_lilT5_lili
; %bb.0:
	s_load_dwordx2 s[18:19], s[0:1], 0x28
	s_load_dwordx4 s[12:15], s[0:1], 0x40
	s_load_dwordx4 s[4:7], s[0:1], 0x4
	;; [unrolled: 1-line block ×3, first 2 shown]
	s_mov_b32 s16, s3
	s_mov_b32 s17, 0
	s_lshl_b64 s[20:21], s[16:17], 3
	s_waitcnt lgkmcnt(0)
	s_add_u32 s12, s12, s20
	s_addc_u32 s13, s13, s21
	s_load_dwordx2 s[12:13], s[12:13], 0x0
	s_min_i32 s22, s6, 32
	v_cmp_gt_i32_e32 vcc, s22, v0
	s_and_saveexec_b64 s[16:17], vcc
	s_cbranch_execz .LBB104_6
; %bb.1:
	s_load_dword s24, s[0:1], 0x30
	v_lshlrev_b32_e32 v2, 3, v0
	v_mov_b32_e32 v3, 0
	v_mov_b32_e32 v1, v2
	s_mov_b32 s3, s22
	s_waitcnt lgkmcnt(0)
	s_ashr_i32 s25, s24, 31
	s_add_u32 s10, s10, s20
	s_addc_u32 s11, s11, s21
	s_load_dwordx2 s[10:11], s[10:11], 0x0
	s_lshl_b64 s[18:19], s[18:19], 3
	s_waitcnt lgkmcnt(0)
	s_add_u32 s18, s10, s18
	s_addc_u32 s19, s11, s19
	s_lshl_b64 s[10:11], s[24:25], 3
	v_lshl_add_u64 v[4:5], s[18:19], 0, v[2:3]
.LBB104_2:                              ; =>This Inner Loop Header: Depth=1
	flat_load_dwordx2 v[6:7], v[4:5]
	s_add_i32 s3, s3, -1
	v_lshl_add_u64 v[4:5], v[4:5], 0, s[10:11]
	s_cmp_eq_u32 s3, 0
	s_waitcnt vmcnt(0) lgkmcnt(0)
	ds_write_b64 v1, v[6:7]
	v_add_u32_e32 v1, 0x100, v1
	s_cbranch_scc0 .LBB104_2
; %bb.3:
	v_lshlrev_b32_e32 v1, 8, v0
	s_cmpk_lg_i32 s5, 0x84
	v_mov_b64_e32 v[4:5], 1.0
	v_add_u32_e32 v1, v2, v1
	s_cbranch_scc0 .LBB104_5
; %bb.4:
	ds_read_b64 v[2:3], v1
	s_waitcnt lgkmcnt(0)
	v_div_scale_f64 v[4:5], s[10:11], v[2:3], v[2:3], 1.0
	v_rcp_f64_e32 v[6:7], v[4:5]
	v_div_scale_f64 v[8:9], vcc, 1.0, v[2:3], 1.0
	v_fma_f64 v[10:11], -v[4:5], v[6:7], 1.0
	v_fmac_f64_e32 v[6:7], v[6:7], v[10:11]
	v_fma_f64 v[10:11], -v[4:5], v[6:7], 1.0
	v_fmac_f64_e32 v[6:7], v[6:7], v[10:11]
	v_mul_f64 v[10:11], v[8:9], v[6:7]
	v_fma_f64 v[4:5], -v[4:5], v[10:11], v[8:9]
	v_div_fmas_f64 v[4:5], v[4:5], v[6:7], v[10:11]
	v_div_fixup_f64 v[4:5], v[4:5], v[2:3], 1.0
.LBB104_5:
	ds_write_b64 v1, v[4:5]
.LBB104_6:
	s_or_b64 exec, exec, s[16:17]
	s_load_dword s3, s[0:1], 0x68
	s_load_dword s16, s[0:1], 0x50
	s_lshl_b64 s[0:1], s[14:15], 3
	s_waitcnt lgkmcnt(0)
	s_add_u32 s5, s12, s0
	s_addc_u32 s10, s13, s1
	s_lshl_b32 s0, s2, 5
	s_add_i32 s3, s3, -1
	s_sub_i32 s1, s7, s0
	s_cmp_ge_u32 s2, s3
	s_cselect_b32 s7, s1, 32
	s_mul_hi_i32 s1, s16, s0
	s_mul_i32 s0, s16, s0
	s_lshl_b64 s[0:1], s[0:1], 3
	s_add_u32 s2, s5, s0
	s_addc_u32 s3, s10, s1
	s_cmp_gt_i32 s6, 0
	v_cmp_gt_i32_e64 s[0:1], s7, v0
	s_cselect_b64 s[10:11], -1, 0
	s_and_b64 s[14:15], s[0:1], s[10:11]
	s_and_saveexec_b64 s[12:13], s[14:15]
	s_cbranch_execz .LBB104_9
; %bb.7:
	v_mad_i64_i32 v[2:3], s[14:15], s16, v0, 0
	v_mov_b32_e32 v1, 0x2000
	v_lshl_add_u64 v[2:3], v[2:3], 3, s[2:3]
	v_lshl_or_b32 v1, v0, 3, v1
	s_mov_b32 s5, s22
.LBB104_8:                              ; =>This Inner Loop Header: Depth=1
	flat_load_dwordx2 v[4:5], v[2:3]
	s_add_i32 s5, s5, -1
	v_lshl_add_u64 v[2:3], v[2:3], 0, 8
	s_cmp_lg_u32 s5, 0
	s_waitcnt vmcnt(0) lgkmcnt(0)
	v_mul_f64 v[4:5], s[8:9], v[4:5]
	ds_write_b64 v1, v[4:5]
	v_add_u32_e32 v1, 0x100, v1
	s_cbranch_scc1 .LBB104_8
.LBB104_9:
	s_or_b64 exec, exec, s[12:13]
	v_mov_b32_e32 v1, 0x2000
	s_cmpk_eq_i32 s4, 0x6f
	v_lshl_or_b32 v1, v0, 3, v1
	s_mov_b64 s[4:5], -1
	s_waitcnt lgkmcnt(0)
	; wave barrier
	s_cbranch_scc1 .LBB104_36
; %bb.10:
	s_add_i32 s4, s22, -1
	s_cmp_gt_i32 s6, 31
	s_mov_b32 s5, s4
	s_cbranch_scc0 .LBB104_12
; %bb.11:
	s_movk_i32 s5, 0x1f8
	v_add_u32_e32 v92, 0x1800, v1
	v_add_u32_e32 v81, 0x1000, v1
	;; [unrolled: 1-line block ×3, first 2 shown]
	v_add_u32_e64 v80, s5, 0
	ds_read2_b64 v[50:53], v92 offset0:192 offset1:224
	ds_read2_b64 v[56:59], v92 offset0:128 offset1:160
	ds_read2_b64 v[62:65], v92 offset0:64 offset1:96
	ds_read2_b64 v[66:69], v92 offset1:32
	ds_read2_b64 v[46:49], v81 offset0:192 offset1:224
	ds_read2_b64 v[42:45], v81 offset0:128 offset1:160
	ds_read2_b64 v[38:41], v81 offset0:64 offset1:96
	ds_read2_b64 v[34:37], v81 offset1:32
	;; [unrolled: 4-line block ×3, first 2 shown]
	ds_read2_b64 v[14:17], v1 offset0:192 offset1:224
	ds_read2_b64 v[10:13], v1 offset0:128 offset1:160
	ds_read2_b64 v[6:9], v1 offset0:64 offset1:96
	ds_read2st64_b64 v[70:73], v80 offset0:14 offset1:15
	v_mov_b32_e32 v78, 0
	ds_read_b128 v[74:77], v78 offset:7920
	ds_read2_b64 v[2:5], v1 offset1:32
	ds_read2st64_b64 v[82:85], v80 offset0:12 offset1:13
	v_mov_b32_e32 v54, 0x1de8
	ds_read_b128 v[86:89], v78 offset:7408
	s_waitcnt lgkmcnt(4)
	v_mul_f64 v[52:53], v[72:73], v[52:53]
	s_waitcnt lgkmcnt(3)
	v_fma_f64 v[50:51], -v[52:53], v[76:77], v[50:51]
	v_mul_f64 v[50:51], v[74:75], v[50:51]
	ds_read2_b64 v[72:75], v54 offset1:1
	v_fma_f64 v[54:55], -v[52:53], v[70:71], v[58:59]
	v_mov_b32_e32 v58, 0x1be8
	ds_read2_b64 v[58:61], v58 offset1:1
	s_waitcnt lgkmcnt(2)
	v_fma_f64 v[56:57], -v[52:53], v[88:89], v[56:57]
	s_waitcnt lgkmcnt(1)
	v_fma_f64 v[54:55], -v[50:51], v[74:75], v[54:55]
	ds_read_b128 v[74:77], v78 offset:7392
	v_mul_f64 v[54:55], v[72:73], v[54:55]
	v_fma_f64 v[56:57], -v[50:51], v[86:87], v[56:57]
	v_fma_f64 v[64:65], -v[52:53], v[84:85], v[64:65]
	ds_read_b128 v[70:73], v78 offset:6896
	s_waitcnt lgkmcnt(1)
	v_fma_f64 v[56:57], -v[54:55], v[76:77], v[56:57]
	v_mul_f64 v[56:57], v[74:75], v[56:57]
	v_fma_f64 v[60:61], -v[50:51], v[60:61], v[64:65]
	ds_write2_b64 v92, v[50:51], v[52:53] offset0:192 offset1:224
	ds_write2_b64 v92, v[56:57], v[54:55] offset0:128 offset1:160
	v_fma_f64 v[64:65], -v[54:55], v[58:59], v[60:61]
	v_mov_b32_e32 v58, 0x1bd8
	ds_read2_b64 v[58:61], v58 offset1:1
	ds_read_b128 v[74:77], v78 offset:6864
	ds_read_b128 v[84:87], v78 offset:6880
	v_mov_b32_e32 v88, 0x19e8
	ds_read2_b64 v[88:91], v88 offset1:1
	s_waitcnt lgkmcnt(3)
	v_fma_f64 v[60:61], -v[56:57], v[60:61], v[64:65]
	v_mul_f64 v[60:61], v[58:59], v[60:61]
	v_fma_f64 v[58:59], -v[52:53], v[72:73], v[62:63]
	v_mov_b32_e32 v62, 0x19d8
	v_fma_f64 v[68:69], -v[52:53], v[82:83], v[68:69]
	ds_read2_b64 v[62:65], v62 offset1:1
	v_fma_f64 v[58:59], -v[50:51], v[70:71], v[58:59]
	s_waitcnt lgkmcnt(1)
	v_fma_f64 v[72:73], -v[50:51], v[90:91], v[68:69]
	v_mov_b32_e32 v68, 0x19c8
	v_fma_f64 v[58:59], -v[54:55], v[86:87], v[58:59]
	ds_read2_b64 v[68:71], v68 offset1:1
	v_fma_f64 v[58:59], -v[56:57], v[84:85], v[58:59]
	v_fma_f64 v[58:59], -v[60:61], v[76:77], v[58:59]
	;; [unrolled: 1-line block ×3, first 2 shown]
	v_mul_f64 v[58:59], v[74:75], v[58:59]
	s_waitcnt lgkmcnt(1)
	v_fma_f64 v[64:65], -v[56:57], v[64:65], v[72:73]
	ds_read_b128 v[72:75], v78 offset:6384
	v_fma_f64 v[62:63], -v[60:61], v[62:63], v[64:65]
	s_waitcnt lgkmcnt(1)
	v_fma_f64 v[62:63], -v[58:59], v[70:71], v[62:63]
	v_mul_f64 v[62:63], v[68:69], v[62:63]
	ds_read_b128 v[68:71], v78 offset:6368
	s_waitcnt lgkmcnt(1)
	v_fma_f64 v[74:75], -v[52:53], v[74:75], v[66:67]
	ds_read_b128 v[64:67], v78 offset:6352
	v_fma_f64 v[76:77], -v[50:51], v[72:73], v[74:75]
	ds_read_b128 v[72:75], v78 offset:6336
	s_waitcnt lgkmcnt(2)
	v_fma_f64 v[70:71], -v[54:55], v[70:71], v[76:77]
	v_fma_f64 v[68:69], -v[56:57], v[68:69], v[70:71]
	s_waitcnt lgkmcnt(1)
	v_fma_f64 v[66:67], -v[60:61], v[66:67], v[68:69]
	v_fma_f64 v[64:65], -v[58:59], v[64:65], v[66:67]
	ds_read2st64_b64 v[66:69], v80 offset0:10 offset1:11
	s_waitcnt lgkmcnt(1)
	v_fma_f64 v[64:65], -v[62:63], v[74:75], v[64:65]
	v_mul_f64 v[64:65], v[72:73], v[64:65]
	ds_write2_b64 v92, v[58:59], v[60:61] offset0:64 offset1:96
	ds_write2_b64 v92, v[64:65], v[62:63] offset1:32
	v_mov_b32_e32 v70, 0x17e8
	ds_read2_b64 v[70:73], v70 offset1:1
	ds_read2st64_b64 v[74:77], v80 offset0:8 offset1:9
	s_waitcnt lgkmcnt(4)
	v_fma_f64 v[48:49], -v[52:53], v[68:69], v[48:49]
	v_mov_b32_e32 v68, 0x17d8
	ds_read2_b64 v[82:85], v68 offset1:1
	s_waitcnt lgkmcnt(2)
	v_fma_f64 v[48:49], -v[50:51], v[72:73], v[48:49]
	v_mov_b32_e32 v68, 0x17c8
	v_fma_f64 v[48:49], -v[54:55], v[70:71], v[48:49]
	ds_read2_b64 v[68:71], v68 offset1:1
	v_mov_b32_e32 v72, 0x17b8
	s_waitcnt lgkmcnt(1)
	v_fma_f64 v[48:49], -v[56:57], v[84:85], v[48:49]
	ds_read2_b64 v[84:87], v72 offset1:1
	v_fma_f64 v[48:49], -v[60:61], v[82:83], v[48:49]
	s_waitcnt lgkmcnt(1)
	v_fma_f64 v[48:49], -v[58:59], v[70:71], v[48:49]
	ds_read_b128 v[70:73], v78 offset:5872
	v_fma_f64 v[48:49], -v[62:63], v[68:69], v[48:49]
	s_waitcnt lgkmcnt(1)
	v_fma_f64 v[48:49], -v[64:65], v[86:87], v[48:49]
	v_mul_f64 v[48:49], v[84:85], v[48:49]
	ds_read_b128 v[82:85], v78 offset:5856
	ds_read_b128 v[86:89], v78 offset:5824
	;; [unrolled: 1-line block ×3, first 2 shown]
	s_waitcnt lgkmcnt(3)
	v_fma_f64 v[46:47], -v[52:53], v[72:73], v[46:47]
	v_fma_f64 v[46:47], -v[50:51], v[70:71], v[46:47]
	ds_read_b128 v[68:71], v78 offset:5808
	s_waitcnt lgkmcnt(3)
	v_fma_f64 v[46:47], -v[54:55], v[84:85], v[46:47]
	v_fma_f64 v[46:47], -v[56:57], v[82:83], v[46:47]
	s_waitcnt lgkmcnt(1)
	v_fma_f64 v[46:47], -v[60:61], v[92:93], v[46:47]
	v_fma_f64 v[46:47], -v[58:59], v[90:91], v[46:47]
	;; [unrolled: 1-line block ×4, first 2 shown]
	ds_read_b128 v[82:85], v78 offset:5360
	s_waitcnt lgkmcnt(1)
	v_fma_f64 v[46:47], -v[48:49], v[70:71], v[46:47]
	v_mul_f64 v[46:47], v[68:69], v[46:47]
	v_mov_b32_e32 v68, 0x15e8
	ds_read2_b64 v[68:71], v68 offset1:1
	v_fma_f64 v[44:45], -v[52:53], v[66:67], v[44:45]
	v_mov_b32_e32 v66, 0x15d8
	ds_read2_b64 v[86:89], v66 offset1:1
	v_mov_b32_e32 v66, 0x15c8
	s_waitcnt lgkmcnt(1)
	v_fma_f64 v[44:45], -v[50:51], v[70:71], v[44:45]
	v_fma_f64 v[44:45], -v[54:55], v[68:69], v[44:45]
	ds_read2_b64 v[66:69], v66 offset1:1
	s_waitcnt lgkmcnt(1)
	v_fma_f64 v[44:45], -v[56:57], v[88:89], v[44:45]
	v_fma_f64 v[44:45], -v[60:61], v[86:87], v[44:45]
	v_mov_b32_e32 v70, 0x15b8
	ds_read2_b64 v[70:73], v70 offset1:1
	s_waitcnt lgkmcnt(1)
	v_fma_f64 v[44:45], -v[58:59], v[68:69], v[44:45]
	v_fma_f64 v[44:45], -v[62:63], v[66:67], v[44:45]
	v_mov_b32_e32 v66, 0x15a8
	ds_read2_b64 v[66:69], v66 offset1:1
	ds_read_b128 v[86:89], v78 offset:5344
	s_waitcnt lgkmcnt(2)
	v_fma_f64 v[44:45], -v[64:65], v[72:73], v[44:45]
	v_fma_f64 v[44:45], -v[48:49], v[70:71], v[44:45]
	v_mov_b32_e32 v70, 0x13e8
	s_waitcnt lgkmcnt(1)
	v_fma_f64 v[44:45], -v[46:47], v[68:69], v[44:45]
	v_mul_f64 v[66:67], v[66:67], v[44:45]
	v_fma_f64 v[68:69], -v[52:53], v[84:85], v[42:43]
	ds_read_b128 v[42:45], v78 offset:5328
	v_fma_f64 v[68:69], -v[50:51], v[82:83], v[68:69]
	ds_read_b128 v[82:85], v78 offset:5312
	s_waitcnt lgkmcnt(2)
	v_fma_f64 v[68:69], -v[54:55], v[88:89], v[68:69]
	v_fma_f64 v[68:69], -v[56:57], v[86:87], v[68:69]
	s_waitcnt lgkmcnt(1)
	v_fma_f64 v[44:45], -v[60:61], v[44:45], v[68:69]
	ds_read_b128 v[86:89], v78 offset:5296
	v_fma_f64 v[42:43], -v[58:59], v[42:43], v[44:45]
	s_waitcnt lgkmcnt(1)
	v_fma_f64 v[68:69], -v[62:63], v[84:85], v[42:43]
	ds_read_b128 v[42:45], v78 offset:5280
	v_fma_f64 v[68:69], -v[64:65], v[82:83], v[68:69]
	s_waitcnt lgkmcnt(1)
	v_fma_f64 v[68:69], -v[48:49], v[88:89], v[68:69]
	v_fma_f64 v[68:69], -v[46:47], v[86:87], v[68:69]
	ds_read2_b64 v[70:73], v70 offset1:1
	s_waitcnt lgkmcnt(1)
	v_fma_f64 v[44:45], -v[66:67], v[44:45], v[68:69]
	v_mul_f64 v[68:69], v[42:43], v[44:45]
	v_fma_f64 v[44:45], -v[52:53], v[76:77], v[40:41]
	v_mov_b32_e32 v40, 0x13d8
	ds_read2_b64 v[40:43], v40 offset1:1
	s_waitcnt lgkmcnt(1)
	v_fma_f64 v[44:45], -v[50:51], v[72:73], v[44:45]
	v_fma_f64 v[44:45], -v[54:55], v[70:71], v[44:45]
	v_mov_b32_e32 v70, 0x13c8
	ds_read2_b64 v[70:73], v70 offset1:1
	s_waitcnt lgkmcnt(1)
	v_fma_f64 v[42:43], -v[56:57], v[42:43], v[44:45]
	;; [unrolled: 5-line block ×4, first 2 shown]
	v_fma_f64 v[44:45], -v[48:49], v[40:41], v[42:43]
	v_mov_b32_e32 v40, 0x1398
	ds_read2_b64 v[40:43], v40 offset1:1
	ds_read_b128 v[82:85], v78 offset:4848
	s_waitcnt lgkmcnt(2)
	v_fma_f64 v[44:45], -v[46:47], v[72:73], v[44:45]
	v_fma_f64 v[44:45], -v[66:67], v[70:71], v[44:45]
	v_mov_b32_e32 v70, 0x11e8
	ds_read2_b64 v[86:89], v70 offset1:1
	s_waitcnt lgkmcnt(2)
	v_fma_f64 v[70:71], -v[68:69], v[42:43], v[44:45]
	ds_read_b128 v[42:45], v78 offset:4832
	s_waitcnt lgkmcnt(2)
	v_fma_f64 v[38:39], -v[52:53], v[84:85], v[38:39]
	v_mul_f64 v[70:71], v[40:41], v[70:71]
	v_fma_f64 v[72:73], -v[50:51], v[82:83], v[38:39]
	ds_read_b128 v[38:41], v78 offset:4816
	ds_write2_b64 v81, v[46:47], v[48:49] offset0:192 offset1:224
	ds_write2_b64 v81, v[68:69], v[66:67] offset0:128 offset1:160
	s_waitcnt lgkmcnt(3)
	v_fma_f64 v[44:45], -v[54:55], v[44:45], v[72:73]
	v_fma_f64 v[72:73], -v[56:57], v[42:43], v[44:45]
	ds_read_b128 v[42:45], v78 offset:4784
	ds_read_b128 v[82:85], v78 offset:4800
	s_waitcnt lgkmcnt(4)
	v_fma_f64 v[40:41], -v[60:61], v[40:41], v[72:73]
	v_fma_f64 v[72:73], -v[58:59], v[38:39], v[40:41]
	ds_read_b128 v[38:41], v78 offset:4752
	ds_read_b128 v[90:93], v78 offset:4768
	s_mov_b32 s5, -1
	s_waitcnt lgkmcnt(2)
	v_fma_f64 v[72:73], -v[62:63], v[84:85], v[72:73]
	v_fma_f64 v[72:73], -v[64:65], v[82:83], v[72:73]
	;; [unrolled: 1-line block ×4, first 2 shown]
	s_waitcnt lgkmcnt(0)
	v_fma_f64 v[42:43], -v[66:67], v[92:93], v[42:43]
	v_fma_f64 v[42:43], -v[68:69], v[90:91], v[42:43]
	;; [unrolled: 1-line block ×3, first 2 shown]
	v_mul_f64 v[72:73], v[38:39], v[40:41]
	v_fma_f64 v[40:41], -v[52:53], v[74:75], v[36:37]
	v_mov_b32_e32 v36, 0x11d8
	ds_read2_b64 v[36:39], v36 offset1:1
	v_fma_f64 v[40:41], -v[50:51], v[88:89], v[40:41]
	v_fma_f64 v[44:45], -v[54:55], v[86:87], v[40:41]
	v_mov_b32_e32 v40, 0x11c8
	ds_read2_b64 v[40:43], v40 offset1:1
	s_waitcnt lgkmcnt(1)
	v_fma_f64 v[38:39], -v[56:57], v[38:39], v[44:45]
	v_fma_f64 v[44:45], -v[60:61], v[36:37], v[38:39]
	v_mov_b32_e32 v36, 0x11b8
	ds_read2_b64 v[36:39], v36 offset1:1
	s_waitcnt lgkmcnt(1)
	;; [unrolled: 5-line block ×4, first 2 shown]
	v_fma_f64 v[74:75], -v[46:47], v[42:43], v[44:45]
	v_mov_b32_e32 v42, 0x1188
	ds_read2_b64 v[42:45], v42 offset1:1
	v_fma_f64 v[40:41], -v[66:67], v[40:41], v[74:75]
	s_waitcnt lgkmcnt(1)
	v_fma_f64 v[74:75], -v[68:69], v[38:39], v[40:41]
	ds_read_b128 v[38:41], v78 offset:4336
	ds_read_b128 v[82:85], v78 offset:4320
	v_fma_f64 v[36:37], -v[70:71], v[36:37], v[74:75]
	s_waitcnt lgkmcnt(2)
	v_fma_f64 v[36:37], -v[72:73], v[44:45], v[36:37]
	v_mul_f64 v[74:75], v[42:43], v[36:37]
	s_waitcnt lgkmcnt(1)
	v_fma_f64 v[40:41], -v[52:53], v[40:41], v[34:35]
	ds_read_b128 v[34:37], v78 offset:4304
	v_fma_f64 v[38:39], -v[50:51], v[38:39], v[40:41]
	s_waitcnt lgkmcnt(1)
	v_fma_f64 v[38:39], -v[54:55], v[84:85], v[38:39]
	v_fma_f64 v[42:43], -v[56:57], v[82:83], v[38:39]
	ds_read_b128 v[38:41], v78 offset:4288
	ds_write2_b64 v81, v[72:73], v[70:71] offset0:64 offset1:96
	s_waitcnt lgkmcnt(2)
	v_fma_f64 v[36:37], -v[60:61], v[36:37], v[42:43]
	v_fma_f64 v[76:77], -v[58:59], v[34:35], v[36:37]
	ds_read_b128 v[34:37], v78 offset:4256
	ds_read_b128 v[42:45], v78 offset:4272
	s_waitcnt lgkmcnt(3)
	v_fma_f64 v[40:41], -v[62:63], v[40:41], v[76:77]
	v_fma_f64 v[76:77], -v[64:65], v[38:39], v[40:41]
	ds_read_b128 v[38:41], v78 offset:4224
	ds_read_b128 v[82:85], v78 offset:4240
	s_waitcnt lgkmcnt(2)
	v_fma_f64 v[44:45], -v[48:49], v[44:45], v[76:77]
	v_fma_f64 v[42:43], -v[46:47], v[42:43], v[44:45]
	;; [unrolled: 1-line block ×4, first 2 shown]
	s_waitcnt lgkmcnt(0)
	v_fma_f64 v[34:35], -v[70:71], v[84:85], v[34:35]
	v_fma_f64 v[34:35], -v[72:73], v[82:83], v[34:35]
	;; [unrolled: 1-line block ×3, first 2 shown]
	v_mul_f64 v[76:77], v[38:39], v[34:35]
	ds_read2st64_b64 v[38:41], v80 offset0:6 offset1:7
	ds_write2_b64 v81, v[76:77], v[74:75] offset1:32
	v_mov_b32_e32 v34, 0xfe8
	ds_read2_b64 v[42:45], v34 offset1:1
	ds_read2st64_b64 v[34:37], v80 offset0:4 offset1:5
	s_waitcnt lgkmcnt(3)
	v_fma_f64 v[32:33], -v[52:53], v[40:41], v[32:33]
	v_mov_b32_e32 v40, 0xfd8
	ds_read2_b64 v[80:83], v40 offset1:1
	s_waitcnt lgkmcnt(2)
	v_fma_f64 v[32:33], -v[50:51], v[44:45], v[32:33]
	v_mov_b32_e32 v40, 0xfc8
	v_fma_f64 v[32:33], -v[54:55], v[42:43], v[32:33]
	ds_read2_b64 v[40:43], v40 offset1:1
	s_waitcnt lgkmcnt(1)
	v_fma_f64 v[32:33], -v[56:57], v[82:83], v[32:33]
	v_fma_f64 v[32:33], -v[60:61], v[80:81], v[32:33]
	v_mov_b32_e32 v44, 0xfb8
	ds_read2_b64 v[80:83], v44 offset1:1
	s_waitcnt lgkmcnt(1)
	v_fma_f64 v[32:33], -v[58:59], v[42:43], v[32:33]
	v_fma_f64 v[32:33], -v[62:63], v[40:41], v[32:33]
	v_mov_b32_e32 v40, 0xfa8
	ds_read2_b64 v[40:43], v40 offset1:1
	s_waitcnt lgkmcnt(1)
	v_fma_f64 v[32:33], -v[64:65], v[82:83], v[32:33]
	v_mov_b32_e32 v44, 0xf98
	v_fma_f64 v[32:33], -v[48:49], v[80:81], v[32:33]
	ds_read2_b64 v[80:83], v44 offset1:1
	s_waitcnt lgkmcnt(1)
	v_fma_f64 v[32:33], -v[46:47], v[42:43], v[32:33]
	v_fma_f64 v[32:33], -v[66:67], v[40:41], v[32:33]
	v_mov_b32_e32 v40, 0xf88
	ds_read2_b64 v[40:43], v40 offset1:1
	v_mov_b32_e32 v44, 0xf78
	s_waitcnt lgkmcnt(1)
	v_fma_f64 v[32:33], -v[68:69], v[82:83], v[32:33]
	ds_read2_b64 v[82:85], v44 offset1:1
	v_fma_f64 v[32:33], -v[70:71], v[80:81], v[32:33]
	s_waitcnt lgkmcnt(1)
	v_fma_f64 v[32:33], -v[72:73], v[42:43], v[32:33]
	ds_read_b128 v[42:45], v78 offset:3824
	v_fma_f64 v[32:33], -v[74:75], v[40:41], v[32:33]
	s_waitcnt lgkmcnt(1)
	v_fma_f64 v[32:33], -v[76:77], v[84:85], v[32:33]
	ds_read_b128 v[84:87], v78 offset:3808
	v_mul_f64 v[32:33], v[82:83], v[32:33]
	ds_read_b128 v[80:83], v78 offset:3792
	s_waitcnt lgkmcnt(2)
	v_fma_f64 v[30:31], -v[52:53], v[44:45], v[30:31]
	v_fma_f64 v[30:31], -v[50:51], v[42:43], v[30:31]
	ds_read_b128 v[40:43], v78 offset:3776
	s_waitcnt lgkmcnt(2)
	v_fma_f64 v[30:31], -v[54:55], v[86:87], v[30:31]
	v_fma_f64 v[30:31], -v[56:57], v[84:85], v[30:31]
	s_waitcnt lgkmcnt(1)
	v_fma_f64 v[30:31], -v[60:61], v[82:83], v[30:31]
	ds_read_b128 v[82:85], v78 offset:3760
	v_fma_f64 v[30:31], -v[58:59], v[80:81], v[30:31]
	s_waitcnt lgkmcnt(1)
	v_fma_f64 v[30:31], -v[62:63], v[42:43], v[30:31]
	v_fma_f64 v[30:31], -v[64:65], v[40:41], v[30:31]
	ds_read_b128 v[40:43], v78 offset:3744
	s_waitcnt lgkmcnt(1)
	v_fma_f64 v[30:31], -v[48:49], v[84:85], v[30:31]
	ds_read_b128 v[84:87], v78 offset:3712
	ds_read_b128 v[88:91], v78 offset:3728
	v_fma_f64 v[30:31], -v[46:47], v[82:83], v[30:31]
	ds_read_b128 v[80:83], v78 offset:3696
	s_waitcnt lgkmcnt(3)
	v_fma_f64 v[30:31], -v[66:67], v[42:43], v[30:31]
	v_fma_f64 v[30:31], -v[68:69], v[40:41], v[30:31]
	s_waitcnt lgkmcnt(1)
	v_fma_f64 v[30:31], -v[70:71], v[90:91], v[30:31]
	v_fma_f64 v[30:31], -v[72:73], v[88:89], v[30:31]
	v_fma_f64 v[30:31], -v[74:75], v[86:87], v[30:31]
	v_fma_f64 v[30:31], -v[76:77], v[84:85], v[30:31]
	ds_read_b128 v[40:43], v78 offset:3312
	s_waitcnt lgkmcnt(1)
	v_fma_f64 v[30:31], -v[32:33], v[82:83], v[30:31]
	v_mov_b32_e32 v44, 0xde8
	v_mul_f64 v[30:31], v[80:81], v[30:31]
	ds_read2_b64 v[80:83], v44 offset1:1
	v_fma_f64 v[28:29], -v[52:53], v[38:39], v[28:29]
	v_mov_b32_e32 v38, 0xdd8
	ds_read2_b64 v[84:87], v38 offset1:1
	v_mov_b32_e32 v38, 0xdc8
	s_waitcnt lgkmcnt(1)
	v_fma_f64 v[28:29], -v[50:51], v[82:83], v[28:29]
	v_fma_f64 v[28:29], -v[54:55], v[80:81], v[28:29]
	ds_read2_b64 v[80:83], v38 offset1:1
	s_waitcnt lgkmcnt(1)
	v_fma_f64 v[28:29], -v[56:57], v[86:87], v[28:29]
	v_fma_f64 v[26:27], -v[52:53], v[42:43], v[26:27]
	ds_read_b128 v[42:45], v78 offset:3280
	v_mov_b32_e32 v38, 0xdb8
	v_fma_f64 v[28:29], -v[60:61], v[84:85], v[28:29]
	ds_read2_b64 v[84:87], v38 offset1:1
	ds_read_b128 v[88:91], v78 offset:3296
	s_waitcnt lgkmcnt(3)
	v_fma_f64 v[28:29], -v[58:59], v[82:83], v[28:29]
	v_mov_b32_e32 v38, 0xda8
	v_fma_f64 v[28:29], -v[62:63], v[80:81], v[28:29]
	ds_read2_b64 v[80:83], v38 offset1:1
	s_waitcnt lgkmcnt(2)
	v_fma_f64 v[28:29], -v[64:65], v[86:87], v[28:29]
	v_mov_b32_e32 v38, 0xd98
	v_fma_f64 v[28:29], -v[48:49], v[84:85], v[28:29]
	ds_read2_b64 v[84:87], v38 offset1:1
	;; [unrolled: 5-line block ×5, first 2 shown]
	s_waitcnt lgkmcnt(1)
	v_fma_f64 v[28:29], -v[76:77], v[86:87], v[28:29]
	v_fma_f64 v[28:29], -v[32:33], v[84:85], v[28:29]
	v_mov_b32_e32 v38, 0xbe8
	ds_read2_b64 v[84:87], v38 offset1:1
	s_waitcnt lgkmcnt(1)
	v_fma_f64 v[28:29], -v[30:31], v[82:83], v[28:29]
	v_mul_f64 v[28:29], v[80:81], v[28:29]
	v_fma_f64 v[26:27], -v[50:51], v[40:41], v[26:27]
	ds_read_b128 v[80:83], v78 offset:3248
	ds_read_b128 v[38:41], v78 offset:3264
	v_fma_f64 v[26:27], -v[54:55], v[90:91], v[26:27]
	v_fma_f64 v[26:27], -v[56:57], v[88:89], v[26:27]
	v_fma_f64 v[26:27], -v[60:61], v[44:45], v[26:27]
	v_fma_f64 v[26:27], -v[58:59], v[42:43], v[26:27]
	s_waitcnt lgkmcnt(0)
	v_fma_f64 v[26:27], -v[62:63], v[40:41], v[26:27]
	ds_read_b128 v[40:43], v78 offset:3232
	v_fma_f64 v[26:27], -v[64:65], v[38:39], v[26:27]
	v_fma_f64 v[26:27], -v[48:49], v[82:83], v[26:27]
	;; [unrolled: 1-line block ×3, first 2 shown]
	ds_read_b128 v[80:83], v78 offset:3216
	ds_write2_b64 v79, v[30:31], v[32:33] offset0:192 offset1:224
	s_waitcnt lgkmcnt(2)
	v_fma_f64 v[26:27], -v[66:67], v[42:43], v[26:27]
	ds_read_b128 v[42:45], v78 offset:3184
	ds_read_b128 v[88:91], v78 offset:3200
	v_fma_f64 v[26:27], -v[68:69], v[40:41], v[26:27]
	s_waitcnt lgkmcnt(3)
	v_fma_f64 v[26:27], -v[70:71], v[82:83], v[26:27]
	ds_read_b128 v[38:41], v78 offset:3168
	v_fma_f64 v[26:27], -v[72:73], v[80:81], v[26:27]
	s_waitcnt lgkmcnt(1)
	v_fma_f64 v[26:27], -v[74:75], v[90:91], v[26:27]
	v_fma_f64 v[26:27], -v[76:77], v[88:89], v[26:27]
	;; [unrolled: 1-line block ×4, first 2 shown]
	ds_read_b128 v[42:45], v78 offset:2800
	s_waitcnt lgkmcnt(1)
	v_fma_f64 v[26:27], -v[28:29], v[40:41], v[26:27]
	v_fma_f64 v[24:25], -v[52:53], v[36:37], v[24:25]
	v_mov_b32_e32 v36, 0xbd8
	v_mul_f64 v[26:27], v[38:39], v[26:27]
	ds_read2_b64 v[36:39], v36 offset1:1
	v_fma_f64 v[24:25], -v[50:51], v[86:87], v[24:25]
	v_fma_f64 v[24:25], -v[54:55], v[84:85], v[24:25]
	v_mov_b32_e32 v40, 0xbc8
	ds_read2_b64 v[80:83], v40 offset1:1
	s_waitcnt lgkmcnt(1)
	v_fma_f64 v[24:25], -v[56:57], v[38:39], v[24:25]
	v_fma_f64 v[24:25], -v[60:61], v[36:37], v[24:25]
	v_mov_b32_e32 v36, 0xbb8
	ds_read2_b64 v[36:39], v36 offset1:1
	s_waitcnt lgkmcnt(1)
	;; [unrolled: 5-line block ×9, first 2 shown]
	v_fma_f64 v[24:25], -v[26:27], v[38:39], v[24:25]
	ds_read_b128 v[38:41], v78 offset:2784
	ds_read_b128 v[84:87], v78 offset:2768
	v_fma_f64 v[22:23], -v[52:53], v[44:45], v[22:23]
	v_fma_f64 v[22:23], -v[50:51], v[42:43], v[22:23]
	v_mul_f64 v[24:25], v[36:37], v[24:25]
	s_waitcnt lgkmcnt(1)
	v_fma_f64 v[22:23], -v[54:55], v[40:41], v[22:23]
	ds_read_b128 v[40:43], v78 offset:2752
	v_fma_f64 v[22:23], -v[56:57], v[38:39], v[22:23]
	s_waitcnt lgkmcnt(1)
	v_fma_f64 v[22:23], -v[60:61], v[86:87], v[22:23]
	ds_read_b128 v[36:39], v78 offset:2736
	v_fma_f64 v[22:23], -v[58:59], v[84:85], v[22:23]
	;; [unrolled: 4-line block ×3, first 2 shown]
	s_waitcnt lgkmcnt(1)
	v_fma_f64 v[22:23], -v[48:49], v[38:39], v[22:23]
	v_fma_f64 v[22:23], -v[46:47], v[36:37], v[22:23]
	ds_read_b128 v[36:39], v78 offset:2704
	ds_write2_b64 v79, v[26:27], v[28:29] offset0:128 offset1:160
	s_waitcnt lgkmcnt(2)
	v_fma_f64 v[22:23], -v[66:67], v[44:45], v[22:23]
	v_fma_f64 v[22:23], -v[68:69], v[42:43], v[22:23]
	ds_read_b128 v[40:43], v78 offset:2672
	ds_read_b128 v[84:87], v78 offset:2688
	s_waitcnt lgkmcnt(3)
	v_fma_f64 v[22:23], -v[70:71], v[38:39], v[22:23]
	v_fma_f64 v[22:23], -v[72:73], v[36:37], v[22:23]
	ds_read_b128 v[36:39], v78 offset:2640
	ds_read_b128 v[88:91], v78 offset:2656
	v_fma_f64 v[20:21], -v[52:53], v[34:35], v[20:21]
	s_waitcnt lgkmcnt(2)
	v_fma_f64 v[22:23], -v[74:75], v[86:87], v[22:23]
	v_fma_f64 v[22:23], -v[76:77], v[84:85], v[22:23]
	;; [unrolled: 1-line block ×4, first 2 shown]
	s_waitcnt lgkmcnt(0)
	v_fma_f64 v[22:23], -v[28:29], v[90:91], v[22:23]
	v_fma_f64 v[22:23], -v[26:27], v[88:89], v[22:23]
	;; [unrolled: 1-line block ×3, first 2 shown]
	v_mov_b32_e32 v34, 0x9d8
	v_mul_f64 v[22:23], v[36:37], v[22:23]
	ds_read2_b64 v[34:37], v34 offset1:1
	v_fma_f64 v[20:21], -v[50:51], v[82:83], v[20:21]
	v_mov_b32_e32 v38, 0x9c8
	v_fma_f64 v[20:21], -v[54:55], v[80:81], v[20:21]
	ds_read2_b64 v[38:41], v38 offset1:1
	s_waitcnt lgkmcnt(1)
	v_fma_f64 v[20:21], -v[56:57], v[36:37], v[20:21]
	v_fma_f64 v[20:21], -v[60:61], v[34:35], v[20:21]
	v_mov_b32_e32 v34, 0x9b8
	ds_read2_b64 v[34:37], v34 offset1:1
	s_waitcnt lgkmcnt(1)
	v_fma_f64 v[20:21], -v[58:59], v[40:41], v[20:21]
	v_fma_f64 v[20:21], -v[62:63], v[38:39], v[20:21]
	v_mov_b32_e32 v38, 0x9a8
	;; [unrolled: 5-line block ×7, first 2 shown]
	ds_read2_b64 v[34:37], v34 offset1:1
	s_waitcnt lgkmcnt(1)
	v_fma_f64 v[20:21], -v[30:31], v[40:41], v[20:21]
	v_mov_b32_e32 v40, 0x948
	ds_read2_b64 v[40:43], v40 offset1:1
	v_fma_f64 v[20:21], -v[28:29], v[38:39], v[20:21]
	s_waitcnt lgkmcnt(1)
	v_fma_f64 v[20:21], -v[26:27], v[36:37], v[20:21]
	ds_read_b128 v[36:39], v78 offset:2288
	v_fma_f64 v[20:21], -v[24:25], v[34:35], v[20:21]
	s_waitcnt lgkmcnt(1)
	v_fma_f64 v[20:21], -v[22:23], v[42:43], v[20:21]
	ds_read_b128 v[42:45], v78 offset:2272
	v_mul_f64 v[20:21], v[40:41], v[20:21]
	s_waitcnt lgkmcnt(1)
	v_fma_f64 v[18:19], -v[52:53], v[38:39], v[18:19]
	ds_read_b128 v[38:41], v78 offset:2256
	v_fma_f64 v[18:19], -v[50:51], v[36:37], v[18:19]
	s_waitcnt lgkmcnt(1)
	v_fma_f64 v[18:19], -v[54:55], v[44:45], v[18:19]
	ds_read_b128 v[34:37], v78 offset:2240
	v_fma_f64 v[18:19], -v[56:57], v[42:43], v[18:19]
	;; [unrolled: 4-line block ×5, first 2 shown]
	s_waitcnt lgkmcnt(1)
	v_fma_f64 v[18:19], -v[66:67], v[38:39], v[18:19]
	v_fma_f64 v[18:19], -v[68:69], v[36:37], v[18:19]
	ds_read_b128 v[34:37], v78 offset:2176
	ds_write2_b64 v79, v[22:23], v[24:25] offset0:64 offset1:96
	s_waitcnt lgkmcnt(2)
	v_fma_f64 v[18:19], -v[70:71], v[44:45], v[18:19]
	v_fma_f64 v[18:19], -v[72:73], v[42:43], v[18:19]
	ds_read_b128 v[38:41], v78 offset:2144
	ds_read_b128 v[42:45], v78 offset:2160
	s_waitcnt lgkmcnt(3)
	v_fma_f64 v[18:19], -v[74:75], v[36:37], v[18:19]
	v_fma_f64 v[18:19], -v[76:77], v[34:35], v[18:19]
	ds_read_b128 v[34:37], v78 offset:2112
	ds_read_b128 v[80:83], v78 offset:2128
	s_waitcnt lgkmcnt(2)
	v_fma_f64 v[18:19], -v[32:33], v[44:45], v[18:19]
	v_fma_f64 v[18:19], -v[30:31], v[42:43], v[18:19]
	;; [unrolled: 1-line block ×4, first 2 shown]
	s_waitcnt lgkmcnt(0)
	v_fma_f64 v[18:19], -v[24:25], v[82:83], v[18:19]
	v_fma_f64 v[18:19], -v[22:23], v[80:81], v[18:19]
	;; [unrolled: 1-line block ×3, first 2 shown]
	ds_read2_b64 v[36:39], v78 offset0:191 offset1:255
	ds_read2_b64 v[40:43], v78 offset0:253 offset1:254
	;; [unrolled: 1-line block ×3, first 2 shown]
	v_mul_f64 v[18:19], v[34:35], v[18:19]
	ds_write2_b64 v79, v[18:19], v[20:21] offset1:32
	s_waitcnt lgkmcnt(3)
	v_fma_f64 v[16:17], -v[52:53], v[38:39], v[16:17]
	s_waitcnt lgkmcnt(2)
	v_fma_f64 v[16:17], -v[50:51], v[42:43], v[16:17]
	ds_read2_b64 v[42:45], v78 offset0:249 offset1:250
	v_fma_f64 v[16:17], -v[54:55], v[40:41], v[16:17]
	ds_read2_b64 v[38:41], v78 offset0:247 offset1:248
	s_waitcnt lgkmcnt(3)
	v_fma_f64 v[16:17], -v[56:57], v[82:83], v[16:17]
	v_fma_f64 v[16:17], -v[60:61], v[80:81], v[16:17]
	s_waitcnt lgkmcnt(1)
	v_fma_f64 v[16:17], -v[58:59], v[44:45], v[16:17]
	ds_read2_b64 v[80:83], v78 offset0:245 offset1:246
	v_fma_f64 v[16:17], -v[62:63], v[42:43], v[16:17]
	s_waitcnt lgkmcnt(1)
	v_fma_f64 v[16:17], -v[64:65], v[40:41], v[16:17]
	ds_read2_b64 v[40:43], v78 offset0:243 offset1:244
	;; [unrolled: 4-line block ×4, first 2 shown]
	v_fma_f64 v[16:17], -v[70:71], v[40:41], v[16:17]
	ds_read2_b64 v[38:41], v78 offset0:237 offset1:238
	s_waitcnt lgkmcnt(2)
	v_fma_f64 v[16:17], -v[72:73], v[84:85], v[16:17]
	v_fma_f64 v[16:17], -v[74:75], v[82:83], v[16:17]
	s_waitcnt lgkmcnt(1)
	v_fma_f64 v[16:17], -v[76:77], v[44:45], v[16:17]
	ds_read2_b64 v[80:83], v78 offset0:235 offset1:236
	v_fma_f64 v[16:17], -v[32:33], v[42:43], v[16:17]
	s_waitcnt lgkmcnt(1)
	v_fma_f64 v[16:17], -v[30:31], v[40:41], v[16:17]
	ds_read2_b64 v[40:43], v78 offset0:233 offset1:234
	;; [unrolled: 4-line block ×3, first 2 shown]
	v_fma_f64 v[16:17], -v[24:25], v[80:81], v[16:17]
	s_waitcnt lgkmcnt(1)
	v_fma_f64 v[16:17], -v[22:23], v[42:43], v[16:17]
	ds_read_b128 v[42:45], v78 offset:1776
	v_fma_f64 v[16:17], -v[20:21], v[40:41], v[16:17]
	ds_read_b128 v[38:41], v78 offset:1760
	s_waitcnt lgkmcnt(2)
	v_fma_f64 v[16:17], -v[18:19], v[84:85], v[16:17]
	v_mul_f64 v[16:17], v[82:83], v[16:17]
	s_waitcnt lgkmcnt(1)
	v_fma_f64 v[14:15], -v[52:53], v[44:45], v[14:15]
	ds_read_b128 v[80:83], v78 offset:1744
	v_fma_f64 v[14:15], -v[50:51], v[42:43], v[14:15]
	s_waitcnt lgkmcnt(1)
	v_fma_f64 v[14:15], -v[54:55], v[40:41], v[14:15]
	ds_read_b128 v[40:43], v78 offset:1728
	v_fma_f64 v[14:15], -v[56:57], v[38:39], v[14:15]
	;; [unrolled: 4-line block ×4, first 2 shown]
	ds_read_b128 v[38:41], v78 offset:1680
	s_waitcnt lgkmcnt(2)
	v_fma_f64 v[14:15], -v[48:49], v[84:85], v[14:15]
	v_fma_f64 v[14:15], -v[46:47], v[82:83], v[14:15]
	ds_read_b128 v[80:83], v78 offset:1664
	s_waitcnt lgkmcnt(2)
	v_fma_f64 v[14:15], -v[66:67], v[44:45], v[14:15]
	v_fma_f64 v[14:15], -v[68:69], v[42:43], v[14:15]
	s_waitcnt lgkmcnt(1)
	v_fma_f64 v[14:15], -v[70:71], v[40:41], v[14:15]
	ds_read_b128 v[40:43], v78 offset:1648
	v_fma_f64 v[14:15], -v[72:73], v[38:39], v[14:15]
	s_waitcnt lgkmcnt(1)
	v_fma_f64 v[14:15], -v[74:75], v[82:83], v[14:15]
	v_fma_f64 v[14:15], -v[76:77], v[80:81], v[14:15]
	ds_read_b128 v[80:83], v78 offset:1632
	s_waitcnt lgkmcnt(1)
	v_fma_f64 v[14:15], -v[32:33], v[42:43], v[14:15]
	ds_read_b128 v[42:45], v78 offset:1600
	ds_read_b128 v[84:87], v78 offset:1616
	v_fma_f64 v[14:15], -v[30:31], v[40:41], v[14:15]
	ds_read_b128 v[38:41], v78 offset:1584
	s_waitcnt lgkmcnt(3)
	v_fma_f64 v[14:15], -v[28:29], v[82:83], v[14:15]
	v_fma_f64 v[14:15], -v[26:27], v[80:81], v[14:15]
	s_waitcnt lgkmcnt(1)
	v_fma_f64 v[14:15], -v[24:25], v[86:87], v[14:15]
	v_fma_f64 v[14:15], -v[22:23], v[84:85], v[14:15]
	;; [unrolled: 1-line block ×4, first 2 shown]
	ds_read2_b64 v[42:45], v78 offset0:189 offset1:190
	s_waitcnt lgkmcnt(1)
	v_fma_f64 v[14:15], -v[16:17], v[40:41], v[14:15]
	v_mul_f64 v[14:15], v[38:39], v[14:15]
	ds_read2_b64 v[38:41], v78 offset0:187 offset1:188
	v_fma_f64 v[12:13], -v[52:53], v[36:37], v[12:13]
	ds_read2_b64 v[34:37], v78 offset0:185 offset1:186
	s_waitcnt lgkmcnt(2)
	v_fma_f64 v[12:13], -v[50:51], v[44:45], v[12:13]
	v_fma_f64 v[12:13], -v[54:55], v[42:43], v[12:13]
	s_waitcnt lgkmcnt(1)
	v_fma_f64 v[12:13], -v[56:57], v[40:41], v[12:13]
	ds_read2_b64 v[40:43], v78 offset0:183 offset1:184
	v_fma_f64 v[12:13], -v[60:61], v[38:39], v[12:13]
	s_waitcnt lgkmcnt(1)
	v_fma_f64 v[12:13], -v[58:59], v[36:37], v[12:13]
	ds_read2_b64 v[36:39], v78 offset0:181 offset1:182
	;; [unrolled: 4-line block ×4, first 2 shown]
	v_fma_f64 v[12:13], -v[66:67], v[36:37], v[12:13]
	ds_read2_b64 v[34:37], v78 offset0:175 offset1:176
	s_waitcnt lgkmcnt(2)
	v_fma_f64 v[12:13], -v[68:69], v[44:45], v[12:13]
	v_fma_f64 v[12:13], -v[70:71], v[42:43], v[12:13]
	s_waitcnt lgkmcnt(1)
	v_fma_f64 v[12:13], -v[72:73], v[40:41], v[12:13]
	ds_read2_b64 v[40:43], v78 offset0:173 offset1:174
	v_fma_f64 v[12:13], -v[74:75], v[38:39], v[12:13]
	s_waitcnt lgkmcnt(1)
	v_fma_f64 v[12:13], -v[76:77], v[36:37], v[12:13]
	ds_read2_b64 v[36:39], v78 offset0:171 offset1:172
	;; [unrolled: 4-line block ×4, first 2 shown]
	v_fma_f64 v[12:13], -v[24:25], v[36:37], v[12:13]
	ds_read2_b64 v[34:37], v78 offset0:165 offset1:166
	s_waitcnt lgkmcnt(2)
	v_fma_f64 v[12:13], -v[22:23], v[44:45], v[12:13]
	v_fma_f64 v[12:13], -v[20:21], v[42:43], v[12:13]
	s_waitcnt lgkmcnt(1)
	v_fma_f64 v[12:13], -v[18:19], v[40:41], v[12:13]
	ds_read_b128 v[40:43], v78 offset:1264
	v_fma_f64 v[12:13], -v[16:17], v[38:39], v[12:13]
	s_waitcnt lgkmcnt(1)
	v_fma_f64 v[12:13], -v[14:15], v[36:37], v[12:13]
	ds_read_b128 v[36:39], v78 offset:1248
	v_mul_f64 v[34:35], v[34:35], v[12:13]
	s_waitcnt lgkmcnt(1)
	v_fma_f64 v[42:43], -v[52:53], v[42:43], v[10:11]
	ds_read_b128 v[10:13], v78 offset:1232
	v_fma_f64 v[40:41], -v[50:51], v[40:41], v[42:43]
	s_waitcnt lgkmcnt(1)
	v_fma_f64 v[42:43], -v[54:55], v[38:39], v[40:41]
	ds_read_b128 v[38:41], v78 offset:1216
	v_fma_f64 v[36:37], -v[56:57], v[36:37], v[42:43]
	ds_read_b128 v[42:45], v78 offset:1200
	s_waitcnt lgkmcnt(2)
	v_fma_f64 v[12:13], -v[60:61], v[12:13], v[36:37]
	v_fma_f64 v[10:11], -v[58:59], v[10:11], v[12:13]
	s_waitcnt lgkmcnt(1)
	v_fma_f64 v[36:37], -v[62:63], v[40:41], v[10:11]
	ds_read_b128 v[10:13], v78 offset:1184
	v_fma_f64 v[36:37], -v[64:65], v[38:39], v[36:37]
	s_waitcnt lgkmcnt(1)
	v_fma_f64 v[40:41], -v[48:49], v[44:45], v[36:37]
	ds_read_b128 v[36:39], v78 offset:1168
	;; [unrolled: 4-line block ×4, first 2 shown]
	v_fma_f64 v[36:37], -v[72:73], v[36:37], v[38:39]
	s_waitcnt lgkmcnt(1)
	v_fma_f64 v[36:37], -v[74:75], v[42:43], v[36:37]
	v_fma_f64 v[40:41], -v[76:77], v[40:41], v[36:37]
	ds_read_b128 v[36:39], v78 offset:1120
	ds_write2_b64 v1, v[14:15], v[16:17] offset0:192 offset1:224
	s_waitcnt lgkmcnt(2)
	v_fma_f64 v[12:13], -v[32:33], v[12:13], v[40:41]
	v_fma_f64 v[44:45], -v[30:31], v[10:11], v[12:13]
	ds_read_b128 v[10:13], v78 offset:1088
	ds_read_b128 v[40:43], v78 offset:1104
	s_waitcnt lgkmcnt(3)
	v_fma_f64 v[38:39], -v[28:29], v[38:39], v[44:45]
	v_fma_f64 v[44:45], -v[26:27], v[36:37], v[38:39]
	ds_read_b128 v[36:39], v78 offset:1056
	ds_read_b128 v[80:83], v78 offset:1072
	s_waitcnt lgkmcnt(2)
	v_fma_f64 v[42:43], -v[24:25], v[42:43], v[44:45]
	v_fma_f64 v[40:41], -v[22:23], v[40:41], v[42:43]
	;; [unrolled: 1-line block ×4, first 2 shown]
	s_waitcnt lgkmcnt(0)
	v_fma_f64 v[10:11], -v[16:17], v[82:83], v[10:11]
	v_fma_f64 v[10:11], -v[14:15], v[80:81], v[10:11]
	v_fma_f64 v[42:43], -v[34:35], v[38:39], v[10:11]
	ds_read2_b64 v[10:13], v78 offset0:63 offset1:127
	ds_read2_b64 v[38:41], v78 offset0:125 offset1:126
	v_mul_f64 v[36:37], v[36:37], v[42:43]
	ds_read2_b64 v[42:45], v78 offset0:123 offset1:124
	ds_read2_b64 v[80:83], v78 offset0:121 offset1:122
	s_waitcnt lgkmcnt(3)
	v_fma_f64 v[8:9], -v[52:53], v[12:13], v[8:9]
	s_waitcnt lgkmcnt(2)
	v_fma_f64 v[8:9], -v[50:51], v[40:41], v[8:9]
	v_fma_f64 v[8:9], -v[54:55], v[38:39], v[8:9]
	ds_read2_b64 v[38:41], v78 offset0:119 offset1:120
	s_waitcnt lgkmcnt(2)
	v_fma_f64 v[8:9], -v[56:57], v[44:45], v[8:9]
	v_fma_f64 v[8:9], -v[60:61], v[42:43], v[8:9]
	ds_read2_b64 v[42:45], v78 offset0:117 offset1:118
	;; [unrolled: 4-line block ×11, first 2 shown]
	s_waitcnt lgkmcnt(2)
	v_fma_f64 v[8:9], -v[18:19], v[82:83], v[8:9]
	v_fma_f64 v[8:9], -v[16:17], v[80:81], v[8:9]
	ds_read_b128 v[80:83], v78 offset:752
	s_waitcnt lgkmcnt(2)
	v_fma_f64 v[8:9], -v[14:15], v[40:41], v[8:9]
	v_fma_f64 v[8:9], -v[34:35], v[38:39], v[8:9]
	ds_read_b128 v[38:41], v78 offset:736
	s_waitcnt lgkmcnt(2)
	v_fma_f64 v[8:9], -v[36:37], v[44:45], v[8:9]
	v_mul_f64 v[8:9], v[42:43], v[8:9]
	ds_read_b128 v[42:45], v78 offset:720
	s_waitcnt lgkmcnt(2)
	v_fma_f64 v[6:7], -v[52:53], v[82:83], v[6:7]
	v_fma_f64 v[6:7], -v[50:51], v[80:81], v[6:7]
	ds_read_b128 v[80:83], v78 offset:704
	s_waitcnt lgkmcnt(2)
	v_fma_f64 v[6:7], -v[54:55], v[40:41], v[6:7]
	v_fma_f64 v[6:7], -v[56:57], v[38:39], v[6:7]
	;; [unrolled: 4-line block ×9, first 2 shown]
	ds_read_b128 v[42:45], v78 offset:576
	ds_write2_b64 v1, v[36:37], v[34:35] offset0:128 offset1:160
	s_waitcnt lgkmcnt(3)
	v_fma_f64 v[6:7], -v[28:29], v[82:83], v[6:7]
	v_fma_f64 v[6:7], -v[26:27], v[80:81], v[6:7]
	ds_read_b128 v[80:83], v78 offset:544
	ds_read_b128 v[84:87], v78 offset:560
	s_waitcnt lgkmcnt(4)
	v_fma_f64 v[6:7], -v[24:25], v[40:41], v[6:7]
	v_fma_f64 v[6:7], -v[22:23], v[38:39], v[6:7]
	s_waitcnt lgkmcnt(3)
	v_fma_f64 v[6:7], -v[20:21], v[44:45], v[6:7]
	ds_read_b128 v[38:41], v78 offset:528
	v_fma_f64 v[6:7], -v[18:19], v[42:43], v[6:7]
	s_waitcnt lgkmcnt(1)
	v_fma_f64 v[6:7], -v[16:17], v[86:87], v[6:7]
	v_fma_f64 v[6:7], -v[14:15], v[84:85], v[6:7]
	;; [unrolled: 1-line block ×4, first 2 shown]
	ds_read2_b64 v[42:45], v78 offset0:61 offset1:62
	s_waitcnt lgkmcnt(1)
	v_fma_f64 v[6:7], -v[8:9], v[40:41], v[6:7]
	v_mul_f64 v[6:7], v[38:39], v[6:7]
	ds_read2_b64 v[38:41], v78 offset0:59 offset1:60
	v_fma_f64 v[4:5], -v[52:53], v[10:11], v[4:5]
	s_waitcnt lgkmcnt(1)
	v_fma_f64 v[4:5], -v[50:51], v[44:45], v[4:5]
	ds_read2_b64 v[10:13], v78 offset0:57 offset1:58
	v_fma_f64 v[4:5], -v[54:55], v[42:43], v[4:5]
	s_waitcnt lgkmcnt(1)
	v_fma_f64 v[4:5], -v[56:57], v[40:41], v[4:5]
	ds_read2_b64 v[40:43], v78 offset0:55 offset1:56
	ds_read2_b64 v[80:83], v78 offset0:53 offset1:54
	v_fma_f64 v[4:5], -v[60:61], v[38:39], v[4:5]
	s_waitcnt lgkmcnt(2)
	v_fma_f64 v[4:5], -v[58:59], v[12:13], v[4:5]
	v_fma_f64 v[4:5], -v[62:63], v[10:11], v[4:5]
	ds_read2_b64 v[10:13], v78 offset0:51 offset1:52
	s_waitcnt lgkmcnt(2)
	v_fma_f64 v[4:5], -v[64:65], v[42:43], v[4:5]
	v_fma_f64 v[4:5], -v[48:49], v[40:41], v[4:5]
	ds_read2_b64 v[38:41], v78 offset0:49 offset1:50
	;; [unrolled: 4-line block ×8, first 2 shown]
	s_waitcnt lgkmcnt(2)
	v_fma_f64 v[4:5], -v[22:23], v[44:45], v[4:5]
	v_fma_f64 v[4:5], -v[20:21], v[42:43], v[4:5]
	s_waitcnt lgkmcnt(1)
	v_fma_f64 v[4:5], -v[18:19], v[12:13], v[4:5]
	ds_read2_b64 v[42:45], v78 offset0:35 offset1:36
	v_fma_f64 v[4:5], -v[16:17], v[10:11], v[4:5]
	s_waitcnt lgkmcnt(1)
	v_fma_f64 v[4:5], -v[14:15], v[40:41], v[4:5]
	ds_read2_b64 v[10:13], v78 offset0:33 offset1:34
	v_fma_f64 v[4:5], -v[34:35], v[38:39], v[4:5]
	ds_read_b128 v[38:41], v78 offset:240
	s_waitcnt lgkmcnt(2)
	v_fma_f64 v[4:5], -v[36:37], v[44:45], v[4:5]
	v_fma_f64 v[4:5], -v[8:9], v[42:43], v[4:5]
	ds_read_b128 v[42:45], v78 offset:224
	s_waitcnt lgkmcnt(2)
	v_fma_f64 v[4:5], -v[6:7], v[12:13], v[4:5]
	v_mul_f64 v[80:81], v[10:11], v[4:5]
	s_waitcnt lgkmcnt(1)
	v_fma_f64 v[10:11], -v[52:53], v[40:41], v[2:3]
	ds_read_b128 v[2:5], v78 offset:208
	v_fma_f64 v[10:11], -v[50:51], v[38:39], v[10:11]
	s_waitcnt lgkmcnt(1)
	v_fma_f64 v[38:39], -v[54:55], v[44:45], v[10:11]
	ds_read_b128 v[10:13], v78 offset:192
	v_fma_f64 v[38:39], -v[56:57], v[42:43], v[38:39]
	;; [unrolled: 4-line block ×9, first 2 shown]
	s_waitcnt lgkmcnt(1)
	v_fma_f64 v[2:3], -v[28:29], v[12:13], v[2:3]
	v_fma_f64 v[10:11], -v[26:27], v[10:11], v[2:3]
	ds_read_b128 v[2:5], v78 offset:64
	ds_write2_b64 v1, v[6:7], v[8:9] offset0:64 offset1:96
	s_waitcnt lgkmcnt(2)
	v_fma_f64 v[10:11], -v[24:25], v[40:41], v[10:11]
	v_fma_f64 v[26:27], -v[22:23], v[38:39], v[10:11]
	ds_read_b128 v[10:13], v78 offset:32
	ds_read_b128 v[22:25], v78 offset:48
	s_waitcnt lgkmcnt(3)
	v_fma_f64 v[4:5], -v[20:21], v[4:5], v[26:27]
	v_fma_f64 v[26:27], -v[18:19], v[2:3], v[4:5]
	ds_read_b128 v[2:5], v78
	ds_read_b128 v[18:21], v78 offset:16
	s_waitcnt lgkmcnt(2)
	v_fma_f64 v[16:17], -v[16:17], v[24:25], v[26:27]
	v_fma_f64 v[14:15], -v[14:15], v[22:23], v[16:17]
	;; [unrolled: 1-line block ×4, first 2 shown]
	s_waitcnt lgkmcnt(0)
	v_fma_f64 v[8:9], -v[8:9], v[20:21], v[10:11]
	v_fma_f64 v[6:7], -v[6:7], v[18:19], v[8:9]
	;; [unrolled: 1-line block ×3, first 2 shown]
	v_mul_f64 v[2:3], v[2:3], v[4:5]
	ds_write2_b64 v1, v[2:3], v[80:81] offset1:32
.LBB104_12:
	s_cmp_gt_i32 s5, -1
	s_cbranch_scc0 .LBB104_35
; %bb.13:
	s_cmp_lt_u32 s5, 27
	s_cbranch_scc1 .LBB104_18
; %bb.14:
	s_lshl_b32 s7, s5, 8
	v_add_u32_e32 v58, s7, v1
	v_add_u32_e32 v2, 0xffffff00, v58
	v_add_u32_e32 v3, 0xfffffe00, v58
	v_add_u32_e32 v4, 0xfffffd00, v58
	ds_read_b64 v[8:9], v58
	ds_read_b64 v[10:11], v2
	ds_read_b64 v[12:13], v3
	ds_read_b64 v[14:15], v4
	v_add_u32_e32 v2, 0xfffffc00, v58
	v_add_u32_e32 v3, 0xfffffb00, v58
	v_add_u32_e32 v4, 0xfffffa00, v58
	v_add_u32_e32 v5, 0xfffff900, v58
	ds_read_b64 v[16:17], v2
	ds_read_b64 v[18:19], v3
	ds_read_b64 v[20:21], v4
	ds_read_b64 v[24:25], v5
	;; [unrolled: 8-line block ×7, first 2 shown]
	s_cmp_le_i32 s4, s5
	s_cbranch_scc1 .LBB104_17
; %bb.15:
	v_lshlrev_b32_e32 v59, 3, v0
	s_lshl_b32 s8, s22, 3
	v_lshl_or_b32 v59, s22, 8, v59
	s_add_i32 s7, s7, s8
	v_add_u32_e32 v59, 0x1f00, v59
	s_addk_i32 s7, 0xe4f8
	s_mov_b32 s8, s4
.LBB104_16:                             ; =>This Inner Loop Header: Depth=1
	v_mov_b32_e32 v72, s7
	v_add_u32_e32 v80, 0x1800, v72
	v_add_u32_e32 v96, 0x1000, v72
	;; [unrolled: 1-line block ×3, first 2 shown]
	ds_read_b64 v[116:117], v59
	ds_read2_b64 v[60:63], v72 offset0:192 offset1:224
	ds_read2_b64 v[64:67], v72 offset0:128 offset1:160
	;; [unrolled: 1-line block ×3, first 2 shown]
	ds_read2_b64 v[72:75], v72 offset1:32
	ds_read2_b64 v[76:79], v80 offset0:64 offset1:96
	ds_read2_b64 v[80:83], v80 offset1:32
	ds_read2_b64 v[84:87], v96 offset0:192 offset1:224
	ds_read2_b64 v[88:91], v96 offset0:128 offset1:160
	;; [unrolled: 1-line block ×3, first 2 shown]
	ds_read2_b64 v[96:99], v96 offset1:32
	ds_read2_b64 v[100:103], v112 offset0:192 offset1:224
	ds_read2_b64 v[104:107], v112 offset0:128 offset1:160
	;; [unrolled: 1-line block ×3, first 2 shown]
	ds_read2_b64 v[112:115], v112 offset1:32
	s_add_i32 s8, s8, -1
	s_add_i32 s7, s7, -8
	v_add_u32_e32 v59, 0xffffff00, v59
	s_cmp_gt_i32 s8, s5
	s_waitcnt lgkmcnt(13)
	v_fma_f64 v[44:45], -v[116:117], v[62:63], v[44:45]
	v_fma_f64 v[40:41], -v[116:117], v[60:61], v[40:41]
	s_waitcnt lgkmcnt(12)
	v_fma_f64 v[34:35], -v[116:117], v[66:67], v[34:35]
	v_fma_f64 v[28:29], -v[116:117], v[64:65], v[28:29]
	;; [unrolled: 3-line block ×14, first 2 shown]
	s_cbranch_scc1 .LBB104_16
.LBB104_17:
	s_mul_i32 s7, s5, 0x108
	v_mov_b32_e32 v59, s7
	s_add_i32 s7, s5, -1
	s_lshl_b32 s8, s7, 8
	s_lshl_b32 s7, s7, 3
	s_add_i32 s7, s8, s7
	ds_read_b64 v[64:65], v59
	v_mov_b32_e32 v59, s7
	ds_read2_b64 v[60:63], v59 offset1:1
	s_add_i32 s9, s5, -2
	s_lshl_b32 s12, s9, 8
	s_lshl_b32 s7, s5, 3
	;; [unrolled: 1-line block ×3, first 2 shown]
	s_waitcnt lgkmcnt(1)
	v_mul_f64 v[8:9], v[64:65], v[8:9]
	s_add_i32 s13, s12, s7
	s_add_i32 s9, s12, s9
	ds_write_b64 v58, v[8:9]
	s_waitcnt lgkmcnt(1)
	v_fma_f64 v[10:11], -v[8:9], v[62:63], v[10:11]
	v_mov_b32_e32 v58, s13
	v_mov_b32_e32 v62, s9
	ds_read_b64 v[58:59], v58
	ds_read2_b64 v[62:65], v62 offset1:1
	v_mul_f64 v[10:11], v[60:61], v[10:11]
	v_add_u32_e32 v60, s8, v1
	s_add_i32 s8, s5, -3
	s_lshl_b32 s9, s8, 8
	s_add_i32 s13, s9, s7
	s_add_i32 s13, s13, -8
	s_waitcnt lgkmcnt(1)
	v_fma_f64 v[12:13], -v[8:9], v[58:59], v[12:13]
	v_mov_b32_e32 v58, s13
	ds_write_b64 v60, v[10:11]
	ds_read2_b64 v[58:61], v58 offset1:1
	s_lshl_b32 s8, s8, 3
	s_waitcnt lgkmcnt(2)
	v_fma_f64 v[12:13], -v[10:11], v[64:65], v[12:13]
	s_add_i32 s8, s9, s8
	v_mul_f64 v[12:13], v[62:63], v[12:13]
	v_mov_b32_e32 v62, s8
	ds_read2_b64 v[62:65], v62 offset1:1
	s_add_i32 s8, s5, -4
	v_add_u32_e32 v66, s12, v1
	s_lshl_b32 s12, s8, 8
	s_waitcnt lgkmcnt(1)
	v_fma_f64 v[14:15], -v[8:9], v[60:61], v[14:15]
	s_add_i32 s13, s12, s7
	v_fma_f64 v[14:15], -v[10:11], v[58:59], v[14:15]
	v_mov_b32_e32 v58, s13
	s_add_i32 s13, s13, -16
	ds_write_b64 v66, v[12:13]
	v_mov_b32_e32 v59, s13
	s_waitcnt lgkmcnt(1)
	v_fma_f64 v[14:15], -v[12:13], v[64:65], v[14:15]
	ds_read_b64 v[64:65], v58
	ds_read2_b64 v[58:61], v59 offset1:1
	s_lshl_b32 s8, s8, 3
	s_add_i32 s8, s12, s8
	v_mul_f64 v[14:15], v[62:63], v[14:15]
	s_waitcnt lgkmcnt(1)
	v_fma_f64 v[16:17], -v[8:9], v[64:65], v[16:17]
	s_waitcnt lgkmcnt(0)
	v_fma_f64 v[16:17], -v[10:11], v[60:61], v[16:17]
	v_fma_f64 v[16:17], -v[12:13], v[58:59], v[16:17]
	v_mov_b32_e32 v58, s8
	ds_read2_b64 v[58:61], v58 offset1:1
	s_add_i32 s8, s5, -5
	v_add_u32_e32 v62, s9, v1
	s_lshl_b32 s9, s8, 8
	s_add_i32 s13, s9, s7
	s_add_i32 s14, s13, -8
	ds_write_b64 v62, v[14:15]
	v_mov_b32_e32 v62, s14
	ds_read2_b64 v[62:65], v62 offset1:1
	s_waitcnt lgkmcnt(2)
	v_fma_f64 v[16:17], -v[14:15], v[60:61], v[16:17]
	v_mul_f64 v[16:17], v[58:59], v[16:17]
	v_add_u32_e32 v58, s12, v1
	s_sub_i32 s12, s13, 24
	ds_write_b64 v58, v[16:17]
	v_mov_b32_e32 v58, s12
	ds_read2_b64 v[58:61], v58 offset1:1
	s_lshl_b32 s8, s8, 3
	s_add_i32 s8, s9, s8
	s_waitcnt lgkmcnt(2)
	v_fma_f64 v[18:19], -v[8:9], v[64:65], v[18:19]
	v_mov_b32_e32 v66, s8
	v_fma_f64 v[18:19], -v[10:11], v[62:63], v[18:19]
	ds_read2_b64 v[66:69], v66 offset1:1
	s_waitcnt lgkmcnt(1)
	v_fma_f64 v[18:19], -v[12:13], v[60:61], v[18:19]
	s_add_i32 s8, s5, -6
	v_fma_f64 v[18:19], -v[14:15], v[58:59], v[18:19]
	v_add_u32_e32 v58, s9, v1
	s_lshl_b32 s9, s8, 8
	s_add_i32 s12, s9, s7
	v_mov_b32_e32 v59, s12
	ds_read_b64 v[62:63], v59
	s_waitcnt lgkmcnt(1)
	v_fma_f64 v[18:19], -v[16:17], v[68:69], v[18:19]
	s_lshl_b32 s8, s8, 3
	v_mul_f64 v[18:19], v[66:67], v[18:19]
	s_add_i32 s13, s12, -16
	s_add_i32 s8, s9, s8
	ds_write_b64 v58, v[18:19]
	v_mov_b32_e32 v58, s13
	v_mov_b32_e32 v66, s8
	s_sub_i32 s12, s12, 32
	ds_read2_b64 v[66:69], v66 offset1:1
	ds_read2_b64 v[58:61], v58 offset1:1
	s_waitcnt lgkmcnt(3)
	v_fma_f64 v[20:21], -v[8:9], v[62:63], v[20:21]
	v_mov_b32_e32 v62, s12
	ds_read2_b64 v[62:65], v62 offset1:1
	s_add_i32 s8, s5, -7
	s_waitcnt lgkmcnt(1)
	v_fma_f64 v[20:21], -v[10:11], v[60:61], v[20:21]
	v_fma_f64 v[20:21], -v[12:13], v[58:59], v[20:21]
	s_waitcnt lgkmcnt(0)
	v_fma_f64 v[20:21], -v[14:15], v[64:65], v[20:21]
	v_fma_f64 v[20:21], -v[16:17], v[62:63], v[20:21]
	v_add_u32_e32 v62, s9, v1
	s_lshl_b32 s9, s8, 8
	s_add_i32 s12, s9, s7
	s_add_i32 s13, s12, -8
	v_mov_b32_e32 v58, s13
	ds_read2_b64 v[58:61], v58 offset1:1
	v_fma_f64 v[20:21], -v[18:19], v[68:69], v[20:21]
	v_mul_f64 v[20:21], v[66:67], v[20:21]
	s_sub_i32 s13, s12, 24
	ds_write_b64 v62, v[20:21]
	v_mov_b32_e32 v62, s13
	ds_read2_b64 v[62:65], v62 offset1:1
	s_waitcnt lgkmcnt(2)
	v_fma_f64 v[24:25], -v[8:9], v[60:61], v[24:25]
	s_sub_i32 s12, s12, 40
	v_fma_f64 v[24:25], -v[10:11], v[58:59], v[24:25]
	v_mov_b32_e32 v58, s12
	ds_read2_b64 v[58:61], v58 offset1:1
	s_lshl_b32 s8, s8, 3
	s_add_i32 s8, s9, s8
	v_mov_b32_e32 v66, s8
	ds_read2_b64 v[66:69], v66 offset1:1
	s_waitcnt lgkmcnt(2)
	v_fma_f64 v[24:25], -v[12:13], v[64:65], v[24:25]
	v_fma_f64 v[24:25], -v[14:15], v[62:63], v[24:25]
	s_waitcnt lgkmcnt(1)
	v_fma_f64 v[24:25], -v[16:17], v[60:61], v[24:25]
	s_add_i32 s8, s5, -8
	v_fma_f64 v[24:25], -v[18:19], v[58:59], v[24:25]
	v_add_u32_e32 v58, s9, v1
	s_lshl_b32 s9, s8, 8
	s_add_i32 s12, s9, s7
	s_waitcnt lgkmcnt(0)
	v_fma_f64 v[24:25], -v[20:21], v[68:69], v[24:25]
	v_mov_b32_e32 v59, s12
	v_mul_f64 v[24:25], v[66:67], v[24:25]
	ds_read_b64 v[62:63], v59
	s_add_i32 s13, s12, -16
	ds_write_b64 v58, v[24:25]
	v_mov_b32_e32 v58, s13
	s_sub_i32 s13, s12, 32
	s_sub_i32 s12, s12, 48
	v_mov_b32_e32 v66, s12
	ds_read2_b64 v[66:69], v66 offset1:1
	ds_read2_b64 v[58:61], v58 offset1:1
	s_waitcnt lgkmcnt(3)
	v_fma_f64 v[26:27], -v[8:9], v[62:63], v[26:27]
	v_mov_b32_e32 v62, s13
	ds_read2_b64 v[62:65], v62 offset1:1
	s_lshl_b32 s8, s8, 3
	s_waitcnt lgkmcnt(1)
	v_fma_f64 v[26:27], -v[10:11], v[60:61], v[26:27]
	s_add_i32 s8, s9, s8
	v_fma_f64 v[26:27], -v[12:13], v[58:59], v[26:27]
	v_mov_b32_e32 v58, s8
	ds_read2_b64 v[58:61], v58 offset1:1
	s_add_i32 s8, s5, -9
	s_waitcnt lgkmcnt(1)
	v_fma_f64 v[26:27], -v[14:15], v[64:65], v[26:27]
	s_lshl_b32 s12, s8, 8
	v_fma_f64 v[26:27], -v[16:17], v[62:63], v[26:27]
	s_add_i32 s13, s12, s7
	v_fma_f64 v[26:27], -v[18:19], v[68:69], v[26:27]
	s_add_i32 s14, s13, -8
	v_fma_f64 v[26:27], -v[20:21], v[66:67], v[26:27]
	v_mov_b32_e32 v62, s14
	ds_read2_b64 v[62:65], v62 offset1:1
	s_waitcnt lgkmcnt(1)
	v_fma_f64 v[26:27], -v[24:25], v[60:61], v[26:27]
	v_mul_f64 v[26:27], v[58:59], v[26:27]
	v_add_u32_e32 v58, s9, v1
	s_sub_i32 s9, s13, 24
	ds_write_b64 v58, v[26:27]
	v_mov_b32_e32 v58, s9
	ds_read2_b64 v[58:61], v58 offset1:1
	s_waitcnt lgkmcnt(2)
	v_fma_f64 v[30:31], -v[8:9], v[64:65], v[30:31]
	s_sub_i32 s9, s13, 40
	v_fma_f64 v[30:31], -v[10:11], v[62:63], v[30:31]
	v_mov_b32_e32 v62, s9
	ds_read2_b64 v[62:65], v62 offset1:1
	s_waitcnt lgkmcnt(1)
	v_fma_f64 v[30:31], -v[12:13], v[60:61], v[30:31]
	s_sub_i32 s9, s13, 56
	v_fma_f64 v[30:31], -v[14:15], v[58:59], v[30:31]
	v_mov_b32_e32 v58, s9
	ds_read2_b64 v[58:61], v58 offset1:1
	s_lshl_b32 s8, s8, 3
	s_add_i32 s8, s12, s8
	v_mov_b32_e32 v66, s8
	s_add_i32 s8, s5, -10
	s_waitcnt lgkmcnt(1)
	v_fma_f64 v[30:31], -v[16:17], v[64:65], v[30:31]
	s_lshl_b32 s9, s8, 8
	v_fma_f64 v[30:31], -v[18:19], v[62:63], v[30:31]
	s_add_i32 s13, s9, s7
	ds_read2_b64 v[66:69], v66 offset1:1
	s_waitcnt lgkmcnt(1)
	v_fma_f64 v[30:31], -v[20:21], v[60:61], v[30:31]
	s_add_i32 s14, s13, -16
	v_fma_f64 v[30:31], -v[24:25], v[58:59], v[30:31]
	v_mov_b32_e32 v58, s13
	v_mov_b32_e32 v59, s14
	ds_read_b64 v[62:63], v58
	ds_read2_b64 v[58:61], v59 offset1:1
	v_add_u32_e32 v64, s12, v1
	s_sub_i32 s12, s13, 32
	s_waitcnt lgkmcnt(2)
	v_fma_f64 v[30:31], -v[26:27], v[68:69], v[30:31]
	s_waitcnt lgkmcnt(1)
	v_fma_f64 v[32:33], -v[8:9], v[62:63], v[32:33]
	;; [unrolled: 2-line block ×3, first 2 shown]
	v_mov_b32_e32 v60, s12
	ds_read2_b64 v[60:63], v60 offset1:1
	s_sub_i32 s12, s13, 48
	v_mul_f64 v[30:31], v[66:67], v[30:31]
	v_fma_f64 v[32:33], -v[12:13], v[58:59], v[32:33]
	v_mov_b32_e32 v58, s12
	ds_write_b64 v64, v[30:31]
	ds_read2_b64 v[64:67], v58 offset1:1
	s_sub_i32 s12, s13, 64
	s_waitcnt lgkmcnt(2)
	v_fma_f64 v[32:33], -v[14:15], v[62:63], v[32:33]
	v_mov_b32_e32 v58, s12
	v_fma_f64 v[32:33], -v[16:17], v[60:61], v[32:33]
	ds_read2_b64 v[58:61], v58 offset1:1
	s_lshl_b32 s8, s8, 3
	s_add_i32 s8, s9, s8
	v_mov_b32_e32 v62, s8
	s_add_i32 s8, s5, -11
	s_waitcnt lgkmcnt(1)
	v_fma_f64 v[32:33], -v[18:19], v[66:67], v[32:33]
	s_lshl_b32 s12, s8, 8
	v_fma_f64 v[32:33], -v[20:21], v[64:65], v[32:33]
	s_add_i32 s13, s12, s7
	ds_read2_b64 v[68:71], v62 offset1:1
	s_waitcnt lgkmcnt(1)
	v_fma_f64 v[32:33], -v[24:25], v[60:61], v[32:33]
	s_add_i32 s14, s13, -8
	v_fma_f64 v[32:33], -v[26:27], v[58:59], v[32:33]
	v_mov_b32_e32 v58, s14
	ds_read2_b64 v[58:61], v58 offset1:1
	s_sub_i32 s14, s13, 24
	v_mov_b32_e32 v62, s14
	ds_read2_b64 v[62:65], v62 offset1:1
	v_add_u32_e32 v66, s9, v1
	s_waitcnt lgkmcnt(1)
	v_fma_f64 v[36:37], -v[8:9], v[60:61], v[36:37]
	s_sub_i32 s9, s13, 40
	v_fma_f64 v[36:37], -v[10:11], v[58:59], v[36:37]
	v_mov_b32_e32 v58, s9
	ds_read2_b64 v[58:61], v58 offset1:1
	s_waitcnt lgkmcnt(1)
	v_fma_f64 v[36:37], -v[12:13], v[64:65], v[36:37]
	s_sub_i32 s9, s13, 56
	v_fma_f64 v[36:37], -v[14:15], v[62:63], v[36:37]
	v_mov_b32_e32 v62, s9
	ds_read2_b64 v[62:65], v62 offset1:1
	s_waitcnt lgkmcnt(1)
	v_fma_f64 v[36:37], -v[16:17], v[60:61], v[36:37]
	s_add_i32 s9, s13, 0xffffffb8
	v_fma_f64 v[36:37], -v[18:19], v[58:59], v[36:37]
	v_mov_b32_e32 v58, s9
	v_fma_f64 v[32:33], -v[30:31], v[70:71], v[32:33]
	ds_read2_b64 v[58:61], v58 offset1:1
	s_lshl_b32 s8, s8, 3
	v_mul_f64 v[32:33], v[68:69], v[32:33]
	s_add_i32 s8, s12, s8
	ds_write_b64 v66, v[32:33]
	v_mov_b32_e32 v66, s8
	s_add_i32 s8, s5, -12
	s_waitcnt lgkmcnt(2)
	v_fma_f64 v[36:37], -v[20:21], v[64:65], v[36:37]
	s_lshl_b32 s9, s8, 8
	v_fma_f64 v[36:37], -v[24:25], v[62:63], v[36:37]
	s_add_i32 s13, s9, s7
	ds_read2_b64 v[66:69], v66 offset1:1
	s_waitcnt lgkmcnt(2)
	v_fma_f64 v[36:37], -v[26:27], v[60:61], v[36:37]
	s_add_i32 s14, s13, -16
	v_fma_f64 v[36:37], -v[30:31], v[58:59], v[36:37]
	v_mov_b32_e32 v58, s13
	v_mov_b32_e32 v59, s14
	ds_read_b64 v[62:63], v58
	ds_read2_b64 v[58:61], v59 offset1:1
	v_add_u32_e32 v64, s12, v1
	s_sub_i32 s12, s13, 32
	s_waitcnt lgkmcnt(2)
	v_fma_f64 v[36:37], -v[32:33], v[68:69], v[36:37]
	s_waitcnt lgkmcnt(1)
	v_fma_f64 v[38:39], -v[8:9], v[62:63], v[38:39]
	;; [unrolled: 2-line block ×3, first 2 shown]
	v_mov_b32_e32 v60, s12
	ds_read2_b64 v[60:63], v60 offset1:1
	s_sub_i32 s12, s13, 48
	v_mul_f64 v[36:37], v[66:67], v[36:37]
	v_fma_f64 v[38:39], -v[12:13], v[58:59], v[38:39]
	v_mov_b32_e32 v58, s12
	ds_write_b64 v64, v[36:37]
	ds_read2_b64 v[64:67], v58 offset1:1
	s_sub_i32 s12, s13, 64
	s_waitcnt lgkmcnt(2)
	v_fma_f64 v[38:39], -v[14:15], v[62:63], v[38:39]
	v_mov_b32_e32 v58, s12
	v_fma_f64 v[38:39], -v[16:17], v[60:61], v[38:39]
	ds_read2_b64 v[58:61], v58 offset1:1
	s_add_i32 s12, s13, 0xffffffb0
	s_waitcnt lgkmcnt(1)
	v_fma_f64 v[38:39], -v[18:19], v[66:67], v[38:39]
	v_mov_b32_e32 v62, s12
	v_fma_f64 v[38:39], -v[20:21], v[64:65], v[38:39]
	s_lshl_b32 s8, s8, 3
	ds_read2_b64 v[68:71], v62 offset1:1
	s_waitcnt lgkmcnt(1)
	v_fma_f64 v[38:39], -v[24:25], v[60:61], v[38:39]
	s_add_i32 s8, s9, s8
	v_fma_f64 v[38:39], -v[26:27], v[58:59], v[38:39]
	v_mov_b32_e32 v58, s8
	ds_read2_b64 v[58:61], v58 offset1:1
	s_add_i32 s8, s5, -13
	s_lshl_b32 s12, s8, 8
	s_add_i32 s13, s12, s7
	s_waitcnt lgkmcnt(1)
	v_fma_f64 v[38:39], -v[30:31], v[70:71], v[38:39]
	s_add_i32 s14, s13, -8
	v_fma_f64 v[38:39], -v[32:33], v[68:69], v[38:39]
	v_mov_b32_e32 v62, s14
	ds_read2_b64 v[62:65], v62 offset1:1
	s_waitcnt lgkmcnt(1)
	v_fma_f64 v[38:39], -v[36:37], v[60:61], v[38:39]
	v_mul_f64 v[38:39], v[58:59], v[38:39]
	v_add_u32_e32 v58, s9, v1
	s_sub_i32 s9, s13, 24
	ds_write_b64 v58, v[38:39]
	v_mov_b32_e32 v58, s9
	ds_read2_b64 v[58:61], v58 offset1:1
	s_sub_i32 s9, s13, 40
	s_waitcnt lgkmcnt(2)
	v_fma_f64 v[42:43], -v[8:9], v[64:65], v[42:43]
	v_mov_b32_e32 v66, s9
	v_fma_f64 v[42:43], -v[10:11], v[62:63], v[42:43]
	ds_read2_b64 v[66:69], v66 offset1:1
	s_waitcnt lgkmcnt(1)
	v_fma_f64 v[42:43], -v[12:13], v[60:61], v[42:43]
	s_sub_i32 s9, s13, 56
	v_fma_f64 v[42:43], -v[14:15], v[58:59], v[42:43]
	v_mov_b32_e32 v58, s9
	ds_read2_b64 v[58:61], v58 offset1:1
	s_waitcnt lgkmcnt(1)
	v_fma_f64 v[42:43], -v[16:17], v[68:69], v[42:43]
	s_add_i32 s9, s13, 0xffffffb8
	v_fma_f64 v[42:43], -v[18:19], v[66:67], v[42:43]
	v_mov_b32_e32 v62, s9
	ds_read2_b64 v[62:65], v62 offset1:1
	s_waitcnt lgkmcnt(1)
	v_fma_f64 v[42:43], -v[20:21], v[60:61], v[42:43]
	s_add_i32 s9, s13, 0xffffffa8
	v_fma_f64 v[42:43], -v[24:25], v[58:59], v[42:43]
	v_mov_b32_e32 v58, s9
	ds_read2_b64 v[58:61], v58 offset1:1
	s_lshl_b32 s8, s8, 3
	s_add_i32 s8, s12, s8
	v_mov_b32_e32 v66, s8
	ds_read2_b64 v[66:69], v66 offset1:1
	s_waitcnt lgkmcnt(2)
	v_fma_f64 v[42:43], -v[26:27], v[64:65], v[42:43]
	v_fma_f64 v[42:43], -v[30:31], v[62:63], v[42:43]
	s_add_i32 s8, s5, -14
	s_waitcnt lgkmcnt(1)
	v_fma_f64 v[42:43], -v[32:33], v[60:61], v[42:43]
	s_lshl_b32 s9, s8, 8
	v_fma_f64 v[42:43], -v[36:37], v[58:59], v[42:43]
	v_add_u32_e32 v58, s12, v1
	s_add_i32 s12, s9, s7
	v_mov_b32_e32 v59, s12
	s_waitcnt lgkmcnt(0)
	v_fma_f64 v[42:43], -v[38:39], v[68:69], v[42:43]
	ds_read_b64 v[62:63], v59
	v_mul_f64 v[42:43], v[66:67], v[42:43]
	s_add_i32 s13, s12, -16
	ds_write_b64 v58, v[42:43]
	v_mov_b32_e32 v58, s13
	ds_read2_b64 v[58:61], v58 offset1:1
	s_sub_i32 s13, s12, 32
	s_waitcnt lgkmcnt(2)
	v_fma_f64 v[46:47], -v[8:9], v[62:63], v[46:47]
	v_mov_b32_e32 v62, s13
	ds_read2_b64 v[62:65], v62 offset1:1
	s_sub_i32 s13, s12, 48
	v_mov_b32_e32 v66, s13
	ds_read2_b64 v[66:69], v66 offset1:1
	s_waitcnt lgkmcnt(2)
	v_fma_f64 v[46:47], -v[10:11], v[60:61], v[46:47]
	s_sub_i32 s13, s12, 64
	v_fma_f64 v[46:47], -v[12:13], v[58:59], v[46:47]
	v_mov_b32_e32 v58, s13
	ds_read2_b64 v[58:61], v58 offset1:1
	s_waitcnt lgkmcnt(2)
	v_fma_f64 v[46:47], -v[14:15], v[64:65], v[46:47]
	v_fma_f64 v[46:47], -v[16:17], v[62:63], v[46:47]
	s_add_i32 s13, s12, 0xffffffb0
	s_waitcnt lgkmcnt(1)
	v_fma_f64 v[46:47], -v[18:19], v[68:69], v[46:47]
	v_mov_b32_e32 v62, s13
	v_fma_f64 v[46:47], -v[20:21], v[66:67], v[46:47]
	ds_read2_b64 v[62:65], v62 offset1:1
	s_waitcnt lgkmcnt(1)
	v_fma_f64 v[46:47], -v[24:25], v[60:61], v[46:47]
	s_addk_i32 s12, 0xffa0
	v_fma_f64 v[46:47], -v[26:27], v[58:59], v[46:47]
	v_mov_b32_e32 v58, s12
	ds_read2_b64 v[58:61], v58 offset1:1
	s_lshl_b32 s8, s8, 3
	s_add_i32 s8, s9, s8
	v_mov_b32_e32 v66, s8
	s_waitcnt lgkmcnt(1)
	v_fma_f64 v[46:47], -v[30:31], v[64:65], v[46:47]
	s_add_i32 s8, s5, -15
	v_fma_f64 v[46:47], -v[32:33], v[62:63], v[46:47]
	v_add_u32_e32 v62, s9, v1
	s_lshl_b32 s9, s8, 8
	ds_read2_b64 v[66:69], v66 offset1:1
	s_add_i32 s12, s9, s7
	s_waitcnt lgkmcnt(1)
	v_fma_f64 v[46:47], -v[36:37], v[60:61], v[46:47]
	s_add_i32 s13, s12, -8
	v_fma_f64 v[46:47], -v[38:39], v[58:59], v[46:47]
	v_mov_b32_e32 v58, s13
	ds_read2_b64 v[58:61], v58 offset1:1
	s_waitcnt lgkmcnt(1)
	v_fma_f64 v[46:47], -v[42:43], v[68:69], v[46:47]
	v_mul_f64 v[46:47], v[66:67], v[46:47]
	s_sub_i32 s13, s12, 24
	ds_write_b64 v62, v[46:47]
	v_mov_b32_e32 v62, s13
	ds_read2_b64 v[62:65], v62 offset1:1
	s_waitcnt lgkmcnt(2)
	v_fma_f64 v[48:49], -v[8:9], v[60:61], v[48:49]
	s_sub_i32 s13, s12, 40
	v_fma_f64 v[48:49], -v[10:11], v[58:59], v[48:49]
	v_mov_b32_e32 v58, s13
	ds_read2_b64 v[58:61], v58 offset1:1
	s_sub_i32 s13, s12, 56
	s_waitcnt lgkmcnt(1)
	v_fma_f64 v[48:49], -v[12:13], v[64:65], v[48:49]
	v_mov_b32_e32 v66, s13
	v_fma_f64 v[48:49], -v[14:15], v[62:63], v[48:49]
	ds_read2_b64 v[66:69], v66 offset1:1
	s_waitcnt lgkmcnt(1)
	v_fma_f64 v[48:49], -v[16:17], v[60:61], v[48:49]
	s_add_i32 s13, s12, 0xffffffb8
	v_fma_f64 v[48:49], -v[18:19], v[58:59], v[48:49]
	v_mov_b32_e32 v58, s13
	ds_read2_b64 v[58:61], v58 offset1:1
	s_waitcnt lgkmcnt(1)
	v_fma_f64 v[48:49], -v[20:21], v[68:69], v[48:49]
	s_add_i32 s13, s12, 0xffffffa8
	v_fma_f64 v[48:49], -v[24:25], v[66:67], v[48:49]
	v_mov_b32_e32 v62, s13
	ds_read2_b64 v[62:65], v62 offset1:1
	s_waitcnt lgkmcnt(1)
	v_fma_f64 v[48:49], -v[26:27], v[60:61], v[48:49]
	s_addk_i32 s12, 0xff98
	v_fma_f64 v[48:49], -v[30:31], v[58:59], v[48:49]
	v_mov_b32_e32 v58, s12
	ds_read2_b64 v[58:61], v58 offset1:1
	s_lshl_b32 s8, s8, 3
	s_add_i32 s8, s9, s8
	v_mov_b32_e32 v66, s8
	s_waitcnt lgkmcnt(1)
	v_fma_f64 v[48:49], -v[32:33], v[64:65], v[48:49]
	ds_read2_b64 v[66:69], v66 offset1:1
	v_fma_f64 v[48:49], -v[36:37], v[62:63], v[48:49]
	s_waitcnt lgkmcnt(1)
	v_fma_f64 v[48:49], -v[38:39], v[60:61], v[48:49]
	s_add_i32 s8, s5, -16
	v_fma_f64 v[48:49], -v[42:43], v[58:59], v[48:49]
	v_add_u32_e32 v58, s9, v1
	s_lshl_b32 s9, s8, 8
	s_add_i32 s12, s9, s7
	v_mov_b32_e32 v59, s12
	s_waitcnt lgkmcnt(0)
	v_fma_f64 v[48:49], -v[46:47], v[68:69], v[48:49]
	ds_read_b64 v[62:63], v59
	v_mul_f64 v[48:49], v[66:67], v[48:49]
	s_add_i32 s13, s12, -16
	ds_write_b64 v58, v[48:49]
	v_mov_b32_e32 v58, s13
	ds_read2_b64 v[58:61], v58 offset1:1
	s_sub_i32 s13, s12, 32
	s_waitcnt lgkmcnt(2)
	v_fma_f64 v[52:53], -v[8:9], v[62:63], v[52:53]
	v_mov_b32_e32 v62, s13
	ds_read2_b64 v[62:65], v62 offset1:1
	s_sub_i32 s13, s12, 48
	v_mov_b32_e32 v66, s13
	ds_read2_b64 v[66:69], v66 offset1:1
	s_waitcnt lgkmcnt(2)
	v_fma_f64 v[52:53], -v[10:11], v[60:61], v[52:53]
	s_sub_i32 s13, s12, 64
	v_fma_f64 v[52:53], -v[12:13], v[58:59], v[52:53]
	v_mov_b32_e32 v58, s13
	ds_read2_b64 v[58:61], v58 offset1:1
	s_waitcnt lgkmcnt(2)
	v_fma_f64 v[52:53], -v[14:15], v[64:65], v[52:53]
	v_fma_f64 v[52:53], -v[16:17], v[62:63], v[52:53]
	s_waitcnt lgkmcnt(1)
	v_fma_f64 v[52:53], -v[18:19], v[68:69], v[52:53]
	s_add_i32 s13, s12, 0xffffffb0
	v_fma_f64 v[52:53], -v[20:21], v[66:67], v[52:53]
	v_mov_b32_e32 v62, s13
	ds_read2_b64 v[62:65], v62 offset1:1
	s_waitcnt lgkmcnt(1)
	v_fma_f64 v[52:53], -v[24:25], v[60:61], v[52:53]
	s_add_i32 s13, s12, 0xffffffa0
	v_fma_f64 v[52:53], -v[26:27], v[58:59], v[52:53]
	v_mov_b32_e32 v58, s13
	ds_read2_b64 v[58:61], v58 offset1:1
	s_addk_i32 s12, 0xff90
	s_waitcnt lgkmcnt(1)
	v_fma_f64 v[52:53], -v[30:31], v[64:65], v[52:53]
	v_mov_b32_e32 v66, s12
	v_fma_f64 v[52:53], -v[32:33], v[62:63], v[52:53]
	s_lshl_b32 s8, s8, 3
	ds_read2_b64 v[66:69], v66 offset1:1
	s_waitcnt lgkmcnt(1)
	v_fma_f64 v[52:53], -v[36:37], v[60:61], v[52:53]
	s_add_i32 s8, s9, s8
	v_fma_f64 v[52:53], -v[38:39], v[58:59], v[52:53]
	v_mov_b32_e32 v58, s8
	s_sub_i32 s8, s5, 17
	s_lshl_b32 s12, s8, 8
	s_add_i32 s13, s12, s7
	ds_read2_b64 v[58:61], v58 offset1:1
	s_add_i32 s14, s13, -8
	v_mov_b32_e32 v62, s14
	ds_read2_b64 v[62:65], v62 offset1:1
	s_waitcnt lgkmcnt(2)
	v_fma_f64 v[52:53], -v[42:43], v[68:69], v[52:53]
	v_fma_f64 v[52:53], -v[46:47], v[66:67], v[52:53]
	s_waitcnt lgkmcnt(1)
	v_fma_f64 v[52:53], -v[48:49], v[60:61], v[52:53]
	v_mul_f64 v[52:53], v[58:59], v[52:53]
	v_add_u32_e32 v58, s9, v1
	s_sub_i32 s9, s13, 24
	s_waitcnt lgkmcnt(0)
	v_fma_f64 v[60:61], -v[8:9], v[64:65], v[56:57]
	v_mov_b32_e32 v56, s9
	ds_write_b64 v58, v[52:53]
	ds_read2_b64 v[56:59], v56 offset1:1
	s_sub_i32 s9, s13, 40
	v_fma_f64 v[64:65], -v[10:11], v[62:63], v[60:61]
	v_mov_b32_e32 v60, s9
	ds_read2_b64 v[60:63], v60 offset1:1
	s_waitcnt lgkmcnt(1)
	v_fma_f64 v[58:59], -v[12:13], v[58:59], v[64:65]
	s_sub_i32 s9, s13, 56
	v_fma_f64 v[68:69], -v[14:15], v[56:57], v[58:59]
	v_mov_b32_e32 v56, s9
	ds_read2_b64 v[56:59], v56 offset1:1
	s_add_i32 s9, s13, 0xffffffb8
	v_mov_b32_e32 v64, s9
	ds_read2_b64 v[64:67], v64 offset1:1
	s_waitcnt lgkmcnt(2)
	v_fma_f64 v[62:63], -v[16:17], v[62:63], v[68:69]
	v_fma_f64 v[60:61], -v[18:19], v[60:61], v[62:63]
	s_waitcnt lgkmcnt(1)
	v_fma_f64 v[58:59], -v[20:21], v[58:59], v[60:61]
	v_fma_f64 v[56:57], -v[24:25], v[56:57], v[58:59]
	s_add_i32 s9, s13, 0xffffffa8
	s_waitcnt lgkmcnt(0)
	v_fma_f64 v[60:61], -v[26:27], v[66:67], v[56:57]
	v_mov_b32_e32 v56, s9
	ds_read2_b64 v[56:59], v56 offset1:1
	s_add_i32 s9, s13, 0xffffff98
	v_fma_f64 v[64:65], -v[30:31], v[64:65], v[60:61]
	v_mov_b32_e32 v60, s9
	ds_read2_b64 v[60:63], v60 offset1:1
	s_waitcnt lgkmcnt(1)
	v_fma_f64 v[58:59], -v[32:33], v[58:59], v[64:65]
	s_add_i32 s9, s13, 0xffffff88
	v_fma_f64 v[68:69], -v[36:37], v[56:57], v[58:59]
	v_mov_b32_e32 v56, s9
	ds_read2_b64 v[56:59], v56 offset1:1
	s_lshl_b32 s8, s8, 3
	s_add_i32 s8, s12, s8
	v_mov_b32_e32 v64, s8
	s_sub_i32 s8, s5, 18
	s_waitcnt lgkmcnt(1)
	v_fma_f64 v[62:63], -v[38:39], v[62:63], v[68:69]
	s_lshl_b32 s9, s8, 8
	v_fma_f64 v[60:61], -v[42:43], v[60:61], v[62:63]
	s_add_i32 s13, s9, s7
	ds_read2_b64 v[64:67], v64 offset1:1
	s_waitcnt lgkmcnt(1)
	v_fma_f64 v[58:59], -v[46:47], v[58:59], v[60:61]
	s_add_i32 s14, s13, -16
	v_fma_f64 v[56:57], -v[48:49], v[56:57], v[58:59]
	v_mov_b32_e32 v58, s13
	v_mov_b32_e32 v59, s14
	ds_read_b64 v[62:63], v58
	ds_read2_b64 v[58:61], v59 offset1:1
	s_waitcnt lgkmcnt(2)
	v_fma_f64 v[56:57], -v[52:53], v[66:67], v[56:57]
	v_mul_f64 v[56:57], v[64:65], v[56:57]
	v_add_u32_e32 v64, s12, v1
	s_waitcnt lgkmcnt(1)
	v_fma_f64 v[54:55], -v[8:9], v[62:63], v[54:55]
	s_sub_i32 s12, s13, 32
	s_waitcnt lgkmcnt(0)
	v_fma_f64 v[54:55], -v[10:11], v[60:61], v[54:55]
	v_mov_b32_e32 v60, s12
	ds_read2_b64 v[60:63], v60 offset1:1
	s_sub_i32 s12, s13, 48
	v_fma_f64 v[54:55], -v[12:13], v[58:59], v[54:55]
	v_mov_b32_e32 v58, s12
	ds_write_b64 v64, v[56:57]
	ds_read2_b64 v[64:67], v58 offset1:1
	s_sub_i32 s12, s13, 64
	s_waitcnt lgkmcnt(2)
	v_fma_f64 v[54:55], -v[14:15], v[62:63], v[54:55]
	v_mov_b32_e32 v58, s12
	v_fma_f64 v[54:55], -v[16:17], v[60:61], v[54:55]
	ds_read2_b64 v[58:61], v58 offset1:1
	s_add_i32 s12, s13, 0xffffffb0
	s_waitcnt lgkmcnt(1)
	v_fma_f64 v[54:55], -v[18:19], v[66:67], v[54:55]
	v_mov_b32_e32 v62, s12
	v_fma_f64 v[54:55], -v[20:21], v[64:65], v[54:55]
	ds_read2_b64 v[68:71], v62 offset1:1
	s_waitcnt lgkmcnt(1)
	v_fma_f64 v[54:55], -v[24:25], v[60:61], v[54:55]
	s_add_i32 s12, s13, 0xffffffa0
	v_fma_f64 v[54:55], -v[26:27], v[58:59], v[54:55]
	v_mov_b32_e32 v58, s12
	ds_read2_b64 v[58:61], v58 offset1:1
	s_waitcnt lgkmcnt(1)
	v_fma_f64 v[54:55], -v[30:31], v[70:71], v[54:55]
	s_add_i32 s12, s13, 0xffffff90
	v_fma_f64 v[54:55], -v[32:33], v[68:69], v[54:55]
	v_mov_b32_e32 v62, s12
	;; [unrolled: 6-line block ×3, first 2 shown]
	ds_read2_b64 v[58:61], v58 offset1:1
	s_lshl_b32 s8, s8, 3
	s_add_i32 s8, s9, s8
	v_mov_b32_e32 v66, s8
	s_sub_i32 s8, s5, 19
	s_waitcnt lgkmcnt(1)
	v_fma_f64 v[54:55], -v[42:43], v[64:65], v[54:55]
	s_lshl_b32 s12, s8, 8
	v_fma_f64 v[54:55], -v[46:47], v[62:63], v[54:55]
	s_add_i32 s13, s12, s7
	ds_read2_b64 v[66:69], v66 offset1:1
	s_waitcnt lgkmcnt(1)
	v_fma_f64 v[54:55], -v[48:49], v[60:61], v[54:55]
	s_add_i32 s14, s13, -8
	v_fma_f64 v[54:55], -v[52:53], v[58:59], v[54:55]
	v_mov_b32_e32 v58, s14
	ds_read2_b64 v[58:61], v58 offset1:1
	s_sub_i32 s14, s13, 24
	s_waitcnt lgkmcnt(1)
	v_fma_f64 v[54:55], -v[56:57], v[68:69], v[54:55]
	v_mov_b32_e32 v62, s14
	v_mul_f64 v[54:55], v[66:67], v[54:55]
	ds_read2_b64 v[62:65], v62 offset1:1
	v_add_u32_e32 v66, s9, v1
	s_waitcnt lgkmcnt(1)
	v_fma_f64 v[50:51], -v[8:9], v[60:61], v[50:51]
	s_sub_i32 s9, s13, 40
	v_fma_f64 v[50:51], -v[10:11], v[58:59], v[50:51]
	v_mov_b32_e32 v58, s9
	ds_read2_b64 v[58:61], v58 offset1:1
	s_waitcnt lgkmcnt(1)
	v_fma_f64 v[50:51], -v[12:13], v[64:65], v[50:51]
	s_sub_i32 s9, s13, 56
	v_fma_f64 v[50:51], -v[14:15], v[62:63], v[50:51]
	v_mov_b32_e32 v62, s9
	ds_read2_b64 v[62:65], v62 offset1:1
	s_waitcnt lgkmcnt(1)
	v_fma_f64 v[50:51], -v[16:17], v[60:61], v[50:51]
	s_add_i32 s9, s13, 0xffffffb8
	v_fma_f64 v[50:51], -v[18:19], v[58:59], v[50:51]
	v_mov_b32_e32 v58, s9
	ds_read2_b64 v[58:61], v58 offset1:1
	s_add_i32 s9, s13, 0xffffffa8
	s_waitcnt lgkmcnt(1)
	v_fma_f64 v[50:51], -v[20:21], v[64:65], v[50:51]
	ds_write_b64 v66, v[54:55]
	v_mov_b32_e32 v66, s9
	v_fma_f64 v[50:51], -v[24:25], v[62:63], v[50:51]
	ds_read2_b64 v[66:69], v66 offset1:1
	s_waitcnt lgkmcnt(2)
	v_fma_f64 v[50:51], -v[26:27], v[60:61], v[50:51]
	s_add_i32 s9, s13, 0xffffff98
	v_fma_f64 v[50:51], -v[30:31], v[58:59], v[50:51]
	v_mov_b32_e32 v58, s9
	ds_read2_b64 v[58:61], v58 offset1:1
	s_waitcnt lgkmcnt(1)
	v_fma_f64 v[50:51], -v[32:33], v[68:69], v[50:51]
	s_add_i32 s9, s13, 0xffffff88
	v_fma_f64 v[50:51], -v[36:37], v[66:67], v[50:51]
	v_mov_b32_e32 v62, s9
	;; [unrolled: 6-line block ×3, first 2 shown]
	ds_read2_b64 v[58:61], v58 offset1:1
	s_lshl_b32 s8, s8, 3
	s_add_i32 s8, s12, s8
	v_mov_b32_e32 v66, s8
	s_sub_i32 s8, s5, 20
	s_waitcnt lgkmcnt(1)
	v_fma_f64 v[50:51], -v[46:47], v[64:65], v[50:51]
	s_lshl_b32 s9, s8, 8
	v_fma_f64 v[50:51], -v[48:49], v[62:63], v[50:51]
	s_add_i32 s13, s9, s7
	ds_read2_b64 v[66:69], v66 offset1:1
	s_waitcnt lgkmcnt(1)
	v_fma_f64 v[50:51], -v[52:53], v[60:61], v[50:51]
	s_add_i32 s14, s13, -16
	v_fma_f64 v[50:51], -v[56:57], v[58:59], v[50:51]
	v_mov_b32_e32 v58, s13
	v_mov_b32_e32 v59, s14
	ds_read_b64 v[62:63], v58
	ds_read2_b64 v[58:61], v59 offset1:1
	v_add_u32_e32 v64, s12, v1
	s_sub_i32 s12, s13, 32
	s_waitcnt lgkmcnt(2)
	v_fma_f64 v[50:51], -v[54:55], v[68:69], v[50:51]
	s_waitcnt lgkmcnt(1)
	v_fma_f64 v[44:45], -v[8:9], v[62:63], v[44:45]
	;; [unrolled: 2-line block ×3, first 2 shown]
	v_mov_b32_e32 v60, s12
	ds_read2_b64 v[60:63], v60 offset1:1
	s_sub_i32 s12, s13, 48
	v_mul_f64 v[50:51], v[66:67], v[50:51]
	v_fma_f64 v[44:45], -v[12:13], v[58:59], v[44:45]
	v_mov_b32_e32 v58, s12
	ds_write_b64 v64, v[50:51]
	ds_read2_b64 v[64:67], v58 offset1:1
	s_sub_i32 s12, s13, 64
	s_waitcnt lgkmcnt(2)
	v_fma_f64 v[44:45], -v[14:15], v[62:63], v[44:45]
	v_mov_b32_e32 v58, s12
	v_fma_f64 v[44:45], -v[16:17], v[60:61], v[44:45]
	ds_read2_b64 v[58:61], v58 offset1:1
	s_add_i32 s12, s13, 0xffffffb0
	s_waitcnt lgkmcnt(1)
	v_fma_f64 v[44:45], -v[18:19], v[66:67], v[44:45]
	v_mov_b32_e32 v62, s12
	v_fma_f64 v[44:45], -v[20:21], v[64:65], v[44:45]
	ds_read2_b64 v[68:71], v62 offset1:1
	s_waitcnt lgkmcnt(1)
	v_fma_f64 v[44:45], -v[24:25], v[60:61], v[44:45]
	s_add_i32 s12, s13, 0xffffffa0
	v_fma_f64 v[44:45], -v[26:27], v[58:59], v[44:45]
	v_mov_b32_e32 v58, s12
	ds_read2_b64 v[58:61], v58 offset1:1
	s_waitcnt lgkmcnt(1)
	v_fma_f64 v[44:45], -v[30:31], v[70:71], v[44:45]
	s_add_i32 s12, s13, 0xffffff90
	v_fma_f64 v[44:45], -v[32:33], v[68:69], v[44:45]
	v_mov_b32_e32 v62, s12
	;; [unrolled: 6-line block ×3, first 2 shown]
	ds_read2_b64 v[58:61], v58 offset1:1
	s_add_i32 s12, s13, 0xffffff70
	s_waitcnt lgkmcnt(1)
	v_fma_f64 v[44:45], -v[42:43], v[64:65], v[44:45]
	v_mov_b32_e32 v66, s12
	v_fma_f64 v[44:45], -v[46:47], v[62:63], v[44:45]
	s_lshl_b32 s8, s8, 3
	ds_read2_b64 v[66:69], v66 offset1:1
	s_waitcnt lgkmcnt(1)
	v_fma_f64 v[44:45], -v[48:49], v[60:61], v[44:45]
	s_add_i32 s8, s9, s8
	v_fma_f64 v[44:45], -v[52:53], v[58:59], v[44:45]
	v_mov_b32_e32 v58, s8
	ds_read2_b64 v[58:61], v58 offset1:1
	s_sub_i32 s8, s5, 21
	s_lshl_b32 s12, s8, 8
	s_add_i32 s13, s12, s7
	s_waitcnt lgkmcnt(1)
	v_fma_f64 v[44:45], -v[56:57], v[68:69], v[44:45]
	s_add_i32 s14, s13, -8
	v_fma_f64 v[44:45], -v[54:55], v[66:67], v[44:45]
	v_mov_b32_e32 v62, s14
	ds_read2_b64 v[62:65], v62 offset1:1
	s_waitcnt lgkmcnt(1)
	v_fma_f64 v[44:45], -v[50:51], v[60:61], v[44:45]
	v_mul_f64 v[44:45], v[58:59], v[44:45]
	v_add_u32_e32 v58, s9, v1
	s_sub_i32 s9, s13, 24
	ds_write_b64 v58, v[44:45]
	v_mov_b32_e32 v58, s9
	ds_read2_b64 v[58:61], v58 offset1:1
	s_sub_i32 s9, s13, 40
	s_waitcnt lgkmcnt(2)
	v_fma_f64 v[40:41], -v[8:9], v[64:65], v[40:41]
	v_mov_b32_e32 v66, s9
	v_fma_f64 v[40:41], -v[10:11], v[62:63], v[40:41]
	ds_read2_b64 v[66:69], v66 offset1:1
	s_waitcnt lgkmcnt(1)
	v_fma_f64 v[40:41], -v[12:13], v[60:61], v[40:41]
	s_sub_i32 s9, s13, 56
	v_fma_f64 v[40:41], -v[14:15], v[58:59], v[40:41]
	v_mov_b32_e32 v58, s9
	ds_read2_b64 v[58:61], v58 offset1:1
	s_waitcnt lgkmcnt(1)
	v_fma_f64 v[40:41], -v[16:17], v[68:69], v[40:41]
	s_add_i32 s9, s13, 0xffffffb8
	v_fma_f64 v[40:41], -v[18:19], v[66:67], v[40:41]
	v_mov_b32_e32 v62, s9
	ds_read2_b64 v[62:65], v62 offset1:1
	s_waitcnt lgkmcnt(1)
	v_fma_f64 v[40:41], -v[20:21], v[60:61], v[40:41]
	s_add_i32 s9, s13, 0xffffffa8
	v_fma_f64 v[40:41], -v[24:25], v[58:59], v[40:41]
	v_mov_b32_e32 v58, s9
	ds_read2_b64 v[58:61], v58 offset1:1
	s_add_i32 s9, s13, 0xffffff98
	s_waitcnt lgkmcnt(1)
	v_fma_f64 v[40:41], -v[26:27], v[64:65], v[40:41]
	v_mov_b32_e32 v66, s9
	v_fma_f64 v[40:41], -v[30:31], v[62:63], v[40:41]
	ds_read2_b64 v[66:69], v66 offset1:1
	s_waitcnt lgkmcnt(1)
	v_fma_f64 v[40:41], -v[32:33], v[60:61], v[40:41]
	s_add_i32 s9, s13, 0xffffff88
	v_fma_f64 v[40:41], -v[36:37], v[58:59], v[40:41]
	v_mov_b32_e32 v58, s9
	ds_read2_b64 v[58:61], v58 offset1:1
	s_waitcnt lgkmcnt(1)
	v_fma_f64 v[40:41], -v[38:39], v[68:69], v[40:41]
	s_add_i32 s9, s13, 0xffffff78
	v_fma_f64 v[40:41], -v[42:43], v[66:67], v[40:41]
	v_mov_b32_e32 v62, s9
	;; [unrolled: 6-line block ×3, first 2 shown]
	ds_read2_b64 v[58:61], v58 offset1:1
	s_lshl_b32 s8, s8, 3
	s_add_i32 s8, s12, s8
	v_mov_b32_e32 v66, s8
	ds_read2_b64 v[66:69], v66 offset1:1
	s_waitcnt lgkmcnt(2)
	v_fma_f64 v[40:41], -v[52:53], v[64:65], v[40:41]
	v_fma_f64 v[40:41], -v[56:57], v[62:63], v[40:41]
	s_sub_i32 s8, s5, 22
	s_waitcnt lgkmcnt(1)
	v_fma_f64 v[40:41], -v[54:55], v[60:61], v[40:41]
	s_lshl_b32 s9, s8, 8
	v_fma_f64 v[40:41], -v[50:51], v[58:59], v[40:41]
	v_add_u32_e32 v58, s12, v1
	s_add_i32 s12, s9, s7
	v_mov_b32_e32 v59, s12
	s_waitcnt lgkmcnt(0)
	v_fma_f64 v[40:41], -v[44:45], v[68:69], v[40:41]
	ds_read_b64 v[62:63], v59
	v_mul_f64 v[40:41], v[66:67], v[40:41]
	s_add_i32 s13, s12, -16
	ds_write_b64 v58, v[40:41]
	v_mov_b32_e32 v58, s13
	ds_read2_b64 v[58:61], v58 offset1:1
	s_sub_i32 s13, s12, 32
	s_waitcnt lgkmcnt(2)
	v_fma_f64 v[34:35], -v[8:9], v[62:63], v[34:35]
	v_mov_b32_e32 v62, s13
	ds_read2_b64 v[62:65], v62 offset1:1
	s_sub_i32 s13, s12, 48
	v_mov_b32_e32 v66, s13
	ds_read2_b64 v[66:69], v66 offset1:1
	s_waitcnt lgkmcnt(2)
	v_fma_f64 v[34:35], -v[10:11], v[60:61], v[34:35]
	s_sub_i32 s13, s12, 64
	v_fma_f64 v[34:35], -v[12:13], v[58:59], v[34:35]
	v_mov_b32_e32 v58, s13
	ds_read2_b64 v[58:61], v58 offset1:1
	s_waitcnt lgkmcnt(2)
	v_fma_f64 v[34:35], -v[14:15], v[64:65], v[34:35]
	v_fma_f64 v[34:35], -v[16:17], v[62:63], v[34:35]
	s_waitcnt lgkmcnt(1)
	v_fma_f64 v[34:35], -v[18:19], v[68:69], v[34:35]
	s_add_i32 s13, s12, 0xffffffb0
	v_fma_f64 v[34:35], -v[20:21], v[66:67], v[34:35]
	v_mov_b32_e32 v62, s13
	ds_read2_b64 v[62:65], v62 offset1:1
	s_waitcnt lgkmcnt(1)
	v_fma_f64 v[34:35], -v[24:25], v[60:61], v[34:35]
	s_add_i32 s13, s12, 0xffffffa0
	v_fma_f64 v[34:35], -v[26:27], v[58:59], v[34:35]
	v_mov_b32_e32 v58, s13
	ds_read2_b64 v[58:61], v58 offset1:1
	s_add_i32 s13, s12, 0xffffff90
	s_waitcnt lgkmcnt(1)
	v_fma_f64 v[34:35], -v[30:31], v[64:65], v[34:35]
	v_mov_b32_e32 v66, s13
	v_fma_f64 v[34:35], -v[32:33], v[62:63], v[34:35]
	ds_read2_b64 v[66:69], v66 offset1:1
	s_waitcnt lgkmcnt(1)
	v_fma_f64 v[34:35], -v[36:37], v[60:61], v[34:35]
	s_add_i32 s13, s12, 0xffffff80
	v_fma_f64 v[34:35], -v[38:39], v[58:59], v[34:35]
	v_mov_b32_e32 v58, s13
	ds_read2_b64 v[58:61], v58 offset1:1
	s_add_i32 s13, s12, 0xffffff70
	s_waitcnt lgkmcnt(1)
	v_fma_f64 v[34:35], -v[42:43], v[68:69], v[34:35]
	v_mov_b32_e32 v62, s13
	v_fma_f64 v[34:35], -v[46:47], v[66:67], v[34:35]
	ds_read2_b64 v[62:65], v62 offset1:1
	s_waitcnt lgkmcnt(1)
	v_fma_f64 v[34:35], -v[48:49], v[60:61], v[34:35]
	s_addk_i32 s12, 0xff60
	v_fma_f64 v[34:35], -v[52:53], v[58:59], v[34:35]
	v_mov_b32_e32 v58, s12
	ds_read2_b64 v[58:61], v58 offset1:1
	s_lshl_b32 s8, s8, 3
	s_add_i32 s8, s9, s8
	v_mov_b32_e32 v66, s8
	s_waitcnt lgkmcnt(1)
	v_fma_f64 v[34:35], -v[56:57], v[64:65], v[34:35]
	s_sub_i32 s8, s5, 23
	v_fma_f64 v[34:35], -v[54:55], v[62:63], v[34:35]
	v_add_u32_e32 v62, s9, v1
	s_lshl_b32 s9, s8, 8
	ds_read2_b64 v[66:69], v66 offset1:1
	s_add_i32 s12, s9, s7
	s_waitcnt lgkmcnt(1)
	v_fma_f64 v[34:35], -v[50:51], v[60:61], v[34:35]
	s_add_i32 s13, s12, -8
	v_fma_f64 v[34:35], -v[44:45], v[58:59], v[34:35]
	v_mov_b32_e32 v58, s13
	ds_read2_b64 v[58:61], v58 offset1:1
	s_waitcnt lgkmcnt(1)
	v_fma_f64 v[34:35], -v[40:41], v[68:69], v[34:35]
	v_mul_f64 v[34:35], v[66:67], v[34:35]
	s_sub_i32 s13, s12, 24
	ds_write_b64 v62, v[34:35]
	v_mov_b32_e32 v62, s13
	ds_read2_b64 v[62:65], v62 offset1:1
	s_waitcnt lgkmcnt(2)
	v_fma_f64 v[28:29], -v[8:9], v[60:61], v[28:29]
	s_sub_i32 s13, s12, 40
	v_fma_f64 v[28:29], -v[10:11], v[58:59], v[28:29]
	v_mov_b32_e32 v58, s13
	ds_read2_b64 v[58:61], v58 offset1:1
	s_sub_i32 s13, s12, 56
	s_waitcnt lgkmcnt(1)
	v_fma_f64 v[28:29], -v[12:13], v[64:65], v[28:29]
	v_mov_b32_e32 v66, s13
	v_fma_f64 v[28:29], -v[14:15], v[62:63], v[28:29]
	ds_read2_b64 v[66:69], v66 offset1:1
	s_waitcnt lgkmcnt(1)
	v_fma_f64 v[28:29], -v[16:17], v[60:61], v[28:29]
	s_add_i32 s13, s12, 0xffffffb8
	v_fma_f64 v[28:29], -v[18:19], v[58:59], v[28:29]
	v_mov_b32_e32 v58, s13
	ds_read2_b64 v[58:61], v58 offset1:1
	s_waitcnt lgkmcnt(1)
	v_fma_f64 v[28:29], -v[20:21], v[68:69], v[28:29]
	s_add_i32 s13, s12, 0xffffffa8
	v_fma_f64 v[28:29], -v[24:25], v[66:67], v[28:29]
	v_mov_b32_e32 v62, s13
	;; [unrolled: 6-line block ×3, first 2 shown]
	ds_read2_b64 v[58:61], v58 offset1:1
	s_add_i32 s13, s12, 0xffffff88
	s_waitcnt lgkmcnt(1)
	v_fma_f64 v[28:29], -v[32:33], v[64:65], v[28:29]
	v_mov_b32_e32 v66, s13
	v_fma_f64 v[28:29], -v[36:37], v[62:63], v[28:29]
	ds_read2_b64 v[66:69], v66 offset1:1
	s_waitcnt lgkmcnt(1)
	v_fma_f64 v[28:29], -v[38:39], v[60:61], v[28:29]
	s_add_i32 s13, s12, 0xffffff78
	v_fma_f64 v[28:29], -v[42:43], v[58:59], v[28:29]
	v_mov_b32_e32 v58, s13
	ds_read2_b64 v[58:61], v58 offset1:1
	s_waitcnt lgkmcnt(1)
	v_fma_f64 v[28:29], -v[46:47], v[68:69], v[28:29]
	s_add_i32 s13, s12, 0xffffff68
	v_fma_f64 v[28:29], -v[48:49], v[66:67], v[28:29]
	v_mov_b32_e32 v62, s13
	ds_read2_b64 v[62:65], v62 offset1:1
	s_waitcnt lgkmcnt(1)
	v_fma_f64 v[28:29], -v[52:53], v[60:61], v[28:29]
	s_addk_i32 s12, 0xff58
	v_fma_f64 v[28:29], -v[56:57], v[58:59], v[28:29]
	v_mov_b32_e32 v58, s12
	ds_read2_b64 v[58:61], v58 offset1:1
	s_lshl_b32 s8, s8, 3
	s_add_i32 s8, s9, s8
	v_mov_b32_e32 v66, s8
	s_waitcnt lgkmcnt(1)
	v_fma_f64 v[28:29], -v[54:55], v[64:65], v[28:29]
	ds_read2_b64 v[66:69], v66 offset1:1
	v_fma_f64 v[28:29], -v[50:51], v[62:63], v[28:29]
	s_waitcnt lgkmcnt(1)
	v_fma_f64 v[28:29], -v[44:45], v[60:61], v[28:29]
	s_sub_i32 s8, s5, 24
	v_fma_f64 v[28:29], -v[40:41], v[58:59], v[28:29]
	v_add_u32_e32 v58, s9, v1
	s_lshl_b32 s9, s8, 8
	s_add_i32 s12, s9, s7
	v_mov_b32_e32 v59, s12
	s_waitcnt lgkmcnt(0)
	v_fma_f64 v[28:29], -v[34:35], v[68:69], v[28:29]
	ds_read_b64 v[62:63], v59
	v_mul_f64 v[28:29], v[66:67], v[28:29]
	s_add_i32 s13, s12, -16
	ds_write_b64 v58, v[28:29]
	v_mov_b32_e32 v58, s13
	ds_read2_b64 v[58:61], v58 offset1:1
	s_sub_i32 s13, s12, 32
	s_waitcnt lgkmcnt(2)
	v_fma_f64 v[22:23], -v[8:9], v[62:63], v[22:23]
	v_mov_b32_e32 v62, s13
	ds_read2_b64 v[62:65], v62 offset1:1
	s_sub_i32 s13, s12, 48
	v_mov_b32_e32 v66, s13
	ds_read2_b64 v[66:69], v66 offset1:1
	s_waitcnt lgkmcnt(2)
	v_fma_f64 v[22:23], -v[10:11], v[60:61], v[22:23]
	s_sub_i32 s13, s12, 64
	v_fma_f64 v[22:23], -v[12:13], v[58:59], v[22:23]
	v_mov_b32_e32 v58, s13
	ds_read2_b64 v[58:61], v58 offset1:1
	s_waitcnt lgkmcnt(2)
	v_fma_f64 v[22:23], -v[14:15], v[64:65], v[22:23]
	v_fma_f64 v[22:23], -v[16:17], v[62:63], v[22:23]
	s_waitcnt lgkmcnt(1)
	v_fma_f64 v[22:23], -v[18:19], v[68:69], v[22:23]
	s_add_i32 s13, s12, 0xffffffb0
	v_fma_f64 v[22:23], -v[20:21], v[66:67], v[22:23]
	v_mov_b32_e32 v62, s13
	ds_read2_b64 v[62:65], v62 offset1:1
	s_waitcnt lgkmcnt(1)
	v_fma_f64 v[22:23], -v[24:25], v[60:61], v[22:23]
	s_add_i32 s13, s12, 0xffffffa0
	v_fma_f64 v[22:23], -v[26:27], v[58:59], v[22:23]
	v_mov_b32_e32 v58, s13
	ds_read2_b64 v[58:61], v58 offset1:1
	s_add_i32 s13, s12, 0xffffff90
	s_waitcnt lgkmcnt(1)
	v_fma_f64 v[22:23], -v[30:31], v[64:65], v[22:23]
	v_mov_b32_e32 v66, s13
	v_fma_f64 v[22:23], -v[32:33], v[62:63], v[22:23]
	ds_read2_b64 v[66:69], v66 offset1:1
	s_waitcnt lgkmcnt(1)
	v_fma_f64 v[22:23], -v[36:37], v[60:61], v[22:23]
	s_add_i32 s13, s12, 0xffffff80
	v_fma_f64 v[22:23], -v[38:39], v[58:59], v[22:23]
	v_mov_b32_e32 v58, s13
	ds_read2_b64 v[58:61], v58 offset1:1
	s_waitcnt lgkmcnt(1)
	v_fma_f64 v[22:23], -v[42:43], v[68:69], v[22:23]
	s_add_i32 s13, s12, 0xffffff70
	v_fma_f64 v[22:23], -v[46:47], v[66:67], v[22:23]
	v_mov_b32_e32 v62, s13
	;; [unrolled: 6-line block ×3, first 2 shown]
	ds_read2_b64 v[58:61], v58 offset1:1
	s_addk_i32 s12, 0xff50
	s_waitcnt lgkmcnt(1)
	v_fma_f64 v[22:23], -v[56:57], v[64:65], v[22:23]
	v_mov_b32_e32 v66, s12
	v_fma_f64 v[22:23], -v[54:55], v[62:63], v[22:23]
	s_lshl_b32 s8, s8, 3
	ds_read2_b64 v[66:69], v66 offset1:1
	s_waitcnt lgkmcnt(1)
	v_fma_f64 v[22:23], -v[50:51], v[60:61], v[22:23]
	s_add_i32 s8, s9, s8
	v_fma_f64 v[22:23], -v[44:45], v[58:59], v[22:23]
	v_mov_b32_e32 v58, s8
	ds_read2_b64 v[58:61], v58 offset1:1
	s_sub_i32 s8, s5, 25
	s_lshl_b32 s12, s8, 8
	s_add_i32 s13, s12, s7
	s_waitcnt lgkmcnt(1)
	v_fma_f64 v[22:23], -v[40:41], v[68:69], v[22:23]
	s_add_i32 s14, s13, -8
	v_fma_f64 v[22:23], -v[34:35], v[66:67], v[22:23]
	v_mov_b32_e32 v62, s14
	ds_read2_b64 v[62:65], v62 offset1:1
	s_waitcnt lgkmcnt(1)
	v_fma_f64 v[22:23], -v[28:29], v[60:61], v[22:23]
	v_mul_f64 v[22:23], v[58:59], v[22:23]
	v_add_u32_e32 v58, s9, v1
	s_sub_i32 s9, s13, 24
	ds_write_b64 v58, v[22:23]
	v_mov_b32_e32 v58, s9
	ds_read2_b64 v[58:61], v58 offset1:1
	s_waitcnt lgkmcnt(2)
	v_fma_f64 v[6:7], -v[8:9], v[64:65], v[6:7]
	s_sub_i32 s9, s13, 40
	v_fma_f64 v[6:7], -v[10:11], v[62:63], v[6:7]
	v_mov_b32_e32 v62, s9
	ds_read2_b64 v[62:65], v62 offset1:1
	s_waitcnt lgkmcnt(1)
	v_fma_f64 v[6:7], -v[12:13], v[60:61], v[6:7]
	s_sub_i32 s9, s13, 56
	v_fma_f64 v[6:7], -v[14:15], v[58:59], v[6:7]
	v_mov_b32_e32 v58, s9
	ds_read2_b64 v[58:61], v58 offset1:1
	s_add_i32 s9, s13, 0xffffffb8
	s_waitcnt lgkmcnt(1)
	v_fma_f64 v[6:7], -v[16:17], v[64:65], v[6:7]
	v_mov_b32_e32 v66, s9
	v_fma_f64 v[6:7], -v[18:19], v[62:63], v[6:7]
	ds_read2_b64 v[66:69], v66 offset1:1
	s_waitcnt lgkmcnt(1)
	v_fma_f64 v[6:7], -v[20:21], v[60:61], v[6:7]
	s_add_i32 s9, s13, 0xffffffa8
	v_fma_f64 v[6:7], -v[24:25], v[58:59], v[6:7]
	v_mov_b32_e32 v58, s9
	ds_read2_b64 v[58:61], v58 offset1:1
	s_waitcnt lgkmcnt(1)
	v_fma_f64 v[6:7], -v[26:27], v[68:69], v[6:7]
	s_add_i32 s9, s13, 0xffffff98
	v_fma_f64 v[6:7], -v[30:31], v[66:67], v[6:7]
	v_mov_b32_e32 v62, s9
	;; [unrolled: 6-line block ×3, first 2 shown]
	ds_read2_b64 v[58:61], v58 offset1:1
	s_add_i32 s9, s13, 0xffffff78
	s_waitcnt lgkmcnt(1)
	v_fma_f64 v[6:7], -v[38:39], v[64:65], v[6:7]
	v_mov_b32_e32 v66, s9
	v_fma_f64 v[6:7], -v[42:43], v[62:63], v[6:7]
	ds_read2_b64 v[66:69], v66 offset1:1
	s_waitcnt lgkmcnt(1)
	v_fma_f64 v[6:7], -v[46:47], v[60:61], v[6:7]
	s_add_i32 s9, s13, 0xffffff68
	v_fma_f64 v[6:7], -v[48:49], v[58:59], v[6:7]
	v_mov_b32_e32 v58, s9
	ds_read2_b64 v[58:61], v58 offset1:1
	s_waitcnt lgkmcnt(1)
	v_fma_f64 v[6:7], -v[52:53], v[68:69], v[6:7]
	s_add_i32 s9, s13, 0xffffff58
	v_fma_f64 v[6:7], -v[56:57], v[66:67], v[6:7]
	v_mov_b32_e32 v62, s9
	;; [unrolled: 6-line block ×3, first 2 shown]
	ds_read2_b64 v[58:61], v58 offset1:1
	s_lshl_b32 s8, s8, 3
	s_add_i32 s8, s12, s8
	v_mov_b32_e32 v66, s8
	s_sub_i32 s8, s5, 26
	s_waitcnt lgkmcnt(1)
	v_fma_f64 v[6:7], -v[44:45], v[64:65], v[6:7]
	s_lshl_b32 s9, s8, 8
	v_fma_f64 v[6:7], -v[40:41], v[62:63], v[6:7]
	s_add_i32 s13, s9, s7
	ds_read2_b64 v[66:69], v66 offset1:1
	s_waitcnt lgkmcnt(1)
	v_fma_f64 v[6:7], -v[34:35], v[60:61], v[6:7]
	s_add_i32 s14, s13, -16
	v_fma_f64 v[6:7], -v[28:29], v[58:59], v[6:7]
	v_mov_b32_e32 v58, s13
	v_mov_b32_e32 v59, s14
	ds_read_b64 v[62:63], v58
	ds_read2_b64 v[58:61], v59 offset1:1
	v_add_u32_e32 v64, s12, v1
	s_sub_i32 s12, s13, 32
	s_waitcnt lgkmcnt(2)
	v_fma_f64 v[6:7], -v[22:23], v[68:69], v[6:7]
	s_waitcnt lgkmcnt(1)
	v_fma_f64 v[4:5], -v[8:9], v[62:63], v[4:5]
	;; [unrolled: 2-line block ×3, first 2 shown]
	v_mov_b32_e32 v60, s12
	ds_read2_b64 v[60:63], v60 offset1:1
	s_sub_i32 s12, s13, 48
	v_mul_f64 v[6:7], v[66:67], v[6:7]
	v_fma_f64 v[4:5], -v[12:13], v[58:59], v[4:5]
	v_mov_b32_e32 v58, s12
	ds_write_b64 v64, v[6:7]
	ds_read2_b64 v[64:67], v58 offset1:1
	s_sub_i32 s12, s13, 64
	s_waitcnt lgkmcnt(2)
	v_fma_f64 v[4:5], -v[14:15], v[62:63], v[4:5]
	v_mov_b32_e32 v58, s12
	v_fma_f64 v[4:5], -v[16:17], v[60:61], v[4:5]
	ds_read2_b64 v[58:61], v58 offset1:1
	s_add_i32 s12, s13, 0xffffffb0
	s_waitcnt lgkmcnt(1)
	v_fma_f64 v[4:5], -v[18:19], v[66:67], v[4:5]
	v_mov_b32_e32 v62, s12
	v_fma_f64 v[4:5], -v[20:21], v[64:65], v[4:5]
	ds_read2_b64 v[68:71], v62 offset1:1
	s_waitcnt lgkmcnt(1)
	v_fma_f64 v[4:5], -v[24:25], v[60:61], v[4:5]
	s_add_i32 s12, s13, 0xffffffa0
	v_fma_f64 v[4:5], -v[26:27], v[58:59], v[4:5]
	v_mov_b32_e32 v58, s12
	ds_read2_b64 v[58:61], v58 offset1:1
	s_waitcnt lgkmcnt(1)
	v_fma_f64 v[4:5], -v[30:31], v[70:71], v[4:5]
	s_add_i32 s12, s13, 0xffffff90
	v_fma_f64 v[4:5], -v[32:33], v[68:69], v[4:5]
	v_mov_b32_e32 v62, s12
	;; [unrolled: 6-line block ×3, first 2 shown]
	ds_read2_b64 v[58:61], v58 offset1:1
	s_add_i32 s12, s13, 0xffffff70
	s_waitcnt lgkmcnt(1)
	v_fma_f64 v[4:5], -v[42:43], v[64:65], v[4:5]
	v_mov_b32_e32 v66, s12
	v_fma_f64 v[4:5], -v[46:47], v[62:63], v[4:5]
	ds_read2_b64 v[66:69], v66 offset1:1
	s_waitcnt lgkmcnt(1)
	v_fma_f64 v[4:5], -v[48:49], v[60:61], v[4:5]
	s_add_i32 s12, s13, 0xffffff60
	v_fma_f64 v[4:5], -v[52:53], v[58:59], v[4:5]
	v_mov_b32_e32 v58, s12
	ds_read2_b64 v[58:61], v58 offset1:1
	s_waitcnt lgkmcnt(1)
	v_fma_f64 v[4:5], -v[56:57], v[68:69], v[4:5]
	s_add_i32 s12, s13, 0xffffff50
	v_fma_f64 v[4:5], -v[54:55], v[66:67], v[4:5]
	v_mov_b32_e32 v62, s12
	;; [unrolled: 6-line block ×3, first 2 shown]
	s_lshl_b32 s8, s8, 3
	ds_read2_b64 v[58:61], v58 offset1:1
	s_add_i32 s8, s9, s8
	v_mov_b32_e32 v66, s8
	ds_read2_b64 v[66:69], v66 offset1:1
	s_waitcnt lgkmcnt(2)
	v_fma_f64 v[4:5], -v[40:41], v[64:65], v[4:5]
	v_fma_f64 v[4:5], -v[34:35], v[62:63], v[4:5]
	s_sub_i32 s8, s5, 27
	s_waitcnt lgkmcnt(1)
	v_fma_f64 v[4:5], -v[28:29], v[60:61], v[4:5]
	s_lshl_b32 s12, s8, 8
	v_fma_f64 v[4:5], -v[22:23], v[58:59], v[4:5]
	s_add_i32 s7, s12, s7
	s_waitcnt lgkmcnt(0)
	v_fma_f64 v[4:5], -v[6:7], v[68:69], v[4:5]
	s_add_i32 s13, s7, -8
	v_mul_f64 v[66:67], v[66:67], v[4:5]
	v_mov_b32_e32 v4, s13
	ds_read2_b64 v[58:61], v4 offset1:1
	s_sub_i32 s13, s7, 24
	v_mov_b32_e32 v4, s13
	ds_read2_b64 v[62:65], v4 offset1:1
	v_add_u32_e32 v4, s9, v1
	s_waitcnt lgkmcnt(1)
	v_fma_f64 v[2:3], -v[8:9], v[60:61], v[2:3]
	v_fma_f64 v[2:3], -v[10:11], v[58:59], v[2:3]
	s_sub_i32 s9, s7, 40
	s_waitcnt lgkmcnt(0)
	v_fma_f64 v[8:9], -v[12:13], v[64:65], v[2:3]
	v_mov_b32_e32 v2, s9
	ds_write_b64 v4, v[66:67]
	ds_read2_b64 v[2:5], v2 offset1:1
	s_sub_i32 s9, s7, 56
	v_fma_f64 v[12:13], -v[14:15], v[62:63], v[8:9]
	v_mov_b32_e32 v8, s9
	ds_read2_b64 v[8:11], v8 offset1:1
	s_waitcnt lgkmcnt(1)
	v_fma_f64 v[4:5], -v[16:17], v[4:5], v[12:13]
	s_add_i32 s9, s7, 0xffffffb8
	v_fma_f64 v[16:17], -v[18:19], v[2:3], v[4:5]
	v_mov_b32_e32 v2, s9
	ds_read2_b64 v[2:5], v2 offset1:1
	s_add_i32 s9, s7, 0xffffffa8
	v_mov_b32_e32 v12, s9
	ds_read2_b64 v[12:15], v12 offset1:1
	s_waitcnt lgkmcnt(2)
	v_fma_f64 v[10:11], -v[20:21], v[10:11], v[16:17]
	v_fma_f64 v[8:9], -v[24:25], v[8:9], v[10:11]
	s_waitcnt lgkmcnt(1)
	v_fma_f64 v[4:5], -v[26:27], v[4:5], v[8:9]
	v_fma_f64 v[2:3], -v[30:31], v[2:3], v[4:5]
	s_add_i32 s9, s7, 0xffffff98
	s_waitcnt lgkmcnt(0)
	v_fma_f64 v[8:9], -v[32:33], v[14:15], v[2:3]
	v_mov_b32_e32 v2, s9
	ds_read2_b64 v[2:5], v2 offset1:1
	s_add_i32 s9, s7, 0xffffff88
	v_fma_f64 v[12:13], -v[36:37], v[12:13], v[8:9]
	v_mov_b32_e32 v8, s9
	ds_read2_b64 v[8:11], v8 offset1:1
	s_waitcnt lgkmcnt(1)
	v_fma_f64 v[4:5], -v[38:39], v[4:5], v[12:13]
	s_add_i32 s9, s7, 0xffffff78
	v_fma_f64 v[16:17], -v[42:43], v[2:3], v[4:5]
	v_mov_b32_e32 v2, s9
	ds_read2_b64 v[2:5], v2 offset1:1
	s_add_i32 s9, s7, 0xffffff68
	v_mov_b32_e32 v12, s9
	ds_read2_b64 v[12:15], v12 offset1:1
	s_waitcnt lgkmcnt(2)
	v_fma_f64 v[10:11], -v[46:47], v[10:11], v[16:17]
	v_fma_f64 v[8:9], -v[48:49], v[8:9], v[10:11]
	s_waitcnt lgkmcnt(1)
	v_fma_f64 v[4:5], -v[52:53], v[4:5], v[8:9]
	v_fma_f64 v[2:3], -v[56:57], v[2:3], v[4:5]
	s_add_i32 s9, s7, 0xffffff58
	s_waitcnt lgkmcnt(0)
	v_fma_f64 v[8:9], -v[54:55], v[14:15], v[2:3]
	v_mov_b32_e32 v2, s9
	ds_read2_b64 v[2:5], v2 offset1:1
	s_add_i32 s9, s7, 0xffffff48
	v_fma_f64 v[12:13], -v[50:51], v[12:13], v[8:9]
	v_mov_b32_e32 v8, s9
	ds_read2_b64 v[8:11], v8 offset1:1
	s_waitcnt lgkmcnt(1)
	v_fma_f64 v[4:5], -v[44:45], v[4:5], v[12:13]
	s_addk_i32 s7, 0xff38
	v_fma_f64 v[16:17], -v[40:41], v[2:3], v[4:5]
	v_mov_b32_e32 v2, s7
	s_lshl_b32 s7, s8, 3
	ds_read2_b64 v[2:5], v2 offset1:1
	s_add_i32 s7, s12, s7
	v_mov_b32_e32 v12, s7
	ds_read2_b64 v[12:15], v12 offset1:1
	s_waitcnt lgkmcnt(2)
	v_fma_f64 v[10:11], -v[34:35], v[10:11], v[16:17]
	v_fma_f64 v[8:9], -v[28:29], v[8:9], v[10:11]
	s_waitcnt lgkmcnt(1)
	v_fma_f64 v[4:5], -v[22:23], v[4:5], v[8:9]
	v_fma_f64 v[2:3], -v[6:7], v[2:3], v[4:5]
	s_waitcnt lgkmcnt(0)
	v_fma_f64 v[2:3], -v[66:67], v[14:15], v[2:3]
	v_mul_f64 v[2:3], v[12:13], v[2:3]
	v_add_u32_e32 v4, s12, v1
	s_sub_i32 s5, s5, 28
	ds_write_b64 v4, v[2:3]
.LBB104_18:
	s_cmp_lt_i32 s5, 0
	s_cbranch_scc1 .LBB104_35
; %bb.19:
	s_and_b32 s7, s5, 3
	s_cmp_eq_u32 s7, 3
	v_lshlrev_b32_e32 v4, 3, v0
	s_mov_b32 s7, s5
	s_cbranch_scc1 .LBB104_24
; %bb.20:
	s_add_i32 s7, s5, 1
	s_and_b32 s8, s7, 3
	s_lshl_b32 s7, s5, 8
	s_lshl_b32 s9, s22, 3
	s_add_i32 s7, s7, s9
	v_lshl_or_b32 v2, s22, 8, v4
	s_add_i32 s9, s7, -8
	v_add_u32_e32 v5, 0x1f00, v2
	s_mov_b32 s12, 0
	s_mov_b32 s7, s5
	s_branch .LBB104_22
.LBB104_21:                             ;   in Loop: Header=BB104_22 Depth=1
	s_mul_i32 s13, s7, 0x108
	v_mov_b32_e32 v7, s13
	ds_read_b64 v[8:9], v7
	s_add_i32 s7, s7, -1
	s_add_i32 s12, s12, 1
	s_addk_i32 s9, 0xff00
	s_cmp_lg_u32 s12, s8
	s_waitcnt lgkmcnt(0)
	v_mul_f64 v[2:3], v[8:9], v[2:3]
	ds_write_b64 v6, v[2:3]
	s_cbranch_scc0 .LBB104_24
.LBB104_22:                             ; =>This Loop Header: Depth=1
                                        ;     Child Loop BB104_23 Depth 2
	s_lshl_b32 s13, s7, 8
	v_add_u32_e32 v6, s13, v1
	ds_read_b64 v[2:3], v6
	s_cmp_le_i32 s4, s7
	v_mov_b32_e32 v7, v5
	s_mov_b32 s13, s9
	s_mov_b32 s14, s4
	s_cbranch_scc1 .LBB104_21
.LBB104_23:                             ;   Parent Loop BB104_22 Depth=1
                                        ; =>  This Inner Loop Header: Depth=2
	v_mov_b32_e32 v10, s13
	ds_read_b64 v[8:9], v7
	ds_read_b64 v[10:11], v10
	s_add_i32 s14, s14, -1
	s_add_i32 s13, s13, -8
	v_add_u32_e32 v7, 0xffffff00, v7
	s_cmp_gt_i32 s14, s7
	s_waitcnt lgkmcnt(0)
	v_fma_f64 v[2:3], -v[8:9], v[10:11], v[2:3]
	s_cbranch_scc1 .LBB104_23
	s_branch .LBB104_21
.LBB104_24:
	s_cmp_lt_u32 s5, 3
	s_cbranch_scc1 .LBB104_35
; %bb.25:
	s_lshl_b32 s5, s7, 8
	s_lshl_b32 s8, s22, 3
	s_add_i32 s12, s5, s8
	v_lshl_or_b32 v2, s22, 8, v4
	s_add_i32 s5, s12, -8
	v_add_u32_e32 v6, 0x1f00, v2
	s_add_i32 s8, s12, 0xfffffef8
	s_add_i32 s9, s12, 0xfffffdf8
	s_addk_i32 s12, 0xfcf8
	s_branch .LBB104_27
.LBB104_26:                             ;   in Loop: Header=BB104_27 Depth=1
	s_addk_i32 s13, 0xfef8
	v_mov_b32_e32 v2, s13
	ds_read_b64 v[2:3], v2
	s_add_i32 s13, s7, -4
	s_addk_i32 s5, 0xfc00
	s_addk_i32 s8, 0xfc00
	;; [unrolled: 1-line block ×4, first 2 shown]
	s_waitcnt lgkmcnt(0)
	v_mul_f64 v[2:3], v[2:3], v[4:5]
	s_cmp_lt_i32 s7, 4
	s_mov_b32 s7, s13
	ds_write_b64 v7, v[2:3]
	s_cbranch_scc1 .LBB104_35
.LBB104_27:                             ; =>This Loop Header: Depth=1
                                        ;     Child Loop BB104_28 Depth 2
                                        ;     Child Loop BB104_30 Depth 2
	;; [unrolled: 1-line block ×4, first 2 shown]
	s_lshl_b32 s14, s7, 8
	v_add_u32_e32 v8, s14, v1
	ds_read_b64 v[2:3], v8
	s_cmp_le_i32 s4, s7
	v_mov_b32_e32 v4, v6
	s_mov_b32 s13, s5
	s_mov_b32 s15, s4
	s_cbranch_scc1 .LBB104_29
.LBB104_28:                             ;   Parent Loop BB104_27 Depth=1
                                        ; =>  This Inner Loop Header: Depth=2
	v_mov_b32_e32 v5, s13
	ds_read_b64 v[10:11], v4
	ds_read_b64 v[12:13], v5
	s_add_i32 s15, s15, -1
	s_add_i32 s13, s13, -8
	v_add_u32_e32 v4, 0xffffff00, v4
	s_cmp_gt_i32 s15, s7
	s_waitcnt lgkmcnt(0)
	v_fma_f64 v[2:3], -v[10:11], v[12:13], v[2:3]
	s_cbranch_scc1 .LBB104_28
.LBB104_29:                             ;   in Loop: Header=BB104_27 Depth=1
	s_mul_i32 s13, s7, 0x108
	v_mov_b32_e32 v4, s13
	ds_read_b64 v[10:11], v4
	s_addk_i32 s14, 0xff00
	v_add_u32_e32 v7, s14, v1
	ds_read_b64 v[4:5], v7
	s_cmp_le_i32 s22, s7
	s_waitcnt lgkmcnt(1)
	v_mul_f64 v[2:3], v[10:11], v[2:3]
	ds_write_b64 v8, v[2:3]
	v_mov_b32_e32 v2, v6
	s_mov_b32 s14, s8
	s_mov_b32 s15, s22
	s_cbranch_scc1 .LBB104_31
.LBB104_30:                             ;   Parent Loop BB104_27 Depth=1
                                        ; =>  This Inner Loop Header: Depth=2
	v_mov_b32_e32 v3, s14
	ds_read_b64 v[8:9], v2
	ds_read_b64 v[10:11], v3
	s_add_i32 s15, s15, -1
	s_add_i32 s14, s14, -8
	v_add_u32_e32 v2, 0xffffff00, v2
	s_cmp_gt_i32 s15, s7
	s_waitcnt lgkmcnt(0)
	v_fma_f64 v[4:5], -v[8:9], v[10:11], v[4:5]
	s_cbranch_scc1 .LBB104_30
.LBB104_31:                             ;   in Loop: Header=BB104_27 Depth=1
	s_addk_i32 s13, 0xfef8
	v_mov_b32_e32 v2, s13
	s_add_i32 s14, s7, -2
	ds_read_b64 v[10:11], v2
	s_lshl_b32 s15, s14, 8
	v_add_u32_e32 v8, s15, v1
	ds_read_b64 v[2:3], v8
	s_cmp_le_i32 s4, s14
	s_waitcnt lgkmcnt(1)
	v_mul_f64 v[4:5], v[10:11], v[4:5]
	ds_write_b64 v7, v[4:5]
	v_mov_b32_e32 v4, v6
	s_mov_b32 s15, s9
	s_mov_b32 s17, s4
	s_cbranch_scc1 .LBB104_33
.LBB104_32:                             ;   Parent Loop BB104_27 Depth=1
                                        ; =>  This Inner Loop Header: Depth=2
	v_mov_b32_e32 v5, s15
	ds_read_b64 v[10:11], v4
	ds_read_b64 v[12:13], v5
	s_add_i32 s17, s17, -1
	s_add_i32 s15, s15, -8
	v_add_u32_e32 v4, 0xffffff00, v4
	s_cmp_gt_i32 s17, s14
	s_waitcnt lgkmcnt(0)
	v_fma_f64 v[2:3], -v[10:11], v[12:13], v[2:3]
	s_cbranch_scc1 .LBB104_32
.LBB104_33:                             ;   in Loop: Header=BB104_27 Depth=1
	s_addk_i32 s13, 0xfef8
	v_mov_b32_e32 v4, s13
	s_add_i32 s14, s7, -3
	ds_read_b64 v[10:11], v4
	s_lshl_b32 s15, s14, 8
	v_add_u32_e32 v7, s15, v1
	ds_read_b64 v[4:5], v7
	s_cmp_le_i32 s4, s14
	s_waitcnt lgkmcnt(1)
	v_mul_f64 v[2:3], v[10:11], v[2:3]
	ds_write_b64 v8, v[2:3]
	v_mov_b32_e32 v2, v6
	s_mov_b32 s15, s12
	s_mov_b32 s17, s4
	s_cbranch_scc1 .LBB104_26
.LBB104_34:                             ;   Parent Loop BB104_27 Depth=1
                                        ; =>  This Inner Loop Header: Depth=2
	v_mov_b32_e32 v3, s15
	ds_read_b64 v[8:9], v2
	ds_read_b64 v[10:11], v3
	s_add_i32 s17, s17, -1
	s_add_i32 s15, s15, -8
	v_add_u32_e32 v2, 0xffffff00, v2
	s_cmp_gt_i32 s17, s14
	s_waitcnt lgkmcnt(0)
	v_fma_f64 v[4:5], -v[8:9], v[10:11], v[4:5]
	s_cbranch_scc1 .LBB104_34
	s_branch .LBB104_26
.LBB104_35:
	s_mov_b64 s[4:5], 0
.LBB104_36:
	s_and_b64 vcc, exec, s[4:5]
	s_cbranch_vccz .LBB104_50
; %bb.37:
	s_cmp_gt_i32 s6, 31
	s_cselect_b64 s[4:5], -1, 0
	s_mov_b32 s7, 0
	s_and_b64 vcc, exec, s[4:5]
	s_cbranch_vccz .LBB104_39
; %bb.38:
	v_add_u32_e32 v31, 0x800, v1
	v_add_u32_e32 v30, 0x1000, v1
	;; [unrolled: 1-line block ×3, first 2 shown]
	v_mov_b32_e32 v113, 0
	ds_read2_b64 v[32:35], v1 offset1:32
	ds_read2_b64 v[42:45], v1 offset0:64 offset1:96
	ds_read2_b64 v[46:49], v1 offset0:128 offset1:160
	ds_read2_b64 v[64:67], v1 offset0:192 offset1:224
	ds_read2_b64 v[68:71], v31 offset1:32
	ds_read2_b64 v[72:75], v31 offset0:64 offset1:96
	ds_read2_b64 v[76:79], v31 offset0:128 offset1:160
	ds_read2_b64 v[80:83], v31 offset0:192 offset1:224
	;; [unrolled: 4-line block ×4, first 2 shown]
	ds_read_b128 v[52:55], v113
	s_movk_i32 s6, 0x1f8
	s_mov_b32 s7, 32
	s_waitcnt lgkmcnt(0)
	v_mul_f64 v[52:53], v[52:53], v[32:33]
	v_fma_f64 v[36:37], -v[52:53], v[54:55], v[34:35]
	ds_read2_b64 v[32:35], v113 offset0:33 offset1:34
	s_waitcnt lgkmcnt(0)
	v_mul_f64 v[54:55], v[32:33], v[36:37]
	ds_write2_b64 v1, v[52:53], v[54:55] offset1:32
	ds_read_b128 v[56:59], v113 offset:16
	ds_read_b128 v[84:87], v113 offset:32
	s_waitcnt lgkmcnt(1)
	v_fma_f64 v[32:33], -v[52:53], v[56:57], v[42:43]
	v_fma_f64 v[36:37], -v[54:55], v[34:35], v[32:33]
	ds_read_b128 v[32:35], v113 offset:528
	s_waitcnt lgkmcnt(0)
	v_mul_f64 v[56:57], v[32:33], v[36:37]
	v_fma_f64 v[32:33], -v[52:53], v[58:59], v[44:45]
	ds_read2_b64 v[42:45], v113 offset0:35 offset1:36
	s_waitcnt lgkmcnt(0)
	v_fma_f64 v[32:33], -v[54:55], v[42:43], v[32:33]
	v_fma_f64 v[36:37], -v[56:57], v[34:35], v[32:33]
	ds_read2_b64 v[32:35], v113 offset0:99 offset1:100
	s_waitcnt lgkmcnt(0)
	v_mul_f64 v[58:59], v[32:33], v[36:37]
	v_fma_f64 v[32:33], -v[52:53], v[84:85], v[46:47]
	v_fma_f64 v[32:33], -v[54:55], v[44:45], v[32:33]
	ds_read_b128 v[42:45], v113 offset:544
	ds_write2_b64 v1, v[56:57], v[58:59] offset0:64 offset1:96
	s_waitcnt lgkmcnt(1)
	v_fma_f64 v[32:33], -v[56:57], v[42:43], v[32:33]
	v_fma_f64 v[36:37], -v[58:59], v[34:35], v[32:33]
	ds_read_b128 v[32:35], v113 offset:1056
	s_waitcnt lgkmcnt(0)
	v_mul_f64 v[62:63], v[32:33], v[36:37]
	v_fma_f64 v[32:33], -v[52:53], v[86:87], v[48:49]
	ds_read2_b64 v[46:49], v113 offset0:37 offset1:38
	s_waitcnt lgkmcnt(0)
	v_fma_f64 v[32:33], -v[54:55], v[46:47], v[32:33]
	v_fma_f64 v[32:33], -v[56:57], v[44:45], v[32:33]
	ds_read2_b64 v[42:45], v113 offset0:101 offset1:102
	s_waitcnt lgkmcnt(0)
	v_fma_f64 v[32:33], -v[58:59], v[42:43], v[32:33]
	v_fma_f64 v[36:37], -v[62:63], v[34:35], v[32:33]
	ds_read2_b64 v[32:35], v113 offset0:165 offset1:166
	s_waitcnt lgkmcnt(0)
	v_mul_f64 v[60:61], v[32:33], v[36:37]
	ds_write2_b64 v1, v[62:63], v[60:61] offset0:128 offset1:160
	ds_read_b128 v[84:87], v113 offset:48
	ds_read_b128 v[88:91], v113 offset:64
	s_waitcnt lgkmcnt(1)
	v_fma_f64 v[32:33], -v[52:53], v[84:85], v[64:65]
	v_fma_f64 v[32:33], -v[54:55], v[48:49], v[32:33]
	ds_read_b128 v[46:49], v113 offset:560
	s_waitcnt lgkmcnt(0)
	v_fma_f64 v[32:33], -v[56:57], v[46:47], v[32:33]
	v_fma_f64 v[32:33], -v[58:59], v[44:45], v[32:33]
	;; [unrolled: 4-line block ×3, first 2 shown]
	ds_read_b128 v[32:35], v113 offset:1584
	s_waitcnt lgkmcnt(0)
	v_mul_f64 v[64:65], v[32:33], v[36:37]
	v_fma_f64 v[32:33], -v[52:53], v[86:87], v[66:67]
	ds_read2_b64 v[84:87], v113 offset0:39 offset1:40
	s_waitcnt lgkmcnt(0)
	v_fma_f64 v[32:33], -v[54:55], v[84:85], v[32:33]
	v_fma_f64 v[32:33], -v[56:57], v[48:49], v[32:33]
	ds_read2_b64 v[46:49], v113 offset0:103 offset1:104
	s_waitcnt lgkmcnt(0)
	v_fma_f64 v[32:33], -v[58:59], v[46:47], v[32:33]
	;; [unrolled: 4-line block ×3, first 2 shown]
	v_fma_f64 v[36:37], -v[64:65], v[34:35], v[32:33]
	ds_read2_b64 v[32:35], v113 offset0:231 offset1:232
	s_waitcnt lgkmcnt(0)
	v_mul_f64 v[66:67], v[32:33], v[36:37]
	v_fma_f64 v[32:33], -v[52:53], v[88:89], v[68:69]
	v_fma_f64 v[32:33], -v[54:55], v[86:87], v[32:33]
	ds_read_b128 v[84:87], v113 offset:576
	ds_write2_b64 v1, v[64:65], v[66:67] offset0:192 offset1:224
	s_waitcnt lgkmcnt(1)
	v_fma_f64 v[32:33], -v[56:57], v[84:85], v[32:33]
	v_fma_f64 v[32:33], -v[58:59], v[48:49], v[32:33]
	ds_read_b128 v[46:49], v113 offset:1088
	s_waitcnt lgkmcnt(0)
	v_fma_f64 v[32:33], -v[62:63], v[46:47], v[32:33]
	v_fma_f64 v[32:33], -v[60:61], v[44:45], v[32:33]
	ds_read_b128 v[42:45], v113 offset:1600
	;; [unrolled: 4-line block ×3, first 2 shown]
	s_waitcnt lgkmcnt(0)
	v_mul_f64 v[68:69], v[32:33], v[36:37]
	v_fma_f64 v[32:33], -v[52:53], v[90:91], v[70:71]
	ds_read2_b64 v[88:91], v113 offset0:41 offset1:42
	s_waitcnt lgkmcnt(0)
	v_fma_f64 v[32:33], -v[54:55], v[88:89], v[32:33]
	v_fma_f64 v[32:33], -v[56:57], v[86:87], v[32:33]
	ds_read2_b64 v[84:87], v113 offset0:105 offset1:106
	s_waitcnt lgkmcnt(0)
	v_fma_f64 v[32:33], -v[58:59], v[84:85], v[32:33]
	;; [unrolled: 4-line block ×4, first 2 shown]
	v_fma_f64 v[36:37], -v[68:69], v[34:35], v[32:33]
	v_mov_b32_e32 v32, 0x948
	ds_read2_b64 v[32:35], v32 offset1:1
	s_waitcnt lgkmcnt(0)
	v_mul_f64 v[70:71], v[32:33], v[36:37]
	ds_write2_b64 v31, v[68:69], v[70:71] offset1:32
	ds_read_b128 v[92:95], v113 offset:80
	ds_read_b128 v[96:99], v113 offset:96
	;; [unrolled: 1-line block ×5, first 2 shown]
	s_waitcnt lgkmcnt(4)
	v_fma_f64 v[32:33], -v[52:53], v[92:93], v[72:73]
	v_fma_f64 v[32:33], -v[54:55], v[90:91], v[32:33]
	ds_read_b128 v[88:91], v113 offset:592
	s_waitcnt lgkmcnt(2)
	v_fma_f64 v[18:19], -v[52:53], v[104:105], v[18:19]
	s_waitcnt lgkmcnt(1)
	v_fma_f64 v[14:15], -v[52:53], v[108:109], v[14:15]
	ds_read_b128 v[114:117], v113 offset:3264
	ds_read_b128 v[118:121], v113 offset:208
	s_waitcnt lgkmcnt(2)
	v_fma_f64 v[32:33], -v[56:57], v[88:89], v[32:33]
	v_fma_f64 v[32:33], -v[58:59], v[86:87], v[32:33]
	ds_read_b128 v[84:87], v113 offset:1104
	ds_read_b128 v[122:125], v113 offset:4816
	s_waitcnt lgkmcnt(2)
	v_fma_f64 v[6:7], -v[52:53], v[118:119], v[6:7]
	ds_read_b128 v[138:141], v113 offset:224
	s_waitcnt lgkmcnt(2)
	v_fma_f64 v[32:33], -v[62:63], v[84:85], v[32:33]
	v_fma_f64 v[32:33], -v[60:61], v[48:49], v[32:33]
	ds_read_b128 v[46:49], v113 offset:1616
	s_waitcnt lgkmcnt(0)
	v_fma_f64 v[32:33], -v[64:65], v[46:47], v[32:33]
	;; [unrolled: 4-line block ×3, first 2 shown]
	v_fma_f64 v[36:37], -v[70:71], v[34:35], v[32:33]
	ds_read_b128 v[32:35], v113 offset:2640
	s_waitcnt lgkmcnt(0)
	v_mul_f64 v[72:73], v[32:33], v[36:37]
	v_fma_f64 v[32:33], -v[52:53], v[94:95], v[74:75]
	ds_read2_b64 v[92:95], v113 offset0:43 offset1:44
	v_mov_b32_e32 v36, 0x958
	s_waitcnt lgkmcnt(0)
	v_fma_f64 v[32:33], -v[54:55], v[92:93], v[32:33]
	v_fma_f64 v[32:33], -v[56:57], v[90:91], v[32:33]
	ds_read2_b64 v[88:91], v113 offset0:107 offset1:108
	s_waitcnt lgkmcnt(0)
	v_fma_f64 v[32:33], -v[58:59], v[88:89], v[32:33]
	v_fma_f64 v[32:33], -v[62:63], v[86:87], v[32:33]
	ds_read2_b64 v[84:87], v113 offset0:171 offset1:172
	;; [unrolled: 4-line block ×3, first 2 shown]
	s_waitcnt lgkmcnt(0)
	v_fma_f64 v[32:33], -v[66:67], v[46:47], v[32:33]
	v_fma_f64 v[32:33], -v[68:69], v[44:45], v[32:33]
	ds_read2_b64 v[42:45], v36 offset1:1
	s_waitcnt lgkmcnt(0)
	v_fma_f64 v[32:33], -v[70:71], v[42:43], v[32:33]
	v_fma_f64 v[36:37], -v[72:73], v[34:35], v[32:33]
	v_mov_b32_e32 v32, 0xb58
	ds_read2_b64 v[32:35], v32 offset1:1
	s_waitcnt lgkmcnt(0)
	v_mul_f64 v[74:75], v[32:33], v[36:37]
	v_fma_f64 v[32:33], -v[52:53], v[96:97], v[76:77]
	v_fma_f64 v[32:33], -v[54:55], v[94:95], v[32:33]
	ds_read_b128 v[92:95], v113 offset:608
	ds_write2_b64 v31, v[72:73], v[74:75] offset0:64 offset1:96
	s_waitcnt lgkmcnt(1)
	v_fma_f64 v[32:33], -v[56:57], v[92:93], v[32:33]
	v_fma_f64 v[32:33], -v[58:59], v[90:91], v[32:33]
	ds_read_b128 v[88:91], v113 offset:1120
	s_waitcnt lgkmcnt(0)
	v_fma_f64 v[32:33], -v[62:63], v[88:89], v[32:33]
	v_fma_f64 v[32:33], -v[60:61], v[86:87], v[32:33]
	ds_read_b128 v[84:87], v113 offset:1632
	;; [unrolled: 4-line block ×5, first 2 shown]
	s_waitcnt lgkmcnt(0)
	v_mul_f64 v[76:77], v[32:33], v[36:37]
	v_fma_f64 v[32:33], -v[52:53], v[98:99], v[78:79]
	ds_read2_b64 v[96:99], v113 offset0:45 offset1:46
	v_mov_b32_e32 v36, 0x968
	s_waitcnt lgkmcnt(0)
	v_fma_f64 v[32:33], -v[54:55], v[96:97], v[32:33]
	v_fma_f64 v[32:33], -v[56:57], v[94:95], v[32:33]
	ds_read2_b64 v[92:95], v113 offset0:109 offset1:110
	s_waitcnt lgkmcnt(0)
	v_fma_f64 v[32:33], -v[58:59], v[92:93], v[32:33]
	v_fma_f64 v[32:33], -v[62:63], v[90:91], v[32:33]
	ds_read2_b64 v[88:91], v113 offset0:173 offset1:174
	;; [unrolled: 4-line block ×3, first 2 shown]
	s_waitcnt lgkmcnt(0)
	v_fma_f64 v[32:33], -v[66:67], v[84:85], v[32:33]
	v_fma_f64 v[32:33], -v[68:69], v[48:49], v[32:33]
	ds_read2_b64 v[46:49], v36 offset1:1
	v_mov_b32_e32 v36, 0xb68
	s_waitcnt lgkmcnt(0)
	v_fma_f64 v[32:33], -v[70:71], v[46:47], v[32:33]
	v_fma_f64 v[32:33], -v[72:73], v[44:45], v[32:33]
	ds_read2_b64 v[42:45], v36 offset1:1
	s_waitcnt lgkmcnt(0)
	v_fma_f64 v[32:33], -v[74:75], v[42:43], v[32:33]
	v_fma_f64 v[36:37], -v[76:77], v[34:35], v[32:33]
	v_mov_b32_e32 v32, 0xd68
	ds_read2_b64 v[32:35], v32 offset1:1
	s_waitcnt lgkmcnt(0)
	v_mul_f64 v[78:79], v[32:33], v[36:37]
	v_fma_f64 v[32:33], -v[52:53], v[100:101], v[80:81]
	v_fma_f64 v[32:33], -v[54:55], v[98:99], v[32:33]
	ds_read_b128 v[96:99], v113 offset:624
	ds_write2_b64 v31, v[76:77], v[78:79] offset0:128 offset1:160
	s_waitcnt lgkmcnt(1)
	v_fma_f64 v[32:33], -v[56:57], v[96:97], v[32:33]
	v_fma_f64 v[32:33], -v[58:59], v[94:95], v[32:33]
	ds_read_b128 v[92:95], v113 offset:1136
	s_waitcnt lgkmcnt(0)
	v_fma_f64 v[32:33], -v[62:63], v[92:93], v[32:33]
	v_fma_f64 v[32:33], -v[60:61], v[90:91], v[32:33]
	ds_read_b128 v[88:91], v113 offset:1648
	;; [unrolled: 4-line block ×6, first 2 shown]
	s_waitcnt lgkmcnt(0)
	v_mul_f64 v[80:81], v[32:33], v[36:37]
	v_fma_f64 v[32:33], -v[52:53], v[102:103], v[82:83]
	ds_read2_b64 v[82:85], v113 offset0:47 offset1:48
	v_mov_b32_e32 v36, 0x978
	ds_read_b128 v[100:103], v113 offset:128
	s_waitcnt lgkmcnt(1)
	v_fma_f64 v[32:33], -v[54:55], v[82:83], v[32:33]
	v_fma_f64 v[32:33], -v[56:57], v[98:99], v[32:33]
	ds_read2_b64 v[96:99], v113 offset0:111 offset1:112
	s_waitcnt lgkmcnt(1)
	v_fma_f64 v[26:27], -v[52:53], v[100:101], v[26:27]
	v_fma_f64 v[26:27], -v[54:55], v[84:85], v[26:27]
	s_waitcnt lgkmcnt(0)
	v_fma_f64 v[32:33], -v[58:59], v[96:97], v[32:33]
	v_fma_f64 v[32:33], -v[62:63], v[94:95], v[32:33]
	ds_read2_b64 v[92:95], v113 offset0:175 offset1:176
	s_waitcnt lgkmcnt(0)
	v_fma_f64 v[32:33], -v[60:61], v[92:93], v[32:33]
	v_fma_f64 v[32:33], -v[64:65], v[90:91], v[32:33]
	ds_read2_b64 v[88:91], v113 offset0:239 offset1:240
	s_waitcnt lgkmcnt(0)
	v_fma_f64 v[32:33], -v[66:67], v[88:89], v[32:33]
	v_fma_f64 v[32:33], -v[68:69], v[86:87], v[32:33]
	ds_read2_b64 v[86:89], v36 offset1:1
	v_mov_b32_e32 v36, 0xb78
	s_waitcnt lgkmcnt(0)
	v_fma_f64 v[32:33], -v[70:71], v[86:87], v[32:33]
	v_fma_f64 v[32:33], -v[72:73], v[48:49], v[32:33]
	ds_read2_b64 v[46:49], v36 offset1:1
	v_mov_b32_e32 v36, 0xd78
	ds_read_b128 v[84:87], v113 offset:640
	s_waitcnt lgkmcnt(1)
	v_fma_f64 v[32:33], -v[74:75], v[46:47], v[32:33]
	v_fma_f64 v[32:33], -v[76:77], v[44:45], v[32:33]
	ds_read2_b64 v[42:45], v36 offset1:1
	s_waitcnt lgkmcnt(1)
	v_fma_f64 v[26:27], -v[56:57], v[84:85], v[26:27]
	v_fma_f64 v[26:27], -v[58:59], v[98:99], v[26:27]
	ds_read_b128 v[96:99], v113 offset:1152
	s_waitcnt lgkmcnt(1)
	v_fma_f64 v[32:33], -v[78:79], v[42:43], v[32:33]
	v_fma_f64 v[36:37], -v[80:81], v[34:35], v[32:33]
	v_mov_b32_e32 v32, 0xf78
	ds_read2_b64 v[32:35], v32 offset1:1
	s_waitcnt lgkmcnt(1)
	v_fma_f64 v[26:27], -v[62:63], v[96:97], v[26:27]
	v_fma_f64 v[26:27], -v[60:61], v[94:95], v[26:27]
	ds_read_b128 v[92:95], v113 offset:1664
	s_waitcnt lgkmcnt(1)
	v_mul_f64 v[82:83], v[32:33], v[36:37]
	ds_write2_b64 v31, v[80:81], v[82:83] offset0:192 offset1:224
	v_mov_b32_e32 v31, 0x988
	s_waitcnt lgkmcnt(1)
	v_fma_f64 v[26:27], -v[64:65], v[92:93], v[26:27]
	v_fma_f64 v[26:27], -v[66:67], v[90:91], v[26:27]
	ds_read_b128 v[90:93], v113 offset:2176
	s_waitcnt lgkmcnt(0)
	v_fma_f64 v[26:27], -v[68:69], v[90:91], v[26:27]
	v_fma_f64 v[26:27], -v[70:71], v[88:89], v[26:27]
	ds_read_b128 v[88:91], v113 offset:2688
	;; [unrolled: 4-line block ×5, first 2 shown]
	s_waitcnt lgkmcnt(0)
	v_mul_f64 v[84:85], v[32:33], v[26:27]
	v_fma_f64 v[32:33], -v[52:53], v[102:103], v[28:29]
	ds_read2_b64 v[26:29], v113 offset0:49 offset1:50
	ds_read_b128 v[100:103], v113 offset:144
	s_waitcnt lgkmcnt(1)
	v_fma_f64 v[26:27], -v[54:55], v[26:27], v[32:33]
	v_fma_f64 v[26:27], -v[56:57], v[86:87], v[26:27]
	ds_read2_b64 v[86:89], v113 offset0:113 offset1:114
	s_waitcnt lgkmcnt(1)
	v_fma_f64 v[22:23], -v[52:53], v[100:101], v[22:23]
	v_fma_f64 v[22:23], -v[54:55], v[28:29], v[22:23]
	s_waitcnt lgkmcnt(0)
	v_fma_f64 v[26:27], -v[58:59], v[86:87], v[26:27]
	v_fma_f64 v[26:27], -v[62:63], v[98:99], v[26:27]
	ds_read2_b64 v[96:99], v113 offset0:177 offset1:178
	s_waitcnt lgkmcnt(0)
	v_fma_f64 v[26:27], -v[60:61], v[96:97], v[26:27]
	v_fma_f64 v[26:27], -v[64:65], v[94:95], v[26:27]
	ds_read2_b64 v[94:97], v113 offset0:241 offset1:242
	s_waitcnt lgkmcnt(0)
	v_fma_f64 v[26:27], -v[66:67], v[94:95], v[26:27]
	v_fma_f64 v[26:27], -v[68:69], v[92:93], v[26:27]
	ds_read2_b64 v[92:95], v31 offset1:1
	v_mov_b32_e32 v31, 0xb88
	s_waitcnt lgkmcnt(0)
	v_fma_f64 v[26:27], -v[70:71], v[92:93], v[26:27]
	v_fma_f64 v[26:27], -v[72:73], v[90:91], v[26:27]
	ds_read2_b64 v[90:93], v31 offset1:1
	v_mov_b32_e32 v31, 0xd88
	;; [unrolled: 5-line block ×4, first 2 shown]
	s_waitcnt lgkmcnt(0)
	v_fma_f64 v[26:27], -v[82:83], v[42:43], v[26:27]
	v_fma_f64 v[26:27], -v[84:85], v[34:35], v[26:27]
	ds_read2_b64 v[32:35], v31 offset1:1
	s_waitcnt lgkmcnt(0)
	v_mul_f64 v[86:87], v[32:33], v[26:27]
	ds_read_b128 v[26:29], v113 offset:656
	ds_write2_b64 v30, v[84:85], v[86:87] offset1:32
	s_waitcnt lgkmcnt(1)
	v_fma_f64 v[22:23], -v[56:57], v[26:27], v[22:23]
	v_fma_f64 v[22:23], -v[58:59], v[88:89], v[22:23]
	ds_read_b128 v[88:91], v113 offset:1168
	v_fma_f64 v[26:27], -v[52:53], v[102:103], v[24:25]
	s_waitcnt lgkmcnt(0)
	v_fma_f64 v[22:23], -v[62:63], v[88:89], v[22:23]
	v_fma_f64 v[22:23], -v[60:61], v[98:99], v[22:23]
	ds_read_b128 v[98:101], v113 offset:1680
	s_waitcnt lgkmcnt(0)
	v_fma_f64 v[22:23], -v[64:65], v[98:99], v[22:23]
	v_fma_f64 v[22:23], -v[66:67], v[96:97], v[22:23]
	ds_read_b128 v[96:99], v113 offset:2192
	;; [unrolled: 4-line block ×7, first 2 shown]
	s_waitcnt lgkmcnt(0)
	v_mul_f64 v[88:89], v[32:33], v[22:23]
	ds_read2_b64 v[22:25], v113 offset0:51 offset1:52
	s_waitcnt lgkmcnt(0)
	v_fma_f64 v[22:23], -v[54:55], v[22:23], v[26:27]
	v_fma_f64 v[22:23], -v[56:57], v[28:29], v[22:23]
	ds_read2_b64 v[26:29], v113 offset0:115 offset1:116
	v_fma_f64 v[18:19], -v[54:55], v[24:25], v[18:19]
	s_waitcnt lgkmcnt(0)
	v_fma_f64 v[22:23], -v[58:59], v[26:27], v[22:23]
	v_fma_f64 v[22:23], -v[62:63], v[90:91], v[22:23]
	ds_read2_b64 v[90:93], v113 offset0:179 offset1:180
	v_mov_b32_e32 v26, 0x998
	s_waitcnt lgkmcnt(0)
	v_fma_f64 v[22:23], -v[60:61], v[90:91], v[22:23]
	v_fma_f64 v[22:23], -v[64:65], v[100:101], v[22:23]
	ds_read2_b64 v[100:103], v113 offset0:243 offset1:244
	s_waitcnt lgkmcnt(0)
	v_fma_f64 v[22:23], -v[66:67], v[100:101], v[22:23]
	v_fma_f64 v[22:23], -v[68:69], v[98:99], v[22:23]
	ds_read2_b64 v[98:101], v26 offset1:1
	v_mov_b32_e32 v26, 0xb98
	s_waitcnt lgkmcnt(0)
	v_fma_f64 v[22:23], -v[70:71], v[98:99], v[22:23]
	v_fma_f64 v[22:23], -v[72:73], v[96:97], v[22:23]
	ds_read2_b64 v[96:99], v26 offset1:1
	v_mov_b32_e32 v26, 0xd98
	;; [unrolled: 5-line block ×5, first 2 shown]
	s_waitcnt lgkmcnt(0)
	v_fma_f64 v[22:23], -v[86:87], v[42:43], v[22:23]
	v_fma_f64 v[22:23], -v[88:89], v[34:35], v[22:23]
	ds_read2_b64 v[32:35], v26 offset1:1
	s_waitcnt lgkmcnt(0)
	v_mul_f64 v[90:91], v[32:33], v[22:23]
	ds_read_b128 v[22:25], v113 offset:672
	ds_write2_b64 v30, v[88:89], v[90:91] offset0:64 offset1:96
	s_waitcnt lgkmcnt(1)
	v_fma_f64 v[18:19], -v[56:57], v[22:23], v[18:19]
	v_fma_f64 v[18:19], -v[58:59], v[28:29], v[18:19]
	ds_read_b128 v[26:29], v113 offset:1184
	v_fma_f64 v[22:23], -v[52:53], v[106:107], v[20:21]
	s_waitcnt lgkmcnt(0)
	v_fma_f64 v[18:19], -v[62:63], v[26:27], v[18:19]
	v_fma_f64 v[18:19], -v[60:61], v[92:93], v[18:19]
	ds_read_b128 v[92:95], v113 offset:1696
	s_waitcnt lgkmcnt(0)
	v_fma_f64 v[18:19], -v[64:65], v[92:93], v[18:19]
	v_fma_f64 v[18:19], -v[66:67], v[102:103], v[18:19]
	ds_read_b128 v[102:105], v113 offset:2208
	s_waitcnt lgkmcnt(0)
	v_fma_f64 v[18:19], -v[68:69], v[102:103], v[18:19]
	v_fma_f64 v[18:19], -v[70:71], v[100:101], v[18:19]
	ds_read_b128 v[100:103], v113 offset:2720
	s_waitcnt lgkmcnt(0)
	v_fma_f64 v[18:19], -v[72:73], v[100:101], v[18:19]
	v_fma_f64 v[18:19], -v[74:75], v[98:99], v[18:19]
	ds_read_b128 v[98:101], v113 offset:3232
	s_waitcnt lgkmcnt(0)
	v_fma_f64 v[18:19], -v[76:77], v[98:99], v[18:19]
	v_fma_f64 v[18:19], -v[78:79], v[96:97], v[18:19]
	ds_read_b128 v[96:99], v113 offset:3744
	s_waitcnt lgkmcnt(0)
	v_fma_f64 v[18:19], -v[80:81], v[96:97], v[18:19]
	v_fma_f64 v[18:19], -v[82:83], v[48:49], v[18:19]
	ds_read_b128 v[46:49], v113 offset:4256
	s_waitcnt lgkmcnt(0)
	v_fma_f64 v[18:19], -v[84:85], v[46:47], v[18:19]
	v_fma_f64 v[18:19], -v[86:87], v[44:45], v[18:19]
	ds_read_b128 v[42:45], v113 offset:4768
	s_waitcnt lgkmcnt(0)
	v_fma_f64 v[18:19], -v[88:89], v[42:43], v[18:19]
	v_fma_f64 v[18:19], -v[90:91], v[34:35], v[18:19]
	ds_read_b128 v[32:35], v113 offset:5280
	s_waitcnt lgkmcnt(0)
	v_mul_f64 v[92:93], v[32:33], v[18:19]
	ds_read2_b64 v[18:21], v113 offset0:53 offset1:54
	s_waitcnt lgkmcnt(0)
	v_fma_f64 v[18:19], -v[54:55], v[18:19], v[22:23]
	v_fma_f64 v[18:19], -v[56:57], v[24:25], v[18:19]
	ds_read2_b64 v[22:25], v113 offset0:117 offset1:118
	v_fma_f64 v[14:15], -v[54:55], v[20:21], v[14:15]
	s_waitcnt lgkmcnt(0)
	v_fma_f64 v[18:19], -v[58:59], v[22:23], v[18:19]
	v_fma_f64 v[18:19], -v[62:63], v[28:29], v[18:19]
	ds_read2_b64 v[26:29], v113 offset0:181 offset1:182
	v_mov_b32_e32 v22, 0x9a8
	s_waitcnt lgkmcnt(0)
	v_fma_f64 v[18:19], -v[60:61], v[26:27], v[18:19]
	v_fma_f64 v[18:19], -v[64:65], v[94:95], v[18:19]
	ds_read2_b64 v[94:97], v113 offset0:245 offset1:246
	s_waitcnt lgkmcnt(0)
	v_fma_f64 v[18:19], -v[66:67], v[94:95], v[18:19]
	v_fma_f64 v[18:19], -v[68:69], v[104:105], v[18:19]
	ds_read2_b64 v[104:107], v22 offset1:1
	v_mov_b32_e32 v22, 0xba8
	s_waitcnt lgkmcnt(0)
	v_fma_f64 v[18:19], -v[70:71], v[104:105], v[18:19]
	v_fma_f64 v[18:19], -v[72:73], v[102:103], v[18:19]
	ds_read2_b64 v[102:105], v22 offset1:1
	v_mov_b32_e32 v22, 0xda8
	;; [unrolled: 5-line block ×6, first 2 shown]
	s_waitcnt lgkmcnt(0)
	v_fma_f64 v[18:19], -v[90:91], v[42:43], v[18:19]
	v_fma_f64 v[18:19], -v[92:93], v[34:35], v[18:19]
	ds_read2_b64 v[32:35], v22 offset1:1
	s_waitcnt lgkmcnt(0)
	v_mul_f64 v[94:95], v[32:33], v[18:19]
	ds_read_b128 v[18:21], v113 offset:688
	ds_write2_b64 v30, v[92:93], v[94:95] offset0:128 offset1:160
	s_waitcnt lgkmcnt(1)
	v_fma_f64 v[14:15], -v[56:57], v[18:19], v[14:15]
	v_fma_f64 v[14:15], -v[58:59], v[24:25], v[14:15]
	ds_read_b128 v[22:25], v113 offset:1200
	v_fma_f64 v[18:19], -v[52:53], v[110:111], v[16:17]
	s_waitcnt lgkmcnt(0)
	v_fma_f64 v[14:15], -v[62:63], v[22:23], v[14:15]
	v_fma_f64 v[14:15], -v[60:61], v[28:29], v[14:15]
	ds_read_b128 v[26:29], v113 offset:1712
	s_waitcnt lgkmcnt(0)
	v_fma_f64 v[14:15], -v[64:65], v[26:27], v[14:15]
	v_fma_f64 v[14:15], -v[66:67], v[96:97], v[14:15]
	ds_read_b128 v[96:99], v113 offset:2224
	;; [unrolled: 4-line block ×9, first 2 shown]
	s_waitcnt lgkmcnt(0)
	v_mul_f64 v[96:97], v[32:33], v[14:15]
	ds_read2_b64 v[14:17], v113 offset0:55 offset1:56
	s_waitcnt lgkmcnt(0)
	v_fma_f64 v[14:15], -v[54:55], v[14:15], v[18:19]
	v_fma_f64 v[14:15], -v[56:57], v[20:21], v[14:15]
	ds_read2_b64 v[18:21], v113 offset0:119 offset1:120
	s_waitcnt lgkmcnt(0)
	v_fma_f64 v[14:15], -v[58:59], v[18:19], v[14:15]
	v_fma_f64 v[14:15], -v[62:63], v[24:25], v[14:15]
	ds_read2_b64 v[22:25], v113 offset0:183 offset1:184
	v_mov_b32_e32 v18, 0x9b8
	s_waitcnt lgkmcnt(0)
	v_fma_f64 v[14:15], -v[60:61], v[22:23], v[14:15]
	v_fma_f64 v[14:15], -v[64:65], v[28:29], v[14:15]
	ds_read2_b64 v[26:29], v113 offset0:247 offset1:248
	s_waitcnt lgkmcnt(0)
	v_fma_f64 v[14:15], -v[66:67], v[26:27], v[14:15]
	v_fma_f64 v[14:15], -v[68:69], v[98:99], v[14:15]
	ds_read2_b64 v[98:101], v18 offset1:1
	v_mov_b32_e32 v18, 0xbb8
	s_waitcnt lgkmcnt(0)
	v_fma_f64 v[14:15], -v[70:71], v[98:99], v[14:15]
	v_fma_f64 v[14:15], -v[72:73], v[108:109], v[14:15]
	ds_read2_b64 v[108:111], v18 offset1:1
	v_mov_b32_e32 v18, 0xdb8
	;; [unrolled: 5-line block ×7, first 2 shown]
	s_waitcnt lgkmcnt(0)
	v_fma_f64 v[14:15], -v[94:95], v[42:43], v[14:15]
	v_fma_f64 v[14:15], -v[96:97], v[34:35], v[14:15]
	ds_read2_b64 v[32:35], v18 offset1:1
	s_waitcnt lgkmcnt(0)
	v_mul_f64 v[98:99], v[32:33], v[14:15]
	ds_write2_b64 v30, v[96:97], v[98:99] offset0:192 offset1:224
	ds_read_b128 v[30:33], v113 offset:192
	s_waitcnt lgkmcnt(0)
	v_fma_f64 v[10:11], -v[52:53], v[30:31], v[10:11]
	v_fma_f64 v[10:11], -v[54:55], v[16:17], v[10:11]
	ds_read_b128 v[14:17], v113 offset:704
	s_waitcnt lgkmcnt(0)
	v_fma_f64 v[10:11], -v[56:57], v[14:15], v[10:11]
	v_fma_f64 v[10:11], -v[58:59], v[20:21], v[10:11]
	ds_read_b128 v[18:21], v113 offset:1216
	v_fma_f64 v[14:15], -v[52:53], v[32:33], v[12:13]
	s_waitcnt lgkmcnt(0)
	v_fma_f64 v[10:11], -v[62:63], v[18:19], v[10:11]
	v_fma_f64 v[10:11], -v[60:61], v[24:25], v[10:11]
	ds_read_b128 v[22:25], v113 offset:1728
	s_waitcnt lgkmcnt(0)
	v_fma_f64 v[10:11], -v[64:65], v[22:23], v[10:11]
	v_fma_f64 v[10:11], -v[66:67], v[28:29], v[10:11]
	ds_read_b128 v[26:29], v113 offset:2240
	;; [unrolled: 4-line block ×3, first 2 shown]
	s_waitcnt lgkmcnt(0)
	v_fma_f64 v[10:11], -v[72:73], v[100:101], v[10:11]
	v_fma_f64 v[10:11], -v[74:75], v[110:111], v[10:11]
	;; [unrolled: 1-line block ×4, first 2 shown]
	ds_read_b128 v[108:111], v113 offset:3776
	s_waitcnt lgkmcnt(0)
	v_fma_f64 v[10:11], -v[80:81], v[108:109], v[10:11]
	v_fma_f64 v[10:11], -v[82:83], v[106:107], v[10:11]
	ds_read_b128 v[106:109], v113 offset:4288
	s_waitcnt lgkmcnt(0)
	v_fma_f64 v[10:11], -v[84:85], v[106:107], v[10:11]
	v_fma_f64 v[10:11], -v[86:87], v[104:105], v[10:11]
	ds_read_b128 v[104:107], v113 offset:4800
	s_waitcnt lgkmcnt(0)
	v_fma_f64 v[10:11], -v[88:89], v[104:105], v[10:11]
	v_fma_f64 v[10:11], -v[90:91], v[48:49], v[10:11]
	ds_read_b128 v[46:49], v113 offset:5312
	s_waitcnt lgkmcnt(0)
	v_fma_f64 v[10:11], -v[92:93], v[46:47], v[10:11]
	v_fma_f64 v[10:11], -v[94:95], v[44:45], v[10:11]
	ds_read_b128 v[42:45], v113 offset:5824
	s_waitcnt lgkmcnt(0)
	v_fma_f64 v[10:11], -v[96:97], v[42:43], v[10:11]
	v_fma_f64 v[10:11], -v[98:99], v[34:35], v[10:11]
	ds_read_b128 v[34:37], v113 offset:6336
	s_waitcnt lgkmcnt(0)
	v_mul_f64 v[100:101], v[34:35], v[10:11]
	ds_read2_b64 v[10:13], v113 offset0:57 offset1:58
	s_waitcnt lgkmcnt(0)
	v_fma_f64 v[10:11], -v[54:55], v[10:11], v[14:15]
	v_fma_f64 v[10:11], -v[56:57], v[16:17], v[10:11]
	ds_read2_b64 v[14:17], v113 offset0:121 offset1:122
	v_fma_f64 v[6:7], -v[54:55], v[12:13], v[6:7]
	s_waitcnt lgkmcnt(0)
	v_fma_f64 v[10:11], -v[58:59], v[14:15], v[10:11]
	v_fma_f64 v[10:11], -v[62:63], v[20:21], v[10:11]
	ds_read2_b64 v[18:21], v113 offset0:185 offset1:186
	v_mov_b32_e32 v14, 0x9c8
	s_waitcnt lgkmcnt(0)
	v_fma_f64 v[10:11], -v[60:61], v[18:19], v[10:11]
	v_fma_f64 v[10:11], -v[64:65], v[24:25], v[10:11]
	ds_read2_b64 v[22:25], v113 offset0:249 offset1:250
	s_waitcnt lgkmcnt(0)
	v_fma_f64 v[10:11], -v[66:67], v[22:23], v[10:11]
	v_fma_f64 v[10:11], -v[68:69], v[28:29], v[10:11]
	ds_read2_b64 v[26:29], v14 offset1:1
	v_mov_b32_e32 v14, 0xbc8
	ds_read2_b64 v[30:33], v14 offset1:1
	v_mov_b32_e32 v14, 0xdc8
	s_waitcnt lgkmcnt(1)
	v_fma_f64 v[10:11], -v[70:71], v[26:27], v[10:11]
	v_fma_f64 v[10:11], -v[72:73], v[102:103], v[10:11]
	ds_read2_b64 v[102:105], v14 offset1:1
	s_waitcnt lgkmcnt(1)
	v_fma_f64 v[10:11], -v[74:75], v[30:31], v[10:11]
	v_mov_b32_e32 v14, 0xfc8
	v_fma_f64 v[10:11], -v[76:77], v[116:117], v[10:11]
	ds_read2_b64 v[114:117], v14 offset1:1
	s_waitcnt lgkmcnt(1)
	v_fma_f64 v[10:11], -v[78:79], v[102:103], v[10:11]
	v_fma_f64 v[10:11], -v[80:81], v[110:111], v[10:11]
	v_mov_b32_e32 v14, 0x11c8
	s_waitcnt lgkmcnt(0)
	v_fma_f64 v[10:11], -v[82:83], v[114:115], v[10:11]
	v_fma_f64 v[10:11], -v[84:85], v[108:109], v[10:11]
	ds_read2_b64 v[108:111], v14 offset1:1
	v_mov_b32_e32 v14, 0x13c8
	s_waitcnt lgkmcnt(0)
	v_fma_f64 v[10:11], -v[86:87], v[108:109], v[10:11]
	v_fma_f64 v[10:11], -v[88:89], v[106:107], v[10:11]
	ds_read2_b64 v[106:109], v14 offset1:1
	;; [unrolled: 5-line block ×5, first 2 shown]
	s_waitcnt lgkmcnt(0)
	v_mul_f64 v[102:103], v[34:35], v[10:11]
	ds_read_b128 v[10:13], v113 offset:720
	ds_write2_b64 v112, v[100:101], v[102:103] offset1:32
	s_waitcnt lgkmcnt(1)
	v_fma_f64 v[6:7], -v[56:57], v[10:11], v[6:7]
	v_fma_f64 v[6:7], -v[58:59], v[16:17], v[6:7]
	ds_read_b128 v[14:17], v113 offset:1232
	v_fma_f64 v[10:11], -v[52:53], v[120:121], v[8:9]
	s_waitcnt lgkmcnt(0)
	v_fma_f64 v[6:7], -v[62:63], v[14:15], v[6:7]
	v_fma_f64 v[6:7], -v[60:61], v[20:21], v[6:7]
	ds_read_b128 v[18:21], v113 offset:1744
	s_waitcnt lgkmcnt(0)
	v_fma_f64 v[6:7], -v[64:65], v[18:19], v[6:7]
	v_fma_f64 v[6:7], -v[66:67], v[24:25], v[6:7]
	ds_read_b128 v[22:25], v113 offset:2256
	;; [unrolled: 4-line block ×6, first 2 shown]
	s_waitcnt lgkmcnt(0)
	v_fma_f64 v[6:7], -v[84:85], v[114:115], v[6:7]
	v_fma_f64 v[6:7], -v[86:87], v[110:111], v[6:7]
	;; [unrolled: 1-line block ×4, first 2 shown]
	ds_read_b128 v[108:111], v113 offset:5328
	s_waitcnt lgkmcnt(0)
	v_fma_f64 v[6:7], -v[92:93], v[108:109], v[6:7]
	v_fma_f64 v[6:7], -v[94:95], v[48:49], v[6:7]
	ds_read_b128 v[46:49], v113 offset:5840
	s_waitcnt lgkmcnt(0)
	v_fma_f64 v[6:7], -v[96:97], v[46:47], v[6:7]
	v_fma_f64 v[6:7], -v[98:99], v[44:45], v[6:7]
	;; [unrolled: 4-line block ×3, first 2 shown]
	ds_read_b128 v[34:37], v113 offset:6864
	s_waitcnt lgkmcnt(0)
	v_mul_f64 v[104:105], v[34:35], v[6:7]
	ds_read2_b64 v[6:9], v113 offset0:59 offset1:60
	s_waitcnt lgkmcnt(0)
	v_fma_f64 v[6:7], -v[54:55], v[6:7], v[10:11]
	v_fma_f64 v[6:7], -v[56:57], v[12:13], v[6:7]
	ds_read2_b64 v[10:13], v113 offset0:123 offset1:124
	s_waitcnt lgkmcnt(0)
	v_fma_f64 v[6:7], -v[58:59], v[10:11], v[6:7]
	v_fma_f64 v[6:7], -v[62:63], v[16:17], v[6:7]
	ds_read2_b64 v[14:17], v113 offset0:187 offset1:188
	v_mov_b32_e32 v10, 0x9d8
	s_waitcnt lgkmcnt(0)
	v_fma_f64 v[6:7], -v[60:61], v[14:15], v[6:7]
	v_fma_f64 v[6:7], -v[64:65], v[20:21], v[6:7]
	ds_read2_b64 v[18:21], v113 offset0:251 offset1:252
	s_waitcnt lgkmcnt(0)
	v_fma_f64 v[6:7], -v[66:67], v[18:19], v[6:7]
	v_fma_f64 v[6:7], -v[68:69], v[24:25], v[6:7]
	ds_read2_b64 v[22:25], v10 offset1:1
	v_mov_b32_e32 v10, 0xbd8
	ds_read2_b64 v[118:121], v10 offset1:1
	s_waitcnt lgkmcnt(1)
	v_fma_f64 v[6:7], -v[70:71], v[22:23], v[6:7]
	v_fma_f64 v[6:7], -v[72:73], v[28:29], v[6:7]
	ds_read_b128 v[26:29], v113 offset:1760
	v_mov_b32_e32 v10, 0xdd8
	ds_read2_b64 v[126:129], v10 offset1:1
	s_waitcnt lgkmcnt(2)
	v_fma_f64 v[6:7], -v[74:75], v[118:119], v[6:7]
	v_fma_f64 v[6:7], -v[76:77], v[32:33], v[6:7]
	ds_read_b128 v[32:35], v113 offset:736
	v_mov_b32_e32 v10, 0xfd8
	s_waitcnt lgkmcnt(1)
	v_fma_f64 v[6:7], -v[78:79], v[126:127], v[6:7]
	v_fma_f64 v[6:7], -v[80:81], v[106:107], v[6:7]
	ds_read2_b64 v[106:109], v10 offset1:1
	v_mov_b32_e32 v10, 0x11d8
	s_waitcnt lgkmcnt(0)
	v_fma_f64 v[6:7], -v[82:83], v[106:107], v[6:7]
	v_fma_f64 v[6:7], -v[84:85], v[116:117], v[6:7]
	ds_read2_b64 v[114:117], v10 offset1:1
	;; [unrolled: 5-line block ×3, first 2 shown]
	v_mov_b32_e32 v10, 0x15d8
	ds_read2_b64 v[130:133], v10 offset1:1
	v_mov_b32_e32 v10, 0x17d8
	s_waitcnt lgkmcnt(1)
	v_fma_f64 v[6:7], -v[90:91], v[122:123], v[6:7]
	v_fma_f64 v[6:7], -v[92:93], v[110:111], v[6:7]
	s_waitcnt lgkmcnt(0)
	v_fma_f64 v[6:7], -v[94:95], v[130:131], v[6:7]
	v_fma_f64 v[6:7], -v[96:97], v[48:49], v[6:7]
	ds_read2_b64 v[46:49], v10 offset1:1
	v_mov_b32_e32 v10, 0x19d8
	s_waitcnt lgkmcnt(0)
	v_fma_f64 v[6:7], -v[98:99], v[46:47], v[6:7]
	v_fma_f64 v[6:7], -v[100:101], v[44:45], v[6:7]
	ds_read2_b64 v[42:45], v10 offset1:1
	v_mov_b32_e32 v10, 0x1bd8
	ds_read2_b64 v[134:137], v10 offset1:1
	s_waitcnt lgkmcnt(1)
	v_fma_f64 v[6:7], -v[102:103], v[42:43], v[6:7]
	v_fma_f64 v[6:7], -v[104:105], v[36:37], v[6:7]
	s_waitcnt lgkmcnt(0)
	v_mul_f64 v[106:107], v[134:135], v[6:7]
	v_fma_f64 v[6:7], -v[52:53], v[138:139], v[38:39]
	ds_read_b128 v[36:39], v113 offset:1248
	v_fma_f64 v[6:7], -v[54:55], v[8:9], v[6:7]
	v_fma_f64 v[6:7], -v[56:57], v[32:33], v[6:7]
	v_fma_f64 v[6:7], -v[58:59], v[12:13], v[6:7]
	ds_read_b128 v[30:33], v113 offset:2272
	s_waitcnt lgkmcnt(1)
	v_fma_f64 v[6:7], -v[62:63], v[36:37], v[6:7]
	v_fma_f64 v[6:7], -v[60:61], v[16:17], v[6:7]
	;; [unrolled: 1-line block ×4, first 2 shown]
	s_waitcnt lgkmcnt(0)
	v_fma_f64 v[6:7], -v[68:69], v[30:31], v[6:7]
	v_fma_f64 v[6:7], -v[70:71], v[24:25], v[6:7]
	ds_read_b128 v[24:27], v113 offset:2784
	ds_write2_b64 v112, v[104:105], v[106:107] offset0:64 offset1:96
	s_waitcnt lgkmcnt(1)
	v_fma_f64 v[6:7], -v[72:73], v[24:25], v[6:7]
	ds_read_b128 v[22:25], v113 offset:3296
	v_fma_f64 v[6:7], -v[74:75], v[120:121], v[6:7]
	ds_read2_b64 v[118:121], v113 offset0:189 offset1:190
	s_waitcnt lgkmcnt(1)
	v_fma_f64 v[6:7], -v[76:77], v[22:23], v[6:7]
	ds_read_b128 v[20:23], v113 offset:3808
	v_fma_f64 v[6:7], -v[78:79], v[128:129], v[6:7]
	s_waitcnt lgkmcnt(0)
	v_fma_f64 v[6:7], -v[80:81], v[20:21], v[6:7]
	ds_read_b128 v[18:21], v113 offset:4320
	v_fma_f64 v[6:7], -v[82:83], v[108:109], v[6:7]
	;; [unrolled: 4-line block ×3, first 2 shown]
	ds_read2_b64 v[114:117], v113 offset0:125 offset1:126
	s_waitcnt lgkmcnt(1)
	v_fma_f64 v[6:7], -v[88:89], v[16:17], v[6:7]
	ds_read_b128 v[14:17], v113 offset:5344
	v_fma_f64 v[6:7], -v[90:91], v[124:125], v[6:7]
	s_waitcnt lgkmcnt(0)
	v_fma_f64 v[6:7], -v[92:93], v[14:15], v[6:7]
	ds_read_b128 v[12:15], v113 offset:5856
	v_fma_f64 v[6:7], -v[94:95], v[132:133], v[6:7]
	s_waitcnt lgkmcnt(0)
	v_fma_f64 v[6:7], -v[96:97], v[12:13], v[6:7]
	ds_read_b128 v[10:13], v113 offset:6368
	v_fma_f64 v[6:7], -v[98:99], v[48:49], v[6:7]
	ds_read2_b64 v[48:51], v113 offset0:61 offset1:62
	s_waitcnt lgkmcnt(1)
	v_fma_f64 v[6:7], -v[100:101], v[10:11], v[6:7]
	ds_read_b128 v[8:11], v113 offset:6880
	v_fma_f64 v[6:7], -v[102:103], v[44:45], v[6:7]
	s_waitcnt lgkmcnt(0)
	v_fma_f64 v[6:7], -v[104:105], v[8:9], v[6:7]
	v_fma_f64 v[30:31], -v[106:107], v[136:137], v[6:7]
	ds_read_b128 v[6:9], v113 offset:7392
	s_waitcnt lgkmcnt(0)
	v_mul_f64 v[108:109], v[6:7], v[30:31]
	v_fma_f64 v[6:7], -v[52:53], v[140:141], v[40:41]
	v_fma_f64 v[6:7], -v[54:55], v[48:49], v[6:7]
	;; [unrolled: 1-line block ×7, first 2 shown]
	ds_read2_b64 v[28:31], v113 offset0:253 offset1:254
	s_waitcnt lgkmcnt(0)
	v_fma_f64 v[6:7], -v[66:67], v[28:29], v[6:7]
	v_mov_b32_e32 v28, 0x9e8
	ds_read2_b64 v[122:125], v28 offset1:1
	v_fma_f64 v[6:7], -v[68:69], v[32:33], v[6:7]
	s_waitcnt lgkmcnt(0)
	v_fma_f64 v[6:7], -v[70:71], v[122:123], v[6:7]
	v_fma_f64 v[6:7], -v[72:73], v[26:27], v[6:7]
	v_mov_b32_e32 v26, 0xbe8
	ds_read2_b64 v[38:41], v26 offset1:1
	s_waitcnt lgkmcnt(0)
	v_fma_f64 v[6:7], -v[74:75], v[38:39], v[6:7]
	v_fma_f64 v[6:7], -v[76:77], v[24:25], v[6:7]
	v_mov_b32_e32 v24, 0xde8
	ds_read2_b64 v[32:35], v24 offset1:1
	;; [unrolled: 5-line block ×8, first 2 shown]
	ds_read_b128 v[12:15], v113 offset:752
	s_waitcnt lgkmcnt(1)
	v_fma_f64 v[6:7], -v[102:103], v[24:25], v[6:7]
	v_fma_f64 v[6:7], -v[104:105], v[10:11], v[6:7]
	v_mov_b32_e32 v10, 0x1be8
	ds_read2_b64 v[22:25], v10 offset1:1
	s_waitcnt lgkmcnt(0)
	v_fma_f64 v[6:7], -v[106:107], v[22:23], v[6:7]
	v_fma_f64 v[6:7], -v[108:109], v[8:9], v[6:7]
	v_mov_b32_e32 v8, 0x1de8
	ds_read2_b64 v[20:23], v8 offset1:1
	s_waitcnt lgkmcnt(0)
	v_mul_f64 v[110:111], v[20:21], v[6:7]
	ds_read_b128 v[18:21], v113 offset:240
	ds_read_b128 v[6:9], v113 offset:1776
	ds_write2_b64 v112, v[108:109], v[110:111] offset0:128 offset1:160
	s_waitcnt lgkmcnt(2)
	v_fma_f64 v[2:3], -v[52:53], v[18:19], v[2:3]
	ds_read_b128 v[16:19], v113 offset:1264
	v_fma_f64 v[2:3], -v[54:55], v[50:51], v[2:3]
	v_fma_f64 v[2:3], -v[56:57], v[12:13], v[2:3]
	;; [unrolled: 1-line block ×3, first 2 shown]
	ds_read_b128 v[10:13], v113 offset:2288
	s_waitcnt lgkmcnt(1)
	v_fma_f64 v[2:3], -v[62:63], v[16:17], v[2:3]
	v_fma_f64 v[2:3], -v[60:61], v[120:121], v[2:3]
	;; [unrolled: 1-line block ×4, first 2 shown]
	ds_read_b128 v[30:33], v113 offset:2800
	s_waitcnt lgkmcnt(1)
	v_fma_f64 v[2:3], -v[68:69], v[10:11], v[2:3]
	v_fma_f64 v[2:3], -v[70:71], v[124:125], v[2:3]
	;; [unrolled: 1-line block ×3, first 2 shown]
	s_waitcnt lgkmcnt(0)
	v_fma_f64 v[2:3], -v[72:73], v[30:31], v[2:3]
	v_fma_f64 v[2:3], -v[74:75], v[40:41], v[2:3]
	ds_read_b128 v[40:43], v113 offset:3312
	s_waitcnt lgkmcnt(0)
	v_fma_f64 v[2:3], -v[76:77], v[40:41], v[2:3]
	v_fma_f64 v[2:3], -v[78:79], v[34:35], v[2:3]
	ds_read_b128 v[34:37], v113 offset:3824
	;; [unrolled: 4-line block ×10, first 2 shown]
	s_waitcnt lgkmcnt(0)
	v_mul_f64 v[6:7], v[22:23], v[2:3]
	ds_read2_b64 v[2:5], v113 offset0:63 offset1:127
	s_waitcnt lgkmcnt(0)
	v_fma_f64 v[2:3], -v[54:55], v[2:3], v[10:11]
	v_fma_f64 v[2:3], -v[56:57], v[14:15], v[2:3]
	;; [unrolled: 1-line block ×4, first 2 shown]
	ds_read2_b64 v[2:5], v113 offset0:191 offset1:255
	s_waitcnt lgkmcnt(0)
	v_fma_f64 v[2:3], -v[60:61], v[2:3], v[10:11]
	v_fma_f64 v[2:3], -v[64:65], v[8:9], v[2:3]
	;; [unrolled: 1-line block ×3, first 2 shown]
	v_add_u32_e64 v10, s6, 0
	v_fma_f64 v[8:9], -v[68:69], v[12:13], v[2:3]
	ds_read2st64_b64 v[2:5], v10 offset0:4 offset1:5
	s_waitcnt lgkmcnt(0)
	v_fma_f64 v[2:3], -v[70:71], v[2:3], v[8:9]
	v_fma_f64 v[2:3], -v[72:73], v[32:33], v[2:3]
	v_fma_f64 v[2:3], -v[74:75], v[4:5], v[2:3]
	v_fma_f64 v[8:9], -v[76:77], v[42:43], v[2:3]
	ds_read2st64_b64 v[2:5], v10 offset0:6 offset1:7
	s_waitcnt lgkmcnt(0)
	v_fma_f64 v[2:3], -v[78:79], v[2:3], v[8:9]
	v_fma_f64 v[2:3], -v[80:81], v[36:37], v[2:3]
	v_fma_f64 v[2:3], -v[82:83], v[4:5], v[2:3]
	;; [unrolled: 6-line block ×5, first 2 shown]
	v_fma_f64 v[8:9], -v[108:109], v[26:27], v[2:3]
	ds_read2st64_b64 v[2:5], v10 offset0:14 offset1:15
	s_waitcnt lgkmcnt(0)
	v_fma_f64 v[2:3], -v[110:111], v[2:3], v[8:9]
	v_fma_f64 v[2:3], -v[6:7], v[24:25], v[2:3]
	v_mul_f64 v[2:3], v[4:5], v[2:3]
	ds_write2_b64 v112, v[6:7], v[2:3] offset0:192 offset1:224
.LBB104_39:
	s_cmp_lt_i32 s7, s22
	s_cbranch_scc0 .LBB104_50
; %bb.40:
	s_or_b32 s6, s7, 27
	s_cmp_ge_u32 s6, s22
	s_cbranch_scc1 .LBB104_45
; %bb.41:
	s_lshl_b32 s8, s7, 8
	v_add_u32_e32 v54, s8, v1
	v_add_u32_e32 v2, 0x800, v54
	ds_read2_b64 v[50:53], v54 offset1:32
	ds_read2_b64 v[46:49], v54 offset0:64 offset1:96
	ds_read2_b64 v[42:45], v54 offset0:128 offset1:160
	ds_read2_b64 v[38:41], v54 offset0:192 offset1:224
	ds_read2_b64 v[34:37], v2 offset1:32
	ds_read2_b64 v[30:33], v2 offset0:64 offset1:96
	ds_read2_b64 v[26:29], v2 offset0:128 offset1:160
	;; [unrolled: 1-line block ×3, first 2 shown]
	v_add_u32_e32 v2, 0x1000, v54
	ds_read2_b64 v[18:21], v2 offset1:32
	ds_read2_b64 v[14:17], v2 offset0:64 offset1:96
	ds_read2_b64 v[10:13], v2 offset0:128 offset1:160
	;; [unrolled: 1-line block ×3, first 2 shown]
	v_add_u32_e32 v2, 0x1800, v54
	s_lshl_b32 s9, s6, 8
	ds_read2_b64 v[2:5], v2 offset1:32
	v_add_u32_e32 v88, s9, v1
	ds_read_b64 v[84:85], v54 offset:6656
	ds_read_b64 v[82:83], v88
	s_andn2_b64 vcc, exec, s[4:5]
	s_lshl_b32 s5, s7, 3
	s_cbranch_vccnz .LBB104_44
; %bb.42:
	v_mov_b32_e32 v55, 0x2000
	v_lshl_or_b32 v55, v0, 3, v55
	s_mov_b32 s4, s5
	s_mov_b32 s9, s7
.LBB104_43:                             ; =>This Inner Loop Header: Depth=1
	v_mov_b32_e32 v86, s4
	ds_read_b64 v[80:81], v55
	ds_read_b128 v[56:59], v86
	ds_read_b128 v[60:63], v86 offset:16
	ds_read_b128 v[64:67], v86 offset:32
	;; [unrolled: 1-line block ×13, first 2 shown]
	s_add_i32 s9, s9, -1
	s_addk_i32 s4, 0x100
	v_add_u32_e32 v55, 0x100, v55
	s_cmp_lg_u32 s9, 0
	s_waitcnt lgkmcnt(13)
	v_fma_f64 v[50:51], -v[80:81], v[56:57], v[50:51]
	v_fma_f64 v[52:53], -v[80:81], v[58:59], v[52:53]
	s_waitcnt lgkmcnt(12)
	v_fma_f64 v[46:47], -v[80:81], v[60:61], v[46:47]
	v_fma_f64 v[48:49], -v[80:81], v[62:63], v[48:49]
	;; [unrolled: 3-line block ×14, first 2 shown]
	s_cbranch_scc1 .LBB104_43
.LBB104_44:
	s_add_i32 s9, s5, s8
	v_mov_b32_e32 v101, s9
	ds_read_b128 v[56:59], v101
	ds_read_b128 v[62:65], v101 offset:16
	ds_read_b128 v[70:73], v101 offset:32
	s_or_b32 s12, s8, 0x100
	s_or_b32 s13, s8, 0x200
	s_waitcnt lgkmcnt(2)
	v_mul_f64 v[86:87], v[56:57], v[50:51]
	ds_write_b64 v54, v[86:87]
	v_fma_f64 v[54:55], -v[86:87], v[58:59], v[52:53]
	ds_read2_b64 v[50:53], v101 offset0:33 offset1:34
	s_waitcnt lgkmcnt(3)
	v_fma_f64 v[46:47], -v[86:87], v[62:63], v[46:47]
	s_waitcnt lgkmcnt(2)
	v_fma_f64 v[42:43], -v[86:87], v[70:71], v[42:43]
	s_or_b32 s4, s7, 28
	s_waitcnt lgkmcnt(0)
	v_mul_f64 v[60:61], v[50:51], v[54:55]
	v_add_u32_e32 v50, s12, v1
	ds_write_b64 v50, v[60:61]
	v_fma_f64 v[46:47], -v[60:61], v[52:53], v[46:47]
	ds_read_b128 v[50:53], v101 offset:528
	s_add_i32 s12, s5, s12
	v_mov_b32_e32 v96, s12
	s_add_i32 s12, s5, s13
	v_mov_b32_e32 v102, s12
	s_waitcnt lgkmcnt(0)
	v_mul_f64 v[68:69], v[50:51], v[46:47]
	v_add_u32_e32 v46, s13, v1
	ds_write_b64 v46, v[68:69]
	v_fma_f64 v[50:51], -v[86:87], v[64:65], v[48:49]
	ds_read2_b64 v[46:49], v96 offset0:3 offset1:4
	s_or_b32 s13, s8, 0x300
	s_add_i32 s12, s5, s13
	v_mov_b32_e32 v97, s12
	s_waitcnt lgkmcnt(0)
	v_fma_f64 v[46:47], -v[60:61], v[46:47], v[50:51]
	v_fma_f64 v[46:47], -v[68:69], v[52:53], v[46:47]
	ds_read2_b64 v[50:53], v101 offset0:99 offset1:100
	v_fma_f64 v[42:43], -v[60:61], v[48:49], v[42:43]
	s_waitcnt lgkmcnt(0)
	v_mul_f64 v[66:67], v[50:51], v[46:47]
	v_add_u32_e32 v46, s13, v1
	ds_write_b64 v46, v[66:67]
	ds_read_b128 v[46:49], v102 offset:32
	s_or_b32 s13, s8, 0x400
	s_add_i32 s12, s5, s13
	v_mov_b32_e32 v103, s12
	s_waitcnt lgkmcnt(0)
	v_fma_f64 v[42:43], -v[68:69], v[46:47], v[42:43]
	v_fma_f64 v[42:43], -v[66:67], v[52:53], v[42:43]
	ds_read_b128 v[50:53], v101 offset:1056
	v_fma_f64 v[46:47], -v[86:87], v[72:73], v[44:45]
	s_waitcnt lgkmcnt(0)
	v_mul_f64 v[70:71], v[50:51], v[42:43]
	v_add_u32_e32 v42, s13, v1
	ds_write_b64 v42, v[70:71]
	ds_read2_b64 v[42:45], v96 offset0:5 offset1:6
	s_or_b32 s13, s8, 0x500
	s_add_i32 s12, s5, s13
	v_mov_b32_e32 v98, s12
	s_waitcnt lgkmcnt(0)
	v_fma_f64 v[42:43], -v[60:61], v[42:43], v[46:47]
	v_fma_f64 v[42:43], -v[68:69], v[48:49], v[42:43]
	ds_read2_b64 v[46:49], v97 offset0:5 offset1:6
	s_waitcnt lgkmcnt(0)
	v_fma_f64 v[42:43], -v[66:67], v[46:47], v[42:43]
	v_fma_f64 v[42:43], -v[70:71], v[52:53], v[42:43]
	ds_read2_b64 v[50:53], v101 offset0:165 offset1:166
	s_waitcnt lgkmcnt(0)
	v_mul_f64 v[72:73], v[50:51], v[42:43]
	v_add_u32_e32 v42, s13, v1
	ds_write_b64 v42, v[72:73]
	ds_read_b128 v[54:57], v101 offset:48
	ds_read_b128 v[62:65], v101 offset:64
	s_or_b32 s13, s8, 0x600
	s_add_i32 s12, s5, s13
	s_waitcnt lgkmcnt(1)
	v_fma_f64 v[38:39], -v[86:87], v[54:55], v[38:39]
	v_fma_f64 v[38:39], -v[60:61], v[44:45], v[38:39]
	ds_read_b128 v[42:45], v102 offset:48
	ds_read_b128 v[90:93], v102 offset:64
	s_waitcnt lgkmcnt(2)
	v_fma_f64 v[34:35], -v[86:87], v[62:63], v[34:35]
	s_waitcnt lgkmcnt(1)
	v_fma_f64 v[38:39], -v[68:69], v[42:43], v[38:39]
	v_fma_f64 v[38:39], -v[66:67], v[48:49], v[38:39]
	ds_read_b128 v[46:49], v103 offset:48
	ds_read_b128 v[104:107], v103 offset:64
	v_fma_f64 v[42:43], -v[86:87], v[56:57], v[40:41]
	ds_read_b128 v[54:57], v101 offset:80
	ds_read_b128 v[108:111], v101 offset:128
	s_waitcnt lgkmcnt(3)
	v_fma_f64 v[38:39], -v[70:71], v[46:47], v[38:39]
	v_fma_f64 v[38:39], -v[72:73], v[52:53], v[38:39]
	ds_read_b128 v[50:53], v101 offset:1584
	s_waitcnt lgkmcnt(2)
	v_fma_f64 v[30:31], -v[86:87], v[54:55], v[30:31]
	s_waitcnt lgkmcnt(1)
	v_fma_f64 v[18:19], -v[86:87], v[108:109], v[18:19]
	ds_read_b128 v[112:115], v101 offset:144
	ds_read_b128 v[132:135], v101 offset:192
	s_waitcnt lgkmcnt(2)
	v_mul_f64 v[76:77], v[50:51], v[38:39]
	v_add_u32_e32 v38, s13, v1
	ds_write_b64 v38, v[76:77]
	ds_read2_b64 v[38:41], v96 offset0:7 offset1:8
	s_or_b32 s13, s8, 0x700
	s_waitcnt lgkmcnt(3)
	v_fma_f64 v[14:15], -v[86:87], v[112:113], v[14:15]
	s_waitcnt lgkmcnt(2)
	v_fma_f64 v[2:3], -v[86:87], v[132:133], v[2:3]
	ds_read_b128 v[144:147], v101 offset:208
	s_waitcnt lgkmcnt(1)
	v_fma_f64 v[38:39], -v[60:61], v[38:39], v[42:43]
	v_fma_f64 v[38:39], -v[68:69], v[44:45], v[38:39]
	ds_read2_b64 v[42:45], v97 offset0:7 offset1:8
	v_fma_f64 v[34:35], -v[60:61], v[40:41], v[34:35]
	v_fma_f64 v[34:35], -v[68:69], v[90:91], v[34:35]
	s_waitcnt lgkmcnt(0)
	v_fma_f64 v[38:39], -v[66:67], v[42:43], v[38:39]
	v_fma_f64 v[38:39], -v[70:71], v[48:49], v[38:39]
	ds_read2_b64 v[46:49], v98 offset0:7 offset1:8
	v_fma_f64 v[34:35], -v[66:67], v[44:45], v[34:35]
	ds_read_b128 v[42:45], v101 offset:2112
	v_fma_f64 v[34:35], -v[70:71], v[104:105], v[34:35]
	v_mov_b32_e32 v104, s12
	s_waitcnt lgkmcnt(1)
	v_fma_f64 v[38:39], -v[72:73], v[46:47], v[38:39]
	v_fma_f64 v[38:39], -v[76:77], v[52:53], v[38:39]
	ds_read2_b64 v[50:53], v101 offset0:231 offset1:232
	v_fma_f64 v[34:35], -v[72:73], v[48:49], v[34:35]
	s_add_i32 s12, s5, s13
	ds_read2_b64 v[46:49], v97 offset0:9 offset1:10
	v_mov_b32_e32 v100, s12
	s_waitcnt lgkmcnt(1)
	v_mul_f64 v[78:79], v[50:51], v[38:39]
	v_add_u32_e32 v38, s13, v1
	ds_write_b64 v38, v[78:79]
	ds_read_b128 v[38:41], v104 offset:64
	s_or_b32 s13, s8, 0x800
	s_add_i32 s12, s5, s13
	v_mov_b32_e32 v105, s12
	s_waitcnt lgkmcnt(0)
	v_fma_f64 v[34:35], -v[76:77], v[38:39], v[34:35]
	v_fma_f64 v[34:35], -v[78:79], v[52:53], v[34:35]
	v_mul_f64 v[80:81], v[42:43], v[34:35]
	v_add_u32_e32 v34, s13, v1
	ds_write_b64 v34, v[80:81]
	v_fma_f64 v[38:39], -v[86:87], v[64:65], v[36:37]
	ds_read2_b64 v[34:37], v96 offset0:9 offset1:10
	ds_read2_b64 v[50:53], v98 offset0:9 offset1:10
	s_add_i32 s13, s9, 0x948
	ds_read_b128 v[62:65], v101 offset:96
	s_waitcnt lgkmcnt(2)
	v_fma_f64 v[34:35], -v[60:61], v[34:35], v[38:39]
	v_fma_f64 v[34:35], -v[68:69], v[92:93], v[34:35]
	;; [unrolled: 1-line block ×4, first 2 shown]
	s_waitcnt lgkmcnt(1)
	v_fma_f64 v[34:35], -v[72:73], v[50:51], v[34:35]
	v_fma_f64 v[34:35], -v[76:77], v[40:41], v[34:35]
	ds_read2_b64 v[38:41], v100 offset0:9 offset1:10
	v_fma_f64 v[30:31], -v[60:61], v[36:37], v[30:31]
	s_waitcnt lgkmcnt(1)
	v_fma_f64 v[26:27], -v[86:87], v[62:63], v[26:27]
	ds_read_b128 v[92:95], v101 offset:112
	s_waitcnt lgkmcnt(1)
	v_fma_f64 v[34:35], -v[78:79], v[38:39], v[34:35]
	v_mov_b32_e32 v38, s13
	v_fma_f64 v[34:35], -v[80:81], v[44:45], v[34:35]
	ds_read2_b64 v[42:45], v38 offset1:1
	s_or_b32 s13, s8, 0x900
	v_add_u32_e32 v38, s13, v1
	s_add_i32 s12, s5, s13
	s_or_b32 s13, s8, 0xa00
	s_waitcnt lgkmcnt(0)
	v_mul_f64 v[34:35], v[42:43], v[34:35]
	ds_write_b64 v38, v[34:35]
	ds_read_b128 v[36:39], v102 offset:80
	v_mov_b32_e32 v89, s12
	s_add_i32 s12, s5, s13
	v_mov_b32_e32 v106, s12
	v_fma_f64 v[22:23], -v[86:87], v[92:93], v[22:23]
	s_waitcnt lgkmcnt(0)
	v_fma_f64 v[30:31], -v[68:69], v[36:37], v[30:31]
	v_fma_f64 v[30:31], -v[66:67], v[48:49], v[30:31]
	ds_read_b128 v[46:49], v103 offset:80
	s_waitcnt lgkmcnt(0)
	v_fma_f64 v[30:31], -v[70:71], v[46:47], v[30:31]
	v_fma_f64 v[30:31], -v[72:73], v[52:53], v[30:31]
	ds_read_b128 v[50:53], v104 offset:80
	;; [unrolled: 4-line block ×4, first 2 shown]
	s_waitcnt lgkmcnt(0)
	v_mul_f64 v[36:37], v[44:45], v[30:31]
	v_add_u32_e32 v30, s13, v1
	ds_write_b64 v30, v[36:37]
	v_fma_f64 v[30:31], -v[86:87], v[56:57], v[32:33]
	ds_read2_b64 v[54:57], v96 offset0:11 offset1:12
	s_add_i32 s13, s9, 0xb58
	v_mov_b32_e32 v32, s13
	s_or_b32 s13, s8, 0xb00
	s_add_i32 s12, s5, s13
	s_waitcnt lgkmcnt(0)
	v_fma_f64 v[30:31], -v[60:61], v[54:55], v[30:31]
	v_fma_f64 v[30:31], -v[68:69], v[38:39], v[30:31]
	ds_read2_b64 v[38:41], v97 offset0:11 offset1:12
	v_fma_f64 v[26:27], -v[60:61], v[56:57], v[26:27]
	ds_read_b128 v[56:59], v102 offset:96
	v_mov_b32_e32 v90, s12
	s_addk_i32 s9, 0xd68
	s_waitcnt lgkmcnt(1)
	v_fma_f64 v[30:31], -v[66:67], v[38:39], v[30:31]
	v_fma_f64 v[30:31], -v[70:71], v[48:49], v[30:31]
	ds_read2_b64 v[48:51], v98 offset0:11 offset1:12
	s_waitcnt lgkmcnt(1)
	v_fma_f64 v[26:27], -v[68:69], v[56:57], v[26:27]
	v_fma_f64 v[26:27], -v[66:67], v[40:41], v[26:27]
	ds_read_b128 v[38:41], v103 offset:96
	ds_read2_b64 v[136:139], v90 offset0:25 offset1:26
	s_waitcnt lgkmcnt(2)
	v_fma_f64 v[30:31], -v[72:73], v[48:49], v[30:31]
	v_fma_f64 v[30:31], -v[76:77], v[52:53], v[30:31]
	ds_read2_b64 v[52:55], v100 offset0:11 offset1:12
	s_waitcnt lgkmcnt(2)
	v_fma_f64 v[26:27], -v[70:71], v[38:39], v[26:27]
	v_fma_f64 v[26:27], -v[72:73], v[50:51], v[26:27]
	s_waitcnt lgkmcnt(0)
	v_fma_f64 v[30:31], -v[78:79], v[52:53], v[30:31]
	v_fma_f64 v[30:31], -v[80:81], v[42:43], v[30:31]
	ds_read2_b64 v[42:45], v89 offset0:11 offset1:12
	ds_read_b128 v[50:53], v104 offset:96
	s_waitcnt lgkmcnt(1)
	v_fma_f64 v[30:31], -v[34:35], v[42:43], v[30:31]
	s_waitcnt lgkmcnt(0)
	v_fma_f64 v[26:27], -v[76:77], v[50:51], v[26:27]
	v_fma_f64 v[26:27], -v[78:79], v[54:55], v[26:27]
	ds_read_b128 v[54:57], v105 offset:96
	v_fma_f64 v[30:31], -v[36:37], v[46:47], v[30:31]
	ds_read2_b64 v[46:49], v32 offset1:1
	s_waitcnt lgkmcnt(1)
	v_fma_f64 v[26:27], -v[80:81], v[54:55], v[26:27]
	v_fma_f64 v[26:27], -v[34:35], v[44:45], v[26:27]
	ds_read_b128 v[42:45], v106 offset:96
	s_waitcnt lgkmcnt(1)
	v_mul_f64 v[32:33], v[46:47], v[30:31]
	v_add_u32_e32 v30, s13, v1
	s_or_b32 s13, s8, 0xc00
	ds_write_b64 v30, v[32:33]
	s_waitcnt lgkmcnt(1)
	v_fma_f64 v[26:27], -v[36:37], v[42:43], v[26:27]
	v_fma_f64 v[26:27], -v[32:33], v[48:49], v[26:27]
	ds_read_b128 v[46:49], v101 offset:3168
	v_fma_f64 v[30:31], -v[86:87], v[64:65], v[28:29]
	ds_read2_b64 v[62:65], v97 offset0:13 offset1:14
	s_add_i32 s12, s5, s13
	v_mov_b32_e32 v107, s12
	s_waitcnt lgkmcnt(1)
	v_mul_f64 v[38:39], v[46:47], v[26:27]
	v_add_u32_e32 v26, s13, v1
	ds_write_b64 v26, v[38:39]
	ds_read2_b64 v[26:29], v96 offset0:13 offset1:14
	s_waitcnt lgkmcnt(0)
	v_fma_f64 v[26:27], -v[60:61], v[26:27], v[30:31]
	v_fma_f64 v[26:27], -v[68:69], v[58:59], v[26:27]
	;; [unrolled: 1-line block ×4, first 2 shown]
	ds_read2_b64 v[40:43], v98 offset0:13 offset1:14
	v_mov_b32_e32 v30, s9
	s_or_b32 s9, s8, 0xd00
	v_fma_f64 v[22:23], -v[60:61], v[28:29], v[22:23]
	s_or_b32 s8, s8, 0xe00
	s_waitcnt lgkmcnt(0)
	v_fma_f64 v[26:27], -v[72:73], v[40:41], v[26:27]
	v_fma_f64 v[26:27], -v[76:77], v[52:53], v[26:27]
	ds_read2_b64 v[50:53], v100 offset0:13 offset1:14
	s_waitcnt lgkmcnt(0)
	v_fma_f64 v[26:27], -v[78:79], v[50:51], v[26:27]
	v_fma_f64 v[26:27], -v[80:81], v[56:57], v[26:27]
	ds_read2_b64 v[54:57], v89 offset0:13 offset1:14
	;; [unrolled: 4-line block ×3, first 2 shown]
	s_waitcnt lgkmcnt(0)
	v_fma_f64 v[26:27], -v[32:33], v[44:45], v[26:27]
	v_fma_f64 v[26:27], -v[38:39], v[48:49], v[26:27]
	ds_read2_b64 v[48:51], v30 offset1:1
	s_waitcnt lgkmcnt(0)
	v_mul_f64 v[40:41], v[48:49], v[26:27]
	v_add_u32_e32 v26, s9, v1
	ds_write_b64 v26, v[40:41]
	ds_read_b128 v[26:29], v102 offset:112
	s_add_i32 s9, s5, s9
	v_mov_b32_e32 v91, s9
	s_or_b32 s9, s7, 15
	s_mul_i32 s12, s9, 0x108
	s_waitcnt lgkmcnt(0)
	v_fma_f64 v[22:23], -v[68:69], v[26:27], v[22:23]
	v_fma_f64 v[22:23], -v[66:67], v[64:65], v[22:23]
	ds_read_b128 v[62:65], v103 offset:112
	v_fma_f64 v[26:27], -v[86:87], v[94:95], v[24:25]
	ds_read2_b64 v[92:95], v90 offset0:15 offset1:16
	s_lshl_b32 s9, s9, 8
	ds_read2_b64 v[140:143], v91 offset0:25 offset1:26
	s_waitcnt lgkmcnt(2)
	v_fma_f64 v[22:23], -v[70:71], v[62:63], v[22:23]
	v_fma_f64 v[22:23], -v[72:73], v[42:43], v[22:23]
	ds_read_b128 v[42:45], v104 offset:112
	s_waitcnt lgkmcnt(0)
	v_fma_f64 v[22:23], -v[76:77], v[42:43], v[22:23]
	v_fma_f64 v[22:23], -v[78:79], v[52:53], v[22:23]
	ds_read_b128 v[52:55], v105 offset:112
	;; [unrolled: 4-line block ×5, first 2 shown]
	s_waitcnt lgkmcnt(0)
	v_mul_f64 v[42:43], v[50:51], v[22:23]
	v_add_u32_e32 v22, s8, v1
	ds_write_b64 v22, v[42:43]
	ds_read2_b64 v[22:25], v96 offset0:15 offset1:16
	s_add_i32 s8, s5, s8
	v_mov_b32_e32 v148, s8
	s_add_i32 s8, s5, s9
	ds_read_b128 v[116:119], v148 offset:144
	s_waitcnt lgkmcnt(1)
	v_fma_f64 v[22:23], -v[60:61], v[22:23], v[26:27]
	v_fma_f64 v[22:23], -v[68:69], v[28:29], v[22:23]
	ds_read2_b64 v[26:29], v97 offset0:15 offset1:16
	v_fma_f64 v[18:19], -v[60:61], v[24:25], v[18:19]
	ds_read_b128 v[128:131], v148 offset:176
	s_waitcnt lgkmcnt(1)
	v_fma_f64 v[22:23], -v[66:67], v[26:27], v[22:23]
	v_fma_f64 v[22:23], -v[70:71], v[64:65], v[22:23]
	ds_read2_b64 v[62:65], v98 offset0:15 offset1:16
	v_mov_b32_e32 v26, s12
	s_waitcnt lgkmcnt(0)
	v_fma_f64 v[22:23], -v[72:73], v[62:63], v[22:23]
	v_fma_f64 v[22:23], -v[76:77], v[44:45], v[22:23]
	ds_read2_b64 v[44:47], v100 offset0:15 offset1:16
	s_waitcnt lgkmcnt(0)
	v_fma_f64 v[22:23], -v[78:79], v[44:45], v[22:23]
	v_fma_f64 v[22:23], -v[80:81], v[54:55], v[22:23]
	ds_read2_b64 v[54:57], v89 offset0:15 offset1:16
	s_waitcnt lgkmcnt(0)
	v_fma_f64 v[22:23], -v[34:35], v[54:55], v[22:23]
	v_fma_f64 v[22:23], -v[36:37], v[58:59], v[22:23]
	;; [unrolled: 1-line block ×4, first 2 shown]
	ds_read2_b64 v[48:51], v91 offset0:15 offset1:16
	s_waitcnt lgkmcnt(0)
	v_fma_f64 v[22:23], -v[40:41], v[48:49], v[22:23]
	v_fma_f64 v[22:23], -v[42:43], v[52:53], v[22:23]
	ds_read2_b64 v[52:55], v26 offset1:1
	s_waitcnt lgkmcnt(0)
	v_mul_f64 v[44:45], v[52:53], v[22:23]
	v_add_u32_e32 v22, s9, v1
	ds_write_b64 v22, v[44:45]
	ds_read_b128 v[22:25], v102 offset:128
	s_or_b32 s9, s7, 16
	s_mul_i32 s12, s9, 0x108
	s_lshl_b32 s9, s9, 8
	s_waitcnt lgkmcnt(0)
	v_fma_f64 v[18:19], -v[68:69], v[22:23], v[18:19]
	v_fma_f64 v[18:19], -v[66:67], v[28:29], v[18:19]
	ds_read_b128 v[26:29], v103 offset:128
	v_mov_b32_e32 v22, s12
	s_waitcnt lgkmcnt(0)
	v_fma_f64 v[18:19], -v[70:71], v[26:27], v[18:19]
	v_fma_f64 v[18:19], -v[72:73], v[64:65], v[18:19]
	ds_read_b128 v[62:65], v104 offset:128
	s_waitcnt lgkmcnt(0)
	v_fma_f64 v[18:19], -v[76:77], v[62:63], v[18:19]
	v_fma_f64 v[18:19], -v[78:79], v[46:47], v[18:19]
	ds_read_b128 v[46:49], v105 offset:128
	;; [unrolled: 4-line block ×5, first 2 shown]
	s_waitcnt lgkmcnt(0)
	v_fma_f64 v[18:19], -v[42:43], v[50:51], v[18:19]
	v_fma_f64 v[18:19], -v[44:45], v[54:55], v[18:19]
	ds_read_b128 v[54:57], v22
	v_fma_f64 v[22:23], -v[86:87], v[110:111], v[20:21]
	ds_read2_b64 v[108:111], v90 offset0:17 offset1:18
	s_waitcnt lgkmcnt(1)
	v_mul_f64 v[46:47], v[54:55], v[18:19]
	v_add_u32_e32 v18, s9, v1
	ds_write_b64 v18, v[46:47]
	ds_read2_b64 v[18:21], v96 offset0:17 offset1:18
	s_waitcnt lgkmcnt(0)
	v_fma_f64 v[18:19], -v[60:61], v[18:19], v[22:23]
	v_fma_f64 v[18:19], -v[68:69], v[24:25], v[18:19]
	ds_read2_b64 v[22:25], v97 offset0:17 offset1:18
	v_fma_f64 v[14:15], -v[60:61], v[20:21], v[14:15]
	s_waitcnt lgkmcnt(0)
	v_fma_f64 v[18:19], -v[66:67], v[22:23], v[18:19]
	v_fma_f64 v[18:19], -v[70:71], v[28:29], v[18:19]
	ds_read2_b64 v[26:29], v98 offset0:17 offset1:18
	s_waitcnt lgkmcnt(0)
	v_fma_f64 v[18:19], -v[72:73], v[26:27], v[18:19]
	v_fma_f64 v[18:19], -v[76:77], v[64:65], v[18:19]
	ds_read2_b64 v[62:65], v100 offset0:17 offset1:18
	;; [unrolled: 4-line block ×3, first 2 shown]
	s_waitcnt lgkmcnt(0)
	v_fma_f64 v[18:19], -v[34:35], v[48:49], v[18:19]
	v_fma_f64 v[18:19], -v[36:37], v[58:59], v[18:19]
	;; [unrolled: 1-line block ×4, first 2 shown]
	ds_read2_b64 v[92:95], v91 offset0:17 offset1:18
	s_waitcnt lgkmcnt(0)
	v_fma_f64 v[18:19], -v[40:41], v[92:93], v[18:19]
	v_mov_b32_e32 v92, s8
	v_fma_f64 v[18:19], -v[42:43], v[52:53], v[18:19]
	ds_read2_b64 v[52:55], v92 offset0:17 offset1:18
	s_add_i32 s8, s5, s9
	s_or_b32 s9, s7, 17
	s_mul_i32 s12, s9, 0x108
	v_mov_b32_e32 v22, s12
	s_waitcnt lgkmcnt(0)
	v_fma_f64 v[18:19], -v[44:45], v[52:53], v[18:19]
	v_fma_f64 v[18:19], -v[46:47], v[56:57], v[18:19]
	ds_read2_b64 v[56:59], v22 offset1:1
	s_lshl_b32 s9, s9, 8
	v_mov_b32_e32 v149, s8
	s_add_i32 s8, s5, s9
	v_mov_b32_e32 v93, s8
	s_waitcnt lgkmcnt(0)
	v_mul_f64 v[48:49], v[56:57], v[18:19]
	v_add_u32_e32 v18, s9, v1
	ds_write_b64 v18, v[48:49]
	ds_read_b128 v[18:21], v102 offset:144
	s_or_b32 s9, s7, 18
	s_mul_i32 s12, s9, 0x108
	s_lshl_b32 s9, s9, 8
	s_add_i32 s8, s5, s9
	s_waitcnt lgkmcnt(0)
	v_fma_f64 v[14:15], -v[68:69], v[18:19], v[14:15]
	v_fma_f64 v[14:15], -v[66:67], v[24:25], v[14:15]
	ds_read_b128 v[22:25], v103 offset:144
	v_mov_b32_e32 v18, s12
	ds_read_b128 v[120:123], v18
	v_fma_f64 v[18:19], -v[86:87], v[114:115], v[16:17]
	v_mov_b32_e32 v150, s8
	s_waitcnt lgkmcnt(1)
	v_fma_f64 v[14:15], -v[70:71], v[22:23], v[14:15]
	v_fma_f64 v[14:15], -v[72:73], v[28:29], v[14:15]
	ds_read_b128 v[26:29], v104 offset:144
	ds_read_b128 v[124:127], v150 offset:160
	ds_read2_b64 v[112:115], v92 offset0:19 offset1:20
	s_waitcnt lgkmcnt(2)
	v_fma_f64 v[14:15], -v[76:77], v[26:27], v[14:15]
	v_fma_f64 v[14:15], -v[78:79], v[64:65], v[14:15]
	ds_read_b128 v[62:65], v105 offset:144
	s_waitcnt lgkmcnt(0)
	v_fma_f64 v[14:15], -v[80:81], v[62:63], v[14:15]
	v_fma_f64 v[14:15], -v[34:35], v[50:51], v[14:15]
	ds_read_b128 v[50:53], v106 offset:144
	;; [unrolled: 4-line block ×3, first 2 shown]
	s_waitcnt lgkmcnt(0)
	v_fma_f64 v[14:15], -v[38:39], v[108:109], v[14:15]
	v_fma_f64 v[14:15], -v[40:41], v[94:95], v[14:15]
	;; [unrolled: 1-line block ×4, first 2 shown]
	ds_read_b128 v[54:57], v149 offset:144
	s_waitcnt lgkmcnt(0)
	v_fma_f64 v[14:15], -v[46:47], v[54:55], v[14:15]
	v_fma_f64 v[14:15], -v[48:49], v[58:59], v[14:15]
	v_mul_f64 v[50:51], v[120:121], v[14:15]
	v_add_u32_e32 v14, s9, v1
	ds_write_b64 v14, v[50:51]
	ds_read2_b64 v[14:17], v96 offset0:19 offset1:20
	s_or_b32 s9, s7, 19
	s_mul_i32 s12, s9, 0x108
	s_lshl_b32 s9, s9, 8
	s_add_i32 s8, s5, s9
	s_waitcnt lgkmcnt(0)
	v_fma_f64 v[14:15], -v[60:61], v[14:15], v[18:19]
	v_fma_f64 v[14:15], -v[68:69], v[20:21], v[14:15]
	ds_read2_b64 v[18:21], v97 offset0:19 offset1:20
	v_mov_b32_e32 v94, s8
	s_waitcnt lgkmcnt(0)
	v_fma_f64 v[14:15], -v[66:67], v[18:19], v[14:15]
	v_fma_f64 v[14:15], -v[70:71], v[24:25], v[14:15]
	ds_read2_b64 v[22:25], v98 offset0:19 offset1:20
	v_mov_b32_e32 v18, s12
	s_waitcnt lgkmcnt(0)
	v_fma_f64 v[14:15], -v[72:73], v[22:23], v[14:15]
	v_fma_f64 v[14:15], -v[76:77], v[28:29], v[14:15]
	ds_read2_b64 v[26:29], v100 offset0:19 offset1:20
	s_waitcnt lgkmcnt(0)
	v_fma_f64 v[14:15], -v[78:79], v[26:27], v[14:15]
	v_fma_f64 v[14:15], -v[80:81], v[64:65], v[14:15]
	ds_read2_b64 v[62:65], v89 offset0:19 offset1:20
	;; [unrolled: 4-line block ×4, first 2 shown]
	s_waitcnt lgkmcnt(0)
	v_fma_f64 v[14:15], -v[40:41], v[108:109], v[14:15]
	v_fma_f64 v[14:15], -v[42:43], v[118:119], v[14:15]
	ds_read2_b64 v[116:119], v18 offset1:1
	v_fma_f64 v[14:15], -v[44:45], v[112:113], v[14:15]
	v_fma_f64 v[14:15], -v[46:47], v[56:57], v[14:15]
	ds_read2_b64 v[56:59], v93 offset0:19 offset1:20
	s_waitcnt lgkmcnt(0)
	v_fma_f64 v[14:15], -v[48:49], v[56:57], v[14:15]
	v_fma_f64 v[14:15], -v[50:51], v[122:123], v[14:15]
	ds_read_b128 v[120:123], v101 offset:160
	v_mul_f64 v[52:53], v[116:117], v[14:15]
	v_add_u32_e32 v14, s9, v1
	ds_write_b64 v14, v[52:53]
	s_or_b32 s9, s7, 20
	s_waitcnt lgkmcnt(1)
	v_fma_f64 v[10:11], -v[86:87], v[120:121], v[10:11]
	v_fma_f64 v[10:11], -v[60:61], v[16:17], v[10:11]
	ds_read_b128 v[14:17], v102 offset:160
	s_mul_i32 s12, s9, 0x108
	s_lshl_b32 s9, s9, 8
	s_add_i32 s8, s5, s9
	v_mov_b32_e32 v151, s8
	s_waitcnt lgkmcnt(0)
	v_fma_f64 v[10:11], -v[68:69], v[14:15], v[10:11]
	v_fma_f64 v[10:11], -v[66:67], v[20:21], v[10:11]
	ds_read_b128 v[18:21], v103 offset:160
	v_mov_b32_e32 v14, s12
	s_waitcnt lgkmcnt(0)
	v_fma_f64 v[10:11], -v[70:71], v[18:19], v[10:11]
	v_fma_f64 v[10:11], -v[72:73], v[24:25], v[10:11]
	ds_read_b128 v[22:25], v104 offset:160
	s_waitcnt lgkmcnt(0)
	v_fma_f64 v[10:11], -v[76:77], v[22:23], v[10:11]
	v_fma_f64 v[10:11], -v[78:79], v[28:29], v[10:11]
	ds_read_b128 v[26:29], v105 offset:160
	;; [unrolled: 4-line block ×6, first 2 shown]
	s_waitcnt lgkmcnt(0)
	v_fma_f64 v[10:11], -v[46:47], v[112:113], v[10:11]
	v_fma_f64 v[10:11], -v[48:49], v[58:59], v[10:11]
	;; [unrolled: 1-line block ×4, first 2 shown]
	ds_read_b128 v[116:119], v14
	v_fma_f64 v[14:15], -v[86:87], v[122:123], v[12:13]
	ds_read2_b64 v[120:123], v94 offset0:21 offset1:22
	s_waitcnt lgkmcnt(1)
	v_mul_f64 v[54:55], v[116:117], v[10:11]
	v_add_u32_e32 v10, s9, v1
	ds_write_b64 v10, v[54:55]
	ds_read2_b64 v[10:13], v96 offset0:21 offset1:22
	s_or_b32 s9, s7, 21
	s_mul_i32 s12, s9, 0x108
	s_lshl_b32 s9, s9, 8
	s_add_i32 s8, s5, s9
	s_waitcnt lgkmcnt(0)
	v_fma_f64 v[10:11], -v[60:61], v[10:11], v[14:15]
	v_fma_f64 v[10:11], -v[68:69], v[16:17], v[10:11]
	ds_read2_b64 v[14:17], v97 offset0:21 offset1:22
	v_mov_b32_e32 v95, s8
	s_waitcnt lgkmcnt(0)
	v_fma_f64 v[10:11], -v[66:67], v[14:15], v[10:11]
	v_fma_f64 v[10:11], -v[70:71], v[20:21], v[10:11]
	ds_read2_b64 v[18:21], v98 offset0:21 offset1:22
	v_mov_b32_e32 v14, s12
	s_waitcnt lgkmcnt(0)
	v_fma_f64 v[10:11], -v[72:73], v[18:19], v[10:11]
	v_fma_f64 v[10:11], -v[76:77], v[24:25], v[10:11]
	ds_read2_b64 v[22:25], v100 offset0:21 offset1:22
	s_waitcnt lgkmcnt(0)
	v_fma_f64 v[10:11], -v[78:79], v[22:23], v[10:11]
	v_fma_f64 v[10:11], -v[80:81], v[28:29], v[10:11]
	ds_read2_b64 v[26:29], v89 offset0:21 offset1:22
	;; [unrolled: 4-line block ×6, first 2 shown]
	s_waitcnt lgkmcnt(0)
	v_fma_f64 v[10:11], -v[48:49], v[112:113], v[10:11]
	v_fma_f64 v[10:11], -v[50:51], v[126:127], v[10:11]
	;; [unrolled: 1-line block ×4, first 2 shown]
	ds_read2_b64 v[116:119], v14 offset1:1
	ds_read_b128 v[124:127], v101 offset:176
	s_waitcnt lgkmcnt(1)
	v_mul_f64 v[56:57], v[116:117], v[10:11]
	v_add_u32_e32 v10, s9, v1
	s_waitcnt lgkmcnt(0)
	v_fma_f64 v[6:7], -v[86:87], v[124:125], v[6:7]
	ds_write_b64 v10, v[56:57]
	v_fma_f64 v[6:7], -v[60:61], v[12:13], v[6:7]
	ds_read_b128 v[10:13], v102 offset:176
	s_or_b32 s9, s7, 22
	s_mul_i32 s12, s9, 0x108
	s_lshl_b32 s9, s9, 8
	s_add_i32 s8, s5, s9
	s_waitcnt lgkmcnt(0)
	v_fma_f64 v[6:7], -v[68:69], v[10:11], v[6:7]
	v_fma_f64 v[6:7], -v[66:67], v[16:17], v[6:7]
	ds_read_b128 v[14:17], v103 offset:176
	v_mov_b32_e32 v10, s12
	v_mov_b32_e32 v152, s8
	s_waitcnt lgkmcnt(0)
	v_fma_f64 v[6:7], -v[70:71], v[14:15], v[6:7]
	v_fma_f64 v[6:7], -v[72:73], v[20:21], v[6:7]
	ds_read_b128 v[18:21], v104 offset:176
	s_waitcnt lgkmcnt(0)
	v_fma_f64 v[6:7], -v[76:77], v[18:19], v[6:7]
	v_fma_f64 v[6:7], -v[78:79], v[24:25], v[6:7]
	ds_read_b128 v[22:25], v105 offset:176
	;; [unrolled: 4-line block ×4, first 2 shown]
	s_waitcnt lgkmcnt(0)
	v_fma_f64 v[6:7], -v[38:39], v[62:63], v[6:7]
	v_fma_f64 v[6:7], -v[40:41], v[58:59], v[6:7]
	;; [unrolled: 1-line block ×4, first 2 shown]
	ds_read_b128 v[108:111], v149 offset:176
	s_waitcnt lgkmcnt(0)
	v_fma_f64 v[6:7], -v[46:47], v[108:109], v[6:7]
	v_fma_f64 v[6:7], -v[48:49], v[114:115], v[6:7]
	ds_read_b128 v[112:115], v150 offset:176
	s_waitcnt lgkmcnt(0)
	v_fma_f64 v[6:7], -v[50:51], v[112:113], v[6:7]
	v_fma_f64 v[6:7], -v[52:53], v[122:123], v[6:7]
	;; [unrolled: 4-line block ×3, first 2 shown]
	ds_read_b128 v[116:119], v10
	v_fma_f64 v[10:11], -v[86:87], v[126:127], v[8:9]
	ds_read2_b64 v[124:127], v91 offset0:23 offset1:24
	s_waitcnt lgkmcnt(1)
	v_mul_f64 v[58:59], v[116:117], v[6:7]
	v_add_u32_e32 v6, s9, v1
	ds_write_b64 v6, v[58:59]
	ds_read2_b64 v[6:9], v96 offset0:23 offset1:24
	s_or_b32 s9, s7, 23
	s_mul_i32 s12, s9, 0x108
	s_lshl_b32 s9, s9, 8
	s_add_i32 s8, s5, s9
	s_waitcnt lgkmcnt(0)
	v_fma_f64 v[6:7], -v[60:61], v[6:7], v[10:11]
	v_fma_f64 v[6:7], -v[68:69], v[12:13], v[6:7]
	ds_read2_b64 v[10:13], v97 offset0:23 offset1:24
	v_fma_f64 v[2:3], -v[60:61], v[8:9], v[2:3]
	v_mov_b32_e32 v99, s8
	s_waitcnt lgkmcnt(0)
	v_fma_f64 v[6:7], -v[66:67], v[10:11], v[6:7]
	v_fma_f64 v[6:7], -v[70:71], v[16:17], v[6:7]
	ds_read2_b64 v[14:17], v98 offset0:23 offset1:24
	v_mov_b32_e32 v10, s12
	s_waitcnt lgkmcnt(0)
	v_fma_f64 v[6:7], -v[72:73], v[14:15], v[6:7]
	v_fma_f64 v[6:7], -v[76:77], v[20:21], v[6:7]
	ds_read2_b64 v[18:21], v100 offset0:23 offset1:24
	s_waitcnt lgkmcnt(0)
	v_fma_f64 v[6:7], -v[78:79], v[18:19], v[6:7]
	v_fma_f64 v[6:7], -v[80:81], v[24:25], v[6:7]
	ds_read2_b64 v[22:25], v89 offset0:23 offset1:24
	;; [unrolled: 4-line block ×3, first 2 shown]
	s_waitcnt lgkmcnt(0)
	v_fma_f64 v[6:7], -v[32:33], v[26:27], v[6:7]
	v_fma_f64 v[6:7], -v[38:39], v[64:65], v[6:7]
	;; [unrolled: 1-line block ×4, first 2 shown]
	ds_read2_b64 v[128:131], v92 offset0:23 offset1:24
	s_waitcnt lgkmcnt(0)
	v_fma_f64 v[6:7], -v[44:45], v[128:129], v[6:7]
	v_fma_f64 v[6:7], -v[46:47], v[110:111], v[6:7]
	ds_read2_b64 v[108:111], v93 offset0:23 offset1:24
	s_waitcnt lgkmcnt(0)
	v_fma_f64 v[6:7], -v[48:49], v[108:109], v[6:7]
	v_fma_f64 v[6:7], -v[50:51], v[114:115], v[6:7]
	;; [unrolled: 4-line block ×4, first 2 shown]
	ds_read2_b64 v[116:119], v10 offset1:1
	s_waitcnt lgkmcnt(0)
	v_mul_f64 v[64:65], v[116:117], v[6:7]
	v_add_u32_e32 v6, s9, v1
	ds_write_b64 v6, v[64:65]
	ds_read_b128 v[6:9], v102 offset:192
	s_or_b32 s9, s7, 24
	s_mul_i32 s12, s9, 0x108
	s_lshl_b32 s9, s9, 8
	s_add_i32 s8, s5, s9
	s_waitcnt lgkmcnt(0)
	v_fma_f64 v[2:3], -v[68:69], v[6:7], v[2:3]
	v_fma_f64 v[2:3], -v[66:67], v[12:13], v[2:3]
	ds_read_b128 v[10:13], v103 offset:192
	v_mov_b32_e32 v6, s12
	s_waitcnt lgkmcnt(0)
	v_fma_f64 v[2:3], -v[70:71], v[10:11], v[2:3]
	v_fma_f64 v[2:3], -v[72:73], v[16:17], v[2:3]
	ds_read_b128 v[14:17], v104 offset:192
	s_waitcnt lgkmcnt(0)
	v_fma_f64 v[2:3], -v[76:77], v[14:15], v[2:3]
	v_fma_f64 v[2:3], -v[78:79], v[20:21], v[2:3]
	ds_read_b128 v[18:21], v105 offset:192
	s_waitcnt lgkmcnt(0)
	v_fma_f64 v[2:3], -v[80:81], v[18:19], v[2:3]
	v_fma_f64 v[2:3], -v[34:35], v[24:25], v[2:3]
	ds_read_b128 v[22:25], v106 offset:192
	s_waitcnt lgkmcnt(0)
	v_fma_f64 v[2:3], -v[36:37], v[22:23], v[2:3]
	v_fma_f64 v[2:3], -v[32:33], v[28:29], v[2:3]
	ds_read_b128 v[26:29], v107 offset:192
	s_waitcnt lgkmcnt(0)
	v_fma_f64 v[2:3], -v[38:39], v[26:27], v[2:3]
	v_fma_f64 v[2:3], -v[40:41], v[126:127], v[2:3]
	ds_read_b128 v[124:127], v148 offset:192
	s_waitcnt lgkmcnt(0)
	v_fma_f64 v[2:3], -v[42:43], v[124:125], v[2:3]
	v_fma_f64 v[2:3], -v[44:45], v[130:131], v[2:3]
	ds_read_b128 v[128:131], v149 offset:192
	s_waitcnt lgkmcnt(0)
	v_fma_f64 v[2:3], -v[46:47], v[128:129], v[2:3]
	v_fma_f64 v[2:3], -v[48:49], v[110:111], v[2:3]
	ds_read_b128 v[108:111], v150 offset:192
	s_waitcnt lgkmcnt(0)
	v_fma_f64 v[2:3], -v[50:51], v[108:109], v[2:3]
	v_fma_f64 v[2:3], -v[52:53], v[114:115], v[2:3]
	ds_read_b128 v[112:115], v151 offset:192
	s_waitcnt lgkmcnt(0)
	v_fma_f64 v[2:3], -v[54:55], v[112:113], v[2:3]
	v_fma_f64 v[2:3], -v[56:57], v[122:123], v[2:3]
	ds_read_b128 v[120:123], v152 offset:192
	s_waitcnt lgkmcnt(0)
	v_fma_f64 v[2:3], -v[58:59], v[120:121], v[2:3]
	v_fma_f64 v[2:3], -v[64:65], v[118:119], v[2:3]
	ds_read_b128 v[116:119], v6
	v_fma_f64 v[6:7], -v[86:87], v[134:135], v[4:5]
	ds_read2_b64 v[132:135], v89 offset0:25 offset1:26
	s_waitcnt lgkmcnt(1)
	v_mul_f64 v[74:75], v[116:117], v[2:3]
	v_add_u32_e32 v2, s9, v1
	ds_write_b64 v2, v[74:75]
	ds_read2_b64 v[2:5], v96 offset0:25 offset1:26
	s_or_b32 s9, s7, 25
	s_mul_i32 s12, s9, 0x108
	s_lshl_b32 s9, s9, 8
	s_or_b32 s7, s7, 26
	s_waitcnt lgkmcnt(0)
	v_fma_f64 v[2:3], -v[60:61], v[2:3], v[6:7]
	v_fma_f64 v[2:3], -v[68:69], v[8:9], v[2:3]
	ds_read2_b64 v[6:9], v97 offset0:25 offset1:26
	s_add_i32 s5, s5, s9
	s_waitcnt lgkmcnt(0)
	v_fma_f64 v[2:3], -v[66:67], v[6:7], v[2:3]
	v_fma_f64 v[2:3], -v[70:71], v[12:13], v[2:3]
	ds_read2_b64 v[10:13], v98 offset0:25 offset1:26
	v_mov_b32_e32 v6, s12
	s_waitcnt lgkmcnt(0)
	v_fma_f64 v[2:3], -v[72:73], v[10:11], v[2:3]
	v_fma_f64 v[2:3], -v[76:77], v[16:17], v[2:3]
	ds_read2_b64 v[14:17], v100 offset0:25 offset1:26
	s_waitcnt lgkmcnt(0)
	v_fma_f64 v[2:3], -v[78:79], v[14:15], v[2:3]
	v_fma_f64 v[2:3], -v[80:81], v[20:21], v[2:3]
	;; [unrolled: 1-line block ×8, first 2 shown]
	ds_read2_b64 v[124:127], v92 offset0:25 offset1:26
	ds_read_b128 v[28:31], v102 offset:208
	ds_read_b128 v[20:23], v104 offset:208
	s_waitcnt lgkmcnt(2)
	v_fma_f64 v[2:3], -v[44:45], v[124:125], v[2:3]
	v_fma_f64 v[2:3], -v[46:47], v[130:131], v[2:3]
	ds_read2_b64 v[128:131], v93 offset0:25 offset1:26
	s_waitcnt lgkmcnt(0)
	v_fma_f64 v[2:3], -v[48:49], v[128:129], v[2:3]
	v_fma_f64 v[2:3], -v[50:51], v[110:111], v[2:3]
	ds_read2_b64 v[108:111], v94 offset0:25 offset1:26
	;; [unrolled: 4-line block ×4, first 2 shown]
	s_waitcnt lgkmcnt(0)
	v_fma_f64 v[2:3], -v[64:65], v[120:121], v[2:3]
	v_fma_f64 v[2:3], -v[74:75], v[118:119], v[2:3]
	ds_read2_b64 v[116:119], v6 offset1:1
	s_waitcnt lgkmcnt(0)
	v_mul_f64 v[62:63], v[116:117], v[2:3]
	v_add_u32_e32 v2, s9, v1
	ds_write_b64 v2, v[62:63]
	v_fma_f64 v[2:3], -v[86:87], v[144:145], v[84:85]
	v_fma_f64 v[2:3], -v[60:61], v[4:5], v[2:3]
	v_fma_f64 v[2:3], -v[68:69], v[28:29], v[2:3]
	ds_read_b128 v[26:29], v103 offset:208
	v_fma_f64 v[2:3], -v[66:67], v[8:9], v[2:3]
	v_mov_b32_e32 v4, s8
	s_mul_i32 s8, s7, 0x108
	s_waitcnt lgkmcnt(0)
	v_fma_f64 v[2:3], -v[70:71], v[26:27], v[2:3]
	ds_read_b128 v[24:27], v105 offset:208
	v_fma_f64 v[2:3], -v[72:73], v[12:13], v[2:3]
	v_fma_f64 v[2:3], -v[76:77], v[20:21], v[2:3]
	ds_read_b128 v[18:21], v106 offset:208
	v_fma_f64 v[2:3], -v[78:79], v[16:17], v[2:3]
	s_waitcnt lgkmcnt(1)
	v_fma_f64 v[2:3], -v[80:81], v[24:25], v[2:3]
	v_fma_f64 v[2:3], -v[34:35], v[134:135], v[2:3]
	s_waitcnt lgkmcnt(0)
	v_fma_f64 v[2:3], -v[36:37], v[18:19], v[2:3]
	ds_read_b128 v[16:19], v107 offset:208
	v_fma_f64 v[2:3], -v[32:33], v[138:139], v[2:3]
	s_waitcnt lgkmcnt(0)
	v_fma_f64 v[2:3], -v[38:39], v[16:17], v[2:3]
	ds_read_b128 v[14:17], v148 offset:208
	;; [unrolled: 4-line block ×7, first 2 shown]
	v_fma_f64 v[2:3], -v[64:65], v[122:123], v[2:3]
	s_waitcnt lgkmcnt(0)
	v_fma_f64 v[2:3], -v[74:75], v[4:5], v[2:3]
	v_fma_f64 v[24:25], -v[62:63], v[118:119], v[2:3]
	v_mov_b32_e32 v2, s8
	ds_read_b128 v[2:5], v2
	s_waitcnt lgkmcnt(0)
	v_mul_f64 v[2:3], v[2:3], v[24:25]
	v_lshl_add_u32 v24, s7, 8, v1
	ds_write_b64 v24, v[2:3]
	v_fma_f64 v[24:25], -v[86:87], v[146:147], v[82:83]
	ds_read_b64 v[82:83], v96 offset:216
	s_mov_b32 s7, s4
	s_waitcnt lgkmcnt(0)
	v_fma_f64 v[24:25], -v[60:61], v[82:83], v[24:25]
	v_fma_f64 v[24:25], -v[68:69], v[30:31], v[24:25]
	ds_read_b64 v[30:31], v97 offset:216
	s_waitcnt lgkmcnt(0)
	v_fma_f64 v[24:25], -v[66:67], v[30:31], v[24:25]
	v_fma_f64 v[24:25], -v[70:71], v[28:29], v[24:25]
	ds_read_b64 v[28:29], v98 offset:216
	;; [unrolled: 4-line block ×3, first 2 shown]
	s_waitcnt lgkmcnt(0)
	v_fma_f64 v[22:23], -v[78:79], v[24:25], v[22:23]
	ds_read_b64 v[24:25], v89 offset:216
	v_fma_f64 v[22:23], -v[80:81], v[26:27], v[22:23]
	s_waitcnt lgkmcnt(0)
	v_fma_f64 v[22:23], -v[34:35], v[24:25], v[22:23]
	v_fma_f64 v[20:21], -v[36:37], v[20:21], v[22:23]
	ds_read_b64 v[22:23], v90 offset:216
	s_waitcnt lgkmcnt(0)
	v_fma_f64 v[20:21], -v[32:33], v[22:23], v[20:21]
	v_fma_f64 v[18:19], -v[38:39], v[18:19], v[20:21]
	ds_read_b64 v[20:21], v91 offset:216
	;; [unrolled: 4-line block ×7, first 2 shown]
	s_waitcnt lgkmcnt(0)
	v_fma_f64 v[8:9], -v[64:65], v[10:11], v[8:9]
	v_fma_f64 v[6:7], -v[74:75], v[6:7], v[8:9]
	v_mov_b32_e32 v8, s5
	ds_read_b64 v[8:9], v8 offset:216
	s_mul_i32 s5, s6, 0x108
	s_waitcnt lgkmcnt(0)
	v_fma_f64 v[6:7], -v[62:63], v[8:9], v[6:7]
	v_fma_f64 v[2:3], -v[2:3], v[4:5], v[6:7]
	v_mov_b32_e32 v4, s5
	ds_read_b64 v[4:5], v4
	s_waitcnt lgkmcnt(0)
	v_mul_f64 v[2:3], v[4:5], v[2:3]
	ds_write_b64 v88, v[2:3]
.LBB104_45:
	s_cmp_ge_i32 s7, s22
	s_cbranch_scc1 .LBB104_50
; %bb.46:
	v_mov_b32_e32 v2, 0x2000
	s_lshl_b32 s4, s7, 3
	v_lshl_or_b32 v4, v0, 3, v2
	s_branch .LBB104_48
.LBB104_47:                             ;   in Loop: Header=BB104_48 Depth=1
	s_lshl_b32 s6, s7, 3
	s_add_i32 s5, s6, s5
	v_mov_b32_e32 v6, s5
	ds_read_b64 v[6:7], v6
	s_add_i32 s7, s7, 1
	s_add_i32 s4, s4, 8
	s_cmp_ge_i32 s7, s22
	s_waitcnt lgkmcnt(0)
	v_mul_f64 v[2:3], v[6:7], v[2:3]
	ds_write_b64 v5, v[2:3]
	s_cbranch_scc1 .LBB104_50
.LBB104_48:                             ; =>This Loop Header: Depth=1
                                        ;     Child Loop BB104_49 Depth 2
	s_lshl_b32 s5, s7, 8
	v_add_u32_e32 v5, s5, v1
	ds_read_b64 v[2:3], v5
	s_cmp_eq_u32 s7, 0
	v_mov_b32_e32 v6, v4
	s_mov_b32 s6, s4
	s_mov_b32 s8, s7
	s_cbranch_scc1 .LBB104_47
.LBB104_49:                             ;   Parent Loop BB104_48 Depth=1
                                        ; =>  This Inner Loop Header: Depth=2
	v_mov_b32_e32 v7, s6
	ds_read_b64 v[8:9], v6
	ds_read_b64 v[10:11], v7
	s_add_i32 s8, s8, -1
	s_addk_i32 s6, 0x100
	v_add_u32_e32 v6, 0x100, v6
	s_cmp_lg_u32 s8, 0
	s_waitcnt lgkmcnt(0)
	v_fma_f64 v[2:3], -v[8:9], v[10:11], v[2:3]
	s_cbranch_scc1 .LBB104_49
	s_branch .LBB104_47
.LBB104_50:
	s_waitcnt lgkmcnt(0)
	; wave barrier
	s_and_saveexec_b64 s[4:5], s[0:1]
	s_cbranch_execz .LBB104_54
; %bb.51:
	s_andn2_b64 vcc, exec, s[10:11]
	s_cbranch_vccnz .LBB104_54
; %bb.52:
	v_mad_i64_i32 v[2:3], s[0:1], s16, v0, 0
	v_mov_b32_e32 v1, 0x2000
	v_lshl_add_u64 v[2:3], v[2:3], 3, s[2:3]
	v_lshl_or_b32 v0, v0, 3, v1
.LBB104_53:                             ; =>This Inner Loop Header: Depth=1
	ds_read_b64 v[4:5], v0
	s_add_i32 s22, s22, -1
	v_add_u32_e32 v0, 0x100, v0
	s_cmp_lg_u32 s22, 0
	s_waitcnt lgkmcnt(0)
	flat_store_dwordx2 v[2:3], v[4:5]
	v_lshl_add_u64 v[2:3], v[2:3], 0, 8
	s_cbranch_scc1 .LBB104_53
.LBB104_54:
	s_endpgm
	.section	.rodata,"a",@progbits
	.p2align	6, 0x0
	.amdhsa_kernel _ZL38rocblas_trsm_small_left_device_sharedBILi32ELi32ELb1EddPKPKdPKPdEv13rocblas_fill_18rocblas_operation_17rocblas_diagonal_iiT3_T4_lilT5_lili
		.amdhsa_group_segment_fixed_size 16384
		.amdhsa_private_segment_fixed_size 0
		.amdhsa_kernarg_size 360
		.amdhsa_user_sgpr_count 2
		.amdhsa_user_sgpr_dispatch_ptr 0
		.amdhsa_user_sgpr_queue_ptr 0
		.amdhsa_user_sgpr_kernarg_segment_ptr 1
		.amdhsa_user_sgpr_dispatch_id 0
		.amdhsa_user_sgpr_kernarg_preload_length 0
		.amdhsa_user_sgpr_kernarg_preload_offset 0
		.amdhsa_user_sgpr_private_segment_size 0
		.amdhsa_uses_dynamic_stack 0
		.amdhsa_enable_private_segment 0
		.amdhsa_system_sgpr_workgroup_id_x 1
		.amdhsa_system_sgpr_workgroup_id_y 0
		.amdhsa_system_sgpr_workgroup_id_z 1
		.amdhsa_system_sgpr_workgroup_info 0
		.amdhsa_system_vgpr_workitem_id 0
		.amdhsa_next_free_vgpr 153
		.amdhsa_next_free_sgpr 96
		.amdhsa_accum_offset 156
		.amdhsa_reserve_vcc 1
		.amdhsa_float_round_mode_32 0
		.amdhsa_float_round_mode_16_64 0
		.amdhsa_float_denorm_mode_32 3
		.amdhsa_float_denorm_mode_16_64 3
		.amdhsa_dx10_clamp 1
		.amdhsa_ieee_mode 1
		.amdhsa_fp16_overflow 0
		.amdhsa_tg_split 0
		.amdhsa_exception_fp_ieee_invalid_op 0
		.amdhsa_exception_fp_denorm_src 0
		.amdhsa_exception_fp_ieee_div_zero 0
		.amdhsa_exception_fp_ieee_overflow 0
		.amdhsa_exception_fp_ieee_underflow 0
		.amdhsa_exception_fp_ieee_inexact 0
		.amdhsa_exception_int_div_zero 0
	.end_amdhsa_kernel
	.section	.text._ZL38rocblas_trsm_small_left_device_sharedBILi32ELi32ELb1EddPKPKdPKPdEv13rocblas_fill_18rocblas_operation_17rocblas_diagonal_iiT3_T4_lilT5_lili,"axG",@progbits,_ZL38rocblas_trsm_small_left_device_sharedBILi32ELi32ELb1EddPKPKdPKPdEv13rocblas_fill_18rocblas_operation_17rocblas_diagonal_iiT3_T4_lilT5_lili,comdat
.Lfunc_end104:
	.size	_ZL38rocblas_trsm_small_left_device_sharedBILi32ELi32ELb1EddPKPKdPKPdEv13rocblas_fill_18rocblas_operation_17rocblas_diagonal_iiT3_T4_lilT5_lili, .Lfunc_end104-_ZL38rocblas_trsm_small_left_device_sharedBILi32ELi32ELb1EddPKPKdPKPdEv13rocblas_fill_18rocblas_operation_17rocblas_diagonal_iiT3_T4_lilT5_lili
                                        ; -- End function
	.set _ZL38rocblas_trsm_small_left_device_sharedBILi32ELi32ELb1EddPKPKdPKPdEv13rocblas_fill_18rocblas_operation_17rocblas_diagonal_iiT3_T4_lilT5_lili.num_vgpr, 153
	.set _ZL38rocblas_trsm_small_left_device_sharedBILi32ELi32ELb1EddPKPKdPKPdEv13rocblas_fill_18rocblas_operation_17rocblas_diagonal_iiT3_T4_lilT5_lili.num_agpr, 0
	.set _ZL38rocblas_trsm_small_left_device_sharedBILi32ELi32ELb1EddPKPKdPKPdEv13rocblas_fill_18rocblas_operation_17rocblas_diagonal_iiT3_T4_lilT5_lili.numbered_sgpr, 26
	.set _ZL38rocblas_trsm_small_left_device_sharedBILi32ELi32ELb1EddPKPKdPKPdEv13rocblas_fill_18rocblas_operation_17rocblas_diagonal_iiT3_T4_lilT5_lili.num_named_barrier, 0
	.set _ZL38rocblas_trsm_small_left_device_sharedBILi32ELi32ELb1EddPKPKdPKPdEv13rocblas_fill_18rocblas_operation_17rocblas_diagonal_iiT3_T4_lilT5_lili.private_seg_size, 0
	.set _ZL38rocblas_trsm_small_left_device_sharedBILi32ELi32ELb1EddPKPKdPKPdEv13rocblas_fill_18rocblas_operation_17rocblas_diagonal_iiT3_T4_lilT5_lili.uses_vcc, 1
	.set _ZL38rocblas_trsm_small_left_device_sharedBILi32ELi32ELb1EddPKPKdPKPdEv13rocblas_fill_18rocblas_operation_17rocblas_diagonal_iiT3_T4_lilT5_lili.uses_flat_scratch, 0
	.set _ZL38rocblas_trsm_small_left_device_sharedBILi32ELi32ELb1EddPKPKdPKPdEv13rocblas_fill_18rocblas_operation_17rocblas_diagonal_iiT3_T4_lilT5_lili.has_dyn_sized_stack, 0
	.set _ZL38rocblas_trsm_small_left_device_sharedBILi32ELi32ELb1EddPKPKdPKPdEv13rocblas_fill_18rocblas_operation_17rocblas_diagonal_iiT3_T4_lilT5_lili.has_recursion, 0
	.set _ZL38rocblas_trsm_small_left_device_sharedBILi32ELi32ELb1EddPKPKdPKPdEv13rocblas_fill_18rocblas_operation_17rocblas_diagonal_iiT3_T4_lilT5_lili.has_indirect_call, 0
	.section	.AMDGPU.csdata,"",@progbits
; Kernel info:
; codeLenInByte = 34676
; TotalNumSgprs: 32
; NumVgprs: 153
; NumAgprs: 0
; TotalNumVgprs: 153
; ScratchSize: 0
; MemoryBound: 0
; FloatMode: 240
; IeeeMode: 1
; LDSByteSize: 16384 bytes/workgroup (compile time only)
; SGPRBlocks: 12
; VGPRBlocks: 19
; NumSGPRsForWavesPerEU: 102
; NumVGPRsForWavesPerEU: 153
; AccumOffset: 156
; Occupancy: 3
; WaveLimiterHint : 0
; COMPUTE_PGM_RSRC2:SCRATCH_EN: 0
; COMPUTE_PGM_RSRC2:USER_SGPR: 2
; COMPUTE_PGM_RSRC2:TRAP_HANDLER: 0
; COMPUTE_PGM_RSRC2:TGID_X_EN: 1
; COMPUTE_PGM_RSRC2:TGID_Y_EN: 0
; COMPUTE_PGM_RSRC2:TGID_Z_EN: 1
; COMPUTE_PGM_RSRC2:TIDIG_COMP_CNT: 0
; COMPUTE_PGM_RSRC3_GFX90A:ACCUM_OFFSET: 38
; COMPUTE_PGM_RSRC3_GFX90A:TG_SPLIT: 0
	.section	.text._ZL30rocblas_trsm_small_left_deviceILi32ELi32ELb1EddPKPKdPKPdEv13rocblas_fill_18rocblas_operation_17rocblas_diagonal_iiT3_T4_lilT5_lili,"axG",@progbits,_ZL30rocblas_trsm_small_left_deviceILi32ELi32ELb1EddPKPKdPKPdEv13rocblas_fill_18rocblas_operation_17rocblas_diagonal_iiT3_T4_lilT5_lili,comdat
	.globl	_ZL30rocblas_trsm_small_left_deviceILi32ELi32ELb1EddPKPKdPKPdEv13rocblas_fill_18rocblas_operation_17rocblas_diagonal_iiT3_T4_lilT5_lili ; -- Begin function _ZL30rocblas_trsm_small_left_deviceILi32ELi32ELb1EddPKPKdPKPdEv13rocblas_fill_18rocblas_operation_17rocblas_diagonal_iiT3_T4_lilT5_lili
	.p2align	8
	.type	_ZL30rocblas_trsm_small_left_deviceILi32ELi32ELb1EddPKPKdPKPdEv13rocblas_fill_18rocblas_operation_17rocblas_diagonal_iiT3_T4_lilT5_lili,@function
_ZL30rocblas_trsm_small_left_deviceILi32ELi32ELb1EddPKPKdPKPdEv13rocblas_fill_18rocblas_operation_17rocblas_diagonal_iiT3_T4_lilT5_lili: ; @_ZL30rocblas_trsm_small_left_deviceILi32ELi32ELb1EddPKPKdPKPdEv13rocblas_fill_18rocblas_operation_17rocblas_diagonal_iiT3_T4_lilT5_lili
; %bb.0:
	s_load_dwordx2 s[18:19], s[0:1], 0x28
	s_load_dwordx4 s[12:15], s[0:1], 0x40
	s_load_dwordx4 s[8:11], s[0:1], 0x4
	;; [unrolled: 1-line block ×3, first 2 shown]
	s_mov_b32 s16, s3
	s_mov_b32 s17, 0
	s_lshl_b64 s[20:21], s[16:17], 3
	s_waitcnt lgkmcnt(0)
	s_add_u32 s12, s12, s20
	s_addc_u32 s13, s13, s21
	s_load_dwordx2 s[12:13], s[12:13], 0x0
	s_min_i32 s22, s10, 32
	v_cmp_gt_i32_e32 vcc, s22, v0
	s_and_saveexec_b64 s[16:17], vcc
	s_cbranch_execz .LBB105_6
; %bb.1:
	s_load_dword s24, s[0:1], 0x30
	v_lshlrev_b32_e32 v2, 3, v0
	v_mov_b32_e32 v3, 0
	v_mov_b32_e32 v1, v2
	s_mov_b32 s3, s22
	s_waitcnt lgkmcnt(0)
	s_ashr_i32 s25, s24, 31
	s_add_u32 s6, s6, s20
	s_addc_u32 s7, s7, s21
	s_load_dwordx2 s[6:7], s[6:7], 0x0
	s_lshl_b64 s[18:19], s[18:19], 3
	s_waitcnt lgkmcnt(0)
	s_add_u32 s18, s6, s18
	s_addc_u32 s19, s7, s19
	s_lshl_b64 s[6:7], s[24:25], 3
	v_lshl_add_u64 v[4:5], s[18:19], 0, v[2:3]
.LBB105_2:                              ; =>This Inner Loop Header: Depth=1
	flat_load_dwordx2 v[6:7], v[4:5]
	s_add_i32 s3, s3, -1
	v_lshl_add_u64 v[4:5], v[4:5], 0, s[6:7]
	s_cmp_eq_u32 s3, 0
	s_waitcnt vmcnt(0) lgkmcnt(0)
	ds_write_b64 v1, v[6:7]
	v_add_u32_e32 v1, 0x100, v1
	s_cbranch_scc0 .LBB105_2
; %bb.3:
	v_lshlrev_b32_e32 v1, 8, v0
	s_cmpk_lg_i32 s9, 0x84
	v_mov_b64_e32 v[4:5], 1.0
	v_add_u32_e32 v1, v2, v1
	s_cbranch_scc0 .LBB105_5
; %bb.4:
	ds_read_b64 v[2:3], v1
	s_waitcnt lgkmcnt(0)
	v_div_scale_f64 v[4:5], s[6:7], v[2:3], v[2:3], 1.0
	v_rcp_f64_e32 v[6:7], v[4:5]
	v_div_scale_f64 v[8:9], vcc, 1.0, v[2:3], 1.0
	v_fma_f64 v[10:11], -v[4:5], v[6:7], 1.0
	v_fmac_f64_e32 v[6:7], v[6:7], v[10:11]
	v_fma_f64 v[10:11], -v[4:5], v[6:7], 1.0
	v_fmac_f64_e32 v[6:7], v[6:7], v[10:11]
	v_mul_f64 v[10:11], v[8:9], v[6:7]
	v_fma_f64 v[4:5], -v[4:5], v[10:11], v[8:9]
	v_div_fmas_f64 v[4:5], v[4:5], v[6:7], v[10:11]
	v_div_fixup_f64 v[4:5], v[4:5], v[2:3], 1.0
.LBB105_5:
	ds_write_b64 v1, v[4:5]
.LBB105_6:
	s_or_b64 exec, exec, s[16:17]
	s_load_dword s3, s[0:1], 0x68
	s_waitcnt lgkmcnt(0)
	; wave barrier
	s_add_i32 s6, s3, -1
	s_lshl_b32 s3, s2, 5
	s_sub_i32 s7, s11, s3
	s_cmp_ge_u32 s2, s6
	s_cselect_b32 s2, s7, 32
	v_cmp_gt_i32_e32 vcc, s2, v0
	s_and_saveexec_b64 s[6:7], vcc
	s_cbranch_execz .LBB105_48
; %bb.7:
	s_load_dword s2, s[0:1], 0x50
	s_lshl_b64 s[0:1], s[14:15], 3
	s_add_u32 s0, s12, s0
	v_add_u32_e32 v0, s3, v0
	s_addc_u32 s1, s13, s1
	s_waitcnt lgkmcnt(0)
	v_mad_i64_i32 v[0:1], s[2:3], s2, v0, 0
	v_lshl_add_u64 v[48:49], v[0:1], 3, s[0:1]
	s_cmpk_eq_i32 s8, 0x6f
	s_mov_b64 s[0:1], -1
	s_cbranch_scc1 .LBB105_34
; %bb.8:
	s_add_i32 s8, s22, -1
	s_cmp_gt_i32 s10, 31
	s_mov_b32 s0, s8
	s_cbranch_scc0 .LBB105_10
; %bb.9:
	flat_load_dwordx4 v[44:47], v[48:49] offset:240
	flat_load_dwordx4 v[40:43], v[48:49] offset:224
	;; [unrolled: 1-line block ×12, first 2 shown]
	v_mov_b32_e32 v66, 0
	ds_read_b64 v[56:57], v66 offset:8184
	v_mov_b32_e32 v54, 0x1de8
	v_mov_b32_e32 v53, 0x1be8
	;; [unrolled: 1-line block ×27, first 2 shown]
	s_mov_b32 s0, -1
	s_waitcnt vmcnt(0) lgkmcnt(0)
	v_mul_f64 v[46:47], s[4:5], v[46:47]
	v_mul_f64 v[46:47], v[56:57], v[46:47]
	flat_store_dwordx2 v[48:49], v[46:47] offset:248
	ds_read_b128 v[56:59], v66 offset:7920
	s_waitcnt lgkmcnt(0)
	v_mul_f64 v[58:59], v[46:47], v[58:59]
	v_fma_f64 v[44:45], s[4:5], v[44:45], -v[58:59]
	v_mul_f64 v[44:45], v[56:57], v[44:45]
	flat_store_dwordx2 v[48:49], v[44:45] offset:240
	ds_read_b64 v[58:59], v66 offset:7672
	ds_read2_b64 v[54:57], v54 offset1:1
	s_waitcnt lgkmcnt(0)
	v_mul_f64 v[58:59], v[46:47], v[58:59]
	v_fma_f64 v[42:43], s[4:5], v[42:43], -v[58:59]
	v_fma_f64 v[42:43], -v[44:45], v[56:57], v[42:43]
	v_mul_f64 v[42:43], v[54:55], v[42:43]
	flat_store_dwordx2 v[48:49], v[42:43] offset:232
	ds_read_b128 v[54:57], v66 offset:7408
	ds_read_b128 v[58:61], v66 offset:7392
	s_waitcnt lgkmcnt(0)
	v_mul_f64 v[56:57], v[46:47], v[56:57]
	v_fma_f64 v[40:41], s[4:5], v[40:41], -v[56:57]
	v_fma_f64 v[40:41], -v[44:45], v[54:55], v[40:41]
	v_fma_f64 v[40:41], -v[42:43], v[60:61], v[40:41]
	v_mul_f64 v[40:41], v[58:59], v[40:41]
	flat_store_dwordx2 v[48:49], v[40:41] offset:224
	ds_read_b64 v[62:63], v66 offset:7160
	ds_read2_b64 v[54:57], v53 offset1:1
	ds_read2_b64 v[58:61], v52 offset1:1
	s_waitcnt lgkmcnt(0)
	v_mul_f64 v[52:53], v[46:47], v[62:63]
	v_fma_f64 v[38:39], s[4:5], v[38:39], -v[52:53]
	v_fma_f64 v[38:39], -v[44:45], v[56:57], v[38:39]
	v_fma_f64 v[38:39], -v[42:43], v[54:55], v[38:39]
	;; [unrolled: 1-line block ×3, first 2 shown]
	v_mul_f64 v[38:39], v[58:59], v[38:39]
	flat_store_dwordx2 v[48:49], v[38:39] offset:216
	ds_read_b128 v[52:55], v66 offset:6896
	ds_read_b128 v[56:59], v66 offset:6880
	;; [unrolled: 1-line block ×3, first 2 shown]
	s_waitcnt lgkmcnt(0)
	v_mul_f64 v[54:55], v[46:47], v[54:55]
	v_fma_f64 v[36:37], s[4:5], v[36:37], -v[54:55]
	v_fma_f64 v[36:37], -v[44:45], v[52:53], v[36:37]
	v_fma_f64 v[36:37], -v[42:43], v[58:59], v[36:37]
	;; [unrolled: 1-line block ×4, first 2 shown]
	v_mul_f64 v[36:37], v[60:61], v[36:37]
	flat_store_dwordx2 v[48:49], v[36:37] offset:208
	ds_read_b64 v[64:65], v66 offset:6648
	ds_read2_b64 v[52:55], v50 offset1:1
	ds_read2_b64 v[56:59], v51 offset1:1
	;; [unrolled: 1-line block ×3, first 2 shown]
	v_mov_b32_e32 v67, 0x1188
	s_waitcnt lgkmcnt(0)
	v_mul_f64 v[50:51], v[46:47], v[64:65]
	v_fma_f64 v[34:35], s[4:5], v[34:35], -v[50:51]
	v_fma_f64 v[34:35], -v[44:45], v[54:55], v[34:35]
	v_fma_f64 v[34:35], -v[42:43], v[52:53], v[34:35]
	;; [unrolled: 1-line block ×5, first 2 shown]
	v_mul_f64 v[34:35], v[60:61], v[34:35]
	flat_store_dwordx2 v[48:49], v[34:35] offset:200
	ds_read_b128 v[50:53], v66 offset:6384
	ds_read_b128 v[54:57], v66 offset:6368
	;; [unrolled: 1-line block ×3, first 2 shown]
	v_mov_b32_e32 v64, 0x11a8
	v_mov_b32_e32 v65, 0x1198
	s_waitcnt lgkmcnt(0)
	v_mul_f64 v[52:53], v[46:47], v[52:53]
	v_fma_f64 v[32:33], s[4:5], v[32:33], -v[52:53]
	v_fma_f64 v[32:33], -v[44:45], v[50:51], v[32:33]
	ds_read_b128 v[50:53], v66 offset:6336
	v_fma_f64 v[32:33], -v[42:43], v[56:57], v[32:33]
	v_fma_f64 v[32:33], -v[40:41], v[54:55], v[32:33]
	;; [unrolled: 1-line block ×4, first 2 shown]
	s_waitcnt lgkmcnt(0)
	v_fma_f64 v[32:33], -v[34:35], v[52:53], v[32:33]
	v_mul_f64 v[32:33], v[50:51], v[32:33]
	flat_store_dwordx2 v[48:49], v[32:33] offset:192
	ds_read_b64 v[62:63], v66 offset:6136
	ds_read2_b64 v[50:53], v68 offset1:1
	ds_read2_b64 v[54:57], v69 offset1:1
	;; [unrolled: 1-line block ×3, first 2 shown]
	v_mov_b32_e32 v68, 0xfd8
	v_mov_b32_e32 v69, 0xfc8
	;; [unrolled: 1-line block ×3, first 2 shown]
	s_waitcnt lgkmcnt(0)
	v_mul_f64 v[62:63], v[46:47], v[62:63]
	v_fma_f64 v[30:31], s[4:5], v[30:31], -v[62:63]
	v_fma_f64 v[30:31], -v[44:45], v[52:53], v[30:31]
	v_fma_f64 v[30:31], -v[42:43], v[50:51], v[30:31]
	ds_read2_b64 v[50:53], v71 offset1:1
	v_fma_f64 v[30:31], -v[40:41], v[56:57], v[30:31]
	v_fma_f64 v[30:31], -v[38:39], v[54:55], v[30:31]
	;; [unrolled: 1-line block ×4, first 2 shown]
	s_waitcnt lgkmcnt(0)
	v_fma_f64 v[30:31], -v[32:33], v[52:53], v[30:31]
	v_mul_f64 v[30:31], v[50:51], v[30:31]
	flat_store_dwordx2 v[48:49], v[30:31] offset:184
	ds_read_b128 v[50:53], v66 offset:5872
	ds_read_b128 v[54:57], v66 offset:5856
	;; [unrolled: 1-line block ×3, first 2 shown]
	v_mov_b32_e32 v71, 0xfa8
	s_waitcnt lgkmcnt(0)
	v_mul_f64 v[52:53], v[46:47], v[52:53]
	v_fma_f64 v[28:29], s[4:5], v[28:29], -v[52:53]
	v_fma_f64 v[28:29], -v[44:45], v[50:51], v[28:29]
	ds_read_b128 v[50:53], v66 offset:5824
	v_fma_f64 v[28:29], -v[42:43], v[56:57], v[28:29]
	v_fma_f64 v[28:29], -v[40:41], v[54:55], v[28:29]
	ds_read_b128 v[54:57], v66 offset:5808
	v_fma_f64 v[28:29], -v[38:39], v[60:61], v[28:29]
	v_fma_f64 v[28:29], -v[36:37], v[58:59], v[28:29]
	s_waitcnt lgkmcnt(0)
	v_fma_f64 v[28:29], -v[34:35], v[52:53], v[28:29]
	v_fma_f64 v[28:29], -v[32:33], v[50:51], v[28:29]
	v_fma_f64 v[28:29], -v[30:31], v[56:57], v[28:29]
	v_mul_f64 v[28:29], v[54:55], v[28:29]
	flat_store_dwordx2 v[48:49], v[28:29] offset:176
	ds_read_b64 v[58:59], v66 offset:5624
	ds_read2_b64 v[50:53], v72 offset1:1
	ds_read2_b64 v[54:57], v73 offset1:1
	v_mov_b32_e32 v72, 0xf98
	v_mov_b32_e32 v73, 0xf88
	s_waitcnt lgkmcnt(0)
	v_mul_f64 v[58:59], v[46:47], v[58:59]
	v_fma_f64 v[26:27], s[4:5], v[26:27], -v[58:59]
	v_fma_f64 v[26:27], -v[44:45], v[52:53], v[26:27]
	v_fma_f64 v[26:27], -v[42:43], v[50:51], v[26:27]
	ds_read2_b64 v[50:53], v74 offset1:1
	ds_read2_b64 v[58:61], v75 offset1:1
	v_fma_f64 v[26:27], -v[40:41], v[56:57], v[26:27]
	v_fma_f64 v[26:27], -v[38:39], v[54:55], v[26:27]
	ds_read2_b64 v[54:57], v76 offset1:1
	s_waitcnt lgkmcnt(0)
	v_fma_f64 v[26:27], -v[36:37], v[52:53], v[26:27]
	v_fma_f64 v[26:27], -v[34:35], v[50:51], v[26:27]
	;; [unrolled: 1-line block ×5, first 2 shown]
	v_mul_f64 v[26:27], v[54:55], v[26:27]
	flat_store_dwordx2 v[48:49], v[26:27] offset:168
	ds_read_b128 v[50:53], v66 offset:5360
	ds_read_b128 v[54:57], v66 offset:5344
	;; [unrolled: 1-line block ×3, first 2 shown]
	v_mov_b32_e32 v74, 0xf78
	v_mov_b32_e32 v75, 0xde8
	s_waitcnt lgkmcnt(0)
	v_mul_f64 v[52:53], v[46:47], v[52:53]
	v_fma_f64 v[24:25], s[4:5], v[24:25], -v[52:53]
	v_fma_f64 v[24:25], -v[44:45], v[50:51], v[24:25]
	ds_read_b128 v[50:53], v66 offset:5312
	v_fma_f64 v[24:25], -v[42:43], v[56:57], v[24:25]
	v_fma_f64 v[24:25], -v[40:41], v[54:55], v[24:25]
	ds_read_b128 v[54:57], v66 offset:5296
	v_fma_f64 v[24:25], -v[38:39], v[60:61], v[24:25]
	v_fma_f64 v[24:25], -v[36:37], v[58:59], v[24:25]
	ds_read_b128 v[58:61], v66 offset:5280
	s_waitcnt lgkmcnt(0)
	v_fma_f64 v[24:25], -v[34:35], v[52:53], v[24:25]
	v_fma_f64 v[24:25], -v[32:33], v[50:51], v[24:25]
	v_fma_f64 v[24:25], -v[30:31], v[56:57], v[24:25]
	v_fma_f64 v[24:25], -v[28:29], v[54:55], v[24:25]
	v_fma_f64 v[24:25], -v[26:27], v[60:61], v[24:25]
	v_mul_f64 v[24:25], v[58:59], v[24:25]
	flat_store_dwordx2 v[48:49], v[24:25] offset:160
	ds_read_b64 v[58:59], v66 offset:5112
	ds_read2_b64 v[50:53], v77 offset1:1
	ds_read2_b64 v[54:57], v78 offset1:1
	v_mov_b32_e32 v76, 0xdd8
	v_mov_b32_e32 v77, 0xdb8
	s_waitcnt lgkmcnt(0)
	v_mul_f64 v[58:59], v[46:47], v[58:59]
	v_fma_f64 v[22:23], s[4:5], v[22:23], -v[58:59]
	v_fma_f64 v[22:23], -v[44:45], v[52:53], v[22:23]
	v_fma_f64 v[22:23], -v[42:43], v[50:51], v[22:23]
	ds_read2_b64 v[50:53], v79 offset1:1
	v_fma_f64 v[22:23], -v[40:41], v[56:57], v[22:23]
	v_fma_f64 v[22:23], -v[38:39], v[54:55], v[22:23]
	ds_read2_b64 v[54:57], v80 offset1:1
	ds_read2_b64 v[58:61], v81 offset1:1
	v_mov_b32_e32 v78, 0xda8
	s_waitcnt lgkmcnt(0)
	v_fma_f64 v[22:23], -v[36:37], v[52:53], v[22:23]
	v_fma_f64 v[22:23], -v[34:35], v[50:51], v[22:23]
	ds_read2_b64 v[50:53], v82 offset1:1
	v_fma_f64 v[22:23], -v[32:33], v[56:57], v[22:23]
	v_fma_f64 v[22:23], -v[30:31], v[54:55], v[22:23]
	;; [unrolled: 1-line block ×4, first 2 shown]
	s_waitcnt lgkmcnt(0)
	v_fma_f64 v[22:23], -v[24:25], v[52:53], v[22:23]
	v_mul_f64 v[22:23], v[50:51], v[22:23]
	flat_store_dwordx2 v[48:49], v[22:23] offset:152
	ds_read_b128 v[50:53], v66 offset:4848
	ds_read_b128 v[54:57], v66 offset:4832
	;; [unrolled: 1-line block ×3, first 2 shown]
	v_mov_b32_e32 v79, 0xd98
	v_mov_b32_e32 v80, 0xd88
	s_waitcnt lgkmcnt(0)
	v_mul_f64 v[52:53], v[46:47], v[52:53]
	v_fma_f64 v[20:21], s[4:5], v[20:21], -v[52:53]
	v_fma_f64 v[20:21], -v[44:45], v[50:51], v[20:21]
	ds_read_b128 v[50:53], v66 offset:4800
	v_fma_f64 v[20:21], -v[42:43], v[56:57], v[20:21]
	v_fma_f64 v[20:21], -v[40:41], v[54:55], v[20:21]
	ds_read_b128 v[54:57], v66 offset:4784
	v_fma_f64 v[20:21], -v[38:39], v[60:61], v[20:21]
	v_fma_f64 v[20:21], -v[36:37], v[58:59], v[20:21]
	ds_read_b128 v[58:61], v66 offset:4768
	s_waitcnt lgkmcnt(0)
	v_fma_f64 v[20:21], -v[34:35], v[52:53], v[20:21]
	v_fma_f64 v[20:21], -v[32:33], v[50:51], v[20:21]
	ds_read_b128 v[50:53], v66 offset:4752
	v_fma_f64 v[20:21], -v[30:31], v[56:57], v[20:21]
	v_fma_f64 v[20:21], -v[28:29], v[54:55], v[20:21]
	;; [unrolled: 1-line block ×4, first 2 shown]
	s_waitcnt lgkmcnt(0)
	v_fma_f64 v[20:21], -v[22:23], v[52:53], v[20:21]
	v_mul_f64 v[20:21], v[50:51], v[20:21]
	flat_store_dwordx2 v[48:49], v[20:21] offset:144
	ds_read_b64 v[58:59], v66 offset:4600
	ds_read2_b64 v[50:53], v83 offset1:1
	ds_read2_b64 v[54:57], v84 offset1:1
	v_mov_b32_e32 v81, 0xd78
	v_mov_b32_e32 v82, 0xd68
	s_waitcnt lgkmcnt(0)
	v_mul_f64 v[58:59], v[46:47], v[58:59]
	v_fma_f64 v[18:19], s[4:5], v[18:19], -v[58:59]
	v_fma_f64 v[18:19], -v[44:45], v[52:53], v[18:19]
	v_fma_f64 v[18:19], -v[42:43], v[50:51], v[18:19]
	ds_read2_b64 v[50:53], v85 offset1:1
	ds_read2_b64 v[58:61], v86 offset1:1
	v_fma_f64 v[18:19], -v[40:41], v[56:57], v[18:19]
	v_fma_f64 v[18:19], -v[38:39], v[54:55], v[18:19]
	ds_read2_b64 v[54:57], v64 offset1:1
	s_waitcnt lgkmcnt(0)
	v_fma_f64 v[18:19], -v[36:37], v[52:53], v[18:19]
	v_fma_f64 v[18:19], -v[34:35], v[50:51], v[18:19]
	ds_read2_b64 v[50:53], v65 offset1:1
	v_fma_f64 v[18:19], -v[32:33], v[60:61], v[18:19]
	v_fma_f64 v[18:19], -v[30:31], v[58:59], v[18:19]
	ds_read2_b64 v[58:61], v67 offset1:1
	v_fma_f64 v[18:19], -v[28:29], v[56:57], v[18:19]
	v_fma_f64 v[18:19], -v[26:27], v[54:55], v[18:19]
	s_waitcnt lgkmcnt(0)
	v_fma_f64 v[18:19], -v[24:25], v[52:53], v[18:19]
	v_fma_f64 v[18:19], -v[22:23], v[50:51], v[18:19]
	v_fma_f64 v[18:19], -v[20:21], v[60:61], v[18:19]
	v_mul_f64 v[18:19], v[58:59], v[18:19]
	flat_store_dwordx2 v[48:49], v[18:19] offset:136
	ds_read_b128 v[50:53], v66 offset:4336
	ds_read_b128 v[54:57], v66 offset:4320
	;; [unrolled: 1-line block ×3, first 2 shown]
	v_mov_b32_e32 v67, 0xbe8
	v_mov_b32_e32 v83, 0xbd8
	s_waitcnt lgkmcnt(0)
	v_mul_f64 v[52:53], v[46:47], v[52:53]
	v_fma_f64 v[16:17], s[4:5], v[16:17], -v[52:53]
	v_fma_f64 v[16:17], -v[44:45], v[50:51], v[16:17]
	ds_read_b128 v[50:53], v66 offset:4288
	v_fma_f64 v[16:17], -v[42:43], v[56:57], v[16:17]
	v_fma_f64 v[16:17], -v[40:41], v[54:55], v[16:17]
	ds_read_b128 v[54:57], v66 offset:4272
	v_fma_f64 v[16:17], -v[38:39], v[60:61], v[16:17]
	v_fma_f64 v[16:17], -v[36:37], v[58:59], v[16:17]
	ds_read_b128 v[58:61], v66 offset:4256
	s_waitcnt lgkmcnt(0)
	v_fma_f64 v[16:17], -v[34:35], v[52:53], v[16:17]
	v_fma_f64 v[16:17], -v[32:33], v[50:51], v[16:17]
	ds_read_b128 v[50:53], v66 offset:4240
	v_fma_f64 v[16:17], -v[30:31], v[56:57], v[16:17]
	v_fma_f64 v[16:17], -v[28:29], v[54:55], v[16:17]
	ds_read_b128 v[54:57], v66 offset:4224
	v_fma_f64 v[16:17], -v[26:27], v[60:61], v[16:17]
	v_fma_f64 v[16:17], -v[24:25], v[58:59], v[16:17]
	s_waitcnt lgkmcnt(0)
	v_fma_f64 v[16:17], -v[22:23], v[52:53], v[16:17]
	v_fma_f64 v[16:17], -v[20:21], v[50:51], v[16:17]
	;; [unrolled: 1-line block ×3, first 2 shown]
	v_mul_f64 v[16:17], v[54:55], v[16:17]
	flat_store_dwordx2 v[48:49], v[16:17] offset:128
	ds_read_b64 v[62:63], v66 offset:4088
	ds_read2_b64 v[50:53], v87 offset1:1
	ds_read2_b64 v[54:57], v68 offset1:1
	ds_read2_b64 v[58:61], v69 offset1:1
	v_mov_b32_e32 v84, 0xbc8
	v_mov_b32_e32 v85, 0xbb8
	;; [unrolled: 1-line block ×3, first 2 shown]
	s_waitcnt lgkmcnt(0)
	v_mul_f64 v[62:63], v[46:47], v[62:63]
	v_fma_f64 v[14:15], s[4:5], v[14:15], -v[62:63]
	v_fma_f64 v[14:15], -v[44:45], v[52:53], v[14:15]
	v_fma_f64 v[14:15], -v[42:43], v[50:51], v[14:15]
	ds_read2_b64 v[50:53], v70 offset1:1
	ds_read2_b64 v[62:65], v71 offset1:1
	v_fma_f64 v[14:15], -v[40:41], v[56:57], v[14:15]
	v_fma_f64 v[14:15], -v[38:39], v[54:55], v[14:15]
	;; [unrolled: 1-line block ×3, first 2 shown]
	ds_read2_b64 v[54:57], v72 offset1:1
	v_fma_f64 v[14:15], -v[34:35], v[58:59], v[14:15]
	s_waitcnt lgkmcnt(0)
	v_fma_f64 v[14:15], -v[32:33], v[52:53], v[14:15]
	ds_read2_b64 v[58:61], v73 offset1:1
	v_fma_f64 v[14:15], -v[30:31], v[50:51], v[14:15]
	v_fma_f64 v[14:15], -v[28:29], v[64:65], v[14:15]
	ds_read2_b64 v[50:53], v74 offset1:1
	v_fma_f64 v[14:15], -v[26:27], v[62:63], v[14:15]
	v_fma_f64 v[14:15], -v[24:25], v[56:57], v[14:15]
	;; [unrolled: 1-line block ×3, first 2 shown]
	s_waitcnt lgkmcnt(0)
	v_fma_f64 v[14:15], -v[20:21], v[60:61], v[14:15]
	v_fma_f64 v[14:15], -v[18:19], v[58:59], v[14:15]
	;; [unrolled: 1-line block ×3, first 2 shown]
	v_mul_f64 v[14:15], v[50:51], v[14:15]
	flat_store_dwordx2 v[48:49], v[14:15] offset:120
	ds_read_b128 v[50:53], v66 offset:3824
	ds_read_b128 v[54:57], v66 offset:3808
	ds_read_b128 v[58:61], v66 offset:3792
	ds_read_b128 v[62:65], v66 offset:3776
	v_mov_b32_e32 v87, 0xb98
	s_waitcnt lgkmcnt(0)
	v_mul_f64 v[52:53], v[46:47], v[52:53]
	v_fma_f64 v[12:13], s[4:5], v[12:13], -v[52:53]
	v_fma_f64 v[12:13], -v[44:45], v[50:51], v[12:13]
	v_fma_f64 v[12:13], -v[42:43], v[56:57], v[12:13]
	ds_read_b128 v[50:53], v66 offset:3760
	v_fma_f64 v[12:13], -v[40:41], v[54:55], v[12:13]
	v_fma_f64 v[12:13], -v[38:39], v[60:61], v[12:13]
	;; [unrolled: 1-line block ×3, first 2 shown]
	ds_read_b128 v[58:61], v66 offset:3744
	v_fma_f64 v[12:13], -v[34:35], v[64:65], v[12:13]
	v_fma_f64 v[12:13], -v[32:33], v[62:63], v[12:13]
	ds_read_b128 v[62:65], v66 offset:3728
	s_waitcnt lgkmcnt(0)
	v_fma_f64 v[12:13], -v[30:31], v[52:53], v[12:13]
	ds_read_b128 v[54:57], v66 offset:3696
	v_fma_f64 v[12:13], -v[28:29], v[50:51], v[12:13]
	ds_read_b128 v[50:53], v66 offset:3712
	v_fma_f64 v[12:13], -v[26:27], v[60:61], v[12:13]
	v_fma_f64 v[12:13], -v[24:25], v[58:59], v[12:13]
	;; [unrolled: 1-line block ×4, first 2 shown]
	s_waitcnt lgkmcnt(0)
	v_fma_f64 v[12:13], -v[18:19], v[52:53], v[12:13]
	v_fma_f64 v[12:13], -v[16:17], v[50:51], v[12:13]
	;; [unrolled: 1-line block ×3, first 2 shown]
	v_mul_f64 v[12:13], v[54:55], v[12:13]
	flat_store_dwordx2 v[48:49], v[12:13] offset:112
	ds_read_b64 v[72:73], v66 offset:3576
	ds_read2_b64 v[50:53], v75 offset1:1
	ds_read2_b64 v[54:57], v76 offset1:1
	;; [unrolled: 1-line block ×5, first 2 shown]
	s_waitcnt lgkmcnt(0)
	v_mul_f64 v[72:73], v[46:47], v[72:73]
	v_fma_f64 v[10:11], s[4:5], v[10:11], -v[72:73]
	v_fma_f64 v[10:11], -v[44:45], v[52:53], v[10:11]
	v_fma_f64 v[10:11], -v[42:43], v[50:51], v[10:11]
	v_fma_f64 v[10:11], -v[40:41], v[56:57], v[10:11]
	v_fma_f64 v[10:11], -v[38:39], v[54:55], v[10:11]
	v_fma_f64 v[10:11], -v[36:37], v[60:61], v[10:11]
	v_fma_f64 v[10:11], -v[34:35], v[58:59], v[10:11]
	ds_read2_b64 v[50:53], v79 offset1:1
	ds_read2_b64 v[72:75], v80 offset1:1
	v_fma_f64 v[10:11], -v[32:33], v[64:65], v[10:11]
	v_fma_f64 v[10:11], -v[30:31], v[62:63], v[10:11]
	;; [unrolled: 1-line block ×3, first 2 shown]
	ds_read2_b64 v[54:57], v81 offset1:1
	ds_read2_b64 v[58:61], v82 offset1:1
	v_fma_f64 v[10:11], -v[26:27], v[68:69], v[10:11]
	s_waitcnt lgkmcnt(0)
	v_fma_f64 v[10:11], -v[24:25], v[52:53], v[10:11]
	v_fma_f64 v[10:11], -v[22:23], v[50:51], v[10:11]
	v_fma_f64 v[10:11], -v[20:21], v[74:75], v[10:11]
	v_fma_f64 v[10:11], -v[18:19], v[72:73], v[10:11]
	v_fma_f64 v[10:11], -v[16:17], v[56:57], v[10:11]
	v_fma_f64 v[10:11], -v[14:15], v[54:55], v[10:11]
	v_fma_f64 v[10:11], -v[12:13], v[60:61], v[10:11]
	v_mul_f64 v[10:11], v[58:59], v[10:11]
	flat_store_dwordx2 v[48:49], v[10:11] offset:104
	ds_read_b128 v[50:53], v66 offset:3312
	ds_read_b128 v[54:57], v66 offset:3296
	ds_read_b128 v[58:61], v66 offset:3280
	ds_read_b128 v[62:65], v66 offset:3264
	ds_read_b128 v[68:71], v66 offset:3248
	ds_read_b128 v[72:75], v66 offset:3232
	s_waitcnt lgkmcnt(0)
	v_mul_f64 v[52:53], v[46:47], v[52:53]
	v_fma_f64 v[8:9], s[4:5], v[8:9], -v[52:53]
	v_fma_f64 v[8:9], -v[44:45], v[50:51], v[8:9]
	v_fma_f64 v[8:9], -v[42:43], v[56:57], v[8:9]
	;; [unrolled: 1-line block ×6, first 2 shown]
	ds_read_b128 v[54:57], v66 offset:3200
	ds_read_b128 v[58:61], v66 offset:3216
	v_fma_f64 v[8:9], -v[32:33], v[62:63], v[8:9]
	v_fma_f64 v[8:9], -v[30:31], v[70:71], v[8:9]
	;; [unrolled: 1-line block ×4, first 2 shown]
	ds_read_b128 v[76:79], v66 offset:3168
	ds_read_b128 v[50:53], v66 offset:3184
	v_fma_f64 v[8:9], -v[24:25], v[72:73], v[8:9]
	s_waitcnt lgkmcnt(0)
	v_fma_f64 v[8:9], -v[22:23], v[60:61], v[8:9]
	v_fma_f64 v[8:9], -v[20:21], v[58:59], v[8:9]
	v_fma_f64 v[8:9], -v[18:19], v[56:57], v[8:9]
	v_fma_f64 v[8:9], -v[16:17], v[54:55], v[8:9]
	v_fma_f64 v[8:9], -v[14:15], v[52:53], v[8:9]
	v_fma_f64 v[8:9], -v[12:13], v[50:51], v[8:9]
	v_fma_f64 v[8:9], -v[10:11], v[78:79], v[8:9]
	v_mul_f64 v[8:9], v[76:77], v[8:9]
	flat_store_dwordx2 v[48:49], v[8:9] offset:96
	ds_read_b64 v[72:73], v66 offset:3064
	ds_read2_b64 v[50:53], v67 offset1:1
	ds_read2_b64 v[54:57], v83 offset1:1
	;; [unrolled: 1-line block ×5, first 2 shown]
	s_waitcnt lgkmcnt(0)
	v_mul_f64 v[72:73], v[46:47], v[72:73]
	v_fma_f64 v[6:7], s[4:5], v[6:7], -v[72:73]
	v_fma_f64 v[6:7], -v[44:45], v[52:53], v[6:7]
	v_fma_f64 v[6:7], -v[42:43], v[50:51], v[6:7]
	;; [unrolled: 1-line block ×6, first 2 shown]
	ds_read2_b64 v[50:53], v87 offset1:1
	v_fma_f64 v[6:7], -v[32:33], v[64:65], v[6:7]
	v_mov_b32_e32 v54, 0xb88
	v_fma_f64 v[6:7], -v[30:31], v[62:63], v[6:7]
	ds_read2_b64 v[54:57], v54 offset1:1
	v_fma_f64 v[6:7], -v[28:29], v[70:71], v[6:7]
	v_fma_f64 v[6:7], -v[26:27], v[68:69], v[6:7]
	s_waitcnt lgkmcnt(0)
	v_fma_f64 v[6:7], -v[24:25], v[52:53], v[6:7]
	v_fma_f64 v[6:7], -v[22:23], v[50:51], v[6:7]
	v_mov_b32_e32 v50, 0xb78
	ds_read2_b64 v[50:53], v50 offset1:1
	v_fma_f64 v[6:7], -v[20:21], v[56:57], v[6:7]
	v_fma_f64 v[6:7], -v[18:19], v[54:55], v[6:7]
	v_mov_b32_e32 v54, 0xb68
	ds_read2_b64 v[54:57], v54 offset1:1
	v_mov_b32_e32 v58, 0xb58
	ds_read2_b64 v[58:61], v58 offset1:1
	s_waitcnt lgkmcnt(0)
	v_fma_f64 v[6:7], -v[16:17], v[52:53], v[6:7]
	v_fma_f64 v[6:7], -v[14:15], v[50:51], v[6:7]
	;; [unrolled: 1-line block ×5, first 2 shown]
	v_mul_f64 v[50:51], v[58:59], v[6:7]
	flat_store_dwordx2 v[48:49], v[50:51] offset:88
	ds_read_b128 v[52:55], v66 offset:2800
	ds_read_b128 v[56:59], v66 offset:2784
	s_waitcnt lgkmcnt(0)
	v_mul_f64 v[6:7], v[46:47], v[54:55]
	v_fma_f64 v[54:55], s[4:5], v[4:5], -v[6:7]
	ds_read_b128 v[4:7], v66 offset:2768
	v_fma_f64 v[52:53], -v[44:45], v[52:53], v[54:55]
	v_fma_f64 v[58:59], -v[42:43], v[58:59], v[52:53]
	ds_read_b128 v[52:55], v66 offset:2752
	v_fma_f64 v[56:57], -v[40:41], v[56:57], v[58:59]
	s_waitcnt lgkmcnt(0)
	v_fma_f64 v[6:7], -v[38:39], v[6:7], v[56:57]
	ds_read_b128 v[56:59], v66 offset:2736
	v_fma_f64 v[4:5], -v[36:37], v[4:5], v[6:7]
	v_fma_f64 v[54:55], -v[34:35], v[54:55], v[4:5]
	ds_read_b128 v[4:7], v66 offset:2720
	v_fma_f64 v[52:53], -v[32:33], v[52:53], v[54:55]
	s_waitcnt lgkmcnt(0)
	v_fma_f64 v[52:53], -v[30:31], v[58:59], v[52:53]
	v_fma_f64 v[56:57], -v[28:29], v[56:57], v[52:53]
	ds_read_b128 v[52:55], v66 offset:2704
	v_fma_f64 v[6:7], -v[26:27], v[6:7], v[56:57]
	v_fma_f64 v[60:61], -v[24:25], v[4:5], v[6:7]
	ds_read_b128 v[4:7], v66 offset:2672
	ds_read_b128 v[56:59], v66 offset:2688
	s_waitcnt lgkmcnt(0)
	v_fma_f64 v[54:55], -v[22:23], v[54:55], v[60:61]
	v_fma_f64 v[64:65], -v[20:21], v[52:53], v[54:55]
	ds_read_b128 v[52:55], v66 offset:2640
	ds_read_b128 v[60:63], v66 offset:2656
	v_fma_f64 v[58:59], -v[18:19], v[58:59], v[64:65]
	v_fma_f64 v[56:57], -v[16:17], v[56:57], v[58:59]
	;; [unrolled: 1-line block ×4, first 2 shown]
	s_waitcnt lgkmcnt(0)
	v_fma_f64 v[4:5], -v[10:11], v[62:63], v[4:5]
	v_fma_f64 v[4:5], -v[8:9], v[60:61], v[4:5]
	;; [unrolled: 1-line block ×3, first 2 shown]
	v_mul_f64 v[52:53], v[52:53], v[4:5]
	flat_store_dwordx2 v[48:49], v[52:53] offset:80
	ds_read_b64 v[58:59], v66 offset:2552
	v_mov_b32_e32 v54, 0x9e8
	v_mov_b32_e32 v62, 0x948
	ds_read2_b64 v[54:57], v54 offset1:1
	ds_read2_b64 v[62:65], v62 offset1:1
	s_waitcnt lgkmcnt(0)
	v_mul_f64 v[58:59], v[46:47], v[58:59]
	v_fma_f64 v[2:3], s[4:5], v[2:3], -v[58:59]
	v_mov_b32_e32 v58, 0x9d8
	ds_read2_b64 v[58:61], v58 offset1:1
	v_fma_f64 v[2:3], -v[44:45], v[56:57], v[2:3]
	flat_load_dwordx4 v[4:7], v[48:49] offset:48
	v_fma_f64 v[2:3], -v[42:43], v[54:55], v[2:3]
	v_mov_b32_e32 v54, 0x9c8
	ds_read2_b64 v[54:57], v54 offset1:1
	s_waitcnt lgkmcnt(0)
	v_fma_f64 v[2:3], -v[40:41], v[60:61], v[2:3]
	v_fma_f64 v[2:3], -v[38:39], v[58:59], v[2:3]
	v_mov_b32_e32 v58, 0x9b8
	ds_read2_b64 v[58:61], v58 offset1:1
	v_fma_f64 v[2:3], -v[36:37], v[56:57], v[2:3]
	v_fma_f64 v[2:3], -v[34:35], v[54:55], v[2:3]
	v_mov_b32_e32 v54, 0x9a8
	ds_read2_b64 v[54:57], v54 offset1:1
	s_waitcnt lgkmcnt(0)
	v_fma_f64 v[2:3], -v[32:33], v[60:61], v[2:3]
	v_fma_f64 v[2:3], -v[30:31], v[58:59], v[2:3]
	v_mov_b32_e32 v58, 0x998
	ds_read2_b64 v[58:61], v58 offset1:1
	v_fma_f64 v[2:3], -v[28:29], v[56:57], v[2:3]
	;; [unrolled: 9-line block ×4, first 2 shown]
	v_fma_f64 v[2:3], -v[10:11], v[54:55], v[2:3]
	s_waitcnt lgkmcnt(0)
	v_fma_f64 v[2:3], -v[8:9], v[60:61], v[2:3]
	v_fma_f64 v[2:3], -v[50:51], v[58:59], v[2:3]
	;; [unrolled: 1-line block ×3, first 2 shown]
	v_mul_f64 v[54:55], v[62:63], v[2:3]
	flat_store_dwordx2 v[48:49], v[54:55] offset:72
	ds_read_b128 v[56:59], v66 offset:2288
	ds_read_b128 v[60:63], v66 offset:2272
	s_waitcnt lgkmcnt(0)
	v_mul_f64 v[2:3], v[46:47], v[58:59]
	v_fma_f64 v[58:59], s[4:5], v[0:1], -v[2:3]
	ds_read_b128 v[0:3], v66 offset:2256
	v_fma_f64 v[56:57], -v[44:45], v[56:57], v[58:59]
	v_fma_f64 v[62:63], -v[42:43], v[62:63], v[56:57]
	ds_read_b128 v[56:59], v66 offset:2240
	v_fma_f64 v[60:61], -v[40:41], v[60:61], v[62:63]
	s_waitcnt lgkmcnt(0)
	v_fma_f64 v[2:3], -v[38:39], v[2:3], v[60:61]
	ds_read_b128 v[60:63], v66 offset:2224
	v_fma_f64 v[0:1], -v[36:37], v[0:1], v[2:3]
	v_fma_f64 v[58:59], -v[34:35], v[58:59], v[0:1]
	ds_read_b128 v[0:3], v66 offset:2208
	v_fma_f64 v[56:57], -v[32:33], v[56:57], v[58:59]
	s_waitcnt lgkmcnt(0)
	v_fma_f64 v[62:63], -v[30:31], v[62:63], v[56:57]
	ds_read_b128 v[56:59], v66 offset:2192
	v_fma_f64 v[60:61], -v[28:29], v[60:61], v[62:63]
	v_fma_f64 v[2:3], -v[26:27], v[2:3], v[60:61]
	;; [unrolled: 1-line block ×3, first 2 shown]
	ds_read_b128 v[0:3], v66 offset:2176
	s_waitcnt lgkmcnt(0)
	v_fma_f64 v[58:59], -v[22:23], v[58:59], v[60:61]
	v_fma_f64 v[64:65], -v[20:21], v[56:57], v[58:59]
	ds_read_b128 v[56:59], v66 offset:2144
	ds_read_b128 v[60:63], v66 offset:2160
	v_fma_f64 v[2:3], -v[18:19], v[2:3], v[64:65]
	v_fma_f64 v[64:65], -v[16:17], v[0:1], v[2:3]
	ds_read_b128 v[0:3], v66 offset:2112
	ds_read_b128 v[68:71], v66 offset:2128
	s_waitcnt lgkmcnt(0)
	v_fma_f64 v[62:63], -v[14:15], v[62:63], v[64:65]
	v_fma_f64 v[60:61], -v[12:13], v[60:61], v[62:63]
	;; [unrolled: 1-line block ×7, first 2 shown]
	v_mul_f64 v[56:57], v[0:1], v[2:3]
	flat_store_dwordx2 v[48:49], v[56:57] offset:64
	ds_read_b64 v[62:63], v66 offset:2040
	ds_read2_b64 v[58:61], v66 offset0:253 offset1:254
	flat_load_dwordx4 v[0:3], v[48:49] offset:32
	s_waitcnt lgkmcnt(0)
	v_mul_f64 v[68:69], v[46:47], v[62:63]
	ds_read2_b64 v[62:65], v66 offset0:251 offset1:252
	s_waitcnt vmcnt(0)
	v_fma_f64 v[6:7], s[4:5], v[6:7], -v[68:69]
	ds_read2_b64 v[68:71], v66 offset0:249 offset1:250
	v_fma_f64 v[6:7], -v[44:45], v[60:61], v[6:7]
	v_fma_f64 v[6:7], -v[42:43], v[58:59], v[6:7]
	ds_read2_b64 v[58:61], v66 offset0:247 offset1:248
	s_waitcnt lgkmcnt(2)
	v_fma_f64 v[6:7], -v[40:41], v[64:65], v[6:7]
	v_fma_f64 v[6:7], -v[38:39], v[62:63], v[6:7]
	ds_read2_b64 v[62:65], v66 offset0:245 offset1:246
	s_waitcnt lgkmcnt(2)
	;; [unrolled: 4-line block ×9, first 2 shown]
	v_fma_f64 v[6:7], -v[8:9], v[60:61], v[6:7]
	v_fma_f64 v[6:7], -v[50:51], v[58:59], v[6:7]
	s_waitcnt lgkmcnt(1)
	v_fma_f64 v[6:7], -v[52:53], v[64:65], v[6:7]
	v_fma_f64 v[6:7], -v[54:55], v[62:63], v[6:7]
	s_waitcnt lgkmcnt(0)
	v_fma_f64 v[6:7], -v[56:57], v[70:71], v[6:7]
	v_mul_f64 v[58:59], v[68:69], v[6:7]
	flat_store_dwordx2 v[48:49], v[58:59] offset:56
	ds_read_b128 v[60:63], v66 offset:1776
	ds_read_b128 v[68:71], v66 offset:1760
	s_waitcnt lgkmcnt(0)
	v_mul_f64 v[6:7], v[46:47], v[62:63]
	v_fma_f64 v[62:63], s[4:5], v[4:5], -v[6:7]
	ds_read_b128 v[4:7], v66 offset:1744
	v_fma_f64 v[60:61], -v[44:45], v[60:61], v[62:63]
	v_fma_f64 v[64:65], -v[42:43], v[70:71], v[60:61]
	ds_read_b128 v[60:63], v66 offset:1728
	v_fma_f64 v[64:65], -v[40:41], v[68:69], v[64:65]
	ds_read_b128 v[68:71], v66 offset:1712
	s_waitcnt lgkmcnt(0)
	v_fma_f64 v[6:7], -v[38:39], v[6:7], v[64:65]
	v_fma_f64 v[4:5], -v[36:37], v[4:5], v[6:7]
	;; [unrolled: 1-line block ×3, first 2 shown]
	ds_read_b128 v[4:7], v66 offset:1696
	v_fma_f64 v[60:61], -v[32:33], v[60:61], v[62:63]
	v_fma_f64 v[64:65], -v[30:31], v[70:71], v[60:61]
	ds_read_b128 v[60:63], v66 offset:1680
	v_fma_f64 v[64:65], -v[28:29], v[68:69], v[64:65]
	ds_read_b128 v[68:71], v66 offset:1664
	s_waitcnt lgkmcnt(0)
	v_fma_f64 v[6:7], -v[26:27], v[6:7], v[64:65]
	v_fma_f64 v[4:5], -v[24:25], v[4:5], v[6:7]
	;; [unrolled: 1-line block ×4, first 2 shown]
	ds_read_b128 v[4:7], v66 offset:1648
	v_fma_f64 v[60:61], -v[18:19], v[70:71], v[60:61]
	v_fma_f64 v[64:65], -v[16:17], v[68:69], v[60:61]
	ds_read_b128 v[60:63], v66 offset:1616
	ds_read_b128 v[68:71], v66 offset:1632
	s_waitcnt lgkmcnt(0)
	v_fma_f64 v[6:7], -v[14:15], v[6:7], v[64:65]
	v_fma_f64 v[64:65], -v[12:13], v[4:5], v[6:7]
	ds_read_b128 v[4:7], v66 offset:1584
	ds_read_b128 v[72:75], v66 offset:1600
	v_fma_f64 v[64:65], -v[10:11], v[70:71], v[64:65]
	v_fma_f64 v[64:65], -v[8:9], v[68:69], v[64:65]
	;; [unrolled: 1-line block ×4, first 2 shown]
	s_waitcnt lgkmcnt(0)
	v_fma_f64 v[60:61], -v[54:55], v[74:75], v[60:61]
	v_fma_f64 v[60:61], -v[56:57], v[72:73], v[60:61]
	;; [unrolled: 1-line block ×3, first 2 shown]
	v_mul_f64 v[60:61], v[4:5], v[6:7]
	flat_store_dwordx2 v[48:49], v[60:61] offset:48
	ds_read_b64 v[68:69], v66 offset:1528
	ds_read2_b64 v[62:65], v66 offset0:189 offset1:190
	flat_load_dwordx4 v[4:7], v[48:49] offset:16
	s_waitcnt lgkmcnt(0)
	v_mul_f64 v[72:73], v[46:47], v[68:69]
	ds_read2_b64 v[68:71], v66 offset0:187 offset1:188
	v_fma_f64 v[2:3], s[4:5], v[2:3], -v[72:73]
	ds_read2_b64 v[72:75], v66 offset0:185 offset1:186
	v_fma_f64 v[2:3], -v[44:45], v[64:65], v[2:3]
	v_fma_f64 v[2:3], -v[42:43], v[62:63], v[2:3]
	ds_read2_b64 v[62:65], v66 offset0:183 offset1:184
	s_waitcnt lgkmcnt(0)
	v_fma_f64 v[2:3], -v[40:41], v[70:71], v[2:3]
	v_fma_f64 v[2:3], -v[38:39], v[68:69], v[2:3]
	ds_read2_b64 v[68:71], v66 offset0:181 offset1:182
	v_fma_f64 v[2:3], -v[36:37], v[74:75], v[2:3]
	v_fma_f64 v[2:3], -v[34:35], v[72:73], v[2:3]
	ds_read2_b64 v[72:75], v66 offset0:179 offset1:180
	v_fma_f64 v[2:3], -v[32:33], v[64:65], v[2:3]
	v_fma_f64 v[2:3], -v[30:31], v[62:63], v[2:3]
	ds_read2_b64 v[62:65], v66 offset0:177 offset1:178
	s_waitcnt lgkmcnt(0)
	v_fma_f64 v[2:3], -v[28:29], v[70:71], v[2:3]
	v_fma_f64 v[2:3], -v[26:27], v[68:69], v[2:3]
	ds_read2_b64 v[68:71], v66 offset0:175 offset1:176
	v_fma_f64 v[2:3], -v[24:25], v[74:75], v[2:3]
	v_fma_f64 v[2:3], -v[22:23], v[72:73], v[2:3]
	;; [unrolled: 10-line block ×3, first 2 shown]
	ds_read2_b64 v[72:75], v66 offset0:167 offset1:168
	v_fma_f64 v[2:3], -v[8:9], v[64:65], v[2:3]
	v_fma_f64 v[2:3], -v[50:51], v[62:63], v[2:3]
	ds_read2_b64 v[62:65], v66 offset0:165 offset1:166
	s_waitcnt lgkmcnt(0)
	v_fma_f64 v[2:3], -v[52:53], v[70:71], v[2:3]
	v_fma_f64 v[2:3], -v[54:55], v[68:69], v[2:3]
	;; [unrolled: 1-line block ×5, first 2 shown]
	v_mul_f64 v[62:63], v[62:63], v[2:3]
	flat_store_dwordx2 v[48:49], v[62:63] offset:40
	ds_read_b128 v[68:71], v66 offset:1264
	ds_read_b128 v[72:75], v66 offset:1248
	s_waitcnt lgkmcnt(0)
	v_mul_f64 v[2:3], v[46:47], v[70:71]
	v_fma_f64 v[64:65], s[4:5], v[0:1], -v[2:3]
	ds_read_b128 v[0:3], v66 offset:1232
	v_fma_f64 v[64:65], -v[44:45], v[68:69], v[64:65]
	ds_read_b128 v[68:71], v66 offset:1216
	v_fma_f64 v[64:65], -v[42:43], v[74:75], v[64:65]
	v_fma_f64 v[64:65], -v[40:41], v[72:73], v[64:65]
	s_waitcnt lgkmcnt(0)
	v_fma_f64 v[2:3], -v[38:39], v[2:3], v[64:65]
	ds_read_b128 v[72:75], v66 offset:1200
	v_fma_f64 v[0:1], -v[36:37], v[0:1], v[2:3]
	v_fma_f64 v[64:65], -v[34:35], v[70:71], v[0:1]
	ds_read_b128 v[0:3], v66 offset:1184
	v_fma_f64 v[64:65], -v[32:33], v[68:69], v[64:65]
	ds_read_b128 v[68:71], v66 offset:1168
	s_waitcnt lgkmcnt(0)
	v_fma_f64 v[64:65], -v[30:31], v[74:75], v[64:65]
	v_fma_f64 v[64:65], -v[28:29], v[72:73], v[64:65]
	;; [unrolled: 1-line block ×3, first 2 shown]
	ds_read_b128 v[72:75], v66 offset:1152
	v_fma_f64 v[0:1], -v[24:25], v[0:1], v[2:3]
	v_fma_f64 v[64:65], -v[22:23], v[70:71], v[0:1]
	ds_read_b128 v[0:3], v66 offset:1136
	v_fma_f64 v[64:65], -v[20:21], v[68:69], v[64:65]
	s_waitcnt lgkmcnt(0)
	v_fma_f64 v[64:65], -v[18:19], v[74:75], v[64:65]
	v_fma_f64 v[64:65], -v[16:17], v[72:73], v[64:65]
	ds_read_b128 v[68:71], v66 offset:1120
	v_fma_f64 v[2:3], -v[14:15], v[2:3], v[64:65]
	v_fma_f64 v[64:65], -v[12:13], v[0:1], v[2:3]
	ds_read_b128 v[0:3], v66 offset:1088
	ds_read_b128 v[72:75], v66 offset:1104
	s_waitcnt lgkmcnt(0)
	v_fma_f64 v[64:65], -v[10:11], v[70:71], v[64:65]
	v_fma_f64 v[64:65], -v[8:9], v[68:69], v[64:65]
	ds_read_b128 v[68:71], v66 offset:1056
	ds_read_b128 v[76:79], v66 offset:1072
	v_fma_f64 v[64:65], -v[50:51], v[74:75], v[64:65]
	v_fma_f64 v[64:65], -v[52:53], v[72:73], v[64:65]
	;; [unrolled: 1-line block ×4, first 2 shown]
	s_waitcnt lgkmcnt(0)
	v_fma_f64 v[0:1], -v[58:59], v[78:79], v[0:1]
	v_fma_f64 v[0:1], -v[60:61], v[76:77], v[0:1]
	;; [unrolled: 1-line block ×3, first 2 shown]
	v_mul_f64 v[64:65], v[68:69], v[0:1]
	flat_store_dwordx2 v[48:49], v[64:65] offset:32
	ds_read_b64 v[72:73], v66 offset:1016
	ds_read2_b64 v[68:71], v66 offset0:125 offset1:126
	flat_load_dwordx4 v[0:3], v[48:49]
	s_waitcnt lgkmcnt(0)
	v_mul_f64 v[76:77], v[46:47], v[72:73]
	ds_read2_b64 v[72:75], v66 offset0:123 offset1:124
	s_waitcnt vmcnt(0)
	v_fma_f64 v[6:7], s[4:5], v[6:7], -v[76:77]
	ds_read2_b64 v[76:79], v66 offset0:121 offset1:122
	v_fma_f64 v[6:7], -v[44:45], v[70:71], v[6:7]
	v_fma_f64 v[6:7], -v[42:43], v[68:69], v[6:7]
	ds_read2_b64 v[68:71], v66 offset0:119 offset1:120
	s_waitcnt lgkmcnt(2)
	v_fma_f64 v[6:7], -v[40:41], v[74:75], v[6:7]
	v_fma_f64 v[6:7], -v[38:39], v[72:73], v[6:7]
	ds_read2_b64 v[72:75], v66 offset0:117 offset1:118
	s_waitcnt lgkmcnt(2)
	v_fma_f64 v[6:7], -v[36:37], v[78:79], v[6:7]
	v_fma_f64 v[6:7], -v[34:35], v[76:77], v[6:7]
	ds_read2_b64 v[76:79], v66 offset0:115 offset1:116
	s_waitcnt lgkmcnt(2)
	v_fma_f64 v[6:7], -v[32:33], v[70:71], v[6:7]
	v_fma_f64 v[6:7], -v[30:31], v[68:69], v[6:7]
	ds_read2_b64 v[68:71], v66 offset0:113 offset1:114
	s_waitcnt lgkmcnt(2)
	v_fma_f64 v[6:7], -v[28:29], v[74:75], v[6:7]
	v_fma_f64 v[6:7], -v[26:27], v[72:73], v[6:7]
	ds_read2_b64 v[72:75], v66 offset0:111 offset1:112
	s_waitcnt lgkmcnt(2)
	v_fma_f64 v[6:7], -v[24:25], v[78:79], v[6:7]
	v_fma_f64 v[6:7], -v[22:23], v[76:77], v[6:7]
	ds_read2_b64 v[76:79], v66 offset0:109 offset1:110
	s_waitcnt lgkmcnt(2)
	v_fma_f64 v[6:7], -v[20:21], v[70:71], v[6:7]
	v_fma_f64 v[6:7], -v[18:19], v[68:69], v[6:7]
	ds_read2_b64 v[68:71], v66 offset0:107 offset1:108
	s_waitcnt lgkmcnt(2)
	v_fma_f64 v[6:7], -v[16:17], v[74:75], v[6:7]
	v_fma_f64 v[6:7], -v[14:15], v[72:73], v[6:7]
	s_waitcnt lgkmcnt(1)
	v_fma_f64 v[6:7], -v[12:13], v[78:79], v[6:7]
	ds_read2_b64 v[72:75], v66 offset0:105 offset1:106
	v_fma_f64 v[6:7], -v[10:11], v[76:77], v[6:7]
	s_waitcnt lgkmcnt(1)
	v_fma_f64 v[6:7], -v[8:9], v[70:71], v[6:7]
	v_fma_f64 v[6:7], -v[50:51], v[68:69], v[6:7]
	ds_read2_b64 v[68:71], v66 offset0:103 offset1:104
	s_waitcnt lgkmcnt(1)
	v_fma_f64 v[6:7], -v[52:53], v[74:75], v[6:7]
	ds_read2_b64 v[74:77], v66 offset0:101 offset1:102
	ds_read2_b64 v[78:81], v66 offset0:99 offset1:100
	v_fma_f64 v[6:7], -v[54:55], v[72:73], v[6:7]
	s_waitcnt lgkmcnt(2)
	v_fma_f64 v[6:7], -v[56:57], v[70:71], v[6:7]
	v_fma_f64 v[6:7], -v[58:59], v[68:69], v[6:7]
	s_waitcnt lgkmcnt(1)
	v_fma_f64 v[6:7], -v[60:61], v[76:77], v[6:7]
	;; [unrolled: 3-line block ×3, first 2 shown]
	v_mul_f64 v[6:7], v[78:79], v[6:7]
	flat_store_dwordx2 v[48:49], v[6:7] offset:24
	ds_read_b128 v[68:71], v66 offset:752
	ds_read_b128 v[72:75], v66 offset:736
	ds_read_b128 v[76:79], v66 offset:720
	s_waitcnt lgkmcnt(0)
	v_mul_f64 v[70:71], v[46:47], v[70:71]
	v_fma_f64 v[4:5], s[4:5], v[4:5], -v[70:71]
	v_fma_f64 v[4:5], -v[44:45], v[68:69], v[4:5]
	ds_read_b128 v[68:71], v66 offset:704
	v_fma_f64 v[4:5], -v[42:43], v[74:75], v[4:5]
	v_fma_f64 v[4:5], -v[40:41], v[72:73], v[4:5]
	ds_read_b128 v[72:75], v66 offset:688
	v_fma_f64 v[4:5], -v[38:39], v[78:79], v[4:5]
	v_fma_f64 v[4:5], -v[36:37], v[76:77], v[4:5]
	ds_read_b128 v[76:79], v66 offset:672
	s_waitcnt lgkmcnt(0)
	v_fma_f64 v[4:5], -v[34:35], v[70:71], v[4:5]
	v_fma_f64 v[4:5], -v[32:33], v[68:69], v[4:5]
	ds_read_b128 v[68:71], v66 offset:656
	v_fma_f64 v[4:5], -v[30:31], v[74:75], v[4:5]
	v_fma_f64 v[4:5], -v[28:29], v[72:73], v[4:5]
	ds_read_b128 v[72:75], v66 offset:640
	v_fma_f64 v[4:5], -v[26:27], v[78:79], v[4:5]
	v_fma_f64 v[4:5], -v[24:25], v[76:77], v[4:5]
	ds_read_b128 v[76:79], v66 offset:624
	s_waitcnt lgkmcnt(0)
	v_fma_f64 v[4:5], -v[22:23], v[70:71], v[4:5]
	v_fma_f64 v[4:5], -v[20:21], v[68:69], v[4:5]
	ds_read_b128 v[68:71], v66 offset:608
	v_fma_f64 v[4:5], -v[18:19], v[74:75], v[4:5]
	v_fma_f64 v[4:5], -v[16:17], v[72:73], v[4:5]
	;; [unrolled: 1-line block ×4, first 2 shown]
	ds_read_b128 v[72:75], v66 offset:592
	s_waitcnt lgkmcnt(0)
	v_fma_f64 v[4:5], -v[10:11], v[70:71], v[4:5]
	v_fma_f64 v[4:5], -v[8:9], v[68:69], v[4:5]
	ds_read_b128 v[68:71], v66 offset:560
	ds_read_b128 v[76:79], v66 offset:576
	v_fma_f64 v[4:5], -v[50:51], v[74:75], v[4:5]
	v_fma_f64 v[4:5], -v[52:53], v[72:73], v[4:5]
	ds_read_b128 v[72:75], v66 offset:528
	ds_read_b128 v[80:83], v66 offset:544
	s_waitcnt lgkmcnt(0)
	v_fma_f64 v[4:5], -v[54:55], v[78:79], v[4:5]
	v_fma_f64 v[4:5], -v[56:57], v[76:77], v[4:5]
	;; [unrolled: 1-line block ×7, first 2 shown]
	v_mul_f64 v[4:5], v[72:73], v[4:5]
	flat_store_dwordx2 v[48:49], v[4:5] offset:16
	ds_read_b64 v[72:73], v66 offset:504
	ds_read2_b64 v[68:71], v66 offset0:61 offset1:62
	s_waitcnt lgkmcnt(0)
	v_mul_f64 v[76:77], v[46:47], v[72:73]
	ds_read2_b64 v[72:75], v66 offset0:59 offset1:60
	v_fma_f64 v[2:3], s[4:5], v[2:3], -v[76:77]
	ds_read2_b64 v[76:79], v66 offset0:57 offset1:58
	v_fma_f64 v[2:3], -v[44:45], v[70:71], v[2:3]
	v_fma_f64 v[2:3], -v[42:43], v[68:69], v[2:3]
	ds_read2_b64 v[68:71], v66 offset0:55 offset1:56
	s_waitcnt lgkmcnt(0)
	v_fma_f64 v[2:3], -v[40:41], v[74:75], v[2:3]
	v_fma_f64 v[2:3], -v[38:39], v[72:73], v[2:3]
	ds_read2_b64 v[72:75], v66 offset0:53 offset1:54
	v_fma_f64 v[2:3], -v[36:37], v[78:79], v[2:3]
	v_fma_f64 v[2:3], -v[34:35], v[76:77], v[2:3]
	ds_read2_b64 v[76:79], v66 offset0:51 offset1:52
	v_fma_f64 v[2:3], -v[32:33], v[70:71], v[2:3]
	v_fma_f64 v[2:3], -v[30:31], v[68:69], v[2:3]
	ds_read2_b64 v[68:71], v66 offset0:49 offset1:50
	s_waitcnt lgkmcnt(0)
	v_fma_f64 v[2:3], -v[28:29], v[74:75], v[2:3]
	v_fma_f64 v[2:3], -v[26:27], v[72:73], v[2:3]
	ds_read2_b64 v[72:75], v66 offset0:47 offset1:48
	v_fma_f64 v[2:3], -v[24:25], v[78:79], v[2:3]
	v_fma_f64 v[2:3], -v[22:23], v[76:77], v[2:3]
	;; [unrolled: 10-line block ×4, first 2 shown]
	ds_read2_b64 v[76:79], v66 offset0:33 offset1:34
	v_fma_f64 v[2:3], -v[60:61], v[70:71], v[2:3]
	v_fma_f64 v[2:3], -v[62:63], v[68:69], v[2:3]
	s_waitcnt lgkmcnt(0)
	v_fma_f64 v[2:3], -v[64:65], v[74:75], v[2:3]
	v_fma_f64 v[2:3], -v[6:7], v[72:73], v[2:3]
	;; [unrolled: 1-line block ×3, first 2 shown]
	v_mul_f64 v[76:77], v[76:77], v[2:3]
	flat_store_dwordx2 v[48:49], v[76:77] offset:8
	ds_read_b128 v[68:71], v66 offset:240
	ds_read_b128 v[72:75], v66 offset:224
	s_waitcnt lgkmcnt(0)
	v_mul_f64 v[2:3], v[46:47], v[70:71]
	v_fma_f64 v[46:47], s[4:5], v[0:1], -v[2:3]
	ds_read_b128 v[0:3], v66 offset:208
	v_fma_f64 v[44:45], -v[44:45], v[68:69], v[46:47]
	v_fma_f64 v[46:47], -v[42:43], v[74:75], v[44:45]
	ds_read_b128 v[42:45], v66 offset:192
	v_fma_f64 v[40:41], -v[40:41], v[72:73], v[46:47]
	s_waitcnt lgkmcnt(0)
	v_fma_f64 v[2:3], -v[38:39], v[2:3], v[40:41]
	ds_read_b128 v[38:41], v66 offset:176
	v_fma_f64 v[0:1], -v[36:37], v[0:1], v[2:3]
	v_fma_f64 v[34:35], -v[34:35], v[44:45], v[0:1]
	ds_read_b128 v[0:3], v66 offset:160
	v_fma_f64 v[32:33], -v[32:33], v[42:43], v[34:35]
	s_waitcnt lgkmcnt(0)
	v_fma_f64 v[34:35], -v[30:31], v[40:41], v[32:33]
	;; [unrolled: 7-line block ×4, first 2 shown]
	ds_read_b128 v[14:17], v66 offset:80
	v_fma_f64 v[0:1], -v[12:13], v[0:1], v[2:3]
	v_fma_f64 v[0:1], -v[10:11], v[20:21], v[0:1]
	;; [unrolled: 1-line block ×3, first 2 shown]
	ds_read_b128 v[0:3], v66 offset:64
	s_waitcnt lgkmcnt(0)
	v_fma_f64 v[8:9], -v[50:51], v[16:17], v[8:9]
	v_fma_f64 v[16:17], -v[52:53], v[14:15], v[8:9]
	ds_read_b128 v[8:11], v66 offset:32
	ds_read_b128 v[12:15], v66 offset:48
	v_fma_f64 v[2:3], -v[54:55], v[2:3], v[16:17]
	v_fma_f64 v[20:21], -v[56:57], v[0:1], v[2:3]
	ds_read_b128 v[0:3], v66
	ds_read_b128 v[16:19], v66 offset:16
	s_waitcnt lgkmcnt(0)
	v_fma_f64 v[14:15], -v[58:59], v[14:15], v[20:21]
	v_fma_f64 v[12:13], -v[60:61], v[12:13], v[14:15]
	;; [unrolled: 1-line block ×7, first 2 shown]
	v_mul_f64 v[0:1], v[0:1], v[2:3]
	flat_store_dwordx2 v[48:49], v[0:1]
.LBB105_10:
	s_cmp_gt_i32 s0, -1
	s_cbranch_scc0 .LBB105_33
; %bb.11:
	s_cmp_lt_u32 s0, 27
	s_cbranch_scc1 .LBB105_16
; %bb.12:
	s_mov_b32 s3, 0
	s_mov_b32 s1, s3
	v_lshl_add_u64 v[8:9], s[0:1], 3, v[48:49]
	v_add_co_u32_e32 v4, vcc, -8, v8
	s_cmp_le_i32 s8, s0
	s_nop 0
	v_addc_co_u32_e32 v5, vcc, -1, v9, vcc
	v_add_co_u32_e32 v6, vcc, 0xffffffe8, v8
	s_nop 1
	v_addc_co_u32_e32 v7, vcc, -1, v9, vcc
	flat_load_dwordx4 v[0:3], v[4:5]
	flat_load_dwordx4 v[12:15], v[6:7]
	v_add_co_u32_e32 v4, vcc, 0xffffffd8, v8
	s_waitcnt vmcnt(0) lgkmcnt(0)
	v_mul_f64 v[58:59], s[4:5], v[0:1]
	v_addc_co_u32_e32 v5, vcc, -1, v9, vcc
	v_add_co_u32_e32 v6, vcc, 0xffffffc8, v8
	v_mul_f64 v[10:11], s[4:5], v[14:15]
	s_nop 0
	v_addc_co_u32_e32 v7, vcc, -1, v9, vcc
	flat_load_dwordx4 v[16:19], v[4:5]
	flat_load_dwordx4 v[22:25], v[6:7]
	v_add_co_u32_e32 v4, vcc, 0xffffffb8, v8
	v_mul_f64 v[12:13], s[4:5], v[12:13]
	s_nop 0
	v_addc_co_u32_e32 v5, vcc, -1, v9, vcc
	v_add_co_u32_e32 v6, vcc, 0xffffffa8, v8
	s_waitcnt vmcnt(0) lgkmcnt(0)
	v_mul_f64 v[14:15], s[4:5], v[18:19]
	v_addc_co_u32_e32 v7, vcc, -1, v9, vcc
	flat_load_dwordx4 v[26:29], v[4:5]
	flat_load_dwordx4 v[32:35], v[6:7]
	v_add_co_u32_e32 v4, vcc, 0xffffff98, v8
	v_mul_f64 v[16:17], s[4:5], v[16:17]
	s_nop 0
	v_addc_co_u32_e32 v5, vcc, -1, v9, vcc
	v_add_co_u32_e32 v6, vcc, 0xffffff88, v8
	v_mul_f64 v[20:21], s[4:5], v[24:25]
	s_nop 0
	v_addc_co_u32_e32 v7, vcc, -1, v9, vcc
	flat_load_dwordx4 v[38:41], v[4:5]
	flat_load_dwordx4 v[42:45], v[6:7]
	v_add_co_u32_e32 v4, vcc, 0xffffff78, v8
	v_mul_f64 v[22:23], s[4:5], v[22:23]
	s_nop 0
	v_addc_co_u32_e32 v5, vcc, -1, v9, vcc
	v_add_co_u32_e32 v6, vcc, 0xffffff68, v8
	s_waitcnt vmcnt(0) lgkmcnt(0)
	v_mul_f64 v[24:25], s[4:5], v[28:29]
	v_addc_co_u32_e32 v7, vcc, -1, v9, vcc
	flat_load_dwordx4 v[50:53], v[4:5]
	flat_load_dwordx4 v[60:63], v[6:7]
	v_add_co_u32_e32 v4, vcc, 0xffffff58, v8
	v_mul_f64 v[28:29], s[4:5], v[26:27]
	s_nop 0
	v_addc_co_u32_e32 v5, vcc, -1, v9, vcc
	v_add_co_u32_e32 v6, vcc, 0xffffff48, v8
	v_mul_f64 v[30:31], s[4:5], v[34:35]
	s_nop 0
	v_addc_co_u32_e32 v7, vcc, -1, v9, vcc
	flat_load_dwordx4 v[64:67], v[4:5]
	flat_load_dwordx4 v[68:71], v[6:7]
	v_add_co_u32_e32 v4, vcc, 0xffffff38, v8
	v_mul_f64 v[6:7], s[4:5], v[2:3]
	s_nop 0
	v_addc_co_u32_e32 v5, vcc, -1, v9, vcc
	flat_load_dwordx4 v[72:75], v[4:5]
	v_add_co_u32_e32 v4, vcc, 0xffffff28, v8
	v_mul_f64 v[34:35], s[4:5], v[32:33]
	s_nop 0
	v_addc_co_u32_e32 v5, vcc, -1, v9, vcc
	flat_load_dwordx4 v[76:79], v[4:5]
	v_mul_f64 v[36:37], s[4:5], v[40:41]
	v_mul_f64 v[40:41], s[4:5], v[38:39]
	;; [unrolled: 1-line block ×4, first 2 shown]
	s_waitcnt vmcnt(0) lgkmcnt(0)
	v_mul_f64 v[52:53], s[4:5], v[52:53]
	v_mul_f64 v[56:57], s[4:5], v[50:51]
	;; [unrolled: 1-line block ×12, first 2 shown]
	s_cbranch_scc1 .LBB105_15
; %bb.13:
	s_lshl_b32 s1, s0, 8
	s_lshl_b32 s2, s22, 3
	s_add_i32 s1, s1, s2
	s_addk_i32 s1, 0xe4f8
	s_mov_b32 s2, s8
.LBB105_14:                             ; =>This Inner Loop Header: Depth=1
	v_lshl_add_u64 v[60:61], s[2:3], 3, v[48:49]
	flat_load_dwordx2 v[84:85], v[60:61]
	v_mov_b32_e32 v72, s1
	v_add_u32_e32 v80, 0x1800, v72
	v_add_u32_e32 v81, 0x1000, v72
	;; [unrolled: 1-line block ×3, first 2 shown]
	ds_read2_b64 v[60:63], v72 offset0:192 offset1:224
	ds_read2_b64 v[64:67], v72 offset0:128 offset1:160
	;; [unrolled: 1-line block ×3, first 2 shown]
	ds_read2_b64 v[72:75], v72 offset1:32
	ds_read2_b64 v[76:79], v80 offset0:64 offset1:96
	s_add_i32 s2, s2, -1
	s_add_i32 s1, s1, -8
	s_cmp_gt_i32 s2, s0
	s_waitcnt vmcnt(0) lgkmcnt(0)
	v_fma_f64 v[6:7], -v[84:85], v[78:79], v[6:7]
	v_fma_f64 v[58:59], -v[84:85], v[76:77], v[58:59]
	ds_read2_b64 v[76:79], v80 offset1:32
	v_fma_f64 v[42:43], -v[84:85], v[62:63], v[42:43]
	v_fma_f64 v[38:39], -v[84:85], v[60:61], v[38:39]
	;; [unrolled: 1-line block ×4, first 2 shown]
	s_waitcnt lgkmcnt(0)
	v_fma_f64 v[10:11], -v[84:85], v[78:79], v[10:11]
	v_fma_f64 v[12:13], -v[84:85], v[76:77], v[12:13]
	ds_read2_b64 v[76:79], v81 offset0:192 offset1:224
	v_fma_f64 v[18:19], -v[84:85], v[70:71], v[18:19]
	v_fma_f64 v[4:5], -v[84:85], v[68:69], v[4:5]
	v_fma_f64 v[2:3], -v[84:85], v[74:75], v[2:3]
	v_fma_f64 v[0:1], -v[84:85], v[72:73], v[0:1]
	s_waitcnt lgkmcnt(0)
	v_fma_f64 v[14:15], -v[84:85], v[78:79], v[14:15]
	v_fma_f64 v[16:17], -v[84:85], v[76:77], v[16:17]
	ds_read2_b64 v[76:79], v81 offset0:128 offset1:160
	s_waitcnt lgkmcnt(0)
	v_fma_f64 v[20:21], -v[84:85], v[78:79], v[20:21]
	v_fma_f64 v[22:23], -v[84:85], v[76:77], v[22:23]
	ds_read2_b64 v[76:79], v81 offset0:64 offset1:96
	ds_read2_b64 v[80:83], v81 offset1:32
	s_waitcnt lgkmcnt(1)
	v_fma_f64 v[24:25], -v[84:85], v[78:79], v[24:25]
	v_fma_f64 v[28:29], -v[84:85], v[76:77], v[28:29]
	ds_read2_b64 v[76:79], v86 offset0:192 offset1:224
	s_waitcnt lgkmcnt(1)
	v_fma_f64 v[30:31], -v[84:85], v[82:83], v[30:31]
	v_fma_f64 v[34:35], -v[84:85], v[80:81], v[34:35]
	ds_read2_b64 v[80:83], v86 offset0:128 offset1:160
	;; [unrolled: 4-line block ×3, first 2 shown]
	s_waitcnt lgkmcnt(1)
	v_fma_f64 v[44:45], -v[84:85], v[82:83], v[44:45]
	v_fma_f64 v[46:47], -v[84:85], v[80:81], v[46:47]
	ds_read2_b64 v[80:83], v86 offset1:32
	s_waitcnt lgkmcnt(1)
	v_fma_f64 v[52:53], -v[84:85], v[78:79], v[52:53]
	v_fma_f64 v[56:57], -v[84:85], v[76:77], v[56:57]
	s_waitcnt lgkmcnt(0)
	v_fma_f64 v[54:55], -v[84:85], v[82:83], v[54:55]
	v_fma_f64 v[50:51], -v[84:85], v[80:81], v[50:51]
	s_cbranch_scc1 .LBB105_14
.LBB105_15:
	s_mul_i32 s1, s0, 0x108
	v_mov_b32_e32 v60, s1
	ds_read_b64 v[60:61], v60
	s_add_i32 s2, s0, -1
	s_lshl_b32 s1, s2, 8
	s_lshl_b32 s3, s2, 3
	s_add_i32 s1, s1, s3
	s_waitcnt lgkmcnt(0)
	v_mul_f64 v[6:7], v[60:61], v[6:7]
	flat_store_dwordx2 v[8:9], v[6:7]
	v_mov_b32_e32 v8, s1
	ds_read2_b64 v[60:63], v8 offset1:1
	s_mov_b32 s3, 0
	v_lshl_add_u64 v[64:65], s[2:3], 3, v[48:49]
	s_add_i32 s2, s0, -2
	s_lshl_b32 s6, s2, 8
	s_lshl_b32 s1, s0, 3
	s_add_i32 s7, s6, s1
	s_waitcnt lgkmcnt(0)
	v_fma_f64 v[8:9], -v[6:7], v[62:63], v[58:59]
	v_mov_b32_e32 v58, s7
	s_lshl_b32 s7, s2, 3
	v_mul_f64 v[8:9], v[60:61], v[8:9]
	s_add_i32 s6, s6, s7
	flat_store_dwordx2 v[64:65], v[8:9]
	v_mov_b32_e32 v59, s6
	ds_read_b64 v[62:63], v58
	ds_read2_b64 v[58:61], v59 offset1:1
	s_waitcnt lgkmcnt(0)
	v_fma_f64 v[10:11], -v[6:7], v[62:63], v[10:11]
	v_fma_f64 v[10:11], -v[8:9], v[60:61], v[10:11]
	v_mul_f64 v[10:11], v[58:59], v[10:11]
	v_lshl_add_u64 v[58:59], s[2:3], 3, v[48:49]
	s_add_i32 s2, s0, -3
	s_lshl_b32 s6, s2, 8
	s_add_i32 s7, s6, s1
	s_add_i32 s7, s7, -8
	flat_store_dwordx2 v[58:59], v[10:11]
	v_mov_b32_e32 v58, s7
	s_lshl_b32 s7, s2, 3
	ds_read2_b64 v[58:61], v58 offset1:1
	s_add_i32 s6, s6, s7
	v_mov_b32_e32 v62, s6
	ds_read2_b64 v[62:65], v62 offset1:1
	s_waitcnt lgkmcnt(0)
	v_fma_f64 v[12:13], -v[6:7], v[60:61], v[12:13]
	v_fma_f64 v[12:13], -v[8:9], v[58:59], v[12:13]
	v_lshl_add_u64 v[58:59], s[2:3], 3, v[48:49]
	s_add_i32 s2, s0, -4
	v_fma_f64 v[12:13], -v[10:11], v[64:65], v[12:13]
	s_lshl_b32 s6, s2, 8
	v_mul_f64 v[12:13], v[62:63], v[12:13]
	s_add_i32 s7, s6, s1
	flat_store_dwordx2 v[58:59], v[12:13]
	v_mov_b32_e32 v58, s7
	s_add_i32 s7, s7, -16
	v_mov_b32_e32 v59, s7
	ds_read_b64 v[66:67], v58
	ds_read2_b64 v[58:61], v59 offset1:1
	s_lshl_b32 s7, s2, 3
	s_add_i32 s6, s6, s7
	v_mov_b32_e32 v62, s6
	ds_read2_b64 v[62:65], v62 offset1:1
	s_waitcnt lgkmcnt(0)
	v_fma_f64 v[14:15], -v[6:7], v[66:67], v[14:15]
	v_fma_f64 v[14:15], -v[8:9], v[60:61], v[14:15]
	;; [unrolled: 1-line block ×3, first 2 shown]
	v_lshl_add_u64 v[58:59], s[2:3], 3, v[48:49]
	s_add_i32 s2, s0, -5
	s_lshl_b32 s6, s2, 8
	v_fma_f64 v[14:15], -v[12:13], v[64:65], v[14:15]
	s_add_i32 s7, s6, s1
	v_mul_f64 v[14:15], v[62:63], v[14:15]
	s_add_i32 s9, s7, -8
	s_sub_i32 s7, s7, 24
	flat_store_dwordx2 v[58:59], v[14:15]
	v_mov_b32_e32 v58, s9
	v_mov_b32_e32 v62, s7
	ds_read2_b64 v[58:61], v58 offset1:1
	ds_read2_b64 v[62:65], v62 offset1:1
	s_lshl_b32 s7, s2, 3
	s_add_i32 s6, s6, s7
	v_mov_b32_e32 v66, s6
	ds_read2_b64 v[66:69], v66 offset1:1
	s_waitcnt lgkmcnt(0)
	v_fma_f64 v[16:17], -v[6:7], v[60:61], v[16:17]
	v_fma_f64 v[16:17], -v[8:9], v[58:59], v[16:17]
	;; [unrolled: 1-line block ×4, first 2 shown]
	v_lshl_add_u64 v[58:59], s[2:3], 3, v[48:49]
	s_add_i32 s2, s0, -6
	v_fma_f64 v[16:17], -v[14:15], v[68:69], v[16:17]
	s_lshl_b32 s6, s2, 8
	v_mul_f64 v[16:17], v[66:67], v[16:17]
	s_add_i32 s7, s6, s1
	flat_store_dwordx2 v[58:59], v[16:17]
	v_mov_b32_e32 v58, s7
	ds_read_b64 v[62:63], v58
	s_add_i32 s9, s7, -16
	v_mov_b32_e32 v58, s9
	ds_read2_b64 v[58:61], v58 offset1:1
	s_sub_i32 s7, s7, 32
	s_waitcnt lgkmcnt(0)
	v_fma_f64 v[20:21], -v[6:7], v[62:63], v[20:21]
	v_mov_b32_e32 v62, s7
	s_lshl_b32 s7, s2, 3
	ds_read2_b64 v[62:65], v62 offset1:1
	s_add_i32 s6, s6, s7
	v_mov_b32_e32 v66, s6
	ds_read2_b64 v[66:69], v66 offset1:1
	v_fma_f64 v[20:21], -v[8:9], v[60:61], v[20:21]
	v_fma_f64 v[20:21], -v[10:11], v[58:59], v[20:21]
	s_waitcnt lgkmcnt(0)
	v_fma_f64 v[20:21], -v[12:13], v[64:65], v[20:21]
	v_lshl_add_u64 v[58:59], s[2:3], 3, v[48:49]
	s_add_i32 s2, s0, -7
	v_fma_f64 v[20:21], -v[14:15], v[62:63], v[20:21]
	s_lshl_b32 s6, s2, 8
	v_fma_f64 v[20:21], -v[16:17], v[68:69], v[20:21]
	s_add_i32 s7, s6, s1
	v_mul_f64 v[20:21], v[66:67], v[20:21]
	s_add_i32 s9, s7, -8
	flat_store_dwordx2 v[58:59], v[20:21]
	v_mov_b32_e32 v58, s9
	ds_read2_b64 v[58:61], v58 offset1:1
	s_sub_i32 s9, s7, 24
	v_mov_b32_e32 v62, s9
	ds_read2_b64 v[62:65], v62 offset1:1
	s_sub_i32 s7, s7, 40
	s_waitcnt lgkmcnt(0)
	v_fma_f64 v[22:23], -v[6:7], v[60:61], v[22:23]
	v_fma_f64 v[22:23], -v[8:9], v[58:59], v[22:23]
	v_mov_b32_e32 v58, s7
	ds_read2_b64 v[58:61], v58 offset1:1
	s_lshl_b32 s7, s2, 3
	s_add_i32 s6, s6, s7
	v_mov_b32_e32 v66, s6
	ds_read2_b64 v[66:69], v66 offset1:1
	v_fma_f64 v[22:23], -v[10:11], v[64:65], v[22:23]
	v_fma_f64 v[22:23], -v[12:13], v[62:63], v[22:23]
	s_waitcnt lgkmcnt(0)
	v_fma_f64 v[22:23], -v[14:15], v[60:61], v[22:23]
	v_fma_f64 v[22:23], -v[16:17], v[58:59], v[22:23]
	v_lshl_add_u64 v[58:59], s[2:3], 3, v[48:49]
	s_add_i32 s2, s0, -8
	s_lshl_b32 s6, s2, 8
	v_fma_f64 v[22:23], -v[20:21], v[68:69], v[22:23]
	s_add_i32 s7, s6, s1
	v_mul_f64 v[22:23], v[66:67], v[22:23]
	s_add_i32 s9, s7, -16
	flat_store_dwordx2 v[58:59], v[22:23]
	v_mov_b32_e32 v58, s7
	v_mov_b32_e32 v59, s9
	ds_read_b64 v[62:63], v58
	ds_read2_b64 v[58:61], v59 offset1:1
	s_sub_i32 s9, s7, 32
	s_sub_i32 s7, s7, 48
	s_waitcnt lgkmcnt(0)
	v_fma_f64 v[24:25], -v[6:7], v[62:63], v[24:25]
	v_fma_f64 v[24:25], -v[8:9], v[60:61], v[24:25]
	;; [unrolled: 1-line block ×3, first 2 shown]
	v_mov_b32_e32 v58, s9
	v_mov_b32_e32 v62, s7
	ds_read2_b64 v[58:61], v58 offset1:1
	ds_read2_b64 v[62:65], v62 offset1:1
	s_lshl_b32 s7, s2, 3
	s_add_i32 s6, s6, s7
	v_mov_b32_e32 v66, s6
	ds_read2_b64 v[66:69], v66 offset1:1
	s_waitcnt lgkmcnt(0)
	v_fma_f64 v[24:25], -v[12:13], v[60:61], v[24:25]
	v_fma_f64 v[24:25], -v[14:15], v[58:59], v[24:25]
	;; [unrolled: 1-line block ×3, first 2 shown]
	v_lshl_add_u64 v[58:59], s[2:3], 3, v[48:49]
	s_add_i32 s2, s0, -9
	v_fma_f64 v[24:25], -v[20:21], v[62:63], v[24:25]
	s_lshl_b32 s6, s2, 8
	v_fma_f64 v[24:25], -v[22:23], v[68:69], v[24:25]
	s_add_i32 s7, s6, s1
	v_mul_f64 v[24:25], v[66:67], v[24:25]
	s_add_i32 s9, s7, -8
	flat_store_dwordx2 v[58:59], v[24:25]
	v_mov_b32_e32 v58, s9
	ds_read2_b64 v[58:61], v58 offset1:1
	s_sub_i32 s9, s7, 24
	v_mov_b32_e32 v62, s9
	ds_read2_b64 v[62:65], v62 offset1:1
	s_sub_i32 s9, s7, 40
	s_waitcnt lgkmcnt(0)
	v_fma_f64 v[28:29], -v[6:7], v[60:61], v[28:29]
	v_fma_f64 v[28:29], -v[8:9], v[58:59], v[28:29]
	s_sub_i32 s7, s7, 56
	v_fma_f64 v[28:29], -v[10:11], v[64:65], v[28:29]
	v_fma_f64 v[28:29], -v[12:13], v[62:63], v[28:29]
	v_mov_b32_e32 v58, s9
	v_mov_b32_e32 v62, s7
	ds_read2_b64 v[58:61], v58 offset1:1
	ds_read2_b64 v[62:65], v62 offset1:1
	s_lshl_b32 s7, s2, 3
	s_add_i32 s6, s6, s7
	v_mov_b32_e32 v66, s6
	ds_read2_b64 v[66:69], v66 offset1:1
	s_waitcnt lgkmcnt(0)
	v_fma_f64 v[28:29], -v[14:15], v[60:61], v[28:29]
	v_fma_f64 v[28:29], -v[16:17], v[58:59], v[28:29]
	;; [unrolled: 1-line block ×3, first 2 shown]
	v_lshl_add_u64 v[58:59], s[2:3], 3, v[48:49]
	s_add_i32 s2, s0, -10
	v_fma_f64 v[28:29], -v[22:23], v[62:63], v[28:29]
	s_lshl_b32 s6, s2, 8
	v_fma_f64 v[28:29], -v[24:25], v[68:69], v[28:29]
	s_add_i32 s7, s6, s1
	v_mul_f64 v[28:29], v[66:67], v[28:29]
	s_add_i32 s9, s7, -16
	flat_store_dwordx2 v[58:59], v[28:29]
	v_mov_b32_e32 v58, s7
	v_mov_b32_e32 v59, s9
	ds_read_b64 v[62:63], v58
	ds_read2_b64 v[58:61], v59 offset1:1
	s_sub_i32 s9, s7, 32
	s_waitcnt lgkmcnt(0)
	v_fma_f64 v[30:31], -v[6:7], v[62:63], v[30:31]
	v_fma_f64 v[30:31], -v[8:9], v[60:61], v[30:31]
	v_mov_b32_e32 v60, s9
	ds_read2_b64 v[60:63], v60 offset1:1
	s_sub_i32 s9, s7, 48
	v_fma_f64 v[30:31], -v[10:11], v[58:59], v[30:31]
	v_mov_b32_e32 v58, s9
	ds_read2_b64 v[64:67], v58 offset1:1
	s_sub_i32 s7, s7, 64
	s_waitcnt lgkmcnt(0)
	v_fma_f64 v[30:31], -v[12:13], v[62:63], v[30:31]
	v_mov_b32_e32 v58, s7
	v_fma_f64 v[30:31], -v[14:15], v[60:61], v[30:31]
	ds_read2_b64 v[58:61], v58 offset1:1
	s_lshl_b32 s7, s2, 3
	s_add_i32 s6, s6, s7
	v_mov_b32_e32 v62, s6
	ds_read2_b64 v[68:71], v62 offset1:1
	v_fma_f64 v[30:31], -v[16:17], v[66:67], v[30:31]
	v_fma_f64 v[30:31], -v[20:21], v[64:65], v[30:31]
	s_waitcnt lgkmcnt(0)
	v_fma_f64 v[30:31], -v[22:23], v[60:61], v[30:31]
	v_fma_f64 v[30:31], -v[24:25], v[58:59], v[30:31]
	v_lshl_add_u64 v[58:59], s[2:3], 3, v[48:49]
	s_add_i32 s2, s0, -11
	s_lshl_b32 s6, s2, 8
	v_fma_f64 v[30:31], -v[28:29], v[70:71], v[30:31]
	s_add_i32 s7, s6, s1
	v_mul_f64 v[30:31], v[68:69], v[30:31]
	s_add_i32 s9, s7, -8
	flat_store_dwordx2 v[58:59], v[30:31]
	v_mov_b32_e32 v58, s9
	ds_read2_b64 v[58:61], v58 offset1:1
	s_sub_i32 s9, s7, 24
	v_mov_b32_e32 v62, s9
	ds_read2_b64 v[62:65], v62 offset1:1
	s_sub_i32 s9, s7, 40
	s_waitcnt lgkmcnt(0)
	v_fma_f64 v[34:35], -v[6:7], v[60:61], v[34:35]
	v_fma_f64 v[34:35], -v[8:9], v[58:59], v[34:35]
	v_mov_b32_e32 v58, s9
	ds_read2_b64 v[58:61], v58 offset1:1
	v_fma_f64 v[34:35], -v[10:11], v[64:65], v[34:35]
	s_sub_i32 s9, s7, 56
	v_fma_f64 v[34:35], -v[12:13], v[62:63], v[34:35]
	v_mov_b32_e32 v62, s9
	ds_read2_b64 v[62:65], v62 offset1:1
	s_waitcnt lgkmcnt(0)
	v_fma_f64 v[34:35], -v[14:15], v[60:61], v[34:35]
	s_addk_i32 s7, 0xffb8
	v_fma_f64 v[34:35], -v[16:17], v[58:59], v[34:35]
	v_mov_b32_e32 v58, s7
	s_lshl_b32 s7, s2, 3
	ds_read2_b64 v[58:61], v58 offset1:1
	s_add_i32 s6, s6, s7
	v_mov_b32_e32 v66, s6
	ds_read2_b64 v[66:69], v66 offset1:1
	v_fma_f64 v[34:35], -v[20:21], v[64:65], v[34:35]
	v_fma_f64 v[34:35], -v[22:23], v[62:63], v[34:35]
	s_waitcnt lgkmcnt(0)
	v_fma_f64 v[34:35], -v[24:25], v[60:61], v[34:35]
	v_fma_f64 v[34:35], -v[28:29], v[58:59], v[34:35]
	v_lshl_add_u64 v[58:59], s[2:3], 3, v[48:49]
	s_add_i32 s2, s0, -12
	v_fma_f64 v[34:35], -v[30:31], v[68:69], v[34:35]
	s_lshl_b32 s6, s2, 8
	v_mul_f64 v[34:35], v[66:67], v[34:35]
	s_add_i32 s7, s6, s1
	flat_store_dwordx2 v[58:59], v[34:35]
	v_mov_b32_e32 v58, s7
	ds_read_b64 v[62:63], v58
	s_add_i32 s9, s7, -16
	v_mov_b32_e32 v58, s9
	ds_read2_b64 v[58:61], v58 offset1:1
	s_sub_i32 s9, s7, 32
	s_waitcnt lgkmcnt(0)
	v_fma_f64 v[36:37], -v[6:7], v[62:63], v[36:37]
	v_mov_b32_e32 v62, s9
	ds_read2_b64 v[62:65], v62 offset1:1
	s_sub_i32 s9, s7, 48
	v_mov_b32_e32 v66, s9
	ds_read2_b64 v[66:69], v66 offset1:1
	v_fma_f64 v[36:37], -v[8:9], v[60:61], v[36:37]
	v_fma_f64 v[36:37], -v[10:11], v[58:59], v[36:37]
	s_waitcnt lgkmcnt(0)
	v_fma_f64 v[36:37], -v[12:13], v[64:65], v[36:37]
	s_sub_i32 s9, s7, 64
	s_addk_i32 s7, 0xffb0
	v_fma_f64 v[36:37], -v[14:15], v[62:63], v[36:37]
	v_mov_b32_e32 v58, s9
	v_mov_b32_e32 v62, s7
	ds_read2_b64 v[58:61], v58 offset1:1
	ds_read2_b64 v[62:65], v62 offset1:1
	s_lshl_b32 s7, s2, 3
	v_fma_f64 v[36:37], -v[16:17], v[68:69], v[36:37]
	s_add_i32 s6, s6, s7
	v_fma_f64 v[36:37], -v[20:21], v[66:67], v[36:37]
	v_mov_b32_e32 v66, s6
	ds_read2_b64 v[66:69], v66 offset1:1
	s_waitcnt lgkmcnt(0)
	v_fma_f64 v[36:37], -v[22:23], v[60:61], v[36:37]
	v_fma_f64 v[36:37], -v[24:25], v[58:59], v[36:37]
	v_fma_f64 v[36:37], -v[28:29], v[64:65], v[36:37]
	v_lshl_add_u64 v[58:59], s[2:3], 3, v[48:49]
	s_add_i32 s2, s0, -13
	v_fma_f64 v[36:37], -v[30:31], v[62:63], v[36:37]
	s_lshl_b32 s6, s2, 8
	v_fma_f64 v[36:37], -v[34:35], v[68:69], v[36:37]
	s_add_i32 s7, s6, s1
	v_mul_f64 v[36:37], v[66:67], v[36:37]
	s_add_i32 s9, s7, -8
	flat_store_dwordx2 v[58:59], v[36:37]
	v_mov_b32_e32 v58, s9
	ds_read2_b64 v[58:61], v58 offset1:1
	s_sub_i32 s9, s7, 24
	v_mov_b32_e32 v62, s9
	ds_read2_b64 v[62:65], v62 offset1:1
	s_sub_i32 s9, s7, 40
	s_waitcnt lgkmcnt(0)
	v_fma_f64 v[40:41], -v[6:7], v[60:61], v[40:41]
	v_fma_f64 v[40:41], -v[8:9], v[58:59], v[40:41]
	v_mov_b32_e32 v58, s9
	ds_read2_b64 v[58:61], v58 offset1:1
	s_sub_i32 s9, s7, 56
	v_mov_b32_e32 v66, s9
	ds_read2_b64 v[66:69], v66 offset1:1
	v_fma_f64 v[40:41], -v[10:11], v[64:65], v[40:41]
	v_fma_f64 v[40:41], -v[12:13], v[62:63], v[40:41]
	s_waitcnt lgkmcnt(0)
	v_fma_f64 v[40:41], -v[14:15], v[60:61], v[40:41]
	s_add_i32 s9, s7, 0xffffffb8
	s_addk_i32 s7, 0xffa8
	v_fma_f64 v[40:41], -v[16:17], v[58:59], v[40:41]
	v_mov_b32_e32 v58, s9
	v_mov_b32_e32 v62, s7
	ds_read2_b64 v[58:61], v58 offset1:1
	ds_read2_b64 v[62:65], v62 offset1:1
	s_lshl_b32 s7, s2, 3
	v_fma_f64 v[40:41], -v[20:21], v[68:69], v[40:41]
	s_add_i32 s6, s6, s7
	v_fma_f64 v[40:41], -v[22:23], v[66:67], v[40:41]
	v_mov_b32_e32 v66, s6
	ds_read2_b64 v[66:69], v66 offset1:1
	s_waitcnt lgkmcnt(0)
	v_fma_f64 v[40:41], -v[24:25], v[60:61], v[40:41]
	v_fma_f64 v[40:41], -v[28:29], v[58:59], v[40:41]
	;; [unrolled: 1-line block ×4, first 2 shown]
	v_lshl_add_u64 v[58:59], s[2:3], 3, v[48:49]
	s_add_i32 s2, s0, -14
	v_fma_f64 v[40:41], -v[36:37], v[68:69], v[40:41]
	s_lshl_b32 s6, s2, 8
	v_mul_f64 v[40:41], v[66:67], v[40:41]
	s_add_i32 s7, s6, s1
	flat_store_dwordx2 v[58:59], v[40:41]
	v_mov_b32_e32 v58, s7
	ds_read_b64 v[62:63], v58
	s_add_i32 s9, s7, -16
	v_mov_b32_e32 v58, s9
	ds_read2_b64 v[58:61], v58 offset1:1
	s_sub_i32 s9, s7, 32
	s_waitcnt lgkmcnt(0)
	v_fma_f64 v[44:45], -v[6:7], v[62:63], v[44:45]
	v_mov_b32_e32 v62, s9
	ds_read2_b64 v[62:65], v62 offset1:1
	s_sub_i32 s9, s7, 48
	v_mov_b32_e32 v66, s9
	ds_read2_b64 v[66:69], v66 offset1:1
	v_fma_f64 v[44:45], -v[8:9], v[60:61], v[44:45]
	s_sub_i32 s9, s7, 64
	v_fma_f64 v[44:45], -v[10:11], v[58:59], v[44:45]
	v_mov_b32_e32 v58, s9
	ds_read2_b64 v[58:61], v58 offset1:1
	s_waitcnt lgkmcnt(0)
	v_fma_f64 v[44:45], -v[12:13], v[64:65], v[44:45]
	v_fma_f64 v[44:45], -v[14:15], v[62:63], v[44:45]
	;; [unrolled: 1-line block ×3, first 2 shown]
	s_add_i32 s9, s7, 0xffffffb0
	v_fma_f64 v[44:45], -v[20:21], v[66:67], v[44:45]
	v_mov_b32_e32 v62, s9
	ds_read2_b64 v[62:65], v62 offset1:1
	v_fma_f64 v[44:45], -v[22:23], v[60:61], v[44:45]
	s_addk_i32 s7, 0xffa0
	v_fma_f64 v[44:45], -v[24:25], v[58:59], v[44:45]
	v_mov_b32_e32 v58, s7
	ds_read2_b64 v[58:61], v58 offset1:1
	s_lshl_b32 s7, s2, 3
	s_add_i32 s6, s6, s7
	v_mov_b32_e32 v66, s6
	ds_read2_b64 v[66:69], v66 offset1:1
	s_waitcnt lgkmcnt(0)
	v_fma_f64 v[44:45], -v[28:29], v[64:65], v[44:45]
	v_fma_f64 v[44:45], -v[30:31], v[62:63], v[44:45]
	;; [unrolled: 1-line block ×4, first 2 shown]
	v_lshl_add_u64 v[58:59], s[2:3], 3, v[48:49]
	s_add_i32 s2, s0, -15
	s_lshl_b32 s6, s2, 8
	v_fma_f64 v[44:45], -v[40:41], v[68:69], v[44:45]
	s_add_i32 s7, s6, s1
	v_mul_f64 v[44:45], v[66:67], v[44:45]
	s_add_i32 s9, s7, -8
	flat_store_dwordx2 v[58:59], v[44:45]
	v_mov_b32_e32 v58, s9
	ds_read2_b64 v[58:61], v58 offset1:1
	s_sub_i32 s9, s7, 24
	v_mov_b32_e32 v62, s9
	ds_read2_b64 v[62:65], v62 offset1:1
	s_sub_i32 s9, s7, 40
	s_waitcnt lgkmcnt(0)
	v_fma_f64 v[46:47], -v[6:7], v[60:61], v[46:47]
	v_fma_f64 v[46:47], -v[8:9], v[58:59], v[46:47]
	v_mov_b32_e32 v58, s9
	ds_read2_b64 v[58:61], v58 offset1:1
	s_sub_i32 s9, s7, 56
	v_fma_f64 v[46:47], -v[10:11], v[64:65], v[46:47]
	v_mov_b32_e32 v66, s9
	v_fma_f64 v[46:47], -v[12:13], v[62:63], v[46:47]
	ds_read2_b64 v[66:69], v66 offset1:1
	s_waitcnt lgkmcnt(0)
	v_fma_f64 v[46:47], -v[14:15], v[60:61], v[46:47]
	s_add_i32 s9, s7, 0xffffffb8
	v_fma_f64 v[46:47], -v[16:17], v[58:59], v[46:47]
	v_mov_b32_e32 v58, s9
	ds_read2_b64 v[58:61], v58 offset1:1
	v_fma_f64 v[46:47], -v[20:21], v[68:69], v[46:47]
	s_add_i32 s9, s7, 0xffffffa8
	v_fma_f64 v[46:47], -v[22:23], v[66:67], v[46:47]
	v_mov_b32_e32 v62, s9
	ds_read2_b64 v[62:65], v62 offset1:1
	s_waitcnt lgkmcnt(0)
	v_fma_f64 v[46:47], -v[24:25], v[60:61], v[46:47]
	s_addk_i32 s7, 0xff98
	v_fma_f64 v[46:47], -v[28:29], v[58:59], v[46:47]
	v_mov_b32_e32 v58, s7
	ds_read2_b64 v[58:61], v58 offset1:1
	s_lshl_b32 s7, s2, 3
	s_add_i32 s6, s6, s7
	v_mov_b32_e32 v66, s6
	ds_read2_b64 v[66:69], v66 offset1:1
	v_fma_f64 v[46:47], -v[30:31], v[64:65], v[46:47]
	v_fma_f64 v[46:47], -v[34:35], v[62:63], v[46:47]
	s_waitcnt lgkmcnt(0)
	v_fma_f64 v[46:47], -v[36:37], v[60:61], v[46:47]
	v_fma_f64 v[46:47], -v[40:41], v[58:59], v[46:47]
	v_lshl_add_u64 v[58:59], s[2:3], 3, v[48:49]
	s_add_i32 s2, s0, -16
	s_lshl_b32 s6, s2, 8
	v_fma_f64 v[46:47], -v[44:45], v[68:69], v[46:47]
	s_add_i32 s7, s6, s1
	v_mul_f64 v[46:47], v[66:67], v[46:47]
	s_add_i32 s9, s7, -16
	flat_store_dwordx2 v[58:59], v[46:47]
	v_mov_b32_e32 v58, s7
	v_mov_b32_e32 v59, s9
	ds_read_b64 v[62:63], v58
	ds_read2_b64 v[58:61], v59 offset1:1
	s_sub_i32 s9, s7, 32
	s_waitcnt lgkmcnt(0)
	v_fma_f64 v[52:53], -v[6:7], v[62:63], v[52:53]
	v_fma_f64 v[52:53], -v[8:9], v[60:61], v[52:53]
	v_mov_b32_e32 v60, s9
	ds_read2_b64 v[60:63], v60 offset1:1
	s_sub_i32 s9, s7, 48
	v_fma_f64 v[52:53], -v[10:11], v[58:59], v[52:53]
	v_mov_b32_e32 v58, s9
	ds_read2_b64 v[64:67], v58 offset1:1
	s_sub_i32 s9, s7, 64
	s_waitcnt lgkmcnt(0)
	v_fma_f64 v[52:53], -v[12:13], v[62:63], v[52:53]
	v_mov_b32_e32 v58, s9
	v_fma_f64 v[52:53], -v[14:15], v[60:61], v[52:53]
	ds_read2_b64 v[58:61], v58 offset1:1
	s_add_i32 s9, s7, 0xffffffb0
	v_mov_b32_e32 v62, s9
	v_fma_f64 v[52:53], -v[16:17], v[66:67], v[52:53]
	ds_read2_b64 v[68:71], v62 offset1:1
	v_fma_f64 v[52:53], -v[20:21], v[64:65], v[52:53]
	s_waitcnt lgkmcnt(0)
	v_fma_f64 v[52:53], -v[22:23], v[60:61], v[52:53]
	s_add_i32 s9, s7, 0xffffffa0
	s_addk_i32 s7, 0xff90
	v_fma_f64 v[52:53], -v[24:25], v[58:59], v[52:53]
	v_mov_b32_e32 v58, s9
	v_mov_b32_e32 v62, s7
	ds_read2_b64 v[58:61], v58 offset1:1
	ds_read2_b64 v[62:65], v62 offset1:1
	s_lshl_b32 s7, s2, 3
	s_add_i32 s6, s6, s7
	v_fma_f64 v[52:53], -v[28:29], v[70:71], v[52:53]
	v_mov_b32_e32 v66, s6
	v_fma_f64 v[52:53], -v[30:31], v[68:69], v[52:53]
	ds_read2_b64 v[66:69], v66 offset1:1
	s_waitcnt lgkmcnt(0)
	v_fma_f64 v[52:53], -v[34:35], v[60:61], v[52:53]
	v_fma_f64 v[52:53], -v[36:37], v[58:59], v[52:53]
	;; [unrolled: 1-line block ×3, first 2 shown]
	v_lshl_add_u64 v[58:59], s[2:3], 3, v[48:49]
	s_sub_i32 s2, s0, 17
	v_fma_f64 v[52:53], -v[44:45], v[62:63], v[52:53]
	s_lshl_b32 s6, s2, 8
	v_fma_f64 v[52:53], -v[46:47], v[68:69], v[52:53]
	s_add_i32 s7, s6, s1
	v_mul_f64 v[52:53], v[66:67], v[52:53]
	s_add_i32 s9, s7, -8
	flat_store_dwordx2 v[58:59], v[52:53]
	v_mov_b32_e32 v58, s9
	ds_read2_b64 v[58:61], v58 offset1:1
	s_sub_i32 s9, s7, 24
	v_mov_b32_e32 v62, s9
	ds_read2_b64 v[62:65], v62 offset1:1
	s_sub_i32 s9, s7, 40
	s_waitcnt lgkmcnt(0)
	v_fma_f64 v[56:57], -v[6:7], v[60:61], v[56:57]
	v_fma_f64 v[56:57], -v[8:9], v[58:59], v[56:57]
	;; [unrolled: 1-line block ×3, first 2 shown]
	v_mov_b32_e32 v56, s9
	ds_read2_b64 v[56:59], v56 offset1:1
	s_sub_i32 s9, s7, 56
	v_fma_f64 v[64:65], -v[12:13], v[62:63], v[60:61]
	v_mov_b32_e32 v60, s9
	ds_read2_b64 v[60:63], v60 offset1:1
	s_waitcnt lgkmcnt(0)
	v_fma_f64 v[58:59], -v[14:15], v[58:59], v[64:65]
	s_add_i32 s9, s7, 0xffffffb8
	v_fma_f64 v[68:69], -v[16:17], v[56:57], v[58:59]
	v_mov_b32_e32 v56, s9
	ds_read2_b64 v[56:59], v56 offset1:1
	s_add_i32 s9, s7, 0xffffffa8
	v_mov_b32_e32 v64, s9
	ds_read2_b64 v[64:67], v64 offset1:1
	v_fma_f64 v[62:63], -v[20:21], v[62:63], v[68:69]
	v_fma_f64 v[60:61], -v[22:23], v[60:61], v[62:63]
	s_waitcnt lgkmcnt(0)
	v_fma_f64 v[58:59], -v[24:25], v[58:59], v[60:61]
	v_fma_f64 v[56:57], -v[28:29], v[56:57], v[58:59]
	;; [unrolled: 1-line block ×3, first 2 shown]
	s_add_i32 s9, s7, 0xffffff98
	s_addk_i32 s7, 0xff88
	v_fma_f64 v[68:69], -v[34:35], v[64:65], v[56:57]
	v_mov_b32_e32 v56, s9
	v_mov_b32_e32 v60, s7
	ds_read2_b64 v[56:59], v56 offset1:1
	ds_read2_b64 v[60:63], v60 offset1:1
	s_lshl_b32 s7, s2, 3
	s_add_i32 s6, s6, s7
	v_mov_b32_e32 v64, s6
	ds_read2_b64 v[64:67], v64 offset1:1
	s_waitcnt lgkmcnt(0)
	v_fma_f64 v[58:59], -v[36:37], v[58:59], v[68:69]
	v_fma_f64 v[56:57], -v[40:41], v[56:57], v[58:59]
	;; [unrolled: 1-line block ×3, first 2 shown]
	v_lshl_add_u64 v[58:59], s[2:3], 3, v[48:49]
	s_sub_i32 s2, s0, 18
	v_fma_f64 v[56:57], -v[46:47], v[60:61], v[56:57]
	s_lshl_b32 s6, s2, 8
	v_fma_f64 v[56:57], -v[52:53], v[66:67], v[56:57]
	s_add_i32 s7, s6, s1
	v_mul_f64 v[56:57], v[64:65], v[56:57]
	s_add_i32 s9, s7, -16
	flat_store_dwordx2 v[58:59], v[56:57]
	v_mov_b32_e32 v58, s7
	v_mov_b32_e32 v59, s9
	ds_read_b64 v[62:63], v58
	ds_read2_b64 v[58:61], v59 offset1:1
	s_sub_i32 s9, s7, 32
	s_waitcnt lgkmcnt(0)
	v_fma_f64 v[54:55], -v[6:7], v[62:63], v[54:55]
	v_fma_f64 v[54:55], -v[8:9], v[60:61], v[54:55]
	v_mov_b32_e32 v60, s9
	ds_read2_b64 v[60:63], v60 offset1:1
	s_sub_i32 s9, s7, 48
	v_fma_f64 v[54:55], -v[10:11], v[58:59], v[54:55]
	v_mov_b32_e32 v58, s9
	ds_read2_b64 v[64:67], v58 offset1:1
	s_sub_i32 s9, s7, 64
	s_waitcnt lgkmcnt(0)
	v_fma_f64 v[54:55], -v[12:13], v[62:63], v[54:55]
	v_mov_b32_e32 v58, s9
	v_fma_f64 v[54:55], -v[14:15], v[60:61], v[54:55]
	ds_read2_b64 v[58:61], v58 offset1:1
	s_add_i32 s9, s7, 0xffffffb0
	v_fma_f64 v[54:55], -v[16:17], v[66:67], v[54:55]
	v_mov_b32_e32 v62, s9
	v_fma_f64 v[54:55], -v[20:21], v[64:65], v[54:55]
	ds_read2_b64 v[68:71], v62 offset1:1
	s_waitcnt lgkmcnt(0)
	v_fma_f64 v[54:55], -v[22:23], v[60:61], v[54:55]
	s_add_i32 s9, s7, 0xffffffa0
	v_fma_f64 v[54:55], -v[24:25], v[58:59], v[54:55]
	v_mov_b32_e32 v58, s9
	ds_read2_b64 v[58:61], v58 offset1:1
	v_fma_f64 v[54:55], -v[28:29], v[70:71], v[54:55]
	s_add_i32 s9, s7, 0xffffff90
	v_fma_f64 v[54:55], -v[30:31], v[68:69], v[54:55]
	v_mov_b32_e32 v62, s9
	ds_read2_b64 v[62:65], v62 offset1:1
	s_waitcnt lgkmcnt(0)
	v_fma_f64 v[54:55], -v[34:35], v[60:61], v[54:55]
	s_addk_i32 s7, 0xff80
	v_fma_f64 v[54:55], -v[36:37], v[58:59], v[54:55]
	v_mov_b32_e32 v58, s7
	ds_read2_b64 v[58:61], v58 offset1:1
	s_lshl_b32 s7, s2, 3
	s_add_i32 s6, s6, s7
	v_mov_b32_e32 v66, s6
	ds_read2_b64 v[66:69], v66 offset1:1
	v_fma_f64 v[54:55], -v[40:41], v[64:65], v[54:55]
	v_fma_f64 v[54:55], -v[44:45], v[62:63], v[54:55]
	s_waitcnt lgkmcnt(0)
	v_fma_f64 v[54:55], -v[46:47], v[60:61], v[54:55]
	v_fma_f64 v[54:55], -v[52:53], v[58:59], v[54:55]
	v_lshl_add_u64 v[58:59], s[2:3], 3, v[48:49]
	s_sub_i32 s2, s0, 19
	s_lshl_b32 s6, s2, 8
	v_fma_f64 v[54:55], -v[56:57], v[68:69], v[54:55]
	s_add_i32 s7, s6, s1
	v_mul_f64 v[54:55], v[66:67], v[54:55]
	s_add_i32 s9, s7, -8
	flat_store_dwordx2 v[58:59], v[54:55]
	v_mov_b32_e32 v58, s9
	ds_read2_b64 v[58:61], v58 offset1:1
	s_sub_i32 s9, s7, 24
	v_mov_b32_e32 v62, s9
	ds_read2_b64 v[62:65], v62 offset1:1
	s_sub_i32 s9, s7, 40
	s_waitcnt lgkmcnt(0)
	v_fma_f64 v[50:51], -v[6:7], v[60:61], v[50:51]
	v_fma_f64 v[50:51], -v[8:9], v[58:59], v[50:51]
	v_mov_b32_e32 v58, s9
	ds_read2_b64 v[58:61], v58 offset1:1
	v_fma_f64 v[50:51], -v[10:11], v[64:65], v[50:51]
	s_sub_i32 s9, s7, 56
	v_fma_f64 v[50:51], -v[12:13], v[62:63], v[50:51]
	v_mov_b32_e32 v62, s9
	ds_read2_b64 v[62:65], v62 offset1:1
	s_waitcnt lgkmcnt(0)
	v_fma_f64 v[50:51], -v[14:15], v[60:61], v[50:51]
	s_add_i32 s9, s7, 0xffffffb8
	v_fma_f64 v[50:51], -v[16:17], v[58:59], v[50:51]
	v_mov_b32_e32 v58, s9
	ds_read2_b64 v[58:61], v58 offset1:1
	s_add_i32 s9, s7, 0xffffffa8
	v_fma_f64 v[50:51], -v[20:21], v[64:65], v[50:51]
	v_mov_b32_e32 v66, s9
	v_fma_f64 v[50:51], -v[22:23], v[62:63], v[50:51]
	ds_read2_b64 v[66:69], v66 offset1:1
	s_waitcnt lgkmcnt(0)
	v_fma_f64 v[50:51], -v[24:25], v[60:61], v[50:51]
	s_add_i32 s9, s7, 0xffffff98
	v_fma_f64 v[50:51], -v[28:29], v[58:59], v[50:51]
	v_mov_b32_e32 v58, s9
	ds_read2_b64 v[58:61], v58 offset1:1
	v_fma_f64 v[50:51], -v[30:31], v[68:69], v[50:51]
	s_add_i32 s9, s7, 0xffffff88
	v_fma_f64 v[50:51], -v[34:35], v[66:67], v[50:51]
	v_mov_b32_e32 v62, s9
	ds_read2_b64 v[62:65], v62 offset1:1
	s_waitcnt lgkmcnt(0)
	v_fma_f64 v[50:51], -v[36:37], v[60:61], v[50:51]
	s_addk_i32 s7, 0xff78
	v_fma_f64 v[50:51], -v[40:41], v[58:59], v[50:51]
	v_mov_b32_e32 v58, s7
	s_lshl_b32 s7, s2, 3
	ds_read2_b64 v[58:61], v58 offset1:1
	s_add_i32 s6, s6, s7
	v_mov_b32_e32 v66, s6
	ds_read2_b64 v[66:69], v66 offset1:1
	v_fma_f64 v[50:51], -v[44:45], v[64:65], v[50:51]
	v_fma_f64 v[50:51], -v[46:47], v[62:63], v[50:51]
	s_waitcnt lgkmcnt(0)
	v_fma_f64 v[50:51], -v[52:53], v[60:61], v[50:51]
	v_fma_f64 v[50:51], -v[56:57], v[58:59], v[50:51]
	v_lshl_add_u64 v[58:59], s[2:3], 3, v[48:49]
	s_sub_i32 s2, s0, 20
	v_fma_f64 v[50:51], -v[54:55], v[68:69], v[50:51]
	s_lshl_b32 s6, s2, 8
	v_mul_f64 v[50:51], v[66:67], v[50:51]
	s_add_i32 s7, s6, s1
	flat_store_dwordx2 v[58:59], v[50:51]
	v_mov_b32_e32 v58, s7
	ds_read_b64 v[62:63], v58
	s_add_i32 s9, s7, -16
	v_mov_b32_e32 v58, s9
	ds_read2_b64 v[58:61], v58 offset1:1
	s_sub_i32 s9, s7, 32
	s_waitcnt lgkmcnt(0)
	v_fma_f64 v[42:43], -v[6:7], v[62:63], v[42:43]
	v_mov_b32_e32 v62, s9
	ds_read2_b64 v[62:65], v62 offset1:1
	s_sub_i32 s9, s7, 48
	v_mov_b32_e32 v66, s9
	ds_read2_b64 v[66:69], v66 offset1:1
	v_fma_f64 v[42:43], -v[8:9], v[60:61], v[42:43]
	s_sub_i32 s9, s7, 64
	v_fma_f64 v[42:43], -v[10:11], v[58:59], v[42:43]
	v_mov_b32_e32 v58, s9
	ds_read2_b64 v[58:61], v58 offset1:1
	s_waitcnt lgkmcnt(0)
	v_fma_f64 v[42:43], -v[12:13], v[64:65], v[42:43]
	v_fma_f64 v[42:43], -v[14:15], v[62:63], v[42:43]
	;; [unrolled: 1-line block ×3, first 2 shown]
	s_add_i32 s9, s7, 0xffffffb0
	v_fma_f64 v[42:43], -v[20:21], v[66:67], v[42:43]
	v_mov_b32_e32 v62, s9
	ds_read2_b64 v[62:65], v62 offset1:1
	v_fma_f64 v[42:43], -v[22:23], v[60:61], v[42:43]
	s_add_i32 s9, s7, 0xffffffa0
	v_fma_f64 v[42:43], -v[24:25], v[58:59], v[42:43]
	v_mov_b32_e32 v58, s9
	ds_read2_b64 v[58:61], v58 offset1:1
	s_add_i32 s9, s7, 0xffffff90
	v_mov_b32_e32 v66, s9
	ds_read2_b64 v[66:69], v66 offset1:1
	s_waitcnt lgkmcnt(0)
	v_fma_f64 v[42:43], -v[28:29], v[64:65], v[42:43]
	v_fma_f64 v[42:43], -v[30:31], v[62:63], v[42:43]
	;; [unrolled: 1-line block ×3, first 2 shown]
	s_add_i32 s9, s7, 0xffffff80
	s_addk_i32 s7, 0xff70
	v_fma_f64 v[42:43], -v[36:37], v[58:59], v[42:43]
	v_mov_b32_e32 v58, s9
	v_mov_b32_e32 v62, s7
	ds_read2_b64 v[58:61], v58 offset1:1
	ds_read2_b64 v[62:65], v62 offset1:1
	s_lshl_b32 s7, s2, 3
	v_fma_f64 v[42:43], -v[40:41], v[68:69], v[42:43]
	s_add_i32 s6, s6, s7
	v_fma_f64 v[42:43], -v[44:45], v[66:67], v[42:43]
	v_mov_b32_e32 v66, s6
	ds_read2_b64 v[66:69], v66 offset1:1
	s_waitcnt lgkmcnt(0)
	v_fma_f64 v[42:43], -v[46:47], v[60:61], v[42:43]
	v_fma_f64 v[42:43], -v[52:53], v[58:59], v[42:43]
	;; [unrolled: 1-line block ×3, first 2 shown]
	v_lshl_add_u64 v[58:59], s[2:3], 3, v[48:49]
	s_sub_i32 s2, s0, 21
	v_fma_f64 v[42:43], -v[54:55], v[62:63], v[42:43]
	s_lshl_b32 s6, s2, 8
	v_fma_f64 v[42:43], -v[50:51], v[68:69], v[42:43]
	s_add_i32 s7, s6, s1
	v_mul_f64 v[42:43], v[66:67], v[42:43]
	s_add_i32 s9, s7, -8
	flat_store_dwordx2 v[58:59], v[42:43]
	v_mov_b32_e32 v58, s9
	ds_read2_b64 v[58:61], v58 offset1:1
	s_sub_i32 s9, s7, 24
	v_mov_b32_e32 v62, s9
	ds_read2_b64 v[62:65], v62 offset1:1
	s_sub_i32 s9, s7, 40
	s_waitcnt lgkmcnt(0)
	v_fma_f64 v[38:39], -v[6:7], v[60:61], v[38:39]
	v_fma_f64 v[38:39], -v[8:9], v[58:59], v[38:39]
	v_mov_b32_e32 v58, s9
	ds_read2_b64 v[58:61], v58 offset1:1
	s_sub_i32 s9, s7, 56
	v_fma_f64 v[38:39], -v[10:11], v[64:65], v[38:39]
	v_mov_b32_e32 v66, s9
	v_fma_f64 v[38:39], -v[12:13], v[62:63], v[38:39]
	ds_read2_b64 v[66:69], v66 offset1:1
	s_waitcnt lgkmcnt(0)
	v_fma_f64 v[38:39], -v[14:15], v[60:61], v[38:39]
	s_add_i32 s9, s7, 0xffffffb8
	v_fma_f64 v[38:39], -v[16:17], v[58:59], v[38:39]
	v_mov_b32_e32 v58, s9
	ds_read2_b64 v[58:61], v58 offset1:1
	v_fma_f64 v[38:39], -v[20:21], v[68:69], v[38:39]
	s_add_i32 s9, s7, 0xffffffa8
	v_fma_f64 v[38:39], -v[22:23], v[66:67], v[38:39]
	v_mov_b32_e32 v62, s9
	ds_read2_b64 v[62:65], v62 offset1:1
	s_waitcnt lgkmcnt(0)
	v_fma_f64 v[38:39], -v[24:25], v[60:61], v[38:39]
	s_add_i32 s9, s7, 0xffffff98
	v_fma_f64 v[38:39], -v[28:29], v[58:59], v[38:39]
	v_mov_b32_e32 v58, s9
	ds_read2_b64 v[58:61], v58 offset1:1
	s_add_i32 s9, s7, 0xffffff88
	v_mov_b32_e32 v66, s9
	ds_read2_b64 v[66:69], v66 offset1:1
	v_fma_f64 v[38:39], -v[30:31], v[64:65], v[38:39]
	v_fma_f64 v[38:39], -v[34:35], v[62:63], v[38:39]
	s_waitcnt lgkmcnt(0)
	v_fma_f64 v[38:39], -v[36:37], v[60:61], v[38:39]
	s_add_i32 s9, s7, 0xffffff78
	s_addk_i32 s7, 0xff68
	v_fma_f64 v[38:39], -v[40:41], v[58:59], v[38:39]
	v_mov_b32_e32 v58, s9
	v_mov_b32_e32 v62, s7
	ds_read2_b64 v[58:61], v58 offset1:1
	ds_read2_b64 v[62:65], v62 offset1:1
	s_lshl_b32 s7, s2, 3
	v_fma_f64 v[38:39], -v[44:45], v[68:69], v[38:39]
	s_add_i32 s6, s6, s7
	v_fma_f64 v[38:39], -v[46:47], v[66:67], v[38:39]
	v_mov_b32_e32 v66, s6
	ds_read2_b64 v[66:69], v66 offset1:1
	s_waitcnt lgkmcnt(0)
	v_fma_f64 v[38:39], -v[52:53], v[60:61], v[38:39]
	v_fma_f64 v[38:39], -v[56:57], v[58:59], v[38:39]
	;; [unrolled: 1-line block ×4, first 2 shown]
	v_lshl_add_u64 v[58:59], s[2:3], 3, v[48:49]
	s_sub_i32 s2, s0, 22
	v_fma_f64 v[38:39], -v[42:43], v[68:69], v[38:39]
	s_lshl_b32 s6, s2, 8
	v_mul_f64 v[38:39], v[66:67], v[38:39]
	s_add_i32 s7, s6, s1
	flat_store_dwordx2 v[58:59], v[38:39]
	v_mov_b32_e32 v58, s7
	ds_read_b64 v[62:63], v58
	s_add_i32 s9, s7, -16
	v_mov_b32_e32 v58, s9
	ds_read2_b64 v[58:61], v58 offset1:1
	s_sub_i32 s9, s7, 32
	s_waitcnt lgkmcnt(0)
	v_fma_f64 v[32:33], -v[6:7], v[62:63], v[32:33]
	v_mov_b32_e32 v62, s9
	ds_read2_b64 v[62:65], v62 offset1:1
	s_sub_i32 s9, s7, 48
	v_mov_b32_e32 v66, s9
	ds_read2_b64 v[66:69], v66 offset1:1
	v_fma_f64 v[32:33], -v[8:9], v[60:61], v[32:33]
	s_sub_i32 s9, s7, 64
	v_fma_f64 v[32:33], -v[10:11], v[58:59], v[32:33]
	v_mov_b32_e32 v58, s9
	ds_read2_b64 v[58:61], v58 offset1:1
	s_waitcnt lgkmcnt(0)
	v_fma_f64 v[32:33], -v[12:13], v[64:65], v[32:33]
	v_fma_f64 v[32:33], -v[14:15], v[62:63], v[32:33]
	;; [unrolled: 1-line block ×3, first 2 shown]
	s_add_i32 s9, s7, 0xffffffb0
	v_fma_f64 v[32:33], -v[20:21], v[66:67], v[32:33]
	v_mov_b32_e32 v62, s9
	ds_read2_b64 v[62:65], v62 offset1:1
	v_fma_f64 v[32:33], -v[22:23], v[60:61], v[32:33]
	s_add_i32 s9, s7, 0xffffffa0
	v_fma_f64 v[32:33], -v[24:25], v[58:59], v[32:33]
	v_mov_b32_e32 v58, s9
	ds_read2_b64 v[58:61], v58 offset1:1
	s_add_i32 s9, s7, 0xffffff90
	s_waitcnt lgkmcnt(0)
	v_fma_f64 v[32:33], -v[28:29], v[64:65], v[32:33]
	v_mov_b32_e32 v66, s9
	v_fma_f64 v[32:33], -v[30:31], v[62:63], v[32:33]
	ds_read2_b64 v[66:69], v66 offset1:1
	v_fma_f64 v[32:33], -v[34:35], v[60:61], v[32:33]
	s_add_i32 s9, s7, 0xffffff80
	v_fma_f64 v[32:33], -v[36:37], v[58:59], v[32:33]
	v_mov_b32_e32 v58, s9
	ds_read2_b64 v[58:61], v58 offset1:1
	s_waitcnt lgkmcnt(0)
	v_fma_f64 v[32:33], -v[40:41], v[68:69], v[32:33]
	s_add_i32 s9, s7, 0xffffff70
	v_fma_f64 v[32:33], -v[44:45], v[66:67], v[32:33]
	v_mov_b32_e32 v62, s9
	ds_read2_b64 v[62:65], v62 offset1:1
	v_fma_f64 v[32:33], -v[46:47], v[60:61], v[32:33]
	s_addk_i32 s7, 0xff60
	v_fma_f64 v[32:33], -v[52:53], v[58:59], v[32:33]
	v_mov_b32_e32 v58, s7
	ds_read2_b64 v[58:61], v58 offset1:1
	s_lshl_b32 s7, s2, 3
	s_add_i32 s6, s6, s7
	v_mov_b32_e32 v66, s6
	ds_read2_b64 v[66:69], v66 offset1:1
	s_waitcnt lgkmcnt(0)
	v_fma_f64 v[32:33], -v[56:57], v[64:65], v[32:33]
	v_fma_f64 v[32:33], -v[54:55], v[62:63], v[32:33]
	;; [unrolled: 1-line block ×4, first 2 shown]
	v_lshl_add_u64 v[58:59], s[2:3], 3, v[48:49]
	s_sub_i32 s2, s0, 23
	s_lshl_b32 s6, s2, 8
	v_fma_f64 v[32:33], -v[38:39], v[68:69], v[32:33]
	s_add_i32 s7, s6, s1
	v_mul_f64 v[32:33], v[66:67], v[32:33]
	s_add_i32 s9, s7, -8
	flat_store_dwordx2 v[58:59], v[32:33]
	v_mov_b32_e32 v58, s9
	ds_read2_b64 v[58:61], v58 offset1:1
	s_sub_i32 s9, s7, 24
	v_mov_b32_e32 v62, s9
	ds_read2_b64 v[62:65], v62 offset1:1
	s_sub_i32 s9, s7, 40
	s_waitcnt lgkmcnt(0)
	v_fma_f64 v[26:27], -v[6:7], v[60:61], v[26:27]
	v_fma_f64 v[26:27], -v[8:9], v[58:59], v[26:27]
	v_mov_b32_e32 v58, s9
	ds_read2_b64 v[58:61], v58 offset1:1
	s_sub_i32 s9, s7, 56
	v_fma_f64 v[26:27], -v[10:11], v[64:65], v[26:27]
	v_mov_b32_e32 v66, s9
	v_fma_f64 v[26:27], -v[12:13], v[62:63], v[26:27]
	ds_read2_b64 v[66:69], v66 offset1:1
	s_waitcnt lgkmcnt(0)
	v_fma_f64 v[26:27], -v[14:15], v[60:61], v[26:27]
	s_add_i32 s9, s7, 0xffffffb8
	v_fma_f64 v[26:27], -v[16:17], v[58:59], v[26:27]
	v_mov_b32_e32 v58, s9
	ds_read2_b64 v[58:61], v58 offset1:1
	v_fma_f64 v[26:27], -v[20:21], v[68:69], v[26:27]
	s_add_i32 s9, s7, 0xffffffa8
	v_fma_f64 v[26:27], -v[22:23], v[66:67], v[26:27]
	v_mov_b32_e32 v62, s9
	ds_read2_b64 v[62:65], v62 offset1:1
	s_waitcnt lgkmcnt(0)
	v_fma_f64 v[26:27], -v[24:25], v[60:61], v[26:27]
	s_add_i32 s9, s7, 0xffffff98
	v_fma_f64 v[26:27], -v[28:29], v[58:59], v[26:27]
	v_mov_b32_e32 v58, s9
	ds_read2_b64 v[58:61], v58 offset1:1
	s_add_i32 s9, s7, 0xffffff88
	v_fma_f64 v[26:27], -v[30:31], v[64:65], v[26:27]
	v_mov_b32_e32 v66, s9
	v_fma_f64 v[26:27], -v[34:35], v[62:63], v[26:27]
	ds_read2_b64 v[66:69], v66 offset1:1
	s_waitcnt lgkmcnt(0)
	v_fma_f64 v[26:27], -v[36:37], v[60:61], v[26:27]
	s_add_i32 s9, s7, 0xffffff78
	v_fma_f64 v[26:27], -v[40:41], v[58:59], v[26:27]
	v_mov_b32_e32 v58, s9
	ds_read2_b64 v[58:61], v58 offset1:1
	v_fma_f64 v[26:27], -v[44:45], v[68:69], v[26:27]
	s_add_i32 s9, s7, 0xffffff68
	v_fma_f64 v[26:27], -v[46:47], v[66:67], v[26:27]
	v_mov_b32_e32 v62, s9
	ds_read2_b64 v[62:65], v62 offset1:1
	s_waitcnt lgkmcnt(0)
	v_fma_f64 v[26:27], -v[52:53], v[60:61], v[26:27]
	s_addk_i32 s7, 0xff58
	v_fma_f64 v[26:27], -v[56:57], v[58:59], v[26:27]
	v_mov_b32_e32 v58, s7
	ds_read2_b64 v[58:61], v58 offset1:1
	s_lshl_b32 s7, s2, 3
	s_add_i32 s6, s6, s7
	v_mov_b32_e32 v66, s6
	ds_read2_b64 v[66:69], v66 offset1:1
	v_fma_f64 v[26:27], -v[54:55], v[64:65], v[26:27]
	v_fma_f64 v[26:27], -v[50:51], v[62:63], v[26:27]
	s_waitcnt lgkmcnt(0)
	v_fma_f64 v[26:27], -v[42:43], v[60:61], v[26:27]
	v_fma_f64 v[26:27], -v[38:39], v[58:59], v[26:27]
	v_lshl_add_u64 v[58:59], s[2:3], 3, v[48:49]
	s_sub_i32 s2, s0, 24
	s_lshl_b32 s6, s2, 8
	v_fma_f64 v[26:27], -v[32:33], v[68:69], v[26:27]
	s_add_i32 s7, s6, s1
	v_mul_f64 v[26:27], v[66:67], v[26:27]
	s_add_i32 s9, s7, -16
	flat_store_dwordx2 v[58:59], v[26:27]
	v_mov_b32_e32 v58, s7
	v_mov_b32_e32 v59, s9
	ds_read_b64 v[62:63], v58
	ds_read2_b64 v[58:61], v59 offset1:1
	s_sub_i32 s9, s7, 32
	s_waitcnt lgkmcnt(0)
	v_fma_f64 v[18:19], -v[6:7], v[62:63], v[18:19]
	v_fma_f64 v[18:19], -v[8:9], v[60:61], v[18:19]
	v_mov_b32_e32 v60, s9
	ds_read2_b64 v[60:63], v60 offset1:1
	s_sub_i32 s9, s7, 48
	v_fma_f64 v[18:19], -v[10:11], v[58:59], v[18:19]
	v_mov_b32_e32 v58, s9
	ds_read2_b64 v[64:67], v58 offset1:1
	s_sub_i32 s9, s7, 64
	s_waitcnt lgkmcnt(0)
	v_fma_f64 v[18:19], -v[12:13], v[62:63], v[18:19]
	v_mov_b32_e32 v58, s9
	v_fma_f64 v[18:19], -v[14:15], v[60:61], v[18:19]
	ds_read2_b64 v[58:61], v58 offset1:1
	s_add_i32 s9, s7, 0xffffffb0
	v_fma_f64 v[18:19], -v[16:17], v[66:67], v[18:19]
	v_mov_b32_e32 v62, s9
	v_fma_f64 v[18:19], -v[20:21], v[64:65], v[18:19]
	ds_read2_b64 v[68:71], v62 offset1:1
	s_waitcnt lgkmcnt(0)
	v_fma_f64 v[18:19], -v[22:23], v[60:61], v[18:19]
	s_add_i32 s9, s7, 0xffffffa0
	v_fma_f64 v[18:19], -v[24:25], v[58:59], v[18:19]
	v_mov_b32_e32 v58, s9
	ds_read2_b64 v[58:61], v58 offset1:1
	v_fma_f64 v[18:19], -v[28:29], v[70:71], v[18:19]
	s_add_i32 s9, s7, 0xffffff90
	v_fma_f64 v[18:19], -v[30:31], v[68:69], v[18:19]
	v_mov_b32_e32 v62, s9
	ds_read2_b64 v[62:65], v62 offset1:1
	s_waitcnt lgkmcnt(0)
	v_fma_f64 v[18:19], -v[34:35], v[60:61], v[18:19]
	s_add_i32 s9, s7, 0xffffff80
	v_fma_f64 v[18:19], -v[36:37], v[58:59], v[18:19]
	v_mov_b32_e32 v58, s9
	ds_read2_b64 v[58:61], v58 offset1:1
	s_add_i32 s9, s7, 0xffffff70
	v_mov_b32_e32 v66, s9
	ds_read2_b64 v[66:69], v66 offset1:1
	v_fma_f64 v[18:19], -v[40:41], v[64:65], v[18:19]
	v_fma_f64 v[18:19], -v[44:45], v[62:63], v[18:19]
	s_waitcnt lgkmcnt(0)
	v_fma_f64 v[18:19], -v[46:47], v[60:61], v[18:19]
	s_add_i32 s9, s7, 0xffffff60
	s_addk_i32 s7, 0xff50
	v_fma_f64 v[18:19], -v[52:53], v[58:59], v[18:19]
	v_mov_b32_e32 v58, s9
	v_mov_b32_e32 v62, s7
	ds_read2_b64 v[58:61], v58 offset1:1
	ds_read2_b64 v[62:65], v62 offset1:1
	s_lshl_b32 s7, s2, 3
	v_fma_f64 v[18:19], -v[56:57], v[68:69], v[18:19]
	s_add_i32 s6, s6, s7
	v_fma_f64 v[18:19], -v[54:55], v[66:67], v[18:19]
	v_mov_b32_e32 v66, s6
	ds_read2_b64 v[66:69], v66 offset1:1
	s_waitcnt lgkmcnt(0)
	v_fma_f64 v[18:19], -v[50:51], v[60:61], v[18:19]
	v_fma_f64 v[18:19], -v[42:43], v[58:59], v[18:19]
	;; [unrolled: 1-line block ×3, first 2 shown]
	v_lshl_add_u64 v[58:59], s[2:3], 3, v[48:49]
	s_sub_i32 s2, s0, 25
	v_fma_f64 v[18:19], -v[32:33], v[62:63], v[18:19]
	s_lshl_b32 s6, s2, 8
	v_fma_f64 v[18:19], -v[26:27], v[68:69], v[18:19]
	s_add_i32 s7, s6, s1
	v_mul_f64 v[18:19], v[66:67], v[18:19]
	s_add_i32 s9, s7, -8
	flat_store_dwordx2 v[58:59], v[18:19]
	v_mov_b32_e32 v58, s9
	ds_read2_b64 v[58:61], v58 offset1:1
	s_sub_i32 s9, s7, 24
	v_mov_b32_e32 v62, s9
	ds_read2_b64 v[62:65], v62 offset1:1
	s_sub_i32 s9, s7, 40
	s_waitcnt lgkmcnt(0)
	v_fma_f64 v[4:5], -v[6:7], v[60:61], v[4:5]
	v_fma_f64 v[4:5], -v[8:9], v[58:59], v[4:5]
	v_mov_b32_e32 v58, s9
	ds_read2_b64 v[58:61], v58 offset1:1
	v_fma_f64 v[4:5], -v[10:11], v[64:65], v[4:5]
	s_sub_i32 s9, s7, 56
	v_fma_f64 v[4:5], -v[12:13], v[62:63], v[4:5]
	v_mov_b32_e32 v62, s9
	ds_read2_b64 v[62:65], v62 offset1:1
	s_waitcnt lgkmcnt(0)
	v_fma_f64 v[4:5], -v[14:15], v[60:61], v[4:5]
	s_add_i32 s9, s7, 0xffffffb8
	v_fma_f64 v[4:5], -v[16:17], v[58:59], v[4:5]
	v_mov_b32_e32 v58, s9
	ds_read2_b64 v[58:61], v58 offset1:1
	s_add_i32 s9, s7, 0xffffffa8
	v_fma_f64 v[4:5], -v[20:21], v[64:65], v[4:5]
	v_mov_b32_e32 v66, s9
	v_fma_f64 v[4:5], -v[22:23], v[62:63], v[4:5]
	ds_read2_b64 v[66:69], v66 offset1:1
	s_waitcnt lgkmcnt(0)
	v_fma_f64 v[4:5], -v[24:25], v[60:61], v[4:5]
	s_add_i32 s9, s7, 0xffffff98
	v_fma_f64 v[4:5], -v[28:29], v[58:59], v[4:5]
	v_mov_b32_e32 v58, s9
	ds_read2_b64 v[58:61], v58 offset1:1
	v_fma_f64 v[4:5], -v[30:31], v[68:69], v[4:5]
	s_add_i32 s9, s7, 0xffffff88
	v_fma_f64 v[4:5], -v[34:35], v[66:67], v[4:5]
	v_mov_b32_e32 v62, s9
	ds_read2_b64 v[62:65], v62 offset1:1
	s_waitcnt lgkmcnt(0)
	v_fma_f64 v[4:5], -v[36:37], v[60:61], v[4:5]
	s_add_i32 s9, s7, 0xffffff78
	v_fma_f64 v[4:5], -v[40:41], v[58:59], v[4:5]
	v_mov_b32_e32 v58, s9
	ds_read2_b64 v[58:61], v58 offset1:1
	s_add_i32 s9, s7, 0xffffff68
	v_mov_b32_e32 v66, s9
	ds_read2_b64 v[66:69], v66 offset1:1
	v_fma_f64 v[4:5], -v[44:45], v[64:65], v[4:5]
	v_fma_f64 v[4:5], -v[46:47], v[62:63], v[4:5]
	s_waitcnt lgkmcnt(0)
	v_fma_f64 v[4:5], -v[52:53], v[60:61], v[4:5]
	s_add_i32 s9, s7, 0xffffff58
	s_addk_i32 s7, 0xff48
	v_fma_f64 v[4:5], -v[56:57], v[58:59], v[4:5]
	v_mov_b32_e32 v58, s9
	v_mov_b32_e32 v62, s7
	ds_read2_b64 v[58:61], v58 offset1:1
	ds_read2_b64 v[62:65], v62 offset1:1
	s_lshl_b32 s7, s2, 3
	v_fma_f64 v[4:5], -v[54:55], v[68:69], v[4:5]
	s_add_i32 s6, s6, s7
	v_fma_f64 v[4:5], -v[50:51], v[66:67], v[4:5]
	v_mov_b32_e32 v66, s6
	ds_read2_b64 v[66:69], v66 offset1:1
	s_waitcnt lgkmcnt(0)
	v_fma_f64 v[4:5], -v[42:43], v[60:61], v[4:5]
	v_fma_f64 v[4:5], -v[38:39], v[58:59], v[4:5]
	;; [unrolled: 1-line block ×3, first 2 shown]
	v_lshl_add_u64 v[58:59], s[2:3], 3, v[48:49]
	s_sub_i32 s2, s0, 26
	v_fma_f64 v[4:5], -v[26:27], v[62:63], v[4:5]
	s_lshl_b32 s6, s2, 8
	v_fma_f64 v[4:5], -v[18:19], v[68:69], v[4:5]
	s_add_i32 s7, s6, s1
	v_mul_f64 v[4:5], v[66:67], v[4:5]
	s_add_i32 s9, s7, -16
	flat_store_dwordx2 v[58:59], v[4:5]
	v_mov_b32_e32 v58, s7
	v_mov_b32_e32 v59, s9
	ds_read_b64 v[62:63], v58
	ds_read2_b64 v[58:61], v59 offset1:1
	s_sub_i32 s9, s7, 32
	s_waitcnt lgkmcnt(0)
	v_fma_f64 v[2:3], -v[6:7], v[62:63], v[2:3]
	v_fma_f64 v[2:3], -v[8:9], v[60:61], v[2:3]
	v_mov_b32_e32 v60, s9
	ds_read2_b64 v[60:63], v60 offset1:1
	s_sub_i32 s9, s7, 48
	v_fma_f64 v[2:3], -v[10:11], v[58:59], v[2:3]
	v_mov_b32_e32 v58, s9
	ds_read2_b64 v[64:67], v58 offset1:1
	s_sub_i32 s9, s7, 64
	s_waitcnt lgkmcnt(0)
	v_fma_f64 v[2:3], -v[12:13], v[62:63], v[2:3]
	v_mov_b32_e32 v58, s9
	v_fma_f64 v[2:3], -v[14:15], v[60:61], v[2:3]
	ds_read2_b64 v[58:61], v58 offset1:1
	s_add_i32 s9, s7, 0xffffffb0
	v_fma_f64 v[2:3], -v[16:17], v[66:67], v[2:3]
	v_mov_b32_e32 v62, s9
	v_fma_f64 v[2:3], -v[20:21], v[64:65], v[2:3]
	ds_read2_b64 v[68:71], v62 offset1:1
	s_waitcnt lgkmcnt(0)
	v_fma_f64 v[2:3], -v[22:23], v[60:61], v[2:3]
	s_add_i32 s9, s7, 0xffffffa0
	v_fma_f64 v[2:3], -v[24:25], v[58:59], v[2:3]
	v_mov_b32_e32 v58, s9
	ds_read2_b64 v[58:61], v58 offset1:1
	v_fma_f64 v[2:3], -v[28:29], v[70:71], v[2:3]
	s_add_i32 s9, s7, 0xffffff90
	v_fma_f64 v[2:3], -v[30:31], v[68:69], v[2:3]
	v_mov_b32_e32 v62, s9
	ds_read2_b64 v[62:65], v62 offset1:1
	s_waitcnt lgkmcnt(0)
	v_fma_f64 v[2:3], -v[34:35], v[60:61], v[2:3]
	s_add_i32 s9, s7, 0xffffff80
	v_fma_f64 v[2:3], -v[36:37], v[58:59], v[2:3]
	v_mov_b32_e32 v58, s9
	ds_read2_b64 v[58:61], v58 offset1:1
	s_add_i32 s9, s7, 0xffffff70
	v_fma_f64 v[2:3], -v[40:41], v[64:65], v[2:3]
	v_mov_b32_e32 v66, s9
	v_fma_f64 v[2:3], -v[44:45], v[62:63], v[2:3]
	ds_read2_b64 v[66:69], v66 offset1:1
	s_waitcnt lgkmcnt(0)
	v_fma_f64 v[2:3], -v[46:47], v[60:61], v[2:3]
	s_add_i32 s9, s7, 0xffffff60
	v_fma_f64 v[2:3], -v[52:53], v[58:59], v[2:3]
	v_mov_b32_e32 v58, s9
	ds_read2_b64 v[58:61], v58 offset1:1
	v_fma_f64 v[2:3], -v[56:57], v[68:69], v[2:3]
	s_add_i32 s9, s7, 0xffffff50
	v_fma_f64 v[2:3], -v[54:55], v[66:67], v[2:3]
	v_mov_b32_e32 v62, s9
	ds_read2_b64 v[62:65], v62 offset1:1
	s_waitcnt lgkmcnt(0)
	v_fma_f64 v[2:3], -v[50:51], v[60:61], v[2:3]
	s_addk_i32 s7, 0xff40
	v_fma_f64 v[2:3], -v[42:43], v[58:59], v[2:3]
	v_mov_b32_e32 v58, s7
	s_lshl_b32 s7, s2, 3
	ds_read2_b64 v[58:61], v58 offset1:1
	s_add_i32 s6, s6, s7
	v_mov_b32_e32 v66, s6
	ds_read2_b64 v[66:69], v66 offset1:1
	v_fma_f64 v[2:3], -v[38:39], v[64:65], v[2:3]
	v_fma_f64 v[2:3], -v[32:33], v[62:63], v[2:3]
	s_waitcnt lgkmcnt(0)
	v_fma_f64 v[2:3], -v[26:27], v[60:61], v[2:3]
	v_fma_f64 v[2:3], -v[18:19], v[58:59], v[2:3]
	;; [unrolled: 1-line block ×3, first 2 shown]
	v_mul_f64 v[66:67], v[66:67], v[2:3]
	v_lshl_add_u64 v[2:3], s[2:3], 3, v[48:49]
	s_sub_i32 s2, s0, 27
	s_lshl_b32 s6, s2, 8
	s_add_i32 s1, s6, s1
	s_add_i32 s7, s1, -8
	flat_store_dwordx2 v[2:3], v[66:67]
	v_mov_b32_e32 v2, s7
	ds_read2_b64 v[58:61], v2 offset1:1
	s_sub_i32 s7, s1, 24
	v_mov_b32_e32 v2, s7
	ds_read2_b64 v[62:65], v2 offset1:1
	s_sub_i32 s7, s1, 40
	s_waitcnt lgkmcnt(0)
	v_fma_f64 v[0:1], -v[6:7], v[60:61], v[0:1]
	v_fma_f64 v[0:1], -v[8:9], v[58:59], v[0:1]
	s_sub_i32 s0, s0, 28
	v_fma_f64 v[6:7], -v[10:11], v[64:65], v[0:1]
	v_mov_b32_e32 v0, s7
	ds_read2_b64 v[0:3], v0 offset1:1
	s_sub_i32 s7, s1, 56
	v_fma_f64 v[10:11], -v[12:13], v[62:63], v[6:7]
	v_mov_b32_e32 v6, s7
	ds_read2_b64 v[6:9], v6 offset1:1
	s_waitcnt lgkmcnt(0)
	v_fma_f64 v[2:3], -v[14:15], v[2:3], v[10:11]
	s_add_i32 s7, s1, 0xffffffb8
	v_fma_f64 v[14:15], -v[16:17], v[0:1], v[2:3]
	v_mov_b32_e32 v0, s7
	ds_read2_b64 v[0:3], v0 offset1:1
	s_add_i32 s7, s1, 0xffffffa8
	v_mov_b32_e32 v10, s7
	ds_read2_b64 v[10:13], v10 offset1:1
	v_fma_f64 v[8:9], -v[20:21], v[8:9], v[14:15]
	v_fma_f64 v[6:7], -v[22:23], v[6:7], v[8:9]
	s_waitcnt lgkmcnt(0)
	v_fma_f64 v[2:3], -v[24:25], v[2:3], v[6:7]
	v_fma_f64 v[0:1], -v[28:29], v[0:1], v[2:3]
	s_add_i32 s7, s1, 0xffffff98
	v_fma_f64 v[6:7], -v[30:31], v[12:13], v[0:1]
	v_mov_b32_e32 v0, s7
	ds_read2_b64 v[0:3], v0 offset1:1
	s_add_i32 s7, s1, 0xffffff88
	v_fma_f64 v[10:11], -v[34:35], v[10:11], v[6:7]
	v_mov_b32_e32 v6, s7
	ds_read2_b64 v[6:9], v6 offset1:1
	s_waitcnt lgkmcnt(0)
	v_fma_f64 v[2:3], -v[36:37], v[2:3], v[10:11]
	s_add_i32 s7, s1, 0xffffff78
	v_fma_f64 v[14:15], -v[40:41], v[0:1], v[2:3]
	v_mov_b32_e32 v0, s7
	ds_read2_b64 v[0:3], v0 offset1:1
	s_add_i32 s7, s1, 0xffffff68
	v_mov_b32_e32 v10, s7
	ds_read2_b64 v[10:13], v10 offset1:1
	v_fma_f64 v[8:9], -v[44:45], v[8:9], v[14:15]
	v_fma_f64 v[6:7], -v[46:47], v[6:7], v[8:9]
	s_waitcnt lgkmcnt(0)
	v_fma_f64 v[2:3], -v[52:53], v[2:3], v[6:7]
	v_fma_f64 v[0:1], -v[56:57], v[0:1], v[2:3]
	s_add_i32 s7, s1, 0xffffff58
	v_fma_f64 v[6:7], -v[54:55], v[12:13], v[0:1]
	v_mov_b32_e32 v0, s7
	ds_read2_b64 v[0:3], v0 offset1:1
	s_add_i32 s7, s1, 0xffffff48
	v_fma_f64 v[10:11], -v[50:51], v[10:11], v[6:7]
	v_mov_b32_e32 v6, s7
	ds_read2_b64 v[6:9], v6 offset1:1
	s_waitcnt lgkmcnt(0)
	v_fma_f64 v[2:3], -v[42:43], v[2:3], v[10:11]
	s_addk_i32 s1, 0xff38
	v_fma_f64 v[14:15], -v[38:39], v[0:1], v[2:3]
	v_mov_b32_e32 v0, s1
	s_lshl_b32 s1, s2, 3
	ds_read2_b64 v[0:3], v0 offset1:1
	s_add_i32 s1, s6, s1
	v_mov_b32_e32 v10, s1
	ds_read2_b64 v[10:13], v10 offset1:1
	v_fma_f64 v[8:9], -v[32:33], v[8:9], v[14:15]
	v_fma_f64 v[6:7], -v[26:27], v[6:7], v[8:9]
	s_waitcnt lgkmcnt(0)
	v_fma_f64 v[2:3], -v[18:19], v[2:3], v[6:7]
	v_fma_f64 v[0:1], -v[4:5], v[0:1], v[2:3]
	;; [unrolled: 1-line block ×3, first 2 shown]
	v_mul_f64 v[0:1], v[10:11], v[0:1]
	v_lshl_add_u64 v[2:3], s[2:3], 3, v[48:49]
	flat_store_dwordx2 v[2:3], v[0:1]
.LBB105_16:
	s_cmp_lt_i32 s0, 0
	s_cbranch_scc1 .LBB105_33
; %bb.17:
	s_and_b32 s1, s0, 3
	s_cmp_eq_u32 s1, 3
	s_mov_b32 s2, s0
	s_cbranch_scc1 .LBB105_22
; %bb.18:
	s_lshl_b32 s2, s0, 8
	s_lshl_b32 s3, s22, 3
	s_add_i32 s1, s0, 1
	s_add_i32 s2, s2, s3
	s_and_b32 s1, s1, 3
	s_add_i32 s9, s2, -8
	s_mov_b32 s7, 0
	s_mov_b32 s2, s0
	;; [unrolled: 1-line block ×3, first 2 shown]
	s_branch .LBB105_20
.LBB105_19:                             ;   in Loop: Header=BB105_20 Depth=1
	s_mul_i32 s3, s2, 0x108
	v_mov_b32_e32 v4, s3
	ds_read_b64 v[4:5], v4
	s_add_i32 s2, s2, -1
	s_add_i32 s11, s11, 1
	s_addk_i32 s9, 0xff00
	s_cmp_lg_u32 s11, s1
	s_waitcnt lgkmcnt(0)
	v_mul_f64 v[2:3], v[4:5], v[2:3]
	flat_store_dwordx2 v[0:1], v[2:3]
	s_cbranch_scc0 .LBB105_22
.LBB105_20:                             ; =>This Loop Header: Depth=1
                                        ;     Child Loop BB105_21 Depth 2
	s_mov_b32 s3, s7
	v_lshl_add_u64 v[0:1], s[2:3], 3, v[48:49]
	flat_load_dwordx2 v[2:3], v[0:1]
	s_cmp_le_i32 s8, s2
	s_mov_b32 s3, s9
	s_mov_b32 s6, s8
	s_waitcnt vmcnt(0) lgkmcnt(0)
	v_mul_f64 v[2:3], s[4:5], v[2:3]
	s_cbranch_scc1 .LBB105_19
.LBB105_21:                             ;   Parent Loop BB105_20 Depth=1
                                        ; =>  This Inner Loop Header: Depth=2
	v_lshl_add_u64 v[4:5], s[6:7], 3, v[48:49]
	flat_load_dwordx2 v[4:5], v[4:5]
	v_mov_b32_e32 v6, s3
	ds_read_b64 v[6:7], v6
	s_add_i32 s6, s6, -1
	s_add_i32 s3, s3, -8
	s_cmp_gt_i32 s6, s2
	s_waitcnt vmcnt(0) lgkmcnt(0)
	v_fma_f64 v[2:3], -v[4:5], v[6:7], v[2:3]
	s_cbranch_scc1 .LBB105_21
	s_branch .LBB105_19
.LBB105_22:
	s_cmp_lt_u32 s0, 3
	s_cbranch_scc1 .LBB105_33
; %bb.23:
	s_lshl_b32 s0, s2, 8
	s_lshl_b32 s1, s22, 3
	s_add_i32 s0, s0, s1
	s_add_i32 s9, s0, -8
	s_add_i32 s11, s0, 0xfffffef8
	s_add_i32 s12, s0, 0xfffffdf8
	;; [unrolled: 1-line block ×3, first 2 shown]
	s_mov_b32 s1, 0
	s_branch .LBB105_25
.LBB105_24:                             ;   in Loop: Header=BB105_25 Depth=1
	s_add_i32 s0, s3, 0xfffffef8
	v_mov_b32_e32 v4, s0
	ds_read_b64 v[4:5], v4
	s_add_i32 s0, s2, -4
	s_addk_i32 s9, 0xfc00
	s_addk_i32 s11, 0xfc00
	;; [unrolled: 1-line block ×4, first 2 shown]
	s_waitcnt lgkmcnt(0)
	v_mul_f64 v[2:3], v[4:5], v[2:3]
	s_cmp_lt_i32 s2, 4
	s_mov_b32 s2, s0
	flat_store_dwordx2 v[0:1], v[2:3]
	s_cbranch_scc1 .LBB105_33
.LBB105_25:                             ; =>This Loop Header: Depth=1
                                        ;     Child Loop BB105_26 Depth 2
                                        ;     Child Loop BB105_28 Depth 2
	;; [unrolled: 1-line block ×4, first 2 shown]
	s_mov_b32 s3, s1
	v_lshl_add_u64 v[2:3], s[2:3], 3, v[48:49]
	flat_load_dwordx2 v[0:1], v[2:3]
	s_cmp_le_i32 s8, s2
	s_mov_b32 s3, s9
	s_mov_b32 s0, s8
	s_waitcnt vmcnt(0) lgkmcnt(0)
	v_mul_f64 v[4:5], s[4:5], v[0:1]
	s_cbranch_scc1 .LBB105_27
.LBB105_26:                             ;   Parent Loop BB105_25 Depth=1
                                        ; =>  This Inner Loop Header: Depth=2
	v_lshl_add_u64 v[0:1], s[0:1], 3, v[48:49]
	flat_load_dwordx2 v[0:1], v[0:1]
	v_mov_b32_e32 v6, s3
	ds_read_b64 v[6:7], v6
	s_add_i32 s0, s0, -1
	s_add_i32 s3, s3, -8
	s_cmp_gt_i32 s0, s2
	s_waitcnt vmcnt(0) lgkmcnt(0)
	v_fma_f64 v[4:5], -v[0:1], v[6:7], v[4:5]
	s_cbranch_scc1 .LBB105_26
.LBB105_27:                             ;   in Loop: Header=BB105_25 Depth=1
	s_add_i32 s0, s2, -1
	v_lshl_add_u64 v[0:1], s[0:1], 3, v[48:49]
	flat_load_dwordx2 v[6:7], v[0:1]
	s_mul_i32 s3, s2, 0x108
	v_mov_b32_e32 v8, s3
	ds_read_b64 v[8:9], v8
	s_mov_b32 s6, s11
	s_cmp_le_i32 s22, s2
	s_mov_b32 s0, s22
	s_waitcnt lgkmcnt(0)
	v_mul_f64 v[4:5], v[8:9], v[4:5]
	flat_store_dwordx2 v[2:3], v[4:5]
	s_waitcnt vmcnt(0)
	v_mul_f64 v[4:5], s[4:5], v[6:7]
	s_cbranch_scc1 .LBB105_29
.LBB105_28:                             ;   Parent Loop BB105_25 Depth=1
                                        ; =>  This Inner Loop Header: Depth=2
	s_add_i32 s0, s0, -1
	v_lshl_add_u64 v[2:3], s[0:1], 3, v[48:49]
	flat_load_dwordx2 v[2:3], v[2:3]
	v_mov_b32_e32 v6, s6
	ds_read_b64 v[6:7], v6
	s_add_i32 s6, s6, -8
	s_cmp_gt_i32 s0, s2
	s_waitcnt vmcnt(0) lgkmcnt(0)
	v_fma_f64 v[4:5], -v[2:3], v[6:7], v[4:5]
	s_cbranch_scc1 .LBB105_28
.LBB105_29:                             ;   in Loop: Header=BB105_25 Depth=1
	s_add_i32 s6, s2, -2
	s_mov_b32 s7, s1
	v_lshl_add_u64 v[2:3], s[6:7], 3, v[48:49]
	flat_load_dwordx2 v[6:7], v[2:3]
	s_addk_i32 s3, 0xfef8
	v_mov_b32_e32 v8, s3
	ds_read_b64 v[8:9], v8
	s_mov_b32 s7, s12
	s_cmp_le_i32 s8, s6
	s_mov_b32 s0, s8
	s_waitcnt lgkmcnt(0)
	v_mul_f64 v[4:5], v[8:9], v[4:5]
	flat_store_dwordx2 v[0:1], v[4:5]
	s_waitcnt vmcnt(0)
	v_mul_f64 v[4:5], s[4:5], v[6:7]
	s_cbranch_scc1 .LBB105_31
.LBB105_30:                             ;   Parent Loop BB105_25 Depth=1
                                        ; =>  This Inner Loop Header: Depth=2
	v_lshl_add_u64 v[0:1], s[0:1], 3, v[48:49]
	flat_load_dwordx2 v[0:1], v[0:1]
	v_mov_b32_e32 v6, s7
	ds_read_b64 v[6:7], v6
	s_add_i32 s0, s0, -1
	s_add_i32 s7, s7, -8
	s_cmp_gt_i32 s0, s6
	s_waitcnt vmcnt(0) lgkmcnt(0)
	v_fma_f64 v[4:5], -v[0:1], v[6:7], v[4:5]
	s_cbranch_scc1 .LBB105_30
.LBB105_31:                             ;   in Loop: Header=BB105_25 Depth=1
	s_add_i32 s6, s2, -3
	s_mov_b32 s7, s1
	v_lshl_add_u64 v[0:1], s[6:7], 3, v[48:49]
	flat_load_dwordx2 v[6:7], v[0:1]
	s_addk_i32 s3, 0xfef8
	v_mov_b32_e32 v8, s3
	ds_read_b64 v[8:9], v8
	s_mov_b32 s7, s13
	s_cmp_le_i32 s8, s6
	s_mov_b32 s0, s8
	s_waitcnt lgkmcnt(0)
	v_mul_f64 v[4:5], v[8:9], v[4:5]
	flat_store_dwordx2 v[2:3], v[4:5]
	s_waitcnt vmcnt(0)
	v_mul_f64 v[2:3], s[4:5], v[6:7]
	s_cbranch_scc1 .LBB105_24
.LBB105_32:                             ;   Parent Loop BB105_25 Depth=1
                                        ; =>  This Inner Loop Header: Depth=2
	v_lshl_add_u64 v[4:5], s[0:1], 3, v[48:49]
	flat_load_dwordx2 v[4:5], v[4:5]
	v_mov_b32_e32 v6, s7
	ds_read_b64 v[6:7], v6
	s_add_i32 s0, s0, -1
	s_add_i32 s7, s7, -8
	s_cmp_gt_i32 s0, s6
	s_waitcnt vmcnt(0) lgkmcnt(0)
	v_fma_f64 v[2:3], -v[4:5], v[6:7], v[2:3]
	s_cbranch_scc1 .LBB105_32
	s_branch .LBB105_24
.LBB105_33:
	s_mov_b64 s[0:1], 0
.LBB105_34:
	s_and_b64 vcc, exec, s[0:1]
	s_cbranch_vccz .LBB105_48
; %bb.35:
	s_cmp_gt_i32 s10, 31
	s_cselect_b64 s[0:1], -1, 0
	s_mov_b32 s2, 0
	s_and_b64 vcc, exec, s[0:1]
	s_cbranch_vccz .LBB105_37
; %bb.36:
	flat_load_dwordx4 v[0:3], v[48:49]
	flat_load_dwordx4 v[20:23], v[48:49] offset:16
	flat_load_dwordx4 v[24:27], v[48:49] offset:32
	;; [unrolled: 1-line block ×3, first 2 shown]
	v_mov_b32_e32 v66, 0
	ds_read_b64 v[4:5], v66
	s_movk_i32 s2, 0x1800
	s_waitcnt vmcnt(0) lgkmcnt(0)
	v_mul_f64 v[0:1], s[4:5], v[0:1]
	v_mul_f64 v[16:17], v[4:5], v[0:1]
	flat_store_dwordx2 v[48:49], v[16:17]
	ds_read_b64 v[0:1], v66 offset:8
	ds_read_b64 v[4:5], v66 offset:264
	flat_load_dwordx4 v[32:35], v[48:49] offset:64
	flat_load_dwordx4 v[36:39], v[48:49] offset:80
	s_waitcnt lgkmcnt(0)
	v_mul_f64 v[0:1], v[16:17], v[0:1]
	v_fma_f64 v[0:1], s[4:5], v[2:3], -v[0:1]
	v_mul_f64 v[18:19], v[4:5], v[0:1]
	flat_store_dwordx2 v[48:49], v[18:19] offset:8
	ds_read_b64 v[0:1], v66 offset:16
	ds_read_b64 v[2:3], v66 offset:272
	;; [unrolled: 1-line block ×3, first 2 shown]
	flat_load_dwordx4 v[12:15], v[48:49] offset:96
	flat_load_dwordx4 v[8:11], v[48:49] offset:112
	s_waitcnt lgkmcnt(0)
	v_mul_f64 v[0:1], v[16:17], v[0:1]
	v_fma_f64 v[0:1], s[4:5], v[20:21], -v[0:1]
	v_fma_f64 v[0:1], -v[18:19], v[2:3], v[0:1]
	v_mul_f64 v[20:21], v[4:5], v[0:1]
	flat_store_dwordx2 v[48:49], v[20:21] offset:16
	ds_read_b64 v[40:41], v66 offset:24
	flat_load_dwordx4 v[4:7], v[48:49] offset:128
	flat_load_dwordx4 v[0:3], v[48:49] offset:144
	ds_read_b64 v[42:43], v66 offset:280
	ds_read_b64 v[44:45], v66 offset:536
	;; [unrolled: 1-line block ×3, first 2 shown]
	s_waitcnt lgkmcnt(0)
	v_mul_f64 v[40:41], v[16:17], v[40:41]
	v_fma_f64 v[22:23], s[4:5], v[22:23], -v[40:41]
	v_fma_f64 v[22:23], -v[18:19], v[42:43], v[22:23]
	v_fma_f64 v[22:23], -v[20:21], v[44:45], v[22:23]
	v_mul_f64 v[22:23], v[46:47], v[22:23]
	flat_store_dwordx2 v[48:49], v[22:23] offset:24
	ds_read_b64 v[40:41], v66 offset:32
	ds_read_b64 v[42:43], v66 offset:288
	ds_read_b64 v[44:45], v66 offset:544
	ds_read_b64 v[46:47], v66 offset:800
	ds_read_b64 v[50:51], v66 offset:1056
	s_waitcnt lgkmcnt(0)
	v_mul_f64 v[40:41], v[16:17], v[40:41]
	v_fma_f64 v[24:25], s[4:5], v[24:25], -v[40:41]
	v_fma_f64 v[24:25], -v[18:19], v[42:43], v[24:25]
	v_fma_f64 v[24:25], -v[20:21], v[44:45], v[24:25]
	;; [unrolled: 1-line block ×3, first 2 shown]
	v_mul_f64 v[24:25], v[50:51], v[24:25]
	flat_store_dwordx2 v[48:49], v[24:25] offset:32
	ds_read_b64 v[40:41], v66 offset:40
	ds_read_b64 v[42:43], v66 offset:296
	;; [unrolled: 1-line block ×6, first 2 shown]
	s_waitcnt lgkmcnt(0)
	v_mul_f64 v[40:41], v[16:17], v[40:41]
	v_fma_f64 v[26:27], s[4:5], v[26:27], -v[40:41]
	v_fma_f64 v[26:27], -v[18:19], v[42:43], v[26:27]
	v_fma_f64 v[26:27], -v[20:21], v[44:45], v[26:27]
	;; [unrolled: 1-line block ×4, first 2 shown]
	v_mul_f64 v[26:27], v[52:53], v[26:27]
	flat_store_dwordx2 v[48:49], v[26:27] offset:40
	ds_read_b64 v[40:41], v66 offset:48
	ds_read_b64 v[42:43], v66 offset:304
	;; [unrolled: 1-line block ×7, first 2 shown]
	s_waitcnt lgkmcnt(0)
	v_mul_f64 v[40:41], v[16:17], v[40:41]
	v_fma_f64 v[28:29], s[4:5], v[28:29], -v[40:41]
	v_fma_f64 v[28:29], -v[18:19], v[42:43], v[28:29]
	v_fma_f64 v[28:29], -v[20:21], v[44:45], v[28:29]
	;; [unrolled: 1-line block ×5, first 2 shown]
	v_mul_f64 v[28:29], v[54:55], v[28:29]
	flat_store_dwordx2 v[48:49], v[28:29] offset:48
	ds_read_b64 v[40:41], v66 offset:56
	ds_read_b64 v[42:43], v66 offset:312
	;; [unrolled: 1-line block ×8, first 2 shown]
	s_waitcnt lgkmcnt(0)
	v_mul_f64 v[40:41], v[16:17], v[40:41]
	v_fma_f64 v[30:31], s[4:5], v[30:31], -v[40:41]
	v_fma_f64 v[30:31], -v[18:19], v[42:43], v[30:31]
	v_fma_f64 v[30:31], -v[20:21], v[44:45], v[30:31]
	;; [unrolled: 1-line block ×6, first 2 shown]
	v_mul_f64 v[30:31], v[56:57], v[30:31]
	flat_store_dwordx2 v[48:49], v[30:31] offset:56
	ds_read_b64 v[40:41], v66 offset:64
	ds_read_b64 v[42:43], v66 offset:320
	ds_read_b64 v[44:45], v66 offset:576
	ds_read_b64 v[46:47], v66 offset:832
	ds_read_b64 v[50:51], v66 offset:1088
	ds_read_b64 v[52:53], v66 offset:1344
	ds_read_b64 v[54:55], v66 offset:1600
	ds_read_b64 v[56:57], v66 offset:1856
	ds_read_b64 v[58:59], v66 offset:2112
	s_waitcnt lgkmcnt(0)
	v_mul_f64 v[40:41], v[16:17], v[40:41]
	s_waitcnt vmcnt(0)
	v_fma_f64 v[32:33], s[4:5], v[32:33], -v[40:41]
	v_fma_f64 v[32:33], -v[18:19], v[42:43], v[32:33]
	v_fma_f64 v[32:33], -v[20:21], v[44:45], v[32:33]
	;; [unrolled: 1-line block ×7, first 2 shown]
	v_mul_f64 v[32:33], v[58:59], v[32:33]
	flat_store_dwordx2 v[48:49], v[32:33] offset:64
	ds_read_b64 v[40:41], v66 offset:72
	ds_read_b64 v[42:43], v66 offset:328
	;; [unrolled: 1-line block ×10, first 2 shown]
	s_waitcnt lgkmcnt(0)
	v_mul_f64 v[40:41], v[16:17], v[40:41]
	v_fma_f64 v[34:35], s[4:5], v[34:35], -v[40:41]
	v_fma_f64 v[34:35], -v[18:19], v[42:43], v[34:35]
	v_fma_f64 v[34:35], -v[20:21], v[44:45], v[34:35]
	;; [unrolled: 1-line block ×8, first 2 shown]
	v_mul_f64 v[34:35], v[60:61], v[34:35]
	flat_store_dwordx2 v[48:49], v[34:35] offset:72
	ds_read_b64 v[40:41], v66 offset:80
	ds_read_b64 v[42:43], v66 offset:336
	ds_read_b64 v[44:45], v66 offset:592
	ds_read_b64 v[46:47], v66 offset:848
	ds_read_b64 v[50:51], v66 offset:1104
	ds_read_b64 v[52:53], v66 offset:1360
	ds_read_b64 v[54:55], v66 offset:1616
	ds_read_b64 v[56:57], v66 offset:1872
	ds_read_b64 v[58:59], v66 offset:2128
	ds_read_b64 v[60:61], v66 offset:2384
	ds_read_b64 v[62:63], v66 offset:2640
	s_waitcnt lgkmcnt(0)
	v_mul_f64 v[40:41], v[16:17], v[40:41]
	v_fma_f64 v[36:37], s[4:5], v[36:37], -v[40:41]
	v_fma_f64 v[36:37], -v[18:19], v[42:43], v[36:37]
	v_fma_f64 v[36:37], -v[20:21], v[44:45], v[36:37]
	;; [unrolled: 1-line block ×9, first 2 shown]
	v_mul_f64 v[36:37], v[62:63], v[36:37]
	flat_store_dwordx2 v[48:49], v[36:37] offset:80
	ds_read_b64 v[40:41], v66 offset:88
	ds_read_b64 v[42:43], v66 offset:344
	;; [unrolled: 1-line block ×12, first 2 shown]
	s_waitcnt lgkmcnt(0)
	v_mul_f64 v[40:41], v[16:17], v[40:41]
	v_fma_f64 v[38:39], s[4:5], v[38:39], -v[40:41]
	v_fma_f64 v[38:39], -v[18:19], v[42:43], v[38:39]
	v_fma_f64 v[38:39], -v[20:21], v[44:45], v[38:39]
	v_fma_f64 v[38:39], -v[22:23], v[46:47], v[38:39]
	v_fma_f64 v[38:39], -v[24:25], v[50:51], v[38:39]
	v_fma_f64 v[38:39], -v[26:27], v[52:53], v[38:39]
	v_fma_f64 v[38:39], -v[28:29], v[54:55], v[38:39]
	v_fma_f64 v[38:39], -v[30:31], v[56:57], v[38:39]
	v_fma_f64 v[38:39], -v[32:33], v[58:59], v[38:39]
	v_fma_f64 v[38:39], -v[34:35], v[60:61], v[38:39]
	v_fma_f64 v[38:39], -v[36:37], v[62:63], v[38:39]
	v_mul_f64 v[38:39], v[64:65], v[38:39]
	flat_store_dwordx2 v[48:49], v[38:39] offset:88
	ds_read_b64 v[40:41], v66 offset:96
	ds_read_b64 v[42:43], v66 offset:352
	;; [unrolled: 1-line block ×13, first 2 shown]
	s_waitcnt lgkmcnt(0)
	v_mul_f64 v[40:41], v[16:17], v[40:41]
	v_fma_f64 v[12:13], s[4:5], v[12:13], -v[40:41]
	v_fma_f64 v[12:13], -v[18:19], v[42:43], v[12:13]
	v_fma_f64 v[12:13], -v[20:21], v[44:45], v[12:13]
	;; [unrolled: 1-line block ×11, first 2 shown]
	v_mul_f64 v[12:13], v[68:69], v[12:13]
	flat_store_dwordx2 v[48:49], v[12:13] offset:96
	ds_read_b64 v[40:41], v66 offset:104
	ds_read_b64 v[42:43], v66 offset:360
	;; [unrolled: 1-line block ×14, first 2 shown]
	s_waitcnt lgkmcnt(0)
	v_mul_f64 v[40:41], v[16:17], v[40:41]
	v_fma_f64 v[14:15], s[4:5], v[14:15], -v[40:41]
	v_fma_f64 v[14:15], -v[18:19], v[42:43], v[14:15]
	v_fma_f64 v[14:15], -v[20:21], v[44:45], v[14:15]
	;; [unrolled: 1-line block ×12, first 2 shown]
	v_mul_f64 v[14:15], v[70:71], v[14:15]
	flat_store_dwordx2 v[48:49], v[14:15] offset:104
	ds_read_b64 v[40:41], v66 offset:112
	ds_read_b64 v[42:43], v66 offset:368
	;; [unrolled: 1-line block ×15, first 2 shown]
	s_waitcnt lgkmcnt(0)
	v_mul_f64 v[40:41], v[16:17], v[40:41]
	v_fma_f64 v[8:9], s[4:5], v[8:9], -v[40:41]
	v_fma_f64 v[8:9], -v[18:19], v[42:43], v[8:9]
	v_fma_f64 v[8:9], -v[20:21], v[44:45], v[8:9]
	;; [unrolled: 1-line block ×13, first 2 shown]
	v_mul_f64 v[8:9], v[72:73], v[8:9]
	flat_store_dwordx2 v[48:49], v[8:9] offset:112
	ds_read_b64 v[40:41], v66 offset:120
	ds_read_b64 v[42:43], v66 offset:376
	;; [unrolled: 1-line block ×16, first 2 shown]
	s_waitcnt lgkmcnt(0)
	v_mul_f64 v[40:41], v[16:17], v[40:41]
	v_fma_f64 v[10:11], s[4:5], v[10:11], -v[40:41]
	v_fma_f64 v[10:11], -v[18:19], v[42:43], v[10:11]
	v_fma_f64 v[10:11], -v[20:21], v[44:45], v[10:11]
	;; [unrolled: 1-line block ×14, first 2 shown]
	v_mul_f64 v[10:11], v[74:75], v[10:11]
	flat_store_dwordx2 v[48:49], v[10:11] offset:120
	ds_read_b64 v[40:41], v66 offset:128
	ds_read_b64 v[42:43], v66 offset:384
	;; [unrolled: 1-line block ×12, first 2 shown]
	s_waitcnt lgkmcnt(0)
	v_mul_f64 v[40:41], v[16:17], v[40:41]
	v_fma_f64 v[4:5], s[4:5], v[4:5], -v[40:41]
	v_fma_f64 v[4:5], -v[18:19], v[42:43], v[4:5]
	v_fma_f64 v[4:5], -v[20:21], v[44:45], v[4:5]
	;; [unrolled: 1-line block ×11, first 2 shown]
	ds_read_b64 v[40:41], v66 offset:3200
	ds_read_b64 v[42:43], v66 offset:3456
	;; [unrolled: 1-line block ×5, first 2 shown]
	s_waitcnt lgkmcnt(0)
	v_fma_f64 v[4:5], -v[12:13], v[40:41], v[4:5]
	v_fma_f64 v[4:5], -v[14:15], v[42:43], v[4:5]
	;; [unrolled: 1-line block ×4, first 2 shown]
	v_mul_f64 v[40:41], v[50:51], v[4:5]
	flat_store_dwordx2 v[48:49], v[40:41] offset:128
	ds_read_b64 v[4:5], v66 offset:136
	ds_read_b64 v[42:43], v66 offset:392
	;; [unrolled: 1-line block ×4, first 2 shown]
	s_waitcnt lgkmcnt(0)
	v_mul_f64 v[4:5], v[16:17], v[4:5]
	v_fma_f64 v[4:5], s[4:5], v[6:7], -v[4:5]
	v_fma_f64 v[4:5], -v[18:19], v[42:43], v[4:5]
	v_fma_f64 v[4:5], -v[20:21], v[44:45], v[4:5]
	ds_read_b64 v[6:7], v66 offset:1160
	ds_read_b64 v[42:43], v66 offset:1416
	ds_read_b64 v[44:45], v66 offset:1672
	v_fma_f64 v[4:5], -v[22:23], v[46:47], v[4:5]
	ds_read_b64 v[46:47], v66 offset:1928
	s_waitcnt lgkmcnt(0)
	v_fma_f64 v[4:5], -v[24:25], v[6:7], v[4:5]
	v_fma_f64 v[4:5], -v[26:27], v[42:43], v[4:5]
	;; [unrolled: 1-line block ×3, first 2 shown]
	ds_read_b64 v[6:7], v66 offset:2184
	ds_read_b64 v[42:43], v66 offset:2440
	;; [unrolled: 1-line block ×3, first 2 shown]
	v_fma_f64 v[4:5], -v[30:31], v[46:47], v[4:5]
	ds_read_b64 v[46:47], v66 offset:2952
	s_waitcnt lgkmcnt(0)
	v_fma_f64 v[4:5], -v[32:33], v[6:7], v[4:5]
	ds_read_b64 v[6:7], v66 offset:3208
	v_fma_f64 v[4:5], -v[34:35], v[42:43], v[4:5]
	v_fma_f64 v[4:5], -v[36:37], v[44:45], v[4:5]
	;; [unrolled: 1-line block ×3, first 2 shown]
	ds_read_b64 v[42:43], v66 offset:3464
	ds_read_b64 v[44:45], v66 offset:3720
	;; [unrolled: 1-line block ×3, first 2 shown]
	s_waitcnt lgkmcnt(0)
	v_fma_f64 v[4:5], -v[12:13], v[6:7], v[4:5]
	ds_read_b64 v[6:7], v66 offset:4232
	ds_read_b64 v[50:51], v66 offset:4488
	v_fma_f64 v[4:5], -v[14:15], v[42:43], v[4:5]
	v_fma_f64 v[4:5], -v[8:9], v[44:45], v[4:5]
	;; [unrolled: 1-line block ×3, first 2 shown]
	s_waitcnt lgkmcnt(0)
	v_fma_f64 v[4:5], -v[40:41], v[6:7], v[4:5]
	v_mul_f64 v[42:43], v[50:51], v[4:5]
	flat_load_dwordx4 v[4:7], v[48:49] offset:160
	s_nop 0
	flat_store_dwordx2 v[48:49], v[42:43] offset:136
	ds_read_b64 v[44:45], v66 offset:144
	ds_read_b64 v[46:47], v66 offset:400
	;; [unrolled: 1-line block ×4, first 2 shown]
	s_waitcnt lgkmcnt(0)
	v_mul_f64 v[44:45], v[16:17], v[44:45]
	v_fma_f64 v[0:1], s[4:5], v[0:1], -v[44:45]
	v_fma_f64 v[0:1], -v[18:19], v[46:47], v[0:1]
	v_fma_f64 v[0:1], -v[20:21], v[50:51], v[0:1]
	ds_read_b64 v[44:45], v66 offset:1168
	ds_read_b64 v[46:47], v66 offset:1424
	;; [unrolled: 1-line block ×3, first 2 shown]
	v_fma_f64 v[0:1], -v[22:23], v[52:53], v[0:1]
	ds_read_b64 v[52:53], v66 offset:1936
	s_waitcnt lgkmcnt(0)
	v_fma_f64 v[0:1], -v[24:25], v[44:45], v[0:1]
	v_fma_f64 v[0:1], -v[26:27], v[46:47], v[0:1]
	;; [unrolled: 1-line block ×3, first 2 shown]
	ds_read_b64 v[44:45], v66 offset:2192
	ds_read_b64 v[46:47], v66 offset:2448
	;; [unrolled: 1-line block ×3, first 2 shown]
	v_fma_f64 v[0:1], -v[30:31], v[52:53], v[0:1]
	ds_read_b64 v[52:53], v66 offset:2960
	s_waitcnt lgkmcnt(0)
	v_fma_f64 v[0:1], -v[32:33], v[44:45], v[0:1]
	v_fma_f64 v[0:1], -v[34:35], v[46:47], v[0:1]
	ds_read_b64 v[44:45], v66 offset:3216
	ds_read_b64 v[46:47], v66 offset:3472
	v_fma_f64 v[0:1], -v[36:37], v[50:51], v[0:1]
	v_fma_f64 v[0:1], -v[38:39], v[52:53], v[0:1]
	ds_read_b64 v[50:51], v66 offset:3728
	ds_read_b64 v[52:53], v66 offset:3984
	s_waitcnt lgkmcnt(0)
	v_fma_f64 v[0:1], -v[12:13], v[44:45], v[0:1]
	v_fma_f64 v[0:1], -v[14:15], v[46:47], v[0:1]
	ds_read_b64 v[44:45], v66 offset:4240
	ds_read_b64 v[46:47], v66 offset:4496
	;; [unrolled: 1-line block ×3, first 2 shown]
	v_fma_f64 v[0:1], -v[8:9], v[50:51], v[0:1]
	v_fma_f64 v[0:1], -v[10:11], v[52:53], v[0:1]
	s_waitcnt lgkmcnt(0)
	v_fma_f64 v[0:1], -v[40:41], v[44:45], v[0:1]
	v_fma_f64 v[0:1], -v[42:43], v[46:47], v[0:1]
	v_mul_f64 v[44:45], v[54:55], v[0:1]
	flat_store_dwordx2 v[48:49], v[44:45] offset:144
	ds_read_b64 v[0:1], v66 offset:152
	ds_read_b64 v[46:47], v66 offset:408
	;; [unrolled: 1-line block ×4, first 2 shown]
	s_waitcnt lgkmcnt(0)
	v_mul_f64 v[0:1], v[16:17], v[0:1]
	v_fma_f64 v[0:1], s[4:5], v[2:3], -v[0:1]
	v_fma_f64 v[0:1], -v[18:19], v[46:47], v[0:1]
	v_fma_f64 v[0:1], -v[20:21], v[50:51], v[0:1]
	ds_read_b64 v[2:3], v66 offset:1176
	ds_read_b64 v[46:47], v66 offset:1432
	ds_read_b64 v[50:51], v66 offset:1688
	v_fma_f64 v[0:1], -v[22:23], v[52:53], v[0:1]
	ds_read_b64 v[52:53], v66 offset:1944
	s_waitcnt lgkmcnt(0)
	v_fma_f64 v[0:1], -v[24:25], v[2:3], v[0:1]
	v_fma_f64 v[0:1], -v[26:27], v[46:47], v[0:1]
	v_fma_f64 v[0:1], -v[28:29], v[50:51], v[0:1]
	ds_read_b64 v[2:3], v66 offset:2200
	ds_read_b64 v[46:47], v66 offset:2456
	ds_read_b64 v[50:51], v66 offset:2712
	v_fma_f64 v[0:1], -v[30:31], v[52:53], v[0:1]
	ds_read_b64 v[52:53], v66 offset:2968
	s_waitcnt lgkmcnt(0)
	v_fma_f64 v[0:1], -v[32:33], v[2:3], v[0:1]
	;; [unrolled: 9-line block ×3, first 2 shown]
	v_fma_f64 v[0:1], -v[14:15], v[46:47], v[0:1]
	v_fma_f64 v[0:1], -v[8:9], v[50:51], v[0:1]
	ds_read_b64 v[2:3], v66 offset:4248
	ds_read_b64 v[46:47], v66 offset:4504
	;; [unrolled: 1-line block ×4, first 2 shown]
	v_fma_f64 v[0:1], -v[10:11], v[52:53], v[0:1]
	s_waitcnt lgkmcnt(0)
	v_fma_f64 v[0:1], -v[40:41], v[2:3], v[0:1]
	v_fma_f64 v[0:1], -v[42:43], v[46:47], v[0:1]
	;; [unrolled: 1-line block ×3, first 2 shown]
	v_mul_f64 v[46:47], v[54:55], v[0:1]
	flat_load_dwordx4 v[0:3], v[48:49] offset:176
	s_nop 0
	flat_store_dwordx2 v[48:49], v[46:47] offset:152
	ds_read_b64 v[50:51], v66 offset:160
	ds_read_b64 v[52:53], v66 offset:416
	;; [unrolled: 1-line block ×4, first 2 shown]
	s_waitcnt lgkmcnt(0)
	v_mul_f64 v[50:51], v[16:17], v[50:51]
	s_waitcnt vmcnt(0)
	v_fma_f64 v[4:5], s[4:5], v[4:5], -v[50:51]
	v_fma_f64 v[4:5], -v[18:19], v[52:53], v[4:5]
	v_fma_f64 v[4:5], -v[20:21], v[54:55], v[4:5]
	ds_read_b64 v[50:51], v66 offset:1184
	ds_read_b64 v[52:53], v66 offset:1440
	;; [unrolled: 1-line block ×3, first 2 shown]
	v_fma_f64 v[4:5], -v[22:23], v[56:57], v[4:5]
	ds_read_b64 v[56:57], v66 offset:1952
	s_waitcnt lgkmcnt(3)
	v_fma_f64 v[4:5], -v[24:25], v[50:51], v[4:5]
	s_waitcnt lgkmcnt(2)
	v_fma_f64 v[4:5], -v[26:27], v[52:53], v[4:5]
	;; [unrolled: 2-line block ×3, first 2 shown]
	ds_read_b64 v[50:51], v66 offset:2208
	ds_read_b64 v[52:53], v66 offset:2464
	;; [unrolled: 1-line block ×3, first 2 shown]
	s_waitcnt lgkmcnt(3)
	v_fma_f64 v[4:5], -v[30:31], v[56:57], v[4:5]
	ds_read_b64 v[56:57], v66 offset:2976
	s_waitcnt lgkmcnt(3)
	v_fma_f64 v[4:5], -v[32:33], v[50:51], v[4:5]
	s_waitcnt lgkmcnt(2)
	v_fma_f64 v[4:5], -v[34:35], v[52:53], v[4:5]
	s_waitcnt lgkmcnt(1)
	v_fma_f64 v[4:5], -v[36:37], v[54:55], v[4:5]
	ds_read_b64 v[50:51], v66 offset:3232
	ds_read_b64 v[52:53], v66 offset:3488
	;; [unrolled: 1-line block ×4, first 2 shown]
	s_waitcnt lgkmcnt(4)
	v_fma_f64 v[4:5], -v[38:39], v[56:57], v[4:5]
	s_waitcnt lgkmcnt(3)
	v_fma_f64 v[4:5], -v[12:13], v[50:51], v[4:5]
	;; [unrolled: 2-line block ×5, first 2 shown]
	ds_read_b64 v[50:51], v66 offset:4256
	ds_read_b64 v[52:53], v66 offset:4512
	;; [unrolled: 1-line block ×5, first 2 shown]
	s_waitcnt lgkmcnt(4)
	v_fma_f64 v[4:5], -v[40:41], v[50:51], v[4:5]
	s_waitcnt lgkmcnt(3)
	v_fma_f64 v[4:5], -v[42:43], v[52:53], v[4:5]
	;; [unrolled: 2-line block ×4, first 2 shown]
	s_waitcnt lgkmcnt(0)
	v_mul_f64 v[50:51], v[58:59], v[4:5]
	flat_store_dwordx2 v[48:49], v[50:51] offset:160
	ds_read_b64 v[4:5], v66 offset:168
	ds_read_b64 v[52:53], v66 offset:424
	;; [unrolled: 1-line block ×4, first 2 shown]
	s_waitcnt lgkmcnt(0)
	v_mul_f64 v[4:5], v[16:17], v[4:5]
	v_fma_f64 v[4:5], s[4:5], v[6:7], -v[4:5]
	v_fma_f64 v[4:5], -v[18:19], v[52:53], v[4:5]
	v_fma_f64 v[4:5], -v[20:21], v[54:55], v[4:5]
	ds_read_b64 v[6:7], v66 offset:1192
	ds_read_b64 v[52:53], v66 offset:1448
	ds_read_b64 v[54:55], v66 offset:1704
	v_fma_f64 v[4:5], -v[22:23], v[56:57], v[4:5]
	ds_read_b64 v[56:57], v66 offset:1960
	s_waitcnt lgkmcnt(0)
	v_fma_f64 v[4:5], -v[24:25], v[6:7], v[4:5]
	v_fma_f64 v[4:5], -v[26:27], v[52:53], v[4:5]
	v_fma_f64 v[4:5], -v[28:29], v[54:55], v[4:5]
	ds_read_b64 v[6:7], v66 offset:2216
	ds_read_b64 v[52:53], v66 offset:2472
	ds_read_b64 v[54:55], v66 offset:2728
	v_fma_f64 v[4:5], -v[30:31], v[56:57], v[4:5]
	ds_read_b64 v[56:57], v66 offset:2984
	s_waitcnt lgkmcnt(0)
	v_fma_f64 v[4:5], -v[32:33], v[6:7], v[4:5]
	v_fma_f64 v[4:5], -v[34:35], v[52:53], v[4:5]
	v_fma_f64 v[4:5], -v[36:37], v[54:55], v[4:5]
	ds_read_b64 v[6:7], v66 offset:3240
	ds_read_b64 v[52:53], v66 offset:3496
	ds_read_b64 v[54:55], v66 offset:3752
	v_fma_f64 v[4:5], -v[38:39], v[56:57], v[4:5]
	ds_read_b64 v[56:57], v66 offset:4008
	s_waitcnt lgkmcnt(0)
	v_fma_f64 v[4:5], -v[12:13], v[6:7], v[4:5]
	ds_read_b64 v[6:7], v66 offset:4264
	v_fma_f64 v[4:5], -v[14:15], v[52:53], v[4:5]
	v_fma_f64 v[4:5], -v[8:9], v[54:55], v[4:5]
	;; [unrolled: 1-line block ×3, first 2 shown]
	ds_read_b64 v[52:53], v66 offset:4520
	ds_read_b64 v[54:55], v66 offset:4776
	;; [unrolled: 1-line block ×3, first 2 shown]
	s_waitcnt lgkmcnt(0)
	v_fma_f64 v[4:5], -v[40:41], v[6:7], v[4:5]
	ds_read_b64 v[6:7], v66 offset:5288
	ds_read_b64 v[58:59], v66 offset:5544
	v_fma_f64 v[4:5], -v[42:43], v[52:53], v[4:5]
	v_fma_f64 v[4:5], -v[44:45], v[54:55], v[4:5]
	;; [unrolled: 1-line block ×3, first 2 shown]
	s_waitcnt lgkmcnt(0)
	v_fma_f64 v[4:5], -v[50:51], v[6:7], v[4:5]
	v_mul_f64 v[52:53], v[58:59], v[4:5]
	flat_load_dwordx4 v[4:7], v[48:49] offset:192
	s_nop 0
	flat_store_dwordx2 v[48:49], v[52:53] offset:168
	ds_read_b64 v[54:55], v66 offset:176
	ds_read_b64 v[56:57], v66 offset:432
	;; [unrolled: 1-line block ×4, first 2 shown]
	s_waitcnt lgkmcnt(0)
	v_mul_f64 v[54:55], v[16:17], v[54:55]
	v_fma_f64 v[0:1], s[4:5], v[0:1], -v[54:55]
	v_fma_f64 v[0:1], -v[18:19], v[56:57], v[0:1]
	v_fma_f64 v[0:1], -v[20:21], v[58:59], v[0:1]
	ds_read_b64 v[54:55], v66 offset:1200
	ds_read_b64 v[56:57], v66 offset:1456
	ds_read_b64 v[58:59], v66 offset:1712
	v_fma_f64 v[0:1], -v[22:23], v[60:61], v[0:1]
	ds_read_b64 v[60:61], v66 offset:1968
	s_waitcnt lgkmcnt(0)
	v_fma_f64 v[0:1], -v[24:25], v[54:55], v[0:1]
	v_fma_f64 v[0:1], -v[26:27], v[56:57], v[0:1]
	v_fma_f64 v[0:1], -v[28:29], v[58:59], v[0:1]
	ds_read_b64 v[54:55], v66 offset:2224
	ds_read_b64 v[56:57], v66 offset:2480
	ds_read_b64 v[58:59], v66 offset:2736
	v_fma_f64 v[0:1], -v[30:31], v[60:61], v[0:1]
	ds_read_b64 v[60:61], v66 offset:2992
	s_waitcnt lgkmcnt(0)
	v_fma_f64 v[0:1], -v[32:33], v[54:55], v[0:1]
	;; [unrolled: 9-line block ×3, first 2 shown]
	v_fma_f64 v[0:1], -v[14:15], v[56:57], v[0:1]
	ds_read_b64 v[54:55], v66 offset:4272
	ds_read_b64 v[56:57], v66 offset:4528
	v_fma_f64 v[0:1], -v[8:9], v[58:59], v[0:1]
	v_fma_f64 v[0:1], -v[10:11], v[60:61], v[0:1]
	ds_read_b64 v[58:59], v66 offset:4784
	ds_read_b64 v[60:61], v66 offset:5040
	s_waitcnt lgkmcnt(0)
	v_fma_f64 v[0:1], -v[40:41], v[54:55], v[0:1]
	v_fma_f64 v[0:1], -v[42:43], v[56:57], v[0:1]
	ds_read_b64 v[54:55], v66 offset:5296
	ds_read_b64 v[56:57], v66 offset:5552
	;; [unrolled: 1-line block ×3, first 2 shown]
	v_fma_f64 v[0:1], -v[44:45], v[58:59], v[0:1]
	v_fma_f64 v[0:1], -v[46:47], v[60:61], v[0:1]
	s_waitcnt lgkmcnt(0)
	v_fma_f64 v[0:1], -v[50:51], v[54:55], v[0:1]
	v_fma_f64 v[0:1], -v[52:53], v[56:57], v[0:1]
	v_mul_f64 v[54:55], v[62:63], v[0:1]
	flat_store_dwordx2 v[48:49], v[54:55] offset:176
	ds_read_b64 v[0:1], v66 offset:184
	ds_read_b64 v[56:57], v66 offset:440
	;; [unrolled: 1-line block ×4, first 2 shown]
	s_waitcnt lgkmcnt(0)
	v_mul_f64 v[0:1], v[16:17], v[0:1]
	v_fma_f64 v[0:1], s[4:5], v[2:3], -v[0:1]
	v_fma_f64 v[0:1], -v[18:19], v[56:57], v[0:1]
	v_fma_f64 v[0:1], -v[20:21], v[58:59], v[0:1]
	ds_read_b64 v[2:3], v66 offset:1208
	ds_read_b64 v[56:57], v66 offset:1464
	ds_read_b64 v[58:59], v66 offset:1720
	v_fma_f64 v[0:1], -v[22:23], v[60:61], v[0:1]
	ds_read_b64 v[60:61], v66 offset:1976
	s_waitcnt lgkmcnt(0)
	v_fma_f64 v[0:1], -v[24:25], v[2:3], v[0:1]
	v_fma_f64 v[0:1], -v[26:27], v[56:57], v[0:1]
	v_fma_f64 v[0:1], -v[28:29], v[58:59], v[0:1]
	ds_read_b64 v[2:3], v66 offset:2232
	ds_read_b64 v[56:57], v66 offset:2488
	ds_read_b64 v[58:59], v66 offset:2744
	v_fma_f64 v[0:1], -v[30:31], v[60:61], v[0:1]
	ds_read_b64 v[60:61], v66 offset:3000
	s_waitcnt lgkmcnt(0)
	v_fma_f64 v[0:1], -v[32:33], v[2:3], v[0:1]
	;; [unrolled: 9-line block ×4, first 2 shown]
	v_fma_f64 v[0:1], -v[42:43], v[56:57], v[0:1]
	v_fma_f64 v[0:1], -v[44:45], v[58:59], v[0:1]
	ds_read_b64 v[2:3], v66 offset:5304
	ds_read_b64 v[56:57], v66 offset:5560
	;; [unrolled: 1-line block ×4, first 2 shown]
	v_fma_f64 v[0:1], -v[46:47], v[60:61], v[0:1]
	s_waitcnt lgkmcnt(0)
	v_fma_f64 v[0:1], -v[50:51], v[2:3], v[0:1]
	v_fma_f64 v[0:1], -v[52:53], v[56:57], v[0:1]
	;; [unrolled: 1-line block ×3, first 2 shown]
	v_mul_f64 v[56:57], v[62:63], v[0:1]
	flat_load_dwordx4 v[0:3], v[48:49] offset:208
	s_nop 0
	flat_store_dwordx2 v[48:49], v[56:57] offset:184
	ds_read_b64 v[58:59], v66 offset:192
	ds_read_b64 v[60:61], v66 offset:448
	ds_read_b64 v[62:63], v66 offset:704
	ds_read_b64 v[64:65], v66 offset:960
	s_waitcnt lgkmcnt(0)
	v_mul_f64 v[58:59], v[16:17], v[58:59]
	s_waitcnt vmcnt(0)
	v_fma_f64 v[4:5], s[4:5], v[4:5], -v[58:59]
	v_fma_f64 v[4:5], -v[18:19], v[60:61], v[4:5]
	v_fma_f64 v[4:5], -v[20:21], v[62:63], v[4:5]
	ds_read_b64 v[58:59], v66 offset:1216
	ds_read_b64 v[60:61], v66 offset:1472
	;; [unrolled: 1-line block ×3, first 2 shown]
	v_fma_f64 v[4:5], -v[22:23], v[64:65], v[4:5]
	ds_read_b64 v[64:65], v66 offset:1984
	s_waitcnt lgkmcnt(3)
	v_fma_f64 v[4:5], -v[24:25], v[58:59], v[4:5]
	s_waitcnt lgkmcnt(2)
	v_fma_f64 v[4:5], -v[26:27], v[60:61], v[4:5]
	;; [unrolled: 2-line block ×3, first 2 shown]
	ds_read_b64 v[58:59], v66 offset:2240
	ds_read_b64 v[60:61], v66 offset:2496
	;; [unrolled: 1-line block ×3, first 2 shown]
	s_waitcnt lgkmcnt(3)
	v_fma_f64 v[4:5], -v[30:31], v[64:65], v[4:5]
	ds_read_b64 v[64:65], v66 offset:3008
	s_waitcnt lgkmcnt(3)
	v_fma_f64 v[4:5], -v[32:33], v[58:59], v[4:5]
	s_waitcnt lgkmcnt(2)
	v_fma_f64 v[4:5], -v[34:35], v[60:61], v[4:5]
	;; [unrolled: 2-line block ×3, first 2 shown]
	ds_read_b64 v[58:59], v66 offset:3264
	ds_read_b64 v[60:61], v66 offset:3520
	;; [unrolled: 1-line block ×3, first 2 shown]
	s_waitcnt lgkmcnt(3)
	v_fma_f64 v[4:5], -v[38:39], v[64:65], v[4:5]
	ds_read_b64 v[64:65], v66 offset:4032
	s_waitcnt lgkmcnt(3)
	v_fma_f64 v[4:5], -v[12:13], v[58:59], v[4:5]
	s_waitcnt lgkmcnt(2)
	v_fma_f64 v[4:5], -v[14:15], v[60:61], v[4:5]
	;; [unrolled: 2-line block ×3, first 2 shown]
	ds_read_b64 v[58:59], v66 offset:4288
	ds_read_b64 v[60:61], v66 offset:4544
	;; [unrolled: 1-line block ×4, first 2 shown]
	s_waitcnt lgkmcnt(4)
	v_fma_f64 v[4:5], -v[10:11], v[64:65], v[4:5]
	s_waitcnt lgkmcnt(3)
	v_fma_f64 v[4:5], -v[40:41], v[58:59], v[4:5]
	;; [unrolled: 2-line block ×5, first 2 shown]
	ds_read_b64 v[58:59], v66 offset:5312
	ds_read_b64 v[60:61], v66 offset:5568
	;; [unrolled: 1-line block ×5, first 2 shown]
	s_waitcnt lgkmcnt(4)
	v_fma_f64 v[4:5], -v[50:51], v[58:59], v[4:5]
	s_waitcnt lgkmcnt(3)
	v_fma_f64 v[4:5], -v[52:53], v[60:61], v[4:5]
	;; [unrolled: 2-line block ×4, first 2 shown]
	s_waitcnt lgkmcnt(0)
	v_mul_f64 v[58:59], v[68:69], v[4:5]
	flat_store_dwordx2 v[48:49], v[58:59] offset:192
	ds_read_b64 v[4:5], v66 offset:200
	ds_read_b64 v[60:61], v66 offset:456
	;; [unrolled: 1-line block ×4, first 2 shown]
	s_waitcnt lgkmcnt(0)
	v_mul_f64 v[4:5], v[16:17], v[4:5]
	v_fma_f64 v[4:5], s[4:5], v[6:7], -v[4:5]
	v_fma_f64 v[4:5], -v[18:19], v[60:61], v[4:5]
	v_fma_f64 v[4:5], -v[20:21], v[62:63], v[4:5]
	ds_read_b64 v[6:7], v66 offset:1224
	ds_read_b64 v[60:61], v66 offset:1480
	ds_read_b64 v[62:63], v66 offset:1736
	v_fma_f64 v[4:5], -v[22:23], v[64:65], v[4:5]
	ds_read_b64 v[64:65], v66 offset:1992
	s_waitcnt lgkmcnt(0)
	v_fma_f64 v[4:5], -v[24:25], v[6:7], v[4:5]
	v_fma_f64 v[4:5], -v[26:27], v[60:61], v[4:5]
	v_fma_f64 v[4:5], -v[28:29], v[62:63], v[4:5]
	ds_read_b64 v[6:7], v66 offset:2248
	ds_read_b64 v[60:61], v66 offset:2504
	ds_read_b64 v[62:63], v66 offset:2760
	v_fma_f64 v[4:5], -v[30:31], v[64:65], v[4:5]
	ds_read_b64 v[64:65], v66 offset:3016
	s_waitcnt lgkmcnt(0)
	v_fma_f64 v[4:5], -v[32:33], v[6:7], v[4:5]
	;; [unrolled: 9-line block ×4, first 2 shown]
	ds_read_b64 v[6:7], v66 offset:5320
	v_fma_f64 v[4:5], -v[42:43], v[60:61], v[4:5]
	v_fma_f64 v[4:5], -v[44:45], v[62:63], v[4:5]
	;; [unrolled: 1-line block ×3, first 2 shown]
	ds_read_b64 v[60:61], v66 offset:5576
	ds_read_b64 v[62:63], v66 offset:5832
	;; [unrolled: 1-line block ×3, first 2 shown]
	s_waitcnt lgkmcnt(0)
	v_fma_f64 v[4:5], -v[50:51], v[6:7], v[4:5]
	ds_read_b64 v[6:7], v66 offset:6344
	ds_read_b64 v[68:69], v66 offset:6600
	v_fma_f64 v[4:5], -v[52:53], v[60:61], v[4:5]
	v_fma_f64 v[4:5], -v[54:55], v[62:63], v[4:5]
	;; [unrolled: 1-line block ×3, first 2 shown]
	s_waitcnt lgkmcnt(0)
	v_fma_f64 v[4:5], -v[58:59], v[6:7], v[4:5]
	v_mul_f64 v[60:61], v[68:69], v[4:5]
	flat_store_dwordx2 v[48:49], v[60:61] offset:200
	ds_read_b64 v[62:63], v66 offset:208
	flat_load_dwordx4 v[4:7], v[48:49] offset:224
	ds_read_b64 v[64:65], v66 offset:464
	ds_read_b64 v[68:69], v66 offset:720
	;; [unrolled: 1-line block ×3, first 2 shown]
	s_waitcnt lgkmcnt(0)
	v_mul_f64 v[62:63], v[16:17], v[62:63]
	v_fma_f64 v[0:1], s[4:5], v[0:1], -v[62:63]
	v_fma_f64 v[0:1], -v[18:19], v[64:65], v[0:1]
	v_fma_f64 v[0:1], -v[20:21], v[68:69], v[0:1]
	ds_read_b64 v[62:63], v66 offset:1232
	ds_read_b64 v[64:65], v66 offset:1488
	ds_read_b64 v[68:69], v66 offset:1744
	v_fma_f64 v[0:1], -v[22:23], v[70:71], v[0:1]
	ds_read_b64 v[70:71], v66 offset:2000
	s_waitcnt lgkmcnt(0)
	v_fma_f64 v[0:1], -v[24:25], v[62:63], v[0:1]
	v_fma_f64 v[0:1], -v[26:27], v[64:65], v[0:1]
	v_fma_f64 v[0:1], -v[28:29], v[68:69], v[0:1]
	ds_read_b64 v[62:63], v66 offset:2256
	ds_read_b64 v[64:65], v66 offset:2512
	ds_read_b64 v[68:69], v66 offset:2768
	v_fma_f64 v[0:1], -v[30:31], v[70:71], v[0:1]
	ds_read_b64 v[70:71], v66 offset:3024
	s_waitcnt lgkmcnt(0)
	v_fma_f64 v[0:1], -v[32:33], v[62:63], v[0:1]
	;; [unrolled: 9-line block ×4, first 2 shown]
	v_fma_f64 v[0:1], -v[42:43], v[64:65], v[0:1]
	ds_read_b64 v[62:63], v66 offset:5328
	ds_read_b64 v[64:65], v66 offset:5584
	v_fma_f64 v[0:1], -v[44:45], v[68:69], v[0:1]
	v_fma_f64 v[0:1], -v[46:47], v[70:71], v[0:1]
	ds_read_b64 v[68:69], v66 offset:5840
	ds_read_b64 v[70:71], v66 offset:6096
	s_waitcnt lgkmcnt(0)
	v_fma_f64 v[0:1], -v[50:51], v[62:63], v[0:1]
	v_fma_f64 v[0:1], -v[52:53], v[64:65], v[0:1]
	ds_read_b64 v[62:63], v66 offset:6352
	ds_read_b64 v[64:65], v66 offset:6608
	;; [unrolled: 1-line block ×3, first 2 shown]
	v_fma_f64 v[0:1], -v[54:55], v[68:69], v[0:1]
	v_fma_f64 v[0:1], -v[56:57], v[70:71], v[0:1]
	s_waitcnt lgkmcnt(0)
	v_fma_f64 v[0:1], -v[58:59], v[62:63], v[0:1]
	v_fma_f64 v[0:1], -v[60:61], v[64:65], v[0:1]
	v_mul_f64 v[62:63], v[72:73], v[0:1]
	flat_store_dwordx2 v[48:49], v[62:63] offset:208
	ds_read_b64 v[0:1], v66 offset:216
	ds_read_b64 v[64:65], v66 offset:472
	;; [unrolled: 1-line block ×4, first 2 shown]
	s_waitcnt lgkmcnt(0)
	v_mul_f64 v[0:1], v[16:17], v[0:1]
	v_fma_f64 v[0:1], s[4:5], v[2:3], -v[0:1]
	v_fma_f64 v[0:1], -v[18:19], v[64:65], v[0:1]
	v_fma_f64 v[0:1], -v[20:21], v[68:69], v[0:1]
	ds_read_b64 v[2:3], v66 offset:1240
	ds_read_b64 v[64:65], v66 offset:1496
	ds_read_b64 v[68:69], v66 offset:1752
	v_fma_f64 v[0:1], -v[22:23], v[70:71], v[0:1]
	ds_read_b64 v[70:71], v66 offset:2008
	s_waitcnt lgkmcnt(0)
	v_fma_f64 v[0:1], -v[24:25], v[2:3], v[0:1]
	v_fma_f64 v[0:1], -v[26:27], v[64:65], v[0:1]
	v_fma_f64 v[0:1], -v[28:29], v[68:69], v[0:1]
	ds_read_b64 v[2:3], v66 offset:2264
	ds_read_b64 v[64:65], v66 offset:2520
	ds_read_b64 v[68:69], v66 offset:2776
	v_fma_f64 v[0:1], -v[30:31], v[70:71], v[0:1]
	ds_read_b64 v[70:71], v66 offset:3032
	s_waitcnt lgkmcnt(0)
	v_fma_f64 v[0:1], -v[32:33], v[2:3], v[0:1]
	;; [unrolled: 9-line block ×5, first 2 shown]
	v_fma_f64 v[0:1], -v[52:53], v[64:65], v[0:1]
	v_fma_f64 v[0:1], -v[54:55], v[68:69], v[0:1]
	ds_read_b64 v[2:3], v66 offset:6360
	ds_read_b64 v[64:65], v66 offset:6616
	;; [unrolled: 1-line block ×4, first 2 shown]
	v_fma_f64 v[0:1], -v[56:57], v[70:71], v[0:1]
	s_waitcnt lgkmcnt(0)
	v_fma_f64 v[0:1], -v[58:59], v[2:3], v[0:1]
	v_fma_f64 v[0:1], -v[60:61], v[64:65], v[0:1]
	;; [unrolled: 1-line block ×3, first 2 shown]
	v_mul_f64 v[64:65], v[72:73], v[0:1]
	flat_store_dwordx2 v[48:49], v[64:65] offset:216
	ds_read_b64 v[68:69], v66 offset:224
	flat_load_dwordx4 v[0:3], v[48:49] offset:240
	ds_read_b64 v[70:71], v66 offset:480
	ds_read_b64 v[72:73], v66 offset:736
	;; [unrolled: 1-line block ×3, first 2 shown]
	s_waitcnt lgkmcnt(0)
	v_mul_f64 v[68:69], v[16:17], v[68:69]
	s_waitcnt vmcnt(0)
	v_fma_f64 v[4:5], s[4:5], v[4:5], -v[68:69]
	v_fma_f64 v[4:5], -v[18:19], v[70:71], v[4:5]
	v_fma_f64 v[4:5], -v[20:21], v[72:73], v[4:5]
	ds_read_b64 v[68:69], v66 offset:1248
	ds_read_b64 v[70:71], v66 offset:1504
	;; [unrolled: 1-line block ×3, first 2 shown]
	v_fma_f64 v[4:5], -v[22:23], v[74:75], v[4:5]
	ds_read_b64 v[74:75], v66 offset:2016
	s_waitcnt lgkmcnt(3)
	v_fma_f64 v[4:5], -v[24:25], v[68:69], v[4:5]
	s_waitcnt lgkmcnt(2)
	v_fma_f64 v[4:5], -v[26:27], v[70:71], v[4:5]
	s_waitcnt lgkmcnt(1)
	v_fma_f64 v[4:5], -v[28:29], v[72:73], v[4:5]
	ds_read_b64 v[68:69], v66 offset:2272
	ds_read_b64 v[70:71], v66 offset:2528
	ds_read_b64 v[72:73], v66 offset:2784
	s_waitcnt lgkmcnt(3)
	v_fma_f64 v[4:5], -v[30:31], v[74:75], v[4:5]
	ds_read_b64 v[74:75], v66 offset:3040
	s_waitcnt lgkmcnt(3)
	v_fma_f64 v[4:5], -v[32:33], v[68:69], v[4:5]
	s_waitcnt lgkmcnt(2)
	v_fma_f64 v[4:5], -v[34:35], v[70:71], v[4:5]
	s_waitcnt lgkmcnt(1)
	v_fma_f64 v[4:5], -v[36:37], v[72:73], v[4:5]
	ds_read_b64 v[68:69], v66 offset:3296
	ds_read_b64 v[70:71], v66 offset:3552
	ds_read_b64 v[72:73], v66 offset:3808
	s_waitcnt lgkmcnt(3)
	;; [unrolled: 12-line block ×3, first 2 shown]
	v_fma_f64 v[4:5], -v[10:11], v[74:75], v[4:5]
	ds_read_b64 v[74:75], v66 offset:5088
	s_waitcnt lgkmcnt(3)
	v_fma_f64 v[4:5], -v[40:41], v[68:69], v[4:5]
	s_waitcnt lgkmcnt(2)
	v_fma_f64 v[4:5], -v[42:43], v[70:71], v[4:5]
	;; [unrolled: 2-line block ×3, first 2 shown]
	ds_read_b64 v[68:69], v66 offset:5344
	ds_read_b64 v[70:71], v66 offset:5600
	;; [unrolled: 1-line block ×4, first 2 shown]
	s_waitcnt lgkmcnt(4)
	v_fma_f64 v[4:5], -v[46:47], v[74:75], v[4:5]
	s_waitcnt lgkmcnt(3)
	v_fma_f64 v[4:5], -v[50:51], v[68:69], v[4:5]
	;; [unrolled: 2-line block ×5, first 2 shown]
	ds_read_b64 v[68:69], v66 offset:6368
	ds_read_b64 v[70:71], v66 offset:6624
	;; [unrolled: 1-line block ×5, first 2 shown]
	s_waitcnt lgkmcnt(4)
	v_fma_f64 v[4:5], -v[58:59], v[68:69], v[4:5]
	s_waitcnt lgkmcnt(3)
	v_fma_f64 v[4:5], -v[60:61], v[70:71], v[4:5]
	s_waitcnt lgkmcnt(2)
	v_fma_f64 v[4:5], -v[62:63], v[72:73], v[4:5]
	s_waitcnt lgkmcnt(1)
	v_fma_f64 v[4:5], -v[64:65], v[74:75], v[4:5]
	s_waitcnt lgkmcnt(0)
	v_mul_f64 v[4:5], v[76:77], v[4:5]
	flat_store_dwordx2 v[48:49], v[4:5] offset:224
	ds_read_b64 v[68:69], v66 offset:232
	ds_read_b64 v[70:71], v66 offset:488
	;; [unrolled: 1-line block ×4, first 2 shown]
	s_waitcnt lgkmcnt(0)
	v_mul_f64 v[68:69], v[16:17], v[68:69]
	v_fma_f64 v[6:7], s[4:5], v[6:7], -v[68:69]
	v_fma_f64 v[6:7], -v[18:19], v[70:71], v[6:7]
	v_fma_f64 v[6:7], -v[20:21], v[72:73], v[6:7]
	ds_read_b64 v[68:69], v66 offset:1256
	ds_read_b64 v[70:71], v66 offset:1512
	ds_read_b64 v[72:73], v66 offset:1768
	v_fma_f64 v[6:7], -v[22:23], v[74:75], v[6:7]
	ds_read_b64 v[74:75], v66 offset:2024
	s_waitcnt lgkmcnt(0)
	v_fma_f64 v[6:7], -v[24:25], v[68:69], v[6:7]
	v_fma_f64 v[6:7], -v[26:27], v[70:71], v[6:7]
	v_fma_f64 v[6:7], -v[28:29], v[72:73], v[6:7]
	ds_read_b64 v[68:69], v66 offset:2280
	ds_read_b64 v[70:71], v66 offset:2536
	ds_read_b64 v[72:73], v66 offset:2792
	v_fma_f64 v[6:7], -v[30:31], v[74:75], v[6:7]
	ds_read_b64 v[74:75], v66 offset:3048
	s_waitcnt lgkmcnt(0)
	v_fma_f64 v[6:7], -v[32:33], v[68:69], v[6:7]
	v_fma_f64 v[6:7], -v[34:35], v[70:71], v[6:7]
	v_fma_f64 v[6:7], -v[36:37], v[72:73], v[6:7]
	ds_read_b64 v[68:69], v66 offset:3304
	ds_read_b64 v[70:71], v66 offset:3560
	ds_read_b64 v[72:73], v66 offset:3816
	v_fma_f64 v[6:7], -v[38:39], v[74:75], v[6:7]
	ds_read_b64 v[74:75], v66 offset:4072
	s_waitcnt lgkmcnt(0)
	v_fma_f64 v[6:7], -v[12:13], v[68:69], v[6:7]
	v_fma_f64 v[6:7], -v[14:15], v[70:71], v[6:7]
	v_fma_f64 v[6:7], -v[8:9], v[72:73], v[6:7]
	ds_read_b64 v[68:69], v66 offset:4328
	ds_read_b64 v[70:71], v66 offset:4584
	ds_read_b64 v[72:73], v66 offset:4840
	v_fma_f64 v[6:7], -v[10:11], v[74:75], v[6:7]
	ds_read_b64 v[74:75], v66 offset:5096
	s_waitcnt lgkmcnt(0)
	v_fma_f64 v[6:7], -v[40:41], v[68:69], v[6:7]
	v_fma_f64 v[6:7], -v[42:43], v[70:71], v[6:7]
	v_fma_f64 v[6:7], -v[44:45], v[72:73], v[6:7]
	ds_read_b64 v[68:69], v66 offset:5352
	ds_read_b64 v[70:71], v66 offset:5608
	ds_read_b64 v[72:73], v66 offset:5864
	v_fma_f64 v[6:7], -v[46:47], v[74:75], v[6:7]
	ds_read_b64 v[74:75], v66 offset:6120
	s_waitcnt lgkmcnt(0)
	v_fma_f64 v[6:7], -v[50:51], v[68:69], v[6:7]
	ds_read_b64 v[68:69], v66 offset:6376
	v_fma_f64 v[6:7], -v[52:53], v[70:71], v[6:7]
	v_fma_f64 v[6:7], -v[54:55], v[72:73], v[6:7]
	;; [unrolled: 1-line block ×3, first 2 shown]
	ds_read_b64 v[70:71], v66 offset:6632
	ds_read_b64 v[72:73], v66 offset:6888
	;; [unrolled: 1-line block ×3, first 2 shown]
	s_waitcnt lgkmcnt(0)
	v_fma_f64 v[6:7], -v[58:59], v[68:69], v[6:7]
	ds_read_b64 v[68:69], v66 offset:7400
	ds_read_b64 v[76:77], v66 offset:7656
	v_fma_f64 v[6:7], -v[60:61], v[70:71], v[6:7]
	v_fma_f64 v[6:7], -v[62:63], v[72:73], v[6:7]
	;; [unrolled: 1-line block ×3, first 2 shown]
	s_waitcnt lgkmcnt(0)
	v_fma_f64 v[6:7], -v[4:5], v[68:69], v[6:7]
	v_mul_f64 v[6:7], v[76:77], v[6:7]
	flat_store_dwordx2 v[48:49], v[6:7] offset:232
	ds_read_b64 v[68:69], v66 offset:240
	ds_read_b64 v[70:71], v66 offset:496
	;; [unrolled: 1-line block ×4, first 2 shown]
	s_waitcnt lgkmcnt(0)
	v_mul_f64 v[68:69], v[16:17], v[68:69]
	v_fma_f64 v[0:1], s[4:5], v[0:1], -v[68:69]
	v_fma_f64 v[0:1], -v[18:19], v[70:71], v[0:1]
	v_fma_f64 v[0:1], -v[20:21], v[72:73], v[0:1]
	ds_read_b64 v[68:69], v66 offset:1264
	ds_read_b64 v[70:71], v66 offset:1520
	ds_read_b64 v[72:73], v66 offset:1776
	v_fma_f64 v[0:1], -v[22:23], v[74:75], v[0:1]
	ds_read_b64 v[74:75], v66 offset:2032
	s_waitcnt lgkmcnt(0)
	v_fma_f64 v[0:1], -v[24:25], v[68:69], v[0:1]
	v_fma_f64 v[0:1], -v[26:27], v[70:71], v[0:1]
	v_fma_f64 v[0:1], -v[28:29], v[72:73], v[0:1]
	ds_read_b64 v[68:69], v66 offset:2288
	ds_read_b64 v[70:71], v66 offset:2544
	ds_read_b64 v[72:73], v66 offset:2800
	v_fma_f64 v[0:1], -v[30:31], v[74:75], v[0:1]
	ds_read_b64 v[74:75], v66 offset:3056
	s_waitcnt lgkmcnt(0)
	v_fma_f64 v[0:1], -v[32:33], v[68:69], v[0:1]
	;; [unrolled: 9-line block ×5, first 2 shown]
	v_fma_f64 v[0:1], -v[52:53], v[70:71], v[0:1]
	ds_read_b64 v[68:69], v66 offset:6384
	ds_read_b64 v[70:71], v66 offset:6640
	v_fma_f64 v[0:1], -v[54:55], v[72:73], v[0:1]
	v_fma_f64 v[0:1], -v[56:57], v[74:75], v[0:1]
	ds_read_b64 v[72:73], v66 offset:6896
	ds_read_b64 v[74:75], v66 offset:7152
	s_waitcnt lgkmcnt(0)
	v_fma_f64 v[0:1], -v[58:59], v[68:69], v[0:1]
	v_fma_f64 v[0:1], -v[60:61], v[70:71], v[0:1]
	ds_read_b64 v[68:69], v66 offset:7408
	ds_read_b64 v[70:71], v66 offset:7664
	;; [unrolled: 1-line block ×3, first 2 shown]
	v_fma_f64 v[0:1], -v[62:63], v[72:73], v[0:1]
	v_fma_f64 v[0:1], -v[64:65], v[74:75], v[0:1]
	s_waitcnt lgkmcnt(0)
	v_fma_f64 v[0:1], -v[4:5], v[68:69], v[0:1]
	v_fma_f64 v[0:1], -v[6:7], v[70:71], v[0:1]
	v_mul_f64 v[68:69], v[76:77], v[0:1]
	flat_store_dwordx2 v[48:49], v[68:69] offset:240
	ds_read_b64 v[0:1], v66 offset:248
	ds_read_b64 v[70:71], v66 offset:504
	;; [unrolled: 1-line block ×4, first 2 shown]
	s_waitcnt lgkmcnt(0)
	v_mul_f64 v[0:1], v[16:17], v[0:1]
	v_fma_f64 v[0:1], s[4:5], v[2:3], -v[0:1]
	v_fma_f64 v[0:1], -v[18:19], v[70:71], v[0:1]
	ds_read_b64 v[2:3], v66 offset:1272
	ds_read_b64 v[16:17], v66 offset:1528
	ds_read_b64 v[18:19], v66 offset:1784
	v_fma_f64 v[0:1], -v[20:21], v[72:73], v[0:1]
	v_fma_f64 v[0:1], -v[22:23], v[74:75], v[0:1]
	ds_read_b64 v[20:21], v66 offset:2040
	s_waitcnt lgkmcnt(0)
	v_fma_f64 v[0:1], -v[24:25], v[2:3], v[0:1]
	v_fma_f64 v[0:1], -v[26:27], v[16:17], v[0:1]
	v_fma_f64 v[0:1], -v[28:29], v[18:19], v[0:1]
	ds_read_b64 v[2:3], v66 offset:2296
	ds_read_b64 v[16:17], v66 offset:2552
	ds_read_b64 v[18:19], v66 offset:2808
	v_fma_f64 v[0:1], -v[30:31], v[20:21], v[0:1]
	ds_read_b64 v[20:21], v66 offset:3064
	s_waitcnt lgkmcnt(0)
	v_fma_f64 v[0:1], -v[32:33], v[2:3], v[0:1]
	v_fma_f64 v[0:1], -v[34:35], v[16:17], v[0:1]
	v_fma_f64 v[0:1], -v[36:37], v[18:19], v[0:1]
	ds_read_b64 v[2:3], v66 offset:3320
	ds_read_b64 v[16:17], v66 offset:3576
	ds_read_b64 v[18:19], v66 offset:3832
	;; [unrolled: 9-line block ×4, first 2 shown]
	v_fma_f64 v[0:1], -v[46:47], v[10:11], v[0:1]
	ds_read_b64 v[10:11], v66 offset:6136
	s_waitcnt lgkmcnt(0)
	v_fma_f64 v[0:1], -v[50:51], v[2:3], v[0:1]
	v_fma_f64 v[0:1], -v[52:53], v[8:9], v[0:1]
	ds_read_b64 v[2:3], v66 offset:6392
	ds_read_b64 v[8:9], v66 offset:6648
	v_fma_f64 v[0:1], -v[54:55], v[12:13], v[0:1]
	v_fma_f64 v[0:1], -v[56:57], v[10:11], v[0:1]
	ds_read_b64 v[10:11], v66 offset:6904
	ds_read_b64 v[12:13], v66 offset:7160
	s_waitcnt lgkmcnt(0)
	v_fma_f64 v[0:1], -v[58:59], v[2:3], v[0:1]
	v_fma_f64 v[8:9], -v[60:61], v[8:9], v[0:1]
	ds_read_b64 v[14:15], v66 offset:7416
	ds_read_b64 v[16:17], v66 offset:7672
	v_add_u32_e64 v0, s2, 0
	ds_read2_b64 v[0:3], v0 offset0:223 offset1:255
	v_fma_f64 v[8:9], -v[62:63], v[10:11], v[8:9]
	v_fma_f64 v[8:9], -v[64:65], v[12:13], v[8:9]
	s_waitcnt lgkmcnt(0)
	v_fma_f64 v[4:5], -v[4:5], v[14:15], v[8:9]
	v_fma_f64 v[4:5], -v[6:7], v[16:17], v[4:5]
	;; [unrolled: 1-line block ×3, first 2 shown]
	v_mul_f64 v[0:1], v[2:3], v[0:1]
	s_mov_b32 s2, 32
	flat_store_dwordx2 v[48:49], v[0:1] offset:248
.LBB105_37:
	s_cmp_lt_i32 s2, s22
	s_cbranch_scc0 .LBB105_48
; %bb.38:
	s_or_b32 s3, s2, 27
	s_cmp_ge_u32 s3, s22
	s_cbranch_scc1 .LBB105_43
; %bb.39:
	s_lshl_b32 s6, s2, 3
	s_mov_b32 s7, 0
	v_lshl_add_u64 v[0:1], v[48:49], 0, s[6:7]
	flat_load_dwordx4 v[2:5], v[0:1]
	flat_load_dwordx4 v[6:9], v[0:1] offset:16
	flat_load_dwordx4 v[20:23], v[0:1] offset:32
	;; [unrolled: 1-line block ×13, first 2 shown]
	s_andn2_b64 vcc, exec, s[0:1]
	s_waitcnt vmcnt(0) lgkmcnt(0)
	v_mul_f64 v[12:13], s[4:5], v[2:3]
	v_mul_f64 v[14:15], s[4:5], v[4:5]
	;; [unrolled: 1-line block ×28, first 2 shown]
	s_cbranch_vccnz .LBB105_42
; %bb.40:
	v_mov_b64_e32 v[60:61], v[48:49]
	s_mov_b32 s0, s2
.LBB105_41:                             ; =>This Inner Loop Header: Depth=1
	flat_load_dwordx2 v[86:87], v[60:61]
	v_mov_b32_e32 v88, s6
	ds_read_b128 v[62:65], v88
	ds_read_b128 v[66:69], v88 offset:16
	ds_read_b128 v[70:73], v88 offset:32
	;; [unrolled: 1-line block ×5, first 2 shown]
	s_add_i32 s0, s0, -1
	s_addk_i32 s6, 0x100
	v_lshl_add_u64 v[60:61], v[60:61], 0, 8
	s_cmp_lg_u32 s0, 0
	s_waitcnt vmcnt(0) lgkmcnt(0)
	v_fma_f64 v[12:13], -v[86:87], v[62:63], v[12:13]
	v_fma_f64 v[14:15], -v[86:87], v[64:65], v[14:15]
	ds_read_b128 v[62:65], v88 offset:96
	v_fma_f64 v[16:17], -v[86:87], v[66:67], v[16:17]
	v_fma_f64 v[18:19], -v[86:87], v[68:69], v[18:19]
	ds_read_b128 v[66:69], v88 offset:112
	;; [unrolled: 3-line block ×6, first 2 shown]
	s_waitcnt lgkmcnt(5)
	v_fma_f64 v[42:43], -v[86:87], v[62:63], v[42:43]
	v_fma_f64 v[46:47], -v[86:87], v[64:65], v[46:47]
	ds_read_b128 v[62:65], v88 offset:192
	s_waitcnt lgkmcnt(5)
	v_fma_f64 v[50:51], -v[86:87], v[66:67], v[50:51]
	v_fma_f64 v[54:55], -v[86:87], v[68:69], v[54:55]
	ds_read_b128 v[66:69], v88 offset:208
	s_waitcnt lgkmcnt(5)
	v_fma_f64 v[58:59], -v[86:87], v[70:71], v[58:59]
	v_fma_f64 v[56:57], -v[86:87], v[72:73], v[56:57]
	s_waitcnt lgkmcnt(4)
	v_fma_f64 v[52:53], -v[86:87], v[74:75], v[52:53]
	v_fma_f64 v[44:45], -v[86:87], v[76:77], v[44:45]
	;; [unrolled: 3-line block ×6, first 2 shown]
	s_cbranch_scc1 .LBB105_41
.LBB105_42:
	s_lshl_b32 s0, s2, 3
	s_lshl_b32 s1, s2, 8
	s_add_i32 s1, s0, s1
	v_mov_b32_e32 v60, s1
	ds_read_b64 v[62:63], v60
	s_or_b32 s1, s2, 15
	s_mul_i32 s6, s1, 0x108
	v_mov_b32_e32 v61, s6
	s_lshl_b32 s1, s1, 8
	s_waitcnt lgkmcnt(0)
	v_mul_f64 v[12:13], v[62:63], v[12:13]
	flat_store_dwordx2 v[0:1], v[12:13]
	ds_read_b64 v[62:63], v60 offset:8
	ds_read_b64 v[64:65], v60 offset:264
	s_add_i32 s1, s0, s1
	s_waitcnt lgkmcnt(0)
	v_fma_f64 v[14:15], -v[12:13], v[62:63], v[14:15]
	v_mul_f64 v[14:15], v[64:65], v[14:15]
	flat_store_dwordx2 v[0:1], v[14:15] offset:8
	ds_read_b64 v[62:63], v60 offset:16
	ds_read_b64 v[64:65], v60 offset:272
	;; [unrolled: 1-line block ×3, first 2 shown]
	s_waitcnt lgkmcnt(0)
	v_fma_f64 v[16:17], -v[12:13], v[62:63], v[16:17]
	v_fma_f64 v[16:17], -v[14:15], v[64:65], v[16:17]
	v_mul_f64 v[16:17], v[66:67], v[16:17]
	flat_store_dwordx2 v[0:1], v[16:17] offset:16
	ds_read_b64 v[62:63], v60 offset:24
	ds_read_b64 v[64:65], v60 offset:280
	;; [unrolled: 1-line block ×4, first 2 shown]
	s_waitcnt lgkmcnt(0)
	v_fma_f64 v[18:19], -v[12:13], v[62:63], v[18:19]
	v_fma_f64 v[18:19], -v[14:15], v[64:65], v[18:19]
	;; [unrolled: 1-line block ×3, first 2 shown]
	v_mul_f64 v[18:19], v[68:69], v[18:19]
	flat_store_dwordx2 v[0:1], v[18:19] offset:24
	ds_read_b64 v[62:63], v60 offset:32
	ds_read_b64 v[64:65], v60 offset:288
	;; [unrolled: 1-line block ×5, first 2 shown]
	s_waitcnt lgkmcnt(0)
	v_fma_f64 v[20:21], -v[12:13], v[62:63], v[20:21]
	v_fma_f64 v[20:21], -v[14:15], v[64:65], v[20:21]
	;; [unrolled: 1-line block ×4, first 2 shown]
	v_mul_f64 v[20:21], v[70:71], v[20:21]
	flat_store_dwordx2 v[0:1], v[20:21] offset:32
	ds_read_b64 v[62:63], v60 offset:40
	ds_read_b64 v[64:65], v60 offset:296
	;; [unrolled: 1-line block ×6, first 2 shown]
	s_waitcnt lgkmcnt(0)
	v_fma_f64 v[22:23], -v[12:13], v[62:63], v[22:23]
	v_fma_f64 v[22:23], -v[14:15], v[64:65], v[22:23]
	;; [unrolled: 1-line block ×5, first 2 shown]
	v_mul_f64 v[22:23], v[72:73], v[22:23]
	flat_store_dwordx2 v[0:1], v[22:23] offset:40
	ds_read_b64 v[62:63], v60 offset:48
	ds_read_b64 v[64:65], v60 offset:304
	;; [unrolled: 1-line block ×7, first 2 shown]
	s_waitcnt lgkmcnt(0)
	v_fma_f64 v[26:27], -v[12:13], v[62:63], v[26:27]
	v_fma_f64 v[26:27], -v[14:15], v[64:65], v[26:27]
	;; [unrolled: 1-line block ×6, first 2 shown]
	v_mul_f64 v[26:27], v[74:75], v[26:27]
	flat_store_dwordx2 v[0:1], v[26:27] offset:48
	ds_read_b64 v[62:63], v60 offset:56
	ds_read_b64 v[64:65], v60 offset:312
	;; [unrolled: 1-line block ×8, first 2 shown]
	s_waitcnt lgkmcnt(0)
	v_fma_f64 v[28:29], -v[12:13], v[62:63], v[28:29]
	v_fma_f64 v[28:29], -v[14:15], v[64:65], v[28:29]
	;; [unrolled: 1-line block ×7, first 2 shown]
	v_mul_f64 v[28:29], v[76:77], v[28:29]
	flat_store_dwordx2 v[0:1], v[28:29] offset:56
	ds_read_b64 v[62:63], v60 offset:64
	ds_read_b64 v[64:65], v60 offset:320
	;; [unrolled: 1-line block ×8, first 2 shown]
	s_waitcnt lgkmcnt(0)
	v_fma_f64 v[30:31], -v[12:13], v[62:63], v[30:31]
	v_fma_f64 v[30:31], -v[14:15], v[64:65], v[30:31]
	;; [unrolled: 1-line block ×4, first 2 shown]
	ds_read_b64 v[62:63], v60 offset:2112
	v_fma_f64 v[30:31], -v[20:21], v[70:71], v[30:31]
	v_fma_f64 v[30:31], -v[22:23], v[72:73], v[30:31]
	;; [unrolled: 1-line block ×4, first 2 shown]
	s_waitcnt lgkmcnt(0)
	v_mul_f64 v[30:31], v[62:63], v[30:31]
	flat_store_dwordx2 v[0:1], v[30:31] offset:64
	ds_read_b64 v[62:63], v60 offset:72
	ds_read_b64 v[64:65], v60 offset:328
	;; [unrolled: 1-line block ×4, first 2 shown]
	s_waitcnt lgkmcnt(0)
	v_fma_f64 v[34:35], -v[12:13], v[62:63], v[34:35]
	ds_read_b64 v[62:63], v60 offset:1096
	v_fma_f64 v[34:35], -v[14:15], v[64:65], v[34:35]
	v_fma_f64 v[34:35], -v[16:17], v[66:67], v[34:35]
	;; [unrolled: 1-line block ×3, first 2 shown]
	ds_read_b64 v[64:65], v60 offset:1352
	ds_read_b64 v[66:67], v60 offset:1608
	;; [unrolled: 1-line block ×3, first 2 shown]
	s_waitcnt lgkmcnt(0)
	v_fma_f64 v[34:35], -v[20:21], v[62:63], v[34:35]
	ds_read_b64 v[62:63], v60 offset:2120
	ds_read_b64 v[70:71], v60 offset:2376
	v_fma_f64 v[34:35], -v[22:23], v[64:65], v[34:35]
	v_fma_f64 v[34:35], -v[26:27], v[66:67], v[34:35]
	;; [unrolled: 1-line block ×3, first 2 shown]
	s_waitcnt lgkmcnt(0)
	v_fma_f64 v[34:35], -v[30:31], v[62:63], v[34:35]
	v_mul_f64 v[34:35], v[70:71], v[34:35]
	flat_store_dwordx2 v[0:1], v[34:35] offset:72
	ds_read_b64 v[62:63], v60 offset:80
	ds_read_b64 v[64:65], v60 offset:336
	;; [unrolled: 1-line block ×4, first 2 shown]
	s_waitcnt lgkmcnt(0)
	v_fma_f64 v[36:37], -v[12:13], v[62:63], v[36:37]
	v_fma_f64 v[36:37], -v[14:15], v[64:65], v[36:37]
	ds_read_b64 v[62:63], v60 offset:1104
	ds_read_b64 v[64:65], v60 offset:1360
	v_fma_f64 v[36:37], -v[16:17], v[66:67], v[36:37]
	v_fma_f64 v[36:37], -v[18:19], v[68:69], v[36:37]
	ds_read_b64 v[66:67], v60 offset:1616
	ds_read_b64 v[68:69], v60 offset:1872
	s_waitcnt lgkmcnt(0)
	v_fma_f64 v[36:37], -v[20:21], v[62:63], v[36:37]
	v_fma_f64 v[36:37], -v[22:23], v[64:65], v[36:37]
	ds_read_b64 v[62:63], v60 offset:2128
	ds_read_b64 v[64:65], v60 offset:2384
	;; [unrolled: 1-line block ×3, first 2 shown]
	v_fma_f64 v[36:37], -v[26:27], v[66:67], v[36:37]
	v_fma_f64 v[36:37], -v[28:29], v[68:69], v[36:37]
	s_waitcnt lgkmcnt(0)
	v_fma_f64 v[36:37], -v[30:31], v[62:63], v[36:37]
	v_fma_f64 v[36:37], -v[34:35], v[64:65], v[36:37]
	v_mul_f64 v[36:37], v[70:71], v[36:37]
	flat_store_dwordx2 v[0:1], v[36:37] offset:80
	ds_read_b64 v[62:63], v60 offset:88
	ds_read_b64 v[64:65], v60 offset:344
	;; [unrolled: 1-line block ×4, first 2 shown]
	s_waitcnt lgkmcnt(0)
	v_fma_f64 v[38:39], -v[12:13], v[62:63], v[38:39]
	v_fma_f64 v[38:39], -v[14:15], v[64:65], v[38:39]
	;; [unrolled: 1-line block ×3, first 2 shown]
	ds_read_b64 v[62:63], v60 offset:1112
	ds_read_b64 v[64:65], v60 offset:1368
	;; [unrolled: 1-line block ×3, first 2 shown]
	v_fma_f64 v[38:39], -v[18:19], v[68:69], v[38:39]
	ds_read_b64 v[68:69], v60 offset:1880
	s_waitcnt lgkmcnt(0)
	v_fma_f64 v[38:39], -v[20:21], v[62:63], v[38:39]
	v_fma_f64 v[38:39], -v[22:23], v[64:65], v[38:39]
	;; [unrolled: 1-line block ×3, first 2 shown]
	ds_read_b64 v[62:63], v60 offset:2136
	ds_read_b64 v[64:65], v60 offset:2392
	;; [unrolled: 1-line block ×4, first 2 shown]
	v_fma_f64 v[38:39], -v[28:29], v[68:69], v[38:39]
	s_waitcnt lgkmcnt(0)
	v_fma_f64 v[38:39], -v[30:31], v[62:63], v[38:39]
	v_fma_f64 v[38:39], -v[34:35], v[64:65], v[38:39]
	;; [unrolled: 1-line block ×3, first 2 shown]
	v_mul_f64 v[38:39], v[70:71], v[38:39]
	flat_store_dwordx2 v[0:1], v[38:39] offset:88
	ds_read_b64 v[62:63], v60 offset:96
	ds_read_b64 v[64:65], v60 offset:352
	;; [unrolled: 1-line block ×4, first 2 shown]
	s_waitcnt lgkmcnt(0)
	v_fma_f64 v[42:43], -v[12:13], v[62:63], v[42:43]
	v_fma_f64 v[42:43], -v[14:15], v[64:65], v[42:43]
	;; [unrolled: 1-line block ×3, first 2 shown]
	ds_read_b64 v[62:63], v60 offset:1120
	ds_read_b64 v[64:65], v60 offset:1376
	;; [unrolled: 1-line block ×4, first 2 shown]
	v_fma_f64 v[42:43], -v[18:19], v[68:69], v[42:43]
	s_waitcnt lgkmcnt(0)
	v_fma_f64 v[42:43], -v[20:21], v[62:63], v[42:43]
	v_fma_f64 v[42:43], -v[22:23], v[64:65], v[42:43]
	;; [unrolled: 1-line block ×4, first 2 shown]
	ds_read_b64 v[62:63], v60 offset:2144
	ds_read_b64 v[64:65], v60 offset:2400
	;; [unrolled: 1-line block ×5, first 2 shown]
	s_waitcnt lgkmcnt(0)
	v_fma_f64 v[42:43], -v[30:31], v[62:63], v[42:43]
	v_fma_f64 v[42:43], -v[34:35], v[64:65], v[42:43]
	;; [unrolled: 1-line block ×4, first 2 shown]
	v_mul_f64 v[42:43], v[70:71], v[42:43]
	flat_store_dwordx2 v[0:1], v[42:43] offset:96
	ds_read_b64 v[62:63], v60 offset:104
	ds_read_b64 v[64:65], v60 offset:360
	;; [unrolled: 1-line block ×4, first 2 shown]
	s_waitcnt lgkmcnt(0)
	v_fma_f64 v[46:47], -v[12:13], v[62:63], v[46:47]
	v_fma_f64 v[46:47], -v[14:15], v[64:65], v[46:47]
	;; [unrolled: 1-line block ×3, first 2 shown]
	ds_read_b64 v[62:63], v60 offset:1128
	ds_read_b64 v[64:65], v60 offset:1384
	;; [unrolled: 1-line block ×3, first 2 shown]
	v_fma_f64 v[46:47], -v[18:19], v[68:69], v[46:47]
	ds_read_b64 v[68:69], v60 offset:1896
	s_waitcnt lgkmcnt(0)
	v_fma_f64 v[46:47], -v[20:21], v[62:63], v[46:47]
	ds_read_b64 v[62:63], v60 offset:2152
	v_fma_f64 v[46:47], -v[22:23], v[64:65], v[46:47]
	v_fma_f64 v[46:47], -v[26:27], v[66:67], v[46:47]
	;; [unrolled: 1-line block ×3, first 2 shown]
	ds_read_b64 v[64:65], v60 offset:2408
	ds_read_b64 v[66:67], v60 offset:2664
	;; [unrolled: 1-line block ×3, first 2 shown]
	s_waitcnt lgkmcnt(0)
	v_fma_f64 v[46:47], -v[30:31], v[62:63], v[46:47]
	ds_read_b64 v[62:63], v60 offset:3176
	ds_read_b64 v[70:71], v60 offset:3432
	v_fma_f64 v[46:47], -v[34:35], v[64:65], v[46:47]
	v_fma_f64 v[46:47], -v[36:37], v[66:67], v[46:47]
	;; [unrolled: 1-line block ×3, first 2 shown]
	s_waitcnt lgkmcnt(0)
	v_fma_f64 v[46:47], -v[42:43], v[62:63], v[46:47]
	v_mul_f64 v[46:47], v[70:71], v[46:47]
	flat_store_dwordx2 v[0:1], v[46:47] offset:104
	ds_read_b64 v[62:63], v60 offset:112
	ds_read_b64 v[64:65], v60 offset:368
	;; [unrolled: 1-line block ×4, first 2 shown]
	s_waitcnt lgkmcnt(0)
	v_fma_f64 v[50:51], -v[12:13], v[62:63], v[50:51]
	v_fma_f64 v[50:51], -v[14:15], v[64:65], v[50:51]
	;; [unrolled: 1-line block ×3, first 2 shown]
	ds_read_b64 v[62:63], v60 offset:1136
	ds_read_b64 v[64:65], v60 offset:1392
	;; [unrolled: 1-line block ×3, first 2 shown]
	v_fma_f64 v[50:51], -v[18:19], v[68:69], v[50:51]
	ds_read_b64 v[68:69], v60 offset:1904
	s_waitcnt lgkmcnt(0)
	v_fma_f64 v[50:51], -v[20:21], v[62:63], v[50:51]
	v_fma_f64 v[50:51], -v[22:23], v[64:65], v[50:51]
	ds_read_b64 v[62:63], v60 offset:2160
	ds_read_b64 v[64:65], v60 offset:2416
	v_fma_f64 v[50:51], -v[26:27], v[66:67], v[50:51]
	v_fma_f64 v[50:51], -v[28:29], v[68:69], v[50:51]
	ds_read_b64 v[66:67], v60 offset:2672
	ds_read_b64 v[68:69], v60 offset:2928
	s_waitcnt lgkmcnt(0)
	v_fma_f64 v[50:51], -v[30:31], v[62:63], v[50:51]
	v_fma_f64 v[50:51], -v[34:35], v[64:65], v[50:51]
	ds_read_b64 v[62:63], v60 offset:3184
	ds_read_b64 v[64:65], v60 offset:3440
	;; [unrolled: 1-line block ×3, first 2 shown]
	v_fma_f64 v[50:51], -v[36:37], v[66:67], v[50:51]
	v_fma_f64 v[50:51], -v[38:39], v[68:69], v[50:51]
	s_waitcnt lgkmcnt(0)
	v_fma_f64 v[50:51], -v[42:43], v[62:63], v[50:51]
	v_fma_f64 v[50:51], -v[46:47], v[64:65], v[50:51]
	v_mul_f64 v[50:51], v[70:71], v[50:51]
	flat_store_dwordx2 v[0:1], v[50:51] offset:112
	ds_read_b64 v[62:63], v60 offset:120
	ds_read_b64 v[64:65], v60 offset:376
	ds_read_b64 v[66:67], v60 offset:632
	ds_read_b64 v[68:69], v60 offset:888
	s_waitcnt lgkmcnt(0)
	v_fma_f64 v[54:55], -v[12:13], v[62:63], v[54:55]
	v_fma_f64 v[54:55], -v[14:15], v[64:65], v[54:55]
	;; [unrolled: 1-line block ×3, first 2 shown]
	ds_read_b64 v[62:63], v60 offset:1144
	ds_read_b64 v[64:65], v60 offset:1400
	;; [unrolled: 1-line block ×3, first 2 shown]
	v_fma_f64 v[54:55], -v[18:19], v[68:69], v[54:55]
	ds_read_b64 v[68:69], v60 offset:1912
	s_waitcnt lgkmcnt(0)
	v_fma_f64 v[54:55], -v[20:21], v[62:63], v[54:55]
	v_fma_f64 v[54:55], -v[22:23], v[64:65], v[54:55]
	;; [unrolled: 1-line block ×3, first 2 shown]
	ds_read_b64 v[62:63], v60 offset:2168
	ds_read_b64 v[64:65], v60 offset:2424
	;; [unrolled: 1-line block ×3, first 2 shown]
	v_fma_f64 v[54:55], -v[28:29], v[68:69], v[54:55]
	ds_read_b64 v[68:69], v60 offset:2936
	s_waitcnt lgkmcnt(0)
	v_fma_f64 v[54:55], -v[30:31], v[62:63], v[54:55]
	v_fma_f64 v[54:55], -v[34:35], v[64:65], v[54:55]
	;; [unrolled: 1-line block ×3, first 2 shown]
	ds_read_b64 v[62:63], v60 offset:3192
	ds_read_b64 v[64:65], v60 offset:3448
	;; [unrolled: 1-line block ×3, first 2 shown]
	ds_read_b64 v[70:71], v61
	v_fma_f64 v[54:55], -v[38:39], v[68:69], v[54:55]
	s_waitcnt lgkmcnt(0)
	v_fma_f64 v[54:55], -v[42:43], v[62:63], v[54:55]
	v_fma_f64 v[54:55], -v[46:47], v[64:65], v[54:55]
	;; [unrolled: 1-line block ×3, first 2 shown]
	v_mul_f64 v[54:55], v[70:71], v[54:55]
	flat_store_dwordx2 v[0:1], v[54:55] offset:120
	ds_read_b64 v[62:63], v60 offset:128
	ds_read_b64 v[64:65], v60 offset:384
	;; [unrolled: 1-line block ×4, first 2 shown]
	v_mov_b32_e32 v61, s1
	s_waitcnt lgkmcnt(0)
	v_fma_f64 v[58:59], -v[12:13], v[62:63], v[58:59]
	v_fma_f64 v[58:59], -v[14:15], v[64:65], v[58:59]
	;; [unrolled: 1-line block ×3, first 2 shown]
	ds_read_b64 v[62:63], v60 offset:1152
	ds_read_b64 v[64:65], v60 offset:1408
	;; [unrolled: 1-line block ×3, first 2 shown]
	v_fma_f64 v[58:59], -v[18:19], v[68:69], v[58:59]
	ds_read_b64 v[68:69], v60 offset:1920
	s_waitcnt lgkmcnt(0)
	v_fma_f64 v[58:59], -v[20:21], v[62:63], v[58:59]
	v_fma_f64 v[58:59], -v[22:23], v[64:65], v[58:59]
	;; [unrolled: 1-line block ×3, first 2 shown]
	ds_read_b64 v[62:63], v60 offset:2176
	ds_read_b64 v[64:65], v60 offset:2432
	ds_read_b64 v[66:67], v60 offset:2688
	ds_read_b64 v[70:71], v60 offset:2944
	v_fma_f64 v[58:59], -v[28:29], v[68:69], v[58:59]
	s_waitcnt lgkmcnt(0)
	v_fma_f64 v[58:59], -v[30:31], v[62:63], v[58:59]
	v_fma_f64 v[58:59], -v[34:35], v[64:65], v[58:59]
	s_or_b32 s1, s2, 16
	v_fma_f64 v[58:59], -v[36:37], v[66:67], v[58:59]
	s_mul_i32 s6, s1, 0x108
	v_fma_f64 v[58:59], -v[38:39], v[70:71], v[58:59]
	ds_read_b64 v[62:63], v60 offset:3200
	ds_read_b64 v[64:65], v60 offset:3456
	;; [unrolled: 1-line block ×4, first 2 shown]
	v_mov_b32_e32 v70, s6
	ds_read_b64 v[70:71], v70
	s_waitcnt lgkmcnt(0)
	v_fma_f64 v[58:59], -v[42:43], v[62:63], v[58:59]
	v_fma_f64 v[58:59], -v[46:47], v[64:65], v[58:59]
	;; [unrolled: 1-line block ×4, first 2 shown]
	v_mul_f64 v[58:59], v[70:71], v[58:59]
	flat_store_dwordx2 v[0:1], v[58:59] offset:128
	ds_read_b64 v[62:63], v60 offset:136
	ds_read_b64 v[64:65], v60 offset:392
	;; [unrolled: 1-line block ×4, first 2 shown]
	s_lshl_b32 s1, s1, 8
	s_waitcnt lgkmcnt(0)
	v_fma_f64 v[56:57], -v[12:13], v[62:63], v[56:57]
	v_fma_f64 v[56:57], -v[14:15], v[64:65], v[56:57]
	;; [unrolled: 1-line block ×3, first 2 shown]
	ds_read_b64 v[62:63], v60 offset:1160
	ds_read_b64 v[64:65], v60 offset:1416
	ds_read_b64 v[66:67], v60 offset:1672
	v_fma_f64 v[56:57], -v[18:19], v[68:69], v[56:57]
	ds_read_b64 v[68:69], v60 offset:1928
	s_waitcnt lgkmcnt(0)
	v_fma_f64 v[56:57], -v[20:21], v[62:63], v[56:57]
	v_fma_f64 v[56:57], -v[22:23], v[64:65], v[56:57]
	;; [unrolled: 1-line block ×3, first 2 shown]
	ds_read_b64 v[62:63], v60 offset:2184
	ds_read_b64 v[64:65], v60 offset:2440
	;; [unrolled: 1-line block ×3, first 2 shown]
	v_fma_f64 v[56:57], -v[28:29], v[68:69], v[56:57]
	ds_read_b64 v[68:69], v60 offset:2952
	s_waitcnt lgkmcnt(0)
	v_fma_f64 v[56:57], -v[30:31], v[62:63], v[56:57]
	ds_read_b64 v[62:63], v60 offset:3208
	v_fma_f64 v[56:57], -v[34:35], v[64:65], v[56:57]
	v_fma_f64 v[56:57], -v[36:37], v[66:67], v[56:57]
	v_fma_f64 v[56:57], -v[38:39], v[68:69], v[56:57]
	s_add_i32 s1, s0, s1
	ds_read_b64 v[64:65], v60 offset:3464
	ds_read_b64 v[66:67], v60 offset:3720
	;; [unrolled: 1-line block ×3, first 2 shown]
	s_waitcnt lgkmcnt(0)
	v_fma_f64 v[56:57], -v[42:43], v[62:63], v[56:57]
	v_mov_b32_e32 v62, s1
	s_or_b32 s1, s2, 17
	s_mul_i32 s6, s1, 0x108
	v_mov_b32_e32 v63, s6
	ds_read_b64 v[70:71], v62 offset:136
	ds_read_b64 v[72:73], v63
	v_fma_f64 v[56:57], -v[46:47], v[64:65], v[56:57]
	v_fma_f64 v[56:57], -v[50:51], v[66:67], v[56:57]
	;; [unrolled: 1-line block ×3, first 2 shown]
	s_waitcnt lgkmcnt(0)
	v_fma_f64 v[56:57], -v[58:59], v[70:71], v[56:57]
	v_mul_f64 v[56:57], v[72:73], v[56:57]
	flat_store_dwordx2 v[0:1], v[56:57] offset:136
	ds_read_b64 v[64:65], v60 offset:144
	ds_read_b64 v[66:67], v60 offset:400
	;; [unrolled: 1-line block ×4, first 2 shown]
	s_lshl_b32 s1, s1, 8
	s_waitcnt lgkmcnt(0)
	v_fma_f64 v[52:53], -v[12:13], v[64:65], v[52:53]
	v_fma_f64 v[52:53], -v[14:15], v[66:67], v[52:53]
	;; [unrolled: 1-line block ×3, first 2 shown]
	ds_read_b64 v[64:65], v60 offset:1168
	ds_read_b64 v[66:67], v60 offset:1424
	;; [unrolled: 1-line block ×3, first 2 shown]
	v_fma_f64 v[52:53], -v[18:19], v[70:71], v[52:53]
	ds_read_b64 v[70:71], v60 offset:1936
	s_waitcnt lgkmcnt(0)
	v_fma_f64 v[52:53], -v[20:21], v[64:65], v[52:53]
	v_fma_f64 v[52:53], -v[22:23], v[66:67], v[52:53]
	;; [unrolled: 1-line block ×3, first 2 shown]
	ds_read_b64 v[64:65], v60 offset:2192
	ds_read_b64 v[66:67], v60 offset:2448
	ds_read_b64 v[68:69], v60 offset:2704
	v_fma_f64 v[52:53], -v[28:29], v[70:71], v[52:53]
	ds_read_b64 v[70:71], v60 offset:2960
	s_waitcnt lgkmcnt(0)
	v_fma_f64 v[52:53], -v[30:31], v[64:65], v[52:53]
	v_fma_f64 v[52:53], -v[34:35], v[66:67], v[52:53]
	ds_read_b64 v[64:65], v60 offset:3216
	ds_read_b64 v[66:67], v60 offset:3472
	v_fma_f64 v[52:53], -v[36:37], v[68:69], v[52:53]
	s_add_i32 s1, s0, s1
	v_fma_f64 v[52:53], -v[38:39], v[70:71], v[52:53]
	ds_read_b64 v[68:69], v60 offset:3728
	ds_read_b64 v[70:71], v61 offset:144
	v_mov_b32_e32 v63, s1
	s_or_b32 s1, s2, 18
	s_mul_i32 s6, s1, 0x108
	s_waitcnt lgkmcnt(0)
	v_fma_f64 v[52:53], -v[42:43], v[64:65], v[52:53]
	v_mov_b32_e32 v72, s6
	v_fma_f64 v[52:53], -v[46:47], v[66:67], v[52:53]
	ds_read_b64 v[64:65], v62 offset:144
	ds_read_b64 v[66:67], v63 offset:144
	ds_read_b64 v[72:73], v72
	v_fma_f64 v[52:53], -v[50:51], v[68:69], v[52:53]
	v_fma_f64 v[52:53], -v[54:55], v[70:71], v[52:53]
	s_waitcnt lgkmcnt(0)
	v_fma_f64 v[52:53], -v[58:59], v[64:65], v[52:53]
	v_fma_f64 v[52:53], -v[56:57], v[66:67], v[52:53]
	v_mul_f64 v[52:53], v[72:73], v[52:53]
	flat_store_dwordx2 v[0:1], v[52:53] offset:144
	ds_read_b64 v[64:65], v60 offset:152
	ds_read_b64 v[66:67], v60 offset:408
	;; [unrolled: 1-line block ×4, first 2 shown]
	s_lshl_b32 s1, s1, 8
	s_waitcnt lgkmcnt(0)
	v_fma_f64 v[44:45], -v[12:13], v[64:65], v[44:45]
	v_fma_f64 v[44:45], -v[14:15], v[66:67], v[44:45]
	v_fma_f64 v[44:45], -v[16:17], v[68:69], v[44:45]
	ds_read_b64 v[64:65], v60 offset:1176
	ds_read_b64 v[66:67], v60 offset:1432
	ds_read_b64 v[68:69], v60 offset:1688
	v_fma_f64 v[44:45], -v[18:19], v[70:71], v[44:45]
	ds_read_b64 v[70:71], v60 offset:1944
	s_waitcnt lgkmcnt(0)
	v_fma_f64 v[44:45], -v[20:21], v[64:65], v[44:45]
	v_fma_f64 v[44:45], -v[22:23], v[66:67], v[44:45]
	v_fma_f64 v[44:45], -v[26:27], v[68:69], v[44:45]
	ds_read_b64 v[64:65], v60 offset:2200
	ds_read_b64 v[66:67], v60 offset:2456
	ds_read_b64 v[68:69], v60 offset:2712
	v_fma_f64 v[44:45], -v[28:29], v[70:71], v[44:45]
	ds_read_b64 v[70:71], v60 offset:2968
	;; [unrolled: 9-line block ×3, first 2 shown]
	s_add_i32 s1, s0, s1
	s_waitcnt lgkmcnt(0)
	v_fma_f64 v[44:45], -v[42:43], v[64:65], v[44:45]
	v_mov_b32_e32 v64, s1
	s_or_b32 s1, s2, 19
	v_fma_f64 v[44:45], -v[46:47], v[66:67], v[44:45]
	s_mul_i32 s6, s1, 0x108
	v_fma_f64 v[44:45], -v[50:51], v[68:69], v[44:45]
	v_mov_b32_e32 v65, s6
	ds_read_b64 v[66:67], v62 offset:152
	ds_read_b64 v[68:69], v63 offset:152
	;; [unrolled: 1-line block ×3, first 2 shown]
	ds_read_b64 v[74:75], v65
	v_fma_f64 v[44:45], -v[54:55], v[70:71], v[44:45]
	s_waitcnt lgkmcnt(0)
	v_fma_f64 v[44:45], -v[58:59], v[66:67], v[44:45]
	v_fma_f64 v[44:45], -v[56:57], v[68:69], v[44:45]
	;; [unrolled: 1-line block ×3, first 2 shown]
	v_mul_f64 v[44:45], v[74:75], v[44:45]
	flat_store_dwordx2 v[0:1], v[44:45] offset:152
	ds_read_b64 v[66:67], v60 offset:160
	ds_read_b64 v[68:69], v60 offset:416
	;; [unrolled: 1-line block ×4, first 2 shown]
	s_lshl_b32 s1, s1, 8
	s_waitcnt lgkmcnt(0)
	v_fma_f64 v[40:41], -v[12:13], v[66:67], v[40:41]
	v_fma_f64 v[40:41], -v[14:15], v[68:69], v[40:41]
	;; [unrolled: 1-line block ×3, first 2 shown]
	ds_read_b64 v[66:67], v60 offset:1184
	ds_read_b64 v[68:69], v60 offset:1440
	;; [unrolled: 1-line block ×3, first 2 shown]
	v_fma_f64 v[40:41], -v[18:19], v[72:73], v[40:41]
	ds_read_b64 v[72:73], v60 offset:1952
	s_waitcnt lgkmcnt(0)
	v_fma_f64 v[40:41], -v[20:21], v[66:67], v[40:41]
	v_fma_f64 v[40:41], -v[22:23], v[68:69], v[40:41]
	;; [unrolled: 1-line block ×3, first 2 shown]
	ds_read_b64 v[66:67], v60 offset:2208
	ds_read_b64 v[68:69], v60 offset:2464
	;; [unrolled: 1-line block ×3, first 2 shown]
	v_fma_f64 v[40:41], -v[28:29], v[72:73], v[40:41]
	ds_read_b64 v[72:73], v60 offset:2976
	s_waitcnt lgkmcnt(0)
	v_fma_f64 v[40:41], -v[30:31], v[66:67], v[40:41]
	v_fma_f64 v[40:41], -v[34:35], v[68:69], v[40:41]
	;; [unrolled: 1-line block ×3, first 2 shown]
	ds_read_b64 v[66:67], v60 offset:3232
	ds_read_b64 v[68:69], v60 offset:3488
	;; [unrolled: 1-line block ×4, first 2 shown]
	v_fma_f64 v[40:41], -v[38:39], v[72:73], v[40:41]
	s_waitcnt lgkmcnt(0)
	v_fma_f64 v[40:41], -v[42:43], v[66:67], v[40:41]
	s_add_i32 s1, s0, s1
	v_fma_f64 v[40:41], -v[46:47], v[68:69], v[40:41]
	v_mov_b32_e32 v65, s1
	s_or_b32 s1, s2, 20
	v_fma_f64 v[40:41], -v[50:51], v[70:71], v[40:41]
	s_mul_i32 s6, s1, 0x108
	v_fma_f64 v[40:41], -v[54:55], v[74:75], v[40:41]
	ds_read_b64 v[66:67], v62 offset:160
	ds_read_b64 v[68:69], v63 offset:160
	;; [unrolled: 1-line block ×4, first 2 shown]
	v_mov_b32_e32 v74, s6
	ds_read_b64 v[74:75], v74
	s_waitcnt lgkmcnt(0)
	v_fma_f64 v[40:41], -v[58:59], v[66:67], v[40:41]
	v_fma_f64 v[40:41], -v[56:57], v[68:69], v[40:41]
	;; [unrolled: 1-line block ×4, first 2 shown]
	v_mul_f64 v[40:41], v[74:75], v[40:41]
	flat_store_dwordx2 v[0:1], v[40:41] offset:160
	ds_read_b64 v[66:67], v60 offset:168
	ds_read_b64 v[68:69], v60 offset:424
	;; [unrolled: 1-line block ×4, first 2 shown]
	s_lshl_b32 s1, s1, 8
	s_waitcnt lgkmcnt(0)
	v_fma_f64 v[32:33], -v[12:13], v[66:67], v[32:33]
	v_fma_f64 v[32:33], -v[14:15], v[68:69], v[32:33]
	v_fma_f64 v[32:33], -v[16:17], v[70:71], v[32:33]
	ds_read_b64 v[66:67], v60 offset:1192
	ds_read_b64 v[68:69], v60 offset:1448
	ds_read_b64 v[70:71], v60 offset:1704
	v_fma_f64 v[32:33], -v[18:19], v[72:73], v[32:33]
	ds_read_b64 v[72:73], v60 offset:1960
	s_waitcnt lgkmcnt(0)
	v_fma_f64 v[32:33], -v[20:21], v[66:67], v[32:33]
	v_fma_f64 v[32:33], -v[22:23], v[68:69], v[32:33]
	v_fma_f64 v[32:33], -v[26:27], v[70:71], v[32:33]
	ds_read_b64 v[66:67], v60 offset:2216
	ds_read_b64 v[68:69], v60 offset:2472
	ds_read_b64 v[70:71], v60 offset:2728
	v_fma_f64 v[32:33], -v[28:29], v[72:73], v[32:33]
	ds_read_b64 v[72:73], v60 offset:2984
	;; [unrolled: 9-line block ×3, first 2 shown]
	s_waitcnt lgkmcnt(0)
	v_fma_f64 v[32:33], -v[42:43], v[66:67], v[32:33]
	ds_read_b64 v[66:67], v62 offset:168
	v_fma_f64 v[32:33], -v[46:47], v[68:69], v[32:33]
	s_add_i32 s1, s0, s1
	v_fma_f64 v[32:33], -v[50:51], v[70:71], v[32:33]
	v_mov_b32_e32 v76, s1
	s_or_b32 s1, s2, 21
	v_fma_f64 v[32:33], -v[54:55], v[72:73], v[32:33]
	ds_read_b64 v[68:69], v63 offset:168
	ds_read_b64 v[70:71], v64 offset:168
	;; [unrolled: 1-line block ×3, first 2 shown]
	s_mul_i32 s6, s1, 0x108
	v_mov_b32_e32 v74, s6
	s_waitcnt lgkmcnt(0)
	v_fma_f64 v[32:33], -v[58:59], v[66:67], v[32:33]
	ds_read_b64 v[66:67], v76 offset:168
	ds_read_b64 v[74:75], v74
	v_fma_f64 v[32:33], -v[56:57], v[68:69], v[32:33]
	v_fma_f64 v[32:33], -v[52:53], v[70:71], v[32:33]
	;; [unrolled: 1-line block ×3, first 2 shown]
	s_waitcnt lgkmcnt(0)
	v_fma_f64 v[32:33], -v[40:41], v[66:67], v[32:33]
	v_mul_f64 v[32:33], v[74:75], v[32:33]
	flat_store_dwordx2 v[0:1], v[32:33] offset:168
	ds_read_b64 v[66:67], v60 offset:176
	ds_read_b64 v[68:69], v60 offset:432
	;; [unrolled: 1-line block ×4, first 2 shown]
	s_lshl_b32 s1, s1, 8
	s_waitcnt lgkmcnt(0)
	v_fma_f64 v[24:25], -v[12:13], v[66:67], v[24:25]
	v_fma_f64 v[24:25], -v[14:15], v[68:69], v[24:25]
	v_fma_f64 v[24:25], -v[16:17], v[70:71], v[24:25]
	ds_read_b64 v[66:67], v60 offset:1200
	ds_read_b64 v[68:69], v60 offset:1456
	ds_read_b64 v[70:71], v60 offset:1712
	v_fma_f64 v[24:25], -v[18:19], v[72:73], v[24:25]
	ds_read_b64 v[72:73], v60 offset:1968
	s_waitcnt lgkmcnt(0)
	v_fma_f64 v[24:25], -v[20:21], v[66:67], v[24:25]
	v_fma_f64 v[24:25], -v[22:23], v[68:69], v[24:25]
	v_fma_f64 v[24:25], -v[26:27], v[70:71], v[24:25]
	ds_read_b64 v[66:67], v60 offset:2224
	ds_read_b64 v[68:69], v60 offset:2480
	ds_read_b64 v[70:71], v60 offset:2736
	v_fma_f64 v[24:25], -v[28:29], v[72:73], v[24:25]
	ds_read_b64 v[72:73], v60 offset:2992
	;; [unrolled: 9-line block ×3, first 2 shown]
	s_waitcnt lgkmcnt(0)
	v_fma_f64 v[24:25], -v[42:43], v[66:67], v[24:25]
	v_fma_f64 v[24:25], -v[46:47], v[68:69], v[24:25]
	ds_read_b64 v[66:67], v62 offset:176
	ds_read_b64 v[68:69], v63 offset:176
	v_fma_f64 v[24:25], -v[50:51], v[70:71], v[24:25]
	s_add_i32 s1, s0, s1
	v_fma_f64 v[24:25], -v[54:55], v[72:73], v[24:25]
	ds_read_b64 v[70:71], v64 offset:176
	ds_read_b64 v[72:73], v65 offset:176
	v_mov_b32_e32 v77, s1
	s_or_b32 s1, s2, 22
	s_mul_i32 s6, s1, 0x108
	s_waitcnt lgkmcnt(0)
	v_fma_f64 v[24:25], -v[58:59], v[66:67], v[24:25]
	v_mov_b32_e32 v74, s6
	v_fma_f64 v[24:25], -v[56:57], v[68:69], v[24:25]
	ds_read_b64 v[66:67], v76 offset:176
	ds_read_b64 v[68:69], v77 offset:176
	ds_read_b64 v[74:75], v74
	v_fma_f64 v[24:25], -v[52:53], v[70:71], v[24:25]
	v_fma_f64 v[24:25], -v[44:45], v[72:73], v[24:25]
	s_waitcnt lgkmcnt(0)
	v_fma_f64 v[24:25], -v[40:41], v[66:67], v[24:25]
	v_fma_f64 v[24:25], -v[32:33], v[68:69], v[24:25]
	v_mul_f64 v[24:25], v[74:75], v[24:25]
	flat_store_dwordx2 v[0:1], v[24:25] offset:176
	ds_read_b64 v[66:67], v60 offset:184
	ds_read_b64 v[68:69], v60 offset:440
	;; [unrolled: 1-line block ×4, first 2 shown]
	s_lshl_b32 s1, s1, 8
	s_waitcnt lgkmcnt(0)
	v_fma_f64 v[10:11], -v[12:13], v[66:67], v[10:11]
	v_fma_f64 v[10:11], -v[14:15], v[68:69], v[10:11]
	v_fma_f64 v[10:11], -v[16:17], v[70:71], v[10:11]
	ds_read_b64 v[66:67], v60 offset:1208
	ds_read_b64 v[68:69], v60 offset:1464
	ds_read_b64 v[70:71], v60 offset:1720
	v_fma_f64 v[10:11], -v[18:19], v[72:73], v[10:11]
	ds_read_b64 v[72:73], v60 offset:1976
	s_waitcnt lgkmcnt(0)
	v_fma_f64 v[10:11], -v[20:21], v[66:67], v[10:11]
	v_fma_f64 v[10:11], -v[22:23], v[68:69], v[10:11]
	v_fma_f64 v[10:11], -v[26:27], v[70:71], v[10:11]
	ds_read_b64 v[66:67], v60 offset:2232
	ds_read_b64 v[68:69], v60 offset:2488
	ds_read_b64 v[70:71], v60 offset:2744
	v_fma_f64 v[10:11], -v[28:29], v[72:73], v[10:11]
	ds_read_b64 v[72:73], v60 offset:3000
	s_waitcnt lgkmcnt(0)
	v_fma_f64 v[10:11], -v[30:31], v[66:67], v[10:11]
	v_fma_f64 v[10:11], -v[34:35], v[68:69], v[10:11]
	v_fma_f64 v[10:11], -v[36:37], v[70:71], v[10:11]
	ds_read_b64 v[66:67], v60 offset:3256
	ds_read_b64 v[68:69], v60 offset:3512
	ds_read_b64 v[70:71], v60 offset:3768
	v_fma_f64 v[10:11], -v[38:39], v[72:73], v[10:11]
	ds_read_b64 v[72:73], v61 offset:184
	s_waitcnt lgkmcnt(0)
	v_fma_f64 v[10:11], -v[42:43], v[66:67], v[10:11]
	v_fma_f64 v[10:11], -v[46:47], v[68:69], v[10:11]
	v_fma_f64 v[10:11], -v[50:51], v[70:71], v[10:11]
	ds_read_b64 v[66:67], v62 offset:184
	ds_read_b64 v[68:69], v63 offset:184
	ds_read_b64 v[70:71], v64 offset:184
	v_fma_f64 v[10:11], -v[54:55], v[72:73], v[10:11]
	ds_read_b64 v[72:73], v65 offset:184
	s_add_i32 s1, s0, s1
	v_mov_b32_e32 v78, s1
	s_or_b32 s1, s2, 23
	s_waitcnt lgkmcnt(0)
	v_fma_f64 v[10:11], -v[58:59], v[66:67], v[10:11]
	s_mul_i32 s6, s1, 0x108
	v_fma_f64 v[10:11], -v[56:57], v[68:69], v[10:11]
	v_mov_b32_e32 v74, s6
	v_fma_f64 v[10:11], -v[52:53], v[70:71], v[10:11]
	ds_read_b64 v[66:67], v76 offset:184
	ds_read_b64 v[68:69], v77 offset:184
	;; [unrolled: 1-line block ×3, first 2 shown]
	ds_read_b64 v[74:75], v74
	v_fma_f64 v[10:11], -v[44:45], v[72:73], v[10:11]
	s_waitcnt lgkmcnt(0)
	v_fma_f64 v[10:11], -v[40:41], v[66:67], v[10:11]
	v_fma_f64 v[10:11], -v[32:33], v[68:69], v[10:11]
	;; [unrolled: 1-line block ×3, first 2 shown]
	v_mul_f64 v[10:11], v[74:75], v[10:11]
	flat_store_dwordx2 v[0:1], v[10:11] offset:184
	ds_read_b64 v[66:67], v60 offset:192
	ds_read_b64 v[68:69], v60 offset:448
	;; [unrolled: 1-line block ×4, first 2 shown]
	s_lshl_b32 s1, s1, 8
	s_waitcnt lgkmcnt(0)
	v_fma_f64 v[8:9], -v[12:13], v[66:67], v[8:9]
	v_fma_f64 v[8:9], -v[14:15], v[68:69], v[8:9]
	v_fma_f64 v[8:9], -v[16:17], v[70:71], v[8:9]
	ds_read_b64 v[66:67], v60 offset:1216
	ds_read_b64 v[68:69], v60 offset:1472
	ds_read_b64 v[70:71], v60 offset:1728
	v_fma_f64 v[8:9], -v[18:19], v[72:73], v[8:9]
	ds_read_b64 v[72:73], v60 offset:1984
	s_waitcnt lgkmcnt(0)
	v_fma_f64 v[8:9], -v[20:21], v[66:67], v[8:9]
	v_fma_f64 v[8:9], -v[22:23], v[68:69], v[8:9]
	v_fma_f64 v[8:9], -v[26:27], v[70:71], v[8:9]
	ds_read_b64 v[66:67], v60 offset:2240
	ds_read_b64 v[68:69], v60 offset:2496
	ds_read_b64 v[70:71], v60 offset:2752
	v_fma_f64 v[8:9], -v[28:29], v[72:73], v[8:9]
	ds_read_b64 v[72:73], v60 offset:3008
	;; [unrolled: 9-line block ×3, first 2 shown]
	s_waitcnt lgkmcnt(0)
	v_fma_f64 v[8:9], -v[42:43], v[66:67], v[8:9]
	v_fma_f64 v[8:9], -v[46:47], v[68:69], v[8:9]
	v_fma_f64 v[8:9], -v[50:51], v[70:71], v[8:9]
	ds_read_b64 v[66:67], v62 offset:192
	ds_read_b64 v[68:69], v63 offset:192
	;; [unrolled: 1-line block ×4, first 2 shown]
	v_fma_f64 v[8:9], -v[54:55], v[72:73], v[8:9]
	s_waitcnt lgkmcnt(0)
	v_fma_f64 v[8:9], -v[58:59], v[66:67], v[8:9]
	s_add_i32 s1, s0, s1
	v_fma_f64 v[8:9], -v[56:57], v[68:69], v[8:9]
	v_mov_b32_e32 v79, s1
	s_or_b32 s1, s2, 24
	v_fma_f64 v[8:9], -v[52:53], v[70:71], v[8:9]
	s_mul_i32 s6, s1, 0x108
	v_fma_f64 v[8:9], -v[44:45], v[74:75], v[8:9]
	ds_read_b64 v[66:67], v76 offset:192
	ds_read_b64 v[68:69], v77 offset:192
	;; [unrolled: 1-line block ×4, first 2 shown]
	v_mov_b32_e32 v74, s6
	ds_read_b64 v[74:75], v74
	s_waitcnt lgkmcnt(0)
	v_fma_f64 v[8:9], -v[40:41], v[66:67], v[8:9]
	v_fma_f64 v[8:9], -v[32:33], v[68:69], v[8:9]
	;; [unrolled: 1-line block ×4, first 2 shown]
	v_mul_f64 v[8:9], v[74:75], v[8:9]
	flat_store_dwordx2 v[0:1], v[8:9] offset:192
	ds_read_b64 v[66:67], v60 offset:200
	ds_read_b64 v[68:69], v60 offset:456
	;; [unrolled: 1-line block ×4, first 2 shown]
	s_lshl_b32 s1, s1, 8
	s_waitcnt lgkmcnt(0)
	v_fma_f64 v[6:7], -v[12:13], v[66:67], v[6:7]
	v_fma_f64 v[6:7], -v[14:15], v[68:69], v[6:7]
	v_fma_f64 v[6:7], -v[16:17], v[70:71], v[6:7]
	ds_read_b64 v[66:67], v60 offset:1224
	ds_read_b64 v[68:69], v60 offset:1480
	ds_read_b64 v[70:71], v60 offset:1736
	v_fma_f64 v[6:7], -v[18:19], v[72:73], v[6:7]
	ds_read_b64 v[72:73], v60 offset:1992
	s_waitcnt lgkmcnt(0)
	v_fma_f64 v[6:7], -v[20:21], v[66:67], v[6:7]
	v_fma_f64 v[6:7], -v[22:23], v[68:69], v[6:7]
	v_fma_f64 v[6:7], -v[26:27], v[70:71], v[6:7]
	ds_read_b64 v[66:67], v60 offset:2248
	ds_read_b64 v[68:69], v60 offset:2504
	ds_read_b64 v[70:71], v60 offset:2760
	v_fma_f64 v[6:7], -v[28:29], v[72:73], v[6:7]
	ds_read_b64 v[72:73], v60 offset:3016
	;; [unrolled: 9-line block ×4, first 2 shown]
	s_waitcnt lgkmcnt(0)
	v_fma_f64 v[6:7], -v[58:59], v[66:67], v[6:7]
	ds_read_b64 v[66:67], v76 offset:200
	v_fma_f64 v[6:7], -v[56:57], v[68:69], v[6:7]
	s_add_i32 s1, s0, s1
	v_fma_f64 v[6:7], -v[52:53], v[70:71], v[6:7]
	v_mov_b32_e32 v80, s1
	s_or_b32 s1, s2, 25
	v_fma_f64 v[6:7], -v[44:45], v[72:73], v[6:7]
	ds_read_b64 v[68:69], v77 offset:200
	ds_read_b64 v[70:71], v78 offset:200
	ds_read_b64 v[72:73], v79 offset:200
	s_mul_i32 s6, s1, 0x108
	v_mov_b32_e32 v74, s6
	s_waitcnt lgkmcnt(0)
	v_fma_f64 v[6:7], -v[40:41], v[66:67], v[6:7]
	ds_read_b64 v[66:67], v80 offset:200
	ds_read_b64 v[74:75], v74
	v_fma_f64 v[6:7], -v[32:33], v[68:69], v[6:7]
	v_fma_f64 v[6:7], -v[24:25], v[70:71], v[6:7]
	;; [unrolled: 1-line block ×3, first 2 shown]
	s_waitcnt lgkmcnt(0)
	v_fma_f64 v[6:7], -v[8:9], v[66:67], v[6:7]
	v_mul_f64 v[6:7], v[74:75], v[6:7]
	flat_store_dwordx2 v[0:1], v[6:7] offset:200
	ds_read_b64 v[66:67], v60 offset:208
	ds_read_b64 v[68:69], v60 offset:464
	;; [unrolled: 1-line block ×4, first 2 shown]
	s_lshl_b32 s1, s1, 8
	s_waitcnt lgkmcnt(0)
	v_fma_f64 v[4:5], -v[12:13], v[66:67], v[4:5]
	v_fma_f64 v[4:5], -v[14:15], v[68:69], v[4:5]
	v_fma_f64 v[4:5], -v[16:17], v[70:71], v[4:5]
	ds_read_b64 v[66:67], v60 offset:1232
	ds_read_b64 v[68:69], v60 offset:1488
	ds_read_b64 v[70:71], v60 offset:1744
	v_fma_f64 v[4:5], -v[18:19], v[72:73], v[4:5]
	ds_read_b64 v[72:73], v60 offset:2000
	s_waitcnt lgkmcnt(0)
	v_fma_f64 v[4:5], -v[20:21], v[66:67], v[4:5]
	v_fma_f64 v[4:5], -v[22:23], v[68:69], v[4:5]
	v_fma_f64 v[4:5], -v[26:27], v[70:71], v[4:5]
	ds_read_b64 v[66:67], v60 offset:2256
	ds_read_b64 v[68:69], v60 offset:2512
	ds_read_b64 v[70:71], v60 offset:2768
	v_fma_f64 v[4:5], -v[28:29], v[72:73], v[4:5]
	ds_read_b64 v[72:73], v60 offset:3024
	;; [unrolled: 9-line block ×4, first 2 shown]
	s_waitcnt lgkmcnt(0)
	v_fma_f64 v[4:5], -v[58:59], v[66:67], v[4:5]
	v_fma_f64 v[4:5], -v[56:57], v[68:69], v[4:5]
	ds_read_b64 v[66:67], v76 offset:208
	ds_read_b64 v[68:69], v77 offset:208
	v_fma_f64 v[4:5], -v[52:53], v[70:71], v[4:5]
	s_add_i32 s1, s0, s1
	v_fma_f64 v[4:5], -v[44:45], v[72:73], v[4:5]
	ds_read_b64 v[70:71], v78 offset:208
	ds_read_b64 v[72:73], v79 offset:208
	v_mov_b32_e32 v81, s1
	s_or_b32 s1, s2, 26
	s_mul_i32 s6, s1, 0x108
	s_waitcnt lgkmcnt(0)
	v_fma_f64 v[4:5], -v[40:41], v[66:67], v[4:5]
	v_mov_b32_e32 v74, s6
	v_fma_f64 v[4:5], -v[32:33], v[68:69], v[4:5]
	ds_read_b64 v[66:67], v80 offset:208
	ds_read_b64 v[68:69], v81 offset:208
	ds_read_b64 v[74:75], v74
	v_fma_f64 v[4:5], -v[24:25], v[70:71], v[4:5]
	v_fma_f64 v[4:5], -v[10:11], v[72:73], v[4:5]
	s_waitcnt lgkmcnt(0)
	v_fma_f64 v[4:5], -v[8:9], v[66:67], v[4:5]
	v_fma_f64 v[4:5], -v[6:7], v[68:69], v[4:5]
	v_mul_f64 v[4:5], v[74:75], v[4:5]
	flat_store_dwordx2 v[0:1], v[4:5] offset:208
	ds_read_b64 v[66:67], v60 offset:216
	ds_read_b64 v[68:69], v60 offset:472
	;; [unrolled: 1-line block ×4, first 2 shown]
	s_lshl_b32 s1, s1, 8
	s_waitcnt lgkmcnt(0)
	v_fma_f64 v[2:3], -v[12:13], v[66:67], v[2:3]
	v_fma_f64 v[2:3], -v[14:15], v[68:69], v[2:3]
	v_fma_f64 v[2:3], -v[16:17], v[70:71], v[2:3]
	ds_read_b64 v[12:13], v60 offset:1240
	ds_read_b64 v[14:15], v60 offset:1496
	ds_read_b64 v[16:17], v60 offset:1752
	v_fma_f64 v[2:3], -v[18:19], v[72:73], v[2:3]
	ds_read_b64 v[18:19], v60 offset:2008
	s_waitcnt lgkmcnt(0)
	v_fma_f64 v[2:3], -v[20:21], v[12:13], v[2:3]
	v_fma_f64 v[2:3], -v[22:23], v[14:15], v[2:3]
	v_fma_f64 v[2:3], -v[26:27], v[16:17], v[2:3]
	ds_read_b64 v[12:13], v60 offset:2264
	ds_read_b64 v[14:15], v60 offset:2520
	ds_read_b64 v[16:17], v60 offset:2776
	v_fma_f64 v[2:3], -v[28:29], v[18:19], v[2:3]
	ds_read_b64 v[18:19], v60 offset:3032
	;; [unrolled: 9-line block ×5, first 2 shown]
	s_waitcnt lgkmcnt(0)
	v_fma_f64 v[2:3], -v[40:41], v[12:13], v[2:3]
	v_fma_f64 v[2:3], -v[32:33], v[14:15], v[2:3]
	s_add_i32 s0, s0, s1
	v_fma_f64 v[2:3], -v[24:25], v[16:17], v[2:3]
	v_mov_b32_e32 v16, s0
	s_mul_i32 s0, s3, 0x108
	v_mov_b32_e32 v20, s0
	ds_read_b64 v[12:13], v80 offset:216
	ds_read_b64 v[14:15], v81 offset:216
	;; [unrolled: 1-line block ×3, first 2 shown]
	ds_read_b64 v[20:21], v20
	v_fma_f64 v[2:3], -v[10:11], v[18:19], v[2:3]
	s_waitcnt lgkmcnt(0)
	v_fma_f64 v[2:3], -v[8:9], v[12:13], v[2:3]
	v_fma_f64 v[2:3], -v[6:7], v[14:15], v[2:3]
	v_fma_f64 v[2:3], -v[4:5], v[16:17], v[2:3]
	s_or_b32 s2, s2, 28
	v_mul_f64 v[2:3], v[20:21], v[2:3]
	flat_store_dwordx2 v[0:1], v[2:3] offset:216
.LBB105_43:
	s_cmp_ge_i32 s2, s22
	s_cbranch_scc1 .LBB105_48
; %bb.44:
	s_lshl_b32 s0, s2, 3
	s_mov_b32 s3, 0
	s_branch .LBB105_46
.LBB105_45:                             ;   in Loop: Header=BB105_46 Depth=1
	s_mul_i32 s1, s2, 0x108
	v_mov_b32_e32 v4, s1
	ds_read_b64 v[4:5], v4
	s_add_i32 s2, s2, 1
	s_add_i32 s0, s0, 8
	s_cmp_ge_i32 s2, s22
	s_waitcnt lgkmcnt(0)
	v_mul_f64 v[2:3], v[4:5], v[2:3]
	flat_store_dwordx2 v[0:1], v[2:3]
	s_cbranch_scc1 .LBB105_48
.LBB105_46:                             ; =>This Loop Header: Depth=1
                                        ;     Child Loop BB105_47 Depth 2
	v_lshl_add_u64 v[0:1], s[2:3], 3, v[48:49]
	flat_load_dwordx2 v[2:3], v[0:1]
	s_cmp_eq_u32 s2, 0
	v_mov_b64_e32 v[4:5], v[48:49]
	s_mov_b32 s1, s0
	s_mov_b32 s6, s2
	s_waitcnt vmcnt(0) lgkmcnt(0)
	v_mul_f64 v[2:3], s[4:5], v[2:3]
	s_cbranch_scc1 .LBB105_45
.LBB105_47:                             ;   Parent Loop BB105_46 Depth=1
                                        ; =>  This Inner Loop Header: Depth=2
	flat_load_dwordx2 v[6:7], v[4:5]
	v_mov_b32_e32 v8, s1
	ds_read_b64 v[8:9], v8
	s_add_i32 s6, s6, -1
	s_addk_i32 s1, 0x100
	v_lshl_add_u64 v[4:5], v[4:5], 0, 8
	s_cmp_lg_u32 s6, 0
	s_waitcnt vmcnt(0) lgkmcnt(0)
	v_fma_f64 v[2:3], -v[6:7], v[8:9], v[2:3]
	s_cbranch_scc1 .LBB105_47
	s_branch .LBB105_45
.LBB105_48:
	s_endpgm
	.section	.rodata,"a",@progbits
	.p2align	6, 0x0
	.amdhsa_kernel _ZL30rocblas_trsm_small_left_deviceILi32ELi32ELb1EddPKPKdPKPdEv13rocblas_fill_18rocblas_operation_17rocblas_diagonal_iiT3_T4_lilT5_lili
		.amdhsa_group_segment_fixed_size 8192
		.amdhsa_private_segment_fixed_size 0
		.amdhsa_kernarg_size 360
		.amdhsa_user_sgpr_count 2
		.amdhsa_user_sgpr_dispatch_ptr 0
		.amdhsa_user_sgpr_queue_ptr 0
		.amdhsa_user_sgpr_kernarg_segment_ptr 1
		.amdhsa_user_sgpr_dispatch_id 0
		.amdhsa_user_sgpr_kernarg_preload_length 0
		.amdhsa_user_sgpr_kernarg_preload_offset 0
		.amdhsa_user_sgpr_private_segment_size 0
		.amdhsa_uses_dynamic_stack 0
		.amdhsa_enable_private_segment 0
		.amdhsa_system_sgpr_workgroup_id_x 1
		.amdhsa_system_sgpr_workgroup_id_y 0
		.amdhsa_system_sgpr_workgroup_id_z 1
		.amdhsa_system_sgpr_workgroup_info 0
		.amdhsa_system_vgpr_workitem_id 0
		.amdhsa_next_free_vgpr 89
		.amdhsa_next_free_sgpr 96
		.amdhsa_accum_offset 92
		.amdhsa_reserve_vcc 1
		.amdhsa_float_round_mode_32 0
		.amdhsa_float_round_mode_16_64 0
		.amdhsa_float_denorm_mode_32 3
		.amdhsa_float_denorm_mode_16_64 3
		.amdhsa_dx10_clamp 1
		.amdhsa_ieee_mode 1
		.amdhsa_fp16_overflow 0
		.amdhsa_tg_split 0
		.amdhsa_exception_fp_ieee_invalid_op 0
		.amdhsa_exception_fp_denorm_src 0
		.amdhsa_exception_fp_ieee_div_zero 0
		.amdhsa_exception_fp_ieee_overflow 0
		.amdhsa_exception_fp_ieee_underflow 0
		.amdhsa_exception_fp_ieee_inexact 0
		.amdhsa_exception_int_div_zero 0
	.end_amdhsa_kernel
	.section	.text._ZL30rocblas_trsm_small_left_deviceILi32ELi32ELb1EddPKPKdPKPdEv13rocblas_fill_18rocblas_operation_17rocblas_diagonal_iiT3_T4_lilT5_lili,"axG",@progbits,_ZL30rocblas_trsm_small_left_deviceILi32ELi32ELb1EddPKPKdPKPdEv13rocblas_fill_18rocblas_operation_17rocblas_diagonal_iiT3_T4_lilT5_lili,comdat
.Lfunc_end105:
	.size	_ZL30rocblas_trsm_small_left_deviceILi32ELi32ELb1EddPKPKdPKPdEv13rocblas_fill_18rocblas_operation_17rocblas_diagonal_iiT3_T4_lilT5_lili, .Lfunc_end105-_ZL30rocblas_trsm_small_left_deviceILi32ELi32ELb1EddPKPKdPKPdEv13rocblas_fill_18rocblas_operation_17rocblas_diagonal_iiT3_T4_lilT5_lili
                                        ; -- End function
	.set _ZL30rocblas_trsm_small_left_deviceILi32ELi32ELb1EddPKPKdPKPdEv13rocblas_fill_18rocblas_operation_17rocblas_diagonal_iiT3_T4_lilT5_lili.num_vgpr, 89
	.set _ZL30rocblas_trsm_small_left_deviceILi32ELi32ELb1EddPKPKdPKPdEv13rocblas_fill_18rocblas_operation_17rocblas_diagonal_iiT3_T4_lilT5_lili.num_agpr, 0
	.set _ZL30rocblas_trsm_small_left_deviceILi32ELi32ELb1EddPKPKdPKPdEv13rocblas_fill_18rocblas_operation_17rocblas_diagonal_iiT3_T4_lilT5_lili.numbered_sgpr, 26
	.set _ZL30rocblas_trsm_small_left_deviceILi32ELi32ELb1EddPKPKdPKPdEv13rocblas_fill_18rocblas_operation_17rocblas_diagonal_iiT3_T4_lilT5_lili.num_named_barrier, 0
	.set _ZL30rocblas_trsm_small_left_deviceILi32ELi32ELb1EddPKPKdPKPdEv13rocblas_fill_18rocblas_operation_17rocblas_diagonal_iiT3_T4_lilT5_lili.private_seg_size, 0
	.set _ZL30rocblas_trsm_small_left_deviceILi32ELi32ELb1EddPKPKdPKPdEv13rocblas_fill_18rocblas_operation_17rocblas_diagonal_iiT3_T4_lilT5_lili.uses_vcc, 1
	.set _ZL30rocblas_trsm_small_left_deviceILi32ELi32ELb1EddPKPKdPKPdEv13rocblas_fill_18rocblas_operation_17rocblas_diagonal_iiT3_T4_lilT5_lili.uses_flat_scratch, 0
	.set _ZL30rocblas_trsm_small_left_deviceILi32ELi32ELb1EddPKPKdPKPdEv13rocblas_fill_18rocblas_operation_17rocblas_diagonal_iiT3_T4_lilT5_lili.has_dyn_sized_stack, 0
	.set _ZL30rocblas_trsm_small_left_deviceILi32ELi32ELb1EddPKPKdPKPdEv13rocblas_fill_18rocblas_operation_17rocblas_diagonal_iiT3_T4_lilT5_lili.has_recursion, 0
	.set _ZL30rocblas_trsm_small_left_deviceILi32ELi32ELb1EddPKPKdPKPdEv13rocblas_fill_18rocblas_operation_17rocblas_diagonal_iiT3_T4_lilT5_lili.has_indirect_call, 0
	.section	.AMDGPU.csdata,"",@progbits
; Kernel info:
; codeLenInByte = 36836
; TotalNumSgprs: 32
; NumVgprs: 89
; NumAgprs: 0
; TotalNumVgprs: 89
; ScratchSize: 0
; MemoryBound: 1
; FloatMode: 240
; IeeeMode: 1
; LDSByteSize: 8192 bytes/workgroup (compile time only)
; SGPRBlocks: 12
; VGPRBlocks: 11
; NumSGPRsForWavesPerEU: 102
; NumVGPRsForWavesPerEU: 89
; AccumOffset: 92
; Occupancy: 5
; WaveLimiterHint : 1
; COMPUTE_PGM_RSRC2:SCRATCH_EN: 0
; COMPUTE_PGM_RSRC2:USER_SGPR: 2
; COMPUTE_PGM_RSRC2:TRAP_HANDLER: 0
; COMPUTE_PGM_RSRC2:TGID_X_EN: 1
; COMPUTE_PGM_RSRC2:TGID_Y_EN: 0
; COMPUTE_PGM_RSRC2:TGID_Z_EN: 1
; COMPUTE_PGM_RSRC2:TIDIG_COMP_CNT: 0
; COMPUTE_PGM_RSRC3_GFX90A:ACCUM_OFFSET: 22
; COMPUTE_PGM_RSRC3_GFX90A:TG_SPLIT: 0
	.section	.text._ZL31rocblas_trsm_small_right_deviceIddPKPKdPKPdLi32EEv13rocblas_fill_18rocblas_operation_17rocblas_diagonal_iiT0_T1_lilT2_lili,"axG",@progbits,_ZL31rocblas_trsm_small_right_deviceIddPKPKdPKPdLi32EEv13rocblas_fill_18rocblas_operation_17rocblas_diagonal_iiT0_T1_lilT2_lili,comdat
	.globl	_ZL31rocblas_trsm_small_right_deviceIddPKPKdPKPdLi32EEv13rocblas_fill_18rocblas_operation_17rocblas_diagonal_iiT0_T1_lilT2_lili ; -- Begin function _ZL31rocblas_trsm_small_right_deviceIddPKPKdPKPdLi32EEv13rocblas_fill_18rocblas_operation_17rocblas_diagonal_iiT0_T1_lilT2_lili
	.p2align	8
	.type	_ZL31rocblas_trsm_small_right_deviceIddPKPKdPKPdLi32EEv13rocblas_fill_18rocblas_operation_17rocblas_diagonal_iiT0_T1_lilT2_lili,@function
_ZL31rocblas_trsm_small_right_deviceIddPKPKdPKPdLi32EEv13rocblas_fill_18rocblas_operation_17rocblas_diagonal_iiT0_T1_lilT2_lili: ; @_ZL31rocblas_trsm_small_right_deviceIddPKPKdPKPdLi32EEv13rocblas_fill_18rocblas_operation_17rocblas_diagonal_iiT0_T1_lilT2_lili
; %bb.0:
	s_load_dwordx4 s[4:7], s[0:1], 0x0
	s_load_dword s22, s[0:1], 0x10
	s_load_dwordx4 s[12:15], s[0:1], 0x40
	s_load_dwordx4 s[8:11], s[0:1], 0x18
	s_load_dwordx2 s[18:19], s[0:1], 0x28
	s_mov_b32 s16, s3
	s_mov_b32 s17, 0
	s_lshl_b64 s[20:21], s[16:17], 3
	s_waitcnt lgkmcnt(0)
	s_add_u32 s12, s12, s20
	s_addc_u32 s13, s13, s21
	s_load_dwordx2 s[12:13], s[12:13], 0x0
	s_min_i32 s23, s22, 32
	v_cmp_gt_i32_e32 vcc, s23, v0
	s_and_saveexec_b64 s[16:17], vcc
	s_cbranch_execz .LBB106_5
; %bb.1:
	s_load_dword s24, s[0:1], 0x30
	v_lshlrev_b32_e32 v2, 3, v0
	v_mov_b32_e32 v3, 0
	v_mov_b32_e32 v1, v2
	s_mov_b32 s3, s23
	s_waitcnt lgkmcnt(0)
	s_ashr_i32 s25, s24, 31
	s_add_u32 s10, s10, s20
	s_addc_u32 s11, s11, s21
	s_load_dwordx2 s[10:11], s[10:11], 0x0
	s_lshl_b64 s[18:19], s[18:19], 3
	s_waitcnt lgkmcnt(0)
	s_add_u32 s18, s10, s18
	s_addc_u32 s19, s11, s19
	s_lshl_b64 s[10:11], s[24:25], 3
	v_lshl_add_u64 v[4:5], s[18:19], 0, v[2:3]
.LBB106_2:                              ; =>This Inner Loop Header: Depth=1
	flat_load_dwordx2 v[6:7], v[4:5]
	s_add_i32 s3, s3, -1
	v_lshl_add_u64 v[4:5], v[4:5], 0, s[10:11]
	s_cmp_eq_u32 s3, 0
	s_waitcnt vmcnt(0) lgkmcnt(0)
	ds_write_b64 v1, v[6:7]
	v_add_u32_e32 v1, 0x100, v1
	s_cbranch_scc0 .LBB106_2
; %bb.3:
	s_cmpk_eq_i32 s6, 0x84
	s_cbranch_scc0 .LBB106_5
; %bb.4:
	v_lshl_or_b32 v1, v0, 8, v2
	v_mov_b32_e32 v2, 0
	v_mov_b32_e32 v3, 0x3ff00000
	ds_write_b64 v1, v[2:3]
.LBB106_5:
	s_or_b64 exec, exec, s[16:17]
	s_load_dword s3, s[0:1], 0x68
	s_load_dword s6, s[0:1], 0x50
	s_lshl_b64 s[0:1], s[14:15], 3
	s_waitcnt lgkmcnt(0)
	s_add_u32 s10, s12, s0
	s_addc_u32 s11, s13, s1
	s_lshl_b32 s0, s2, 5
	s_add_i32 s3, s3, -1
	s_sub_i32 s0, s7, s0
	s_cmp_ge_u32 s2, s3
	s_cselect_b32 s7, s0, 32
	s_ashr_i32 s3, s2, 31
	s_lshl_b64 s[0:1], s[2:3], 8
	s_add_u32 s2, s10, s0
	s_addc_u32 s3, s11, s1
	v_cmp_gt_i32_e64 s[0:1], s7, v0
	s_and_saveexec_b64 s[10:11], s[0:1]
	s_cbranch_execz .LBB106_9
; %bb.6:
	s_cmp_lt_i32 s22, 1
	s_cbranch_scc1 .LBB106_9
; %bb.7:
	s_ashr_i32 s7, s6, 31
	v_lshlrev_b32_e32 v4, 3, v0
	v_mov_b32_e32 v5, 0
	v_lshl_add_u64 v[2:3], s[2:3], 0, v[4:5]
	s_lshl_b64 s[12:13], s[6:7], 3
	v_or_b32_e32 v1, 0x2000, v4
	s_mov_b32 s7, s22
.LBB106_8:                              ; =>This Inner Loop Header: Depth=1
	flat_load_dwordx2 v[4:5], v[2:3]
	s_add_i32 s7, s7, -1
	v_lshl_add_u64 v[2:3], v[2:3], 0, s[12:13]
	s_cmp_lg_u32 s7, 0
	s_waitcnt vmcnt(0) lgkmcnt(0)
	v_mul_f64 v[4:5], s[8:9], v[4:5]
	ds_write_b64 v1, v[4:5]
	v_add_u32_e32 v1, 0x100, v1
	s_cbranch_scc1 .LBB106_8
.LBB106_9:
	s_or_b64 exec, exec, s[10:11]
	s_cmpk_eq_i32 s5, 0x6f
	s_cselect_b64 s[10:11], -1, 0
	s_cmpk_lg_i32 s4, 0x79
	s_cselect_b64 s[8:9], -1, 0
	s_cmpk_eq_i32 s4, 0x79
	s_cselect_b64 s[12:13], -1, 0
	s_and_b64 s[12:13], s[12:13], s[10:11]
	s_andn2_b64 vcc, exec, s[12:13]
	s_mov_b64 s[12:13], -1
	s_waitcnt lgkmcnt(0)
	; wave barrier
	s_cbranch_vccz .LBB106_66
; %bb.10:
	s_cmpk_lg_i32 s4, 0x7a
	s_cselect_b64 s[4:5], -1, 0
	s_xor_b64 s[10:11], s[10:11], -1
	s_add_i32 s7, s23, -1
	s_or_b64 s[10:11], s[4:5], s[10:11]
	v_mov_b32_e32 v1, 0x2000
	s_cmp_gt_i32 s22, 3
	v_lshl_or_b32 v1, v0, 3, v1
	s_cselect_b64 s[4:5], -1, 0
	s_and_b64 vcc, exec, s[10:11]
	s_cbranch_vccz .LBB106_45
; %bb.11:
	s_andn2_b64 vcc, exec, s[8:9]
	s_mov_b64 s[8:9], -1
	s_cbranch_vccnz .LBB106_24
; %bb.12:
	s_andn2_b64 vcc, exec, s[4:5]
	s_mov_b32 s10, 0
	s_cbranch_vccnz .LBB106_18
; %bb.13:
	v_mov_b32_e32 v2, 0x2000
	v_lshl_or_b32 v10, v0, 3, v2
	s_mov_b32 s8, 0
	s_mov_b32 s9, 0
.LBB106_14:                             ; =>This Loop Header: Depth=1
                                        ;     Child Loop BB106_15 Depth 2
	s_lshl_b32 s11, s9, 8
	s_or_b32 s10, s9, 1
	v_add_u32_e32 v12, s11, v1
	v_lshl_add_u32 v13, s10, 8, v1
	s_or_b32 s12, s11, 0x300
	ds_read2st64_b64 v[2:5], v12 offset1:1
	v_add_u32_e32 v11, s12, v1
	ds_read_b64 v[8:9], v13
	ds_read_b64 v[6:7], v11
	s_cmp_eq_u32 s9, 0
	v_mov_b32_e32 v14, v10
	s_mov_b32 s12, s8
	s_mov_b32 s13, s9
	s_cbranch_scc1 .LBB106_16
.LBB106_15:                             ;   Parent Loop BB106_14 Depth=1
                                        ; =>  This Inner Loop Header: Depth=2
	v_mov_b32_e32 v15, s12
	ds_read_b64 v[24:25], v14
	ds_read_b128 v[16:19], v15
	ds_read_b128 v[20:23], v15 offset:16
	s_add_i32 s13, s13, -1
	s_addk_i32 s12, 0x100
	v_add_u32_e32 v14, 0x100, v14
	s_cmp_eq_u32 s13, 0
	s_waitcnt lgkmcnt(1)
	v_fma_f64 v[2:3], -v[24:25], v[16:17], v[2:3]
	v_fma_f64 v[8:9], -v[24:25], v[18:19], v[8:9]
	s_waitcnt lgkmcnt(0)
	v_fma_f64 v[4:5], -v[24:25], v[20:21], v[4:5]
	v_fma_f64 v[6:7], -v[24:25], v[22:23], v[6:7]
	s_cbranch_scc0 .LBB106_15
.LBB106_16:                             ;   in Loop: Header=BB106_14 Depth=1
	s_lshl_b32 s14, s9, 3
	s_add_i32 s11, s14, s11
	v_mov_b32_e32 v15, s11
	ds_read_b128 v[16:19], v15
	ds_read_b128 v[20:23], v15 offset:16
	ds_read2_b64 v[24:27], v15 offset0:33 offset1:34
	ds_read_b128 v[28:31], v15 offset:528
	s_addk_i32 s11, 0x108
	s_lshl_b32 s10, s10, 3
	s_waitcnt lgkmcnt(3)
	v_div_scale_f64 v[32:33], s[12:13], v[16:17], v[16:17], v[2:3]
	v_rcp_f64_e32 v[34:35], v[32:33]
	v_div_scale_f64 v[36:37], vcc, v[2:3], v[16:17], v[2:3]
	s_sub_i32 s10, s11, s10
	v_fma_f64 v[38:39], -v[32:33], v[34:35], 1.0
	v_fmac_f64_e32 v[34:35], v[34:35], v[38:39]
	v_fma_f64 v[38:39], -v[32:33], v[34:35], 1.0
	v_fmac_f64_e32 v[34:35], v[34:35], v[38:39]
	v_mul_f64 v[38:39], v[36:37], v[34:35]
	v_fma_f64 v[32:33], -v[32:33], v[38:39], v[36:37]
	v_div_fmas_f64 v[32:33], v[32:33], v[34:35], v[38:39]
	v_div_fixup_f64 v[2:3], v[32:33], v[16:17], v[2:3]
	v_fma_f64 v[8:9], -v[2:3], v[18:19], v[8:9]
	s_waitcnt lgkmcnt(1)
	v_div_scale_f64 v[16:17], s[12:13], v[24:25], v[24:25], v[8:9]
	v_rcp_f64_e32 v[18:19], v[16:17]
	v_fma_f64 v[4:5], -v[2:3], v[20:21], v[4:5]
	s_add_i32 s10, s10, s14
	v_fma_f64 v[6:7], -v[2:3], v[22:23], v[6:7]
	v_fma_f64 v[32:33], -v[16:17], v[18:19], 1.0
	v_fmac_f64_e32 v[18:19], v[18:19], v[32:33]
	v_fma_f64 v[32:33], -v[16:17], v[18:19], 1.0
	v_fmac_f64_e32 v[18:19], v[18:19], v[32:33]
	v_div_scale_f64 v[32:33], vcc, v[8:9], v[24:25], v[8:9]
	v_mul_f64 v[34:35], v[32:33], v[18:19]
	v_fma_f64 v[16:17], -v[16:17], v[34:35], v[32:33]
	v_add_u32_e32 v14, 0x200, v12
	s_nop 0
	v_div_fmas_f64 v[16:17], v[16:17], v[18:19], v[34:35]
	v_div_fixup_f64 v[8:9], v[16:17], v[24:25], v[8:9]
	v_fma_f64 v[4:5], -v[8:9], v[26:27], v[4:5]
	s_waitcnt lgkmcnt(0)
	v_div_scale_f64 v[16:17], s[12:13], v[28:29], v[28:29], v[4:5]
	v_rcp_f64_e32 v[18:19], v[16:17]
	s_add_i32 s8, s8, 32
	v_fma_f64 v[20:21], -v[16:17], v[18:19], 1.0
	v_fmac_f64_e32 v[18:19], v[18:19], v[20:21]
	v_fma_f64 v[20:21], -v[16:17], v[18:19], 1.0
	v_fmac_f64_e32 v[18:19], v[18:19], v[20:21]
	v_div_scale_f64 v[20:21], vcc, v[4:5], v[28:29], v[4:5]
	v_mul_f64 v[24:25], v[20:21], v[18:19]
	v_fma_f64 v[16:17], -v[16:17], v[24:25], v[20:21]
	v_mov_b32_e32 v20, s10
	ds_read_b64 v[20:21], v20 offset:24
	v_div_fmas_f64 v[16:17], v[16:17], v[18:19], v[24:25]
	v_div_fixup_f64 v[4:5], v[16:17], v[28:29], v[4:5]
	ds_read_b64 v[16:17], v15 offset:792
	ds_write_b64 v12, v[2:3]
	ds_write_b64 v13, v[8:9]
	;; [unrolled: 1-line block ×3, first 2 shown]
	s_waitcnt lgkmcnt(4)
	v_fma_f64 v[6:7], -v[8:9], v[20:21], v[6:7]
	v_fma_f64 v[6:7], -v[4:5], v[30:31], v[6:7]
	s_waitcnt lgkmcnt(3)
	v_div_scale_f64 v[18:19], s[10:11], v[16:17], v[16:17], v[6:7]
	v_rcp_f64_e32 v[20:21], v[18:19]
	s_add_i32 s10, s9, 4
	s_add_i32 s9, s9, 7
	s_cmp_ge_i32 s9, s23
	v_fma_f64 v[2:3], -v[18:19], v[20:21], 1.0
	v_fmac_f64_e32 v[20:21], v[20:21], v[2:3]
	v_fma_f64 v[2:3], -v[18:19], v[20:21], 1.0
	v_fmac_f64_e32 v[20:21], v[20:21], v[2:3]
	v_div_scale_f64 v[2:3], vcc, v[6:7], v[16:17], v[6:7]
	v_mul_f64 v[4:5], v[2:3], v[20:21]
	v_fma_f64 v[2:3], -v[18:19], v[4:5], v[2:3]
	s_nop 1
	v_div_fmas_f64 v[2:3], v[2:3], v[20:21], v[4:5]
	v_div_fixup_f64 v[2:3], v[2:3], v[16:17], v[6:7]
	ds_write_b64 v11, v[2:3]
	s_cbranch_scc1 .LBB106_18
; %bb.17:                               ;   in Loop: Header=BB106_14 Depth=1
	s_mov_b32 s9, s10
	s_branch .LBB106_14
.LBB106_18:
	s_cmp_ge_i32 s10, s23
	s_cbranch_scc1 .LBB106_23
; %bb.19:
	v_mov_b32_e32 v2, 0x2000
	s_lshl_b32 s8, s10, 3
	v_lshl_or_b32 v4, v0, 3, v2
	s_branch .LBB106_21
.LBB106_20:                             ;   in Loop: Header=BB106_21 Depth=1
	s_lshl_b32 s11, s10, 3
	s_add_i32 s9, s11, s9
	v_mov_b32_e32 v6, s9
	ds_read_b64 v[6:7], v6
	s_add_i32 s10, s10, 1
	s_add_i32 s8, s8, 8
	s_cmp_ge_i32 s10, s23
	s_waitcnt lgkmcnt(0)
	v_div_scale_f64 v[8:9], s[12:13], v[6:7], v[6:7], v[2:3]
	v_rcp_f64_e32 v[10:11], v[8:9]
	v_div_scale_f64 v[12:13], vcc, v[2:3], v[6:7], v[2:3]
	v_fma_f64 v[14:15], -v[8:9], v[10:11], 1.0
	v_fmac_f64_e32 v[10:11], v[10:11], v[14:15]
	v_fma_f64 v[14:15], -v[8:9], v[10:11], 1.0
	v_fmac_f64_e32 v[10:11], v[10:11], v[14:15]
	v_mul_f64 v[14:15], v[12:13], v[10:11]
	v_fma_f64 v[8:9], -v[8:9], v[14:15], v[12:13]
	v_div_fmas_f64 v[8:9], v[8:9], v[10:11], v[14:15]
	v_div_fixup_f64 v[2:3], v[8:9], v[6:7], v[2:3]
	ds_write_b64 v5, v[2:3]
	s_cbranch_scc1 .LBB106_23
.LBB106_21:                             ; =>This Loop Header: Depth=1
                                        ;     Child Loop BB106_22 Depth 2
	s_lshl_b32 s9, s10, 8
	v_add_u32_e32 v5, s9, v1
	ds_read_b64 v[2:3], v5
	s_cmp_eq_u32 s10, 0
	v_mov_b32_e32 v6, v4
	s_mov_b32 s11, s8
	s_mov_b32 s12, s10
	s_cbranch_scc1 .LBB106_20
.LBB106_22:                             ;   Parent Loop BB106_21 Depth=1
                                        ; =>  This Inner Loop Header: Depth=2
	v_mov_b32_e32 v7, s11
	ds_read_b64 v[8:9], v6
	ds_read_b64 v[10:11], v7
	s_add_i32 s12, s12, -1
	s_addk_i32 s11, 0x100
	v_add_u32_e32 v6, 0x100, v6
	s_cmp_eq_u32 s12, 0
	s_waitcnt lgkmcnt(0)
	v_fma_f64 v[2:3], -v[8:9], v[10:11], v[2:3]
	s_cbranch_scc0 .LBB106_22
	s_branch .LBB106_20
.LBB106_23:
	s_mov_b64 s[8:9], 0
.LBB106_24:
	s_and_b64 vcc, exec, s[8:9]
	s_cbranch_vccz .LBB106_44
; %bb.25:
	s_andn2_b64 vcc, exec, s[4:5]
	s_mov_b32 s10, s7
	s_cbranch_vccnz .LBB106_31
; %bb.26:
	v_lshlrev_b32_e32 v2, 3, v0
	s_mul_i32 s8, s23, 0x108
	v_lshl_or_b32 v2, s23, 8, v2
	s_addk_i32 s8, 0xfee0
	v_add_u32_e32 v10, 0x1f00, v2
	s_mov_b32 s9, s7
.LBB106_27:                             ; =>This Loop Header: Depth=1
                                        ;     Child Loop BB106_28 Depth 2
	s_add_i32 s12, s9, -3
	v_lshl_add_u32 v12, s9, 8, v1
	s_add_i32 s11, s9, -1
	s_add_i32 s10, s9, -2
	s_lshl_b32 s13, s12, 8
	v_lshl_add_u32 v13, s11, 8, v1
	v_lshl_add_u32 v14, s10, 8, v1
	v_add_u32_e32 v11, s13, v1
	ds_read_b64 v[8:9], v12
	ds_read_b64 v[6:7], v13
	;; [unrolled: 1-line block ×4, first 2 shown]
	s_cmp_le_i32 s7, s9
	v_mov_b32_e32 v15, v10
	s_mov_b32 s14, s8
	s_mov_b32 s15, s7
	s_cbranch_scc1 .LBB106_29
.LBB106_28:                             ;   Parent Loop BB106_27 Depth=1
                                        ; =>  This Inner Loop Header: Depth=2
	v_mov_b32_e32 v20, s14
	ds_read_b64 v[24:25], v15
	ds_read2_b64 v[16:19], v20 offset0:2 offset1:3
	ds_read2_b64 v[20:23], v20 offset1:1
	s_add_i32 s15, s15, -1
	s_addk_i32 s14, 0xff00
	v_add_u32_e32 v15, 0xffffff00, v15
	s_cmp_le_i32 s15, s9
	s_waitcnt lgkmcnt(1)
	v_fma_f64 v[8:9], -v[24:25], v[18:19], v[8:9]
	v_fma_f64 v[6:7], -v[24:25], v[16:17], v[6:7]
	s_waitcnt lgkmcnt(0)
	v_fma_f64 v[4:5], -v[24:25], v[22:23], v[4:5]
	v_fma_f64 v[2:3], -v[24:25], v[20:21], v[2:3]
	s_cbranch_scc0 .LBB106_28
.LBB106_29:                             ;   in Loop: Header=BB106_27 Depth=1
	s_lshl_b32 s16, s9, 3
	s_lshl_b32 s15, s9, 8
	s_add_i32 s17, s16, s15
	s_add_i32 s15, s17, -8
	v_mov_b32_e32 v15, s15
	ds_read2_b64 v[16:19], v15 offset1:1
	s_lshl_b32 s14, s11, 8
	s_add_i32 s14, s16, s14
	s_add_i32 s18, s14, -8
	v_mov_b32_e32 v15, s18
	s_waitcnt lgkmcnt(0)
	v_div_scale_f64 v[22:23], s[14:15], v[18:19], v[18:19], v[8:9]
	v_rcp_f64_e32 v[24:25], v[22:23]
	ds_read_b64 v[20:21], v15
	s_lshl_b32 s11, s11, 3
	s_sub_i32 s11, s18, s11
	v_fma_f64 v[26:27], -v[22:23], v[24:25], 1.0
	v_fmac_f64_e32 v[24:25], v[24:25], v[26:27]
	v_fma_f64 v[26:27], -v[22:23], v[24:25], 1.0
	v_fmac_f64_e32 v[24:25], v[24:25], v[26:27]
	v_div_scale_f64 v[26:27], vcc, v[8:9], v[18:19], v[8:9]
	v_mul_f64 v[28:29], v[26:27], v[24:25]
	v_fma_f64 v[22:23], -v[22:23], v[28:29], v[26:27]
	s_lshl_b32 s12, s12, 3
	s_nop 0
	v_div_fmas_f64 v[22:23], v[22:23], v[24:25], v[28:29]
	v_div_fixup_f64 v[22:23], v[22:23], v[18:19], v[8:9]
	v_fma_f64 v[24:25], -v[22:23], v[16:17], v[6:7]
	s_waitcnt lgkmcnt(0)
	v_div_scale_f64 v[6:7], s[14:15], v[20:21], v[20:21], v[24:25]
	v_rcp_f64_e32 v[26:27], v[6:7]
	s_lshl_b32 s14, s10, 8
	s_add_i32 s14, s16, s14
	s_add_i32 s16, s16, s13
	v_fma_f64 v[8:9], -v[6:7], v[26:27], 1.0
	v_fmac_f64_e32 v[26:27], v[26:27], v[8:9]
	v_fma_f64 v[8:9], -v[6:7], v[26:27], 1.0
	v_fmac_f64_e32 v[26:27], v[26:27], v[8:9]
	v_div_scale_f64 v[8:9], vcc, v[24:25], v[20:21], v[24:25]
	v_mul_f64 v[28:29], v[8:9], v[26:27]
	s_sub_i32 s13, s17, 24
	v_fma_f64 v[30:31], -v[6:7], v[28:29], v[8:9]
	v_mov_b32_e32 v6, s13
	s_add_i32 s11, s11, s12
	v_mov_b32_e32 v15, s11
	ds_read2_b64 v[6:9], v6 offset1:1
	ds_read2_b64 v[16:19], v15 offset1:1
	s_lshl_b32 s10, s10, 3
	s_sub_i32 s10, s14, s10
	s_add_i32 s10, s10, s12
	v_div_fmas_f64 v[26:27], v[30:31], v[26:27], v[28:29]
	s_add_i32 s10, s10, -16
	v_div_fixup_f64 v[24:25], v[26:27], v[20:21], v[24:25]
	s_waitcnt lgkmcnt(1)
	v_fma_f64 v[4:5], -v[22:23], v[8:9], v[4:5]
	v_mov_b32_e32 v8, s10
	s_waitcnt lgkmcnt(0)
	v_fma_f64 v[4:5], -v[24:25], v[18:19], v[4:5]
	ds_read2_b64 v[18:21], v8 offset1:1
	s_sub_i32 s10, s16, 24
	v_mov_b32_e32 v8, s10
	ds_read_b64 v[8:9], v8
	v_fma_f64 v[2:3], -v[22:23], v[6:7], v[2:3]
	s_waitcnt lgkmcnt(1)
	v_div_scale_f64 v[26:27], s[10:11], v[20:21], v[20:21], v[4:5]
	v_rcp_f64_e32 v[28:29], v[26:27]
	v_fma_f64 v[2:3], -v[24:25], v[16:17], v[2:3]
	s_sub_i32 s8, s8, 32
	v_fma_f64 v[30:31], -v[26:27], v[28:29], 1.0
	v_fmac_f64_e32 v[28:29], v[28:29], v[30:31]
	v_fma_f64 v[30:31], -v[26:27], v[28:29], 1.0
	v_fmac_f64_e32 v[28:29], v[28:29], v[30:31]
	v_div_scale_f64 v[30:31], vcc, v[4:5], v[20:21], v[4:5]
	v_mul_f64 v[32:33], v[30:31], v[28:29]
	v_fma_f64 v[26:27], -v[26:27], v[32:33], v[30:31]
	s_nop 1
	v_div_fmas_f64 v[26:27], v[26:27], v[28:29], v[32:33]
	v_div_fixup_f64 v[4:5], v[26:27], v[20:21], v[4:5]
	v_fma_f64 v[2:3], -v[4:5], v[18:19], v[2:3]
	s_waitcnt lgkmcnt(0)
	v_div_scale_f64 v[6:7], s[10:11], v[8:9], v[8:9], v[2:3]
	v_rcp_f64_e32 v[16:17], v[6:7]
	ds_write_b64 v12, v[22:23]
	ds_write_b64 v13, v[24:25]
	;; [unrolled: 1-line block ×3, first 2 shown]
	s_add_i32 s10, s9, -4
	s_cmp_lt_i32 s9, 7
	v_fma_f64 v[4:5], -v[6:7], v[16:17], 1.0
	v_fmac_f64_e32 v[16:17], v[16:17], v[4:5]
	v_fma_f64 v[4:5], -v[6:7], v[16:17], 1.0
	v_fmac_f64_e32 v[16:17], v[16:17], v[4:5]
	v_div_scale_f64 v[4:5], vcc, v[2:3], v[8:9], v[2:3]
	v_mul_f64 v[12:13], v[4:5], v[16:17]
	v_fma_f64 v[4:5], -v[6:7], v[12:13], v[4:5]
	s_nop 1
	v_div_fmas_f64 v[4:5], v[4:5], v[16:17], v[12:13]
	v_div_fixup_f64 v[2:3], v[4:5], v[8:9], v[2:3]
	ds_write_b64 v11, v[2:3]
	s_cbranch_scc1 .LBB106_31
; %bb.30:                               ;   in Loop: Header=BB106_27 Depth=1
	s_mov_b32 s9, s10
	s_branch .LBB106_27
.LBB106_31:
	s_cmp_lt_i32 s10, 0
	s_cbranch_scc1 .LBB106_44
; %bb.32:
	s_bitcmp1_b32 s10, 0
	s_cselect_b64 s[8:9], -1, 0
	s_and_b64 vcc, exec, s[8:9]
	s_mov_b32 s8, s10
	s_cbranch_vccnz .LBB106_37
; %bb.33:
	s_lshl_b32 s8, s10, 8
	v_add_u32_e32 v4, s8, v1
	ds_read_b64 v[2:3], v4
	s_cmp_le_i32 s7, s10
	s_cbranch_scc1 .LBB106_36
; %bb.34:
	s_lshl_b32 s11, s23, 8
	s_lshl_b32 s9, s10, 3
	s_add_i32 s9, s11, s9
	v_lshl_or_b32 v5, v0, 3, s11
	s_addk_i32 s9, 0xff00
	v_add_u32_e32 v5, 0x1f00, v5
	s_mov_b32 s11, s7
.LBB106_35:                             ; =>This Inner Loop Header: Depth=1
	v_mov_b32_e32 v8, s9
	ds_read_b64 v[6:7], v5
	ds_read_b64 v[8:9], v8
	s_add_i32 s11, s11, -1
	s_addk_i32 s9, 0xff00
	v_add_u32_e32 v5, 0xffffff00, v5
	s_cmp_gt_u32 s11, s10
	s_waitcnt lgkmcnt(0)
	v_fma_f64 v[2:3], -v[6:7], v[8:9], v[2:3]
	s_cbranch_scc1 .LBB106_35
.LBB106_36:
	s_lshl_b32 s9, s10, 3
	s_add_i32 s8, s9, s8
	v_mov_b32_e32 v5, s8
	ds_read_b64 v[6:7], v5
	s_waitcnt lgkmcnt(0)
	v_div_scale_f64 v[8:9], s[8:9], v[6:7], v[6:7], v[2:3]
	v_rcp_f64_e32 v[10:11], v[8:9]
	v_div_scale_f64 v[12:13], vcc, v[2:3], v[6:7], v[2:3]
	s_add_i32 s8, s10, -1
	v_fma_f64 v[14:15], -v[8:9], v[10:11], 1.0
	v_fmac_f64_e32 v[10:11], v[10:11], v[14:15]
	v_fma_f64 v[14:15], -v[8:9], v[10:11], 1.0
	v_fmac_f64_e32 v[10:11], v[10:11], v[14:15]
	v_mul_f64 v[14:15], v[12:13], v[10:11]
	v_fma_f64 v[8:9], -v[8:9], v[14:15], v[12:13]
	v_div_fmas_f64 v[8:9], v[8:9], v[10:11], v[14:15]
	v_div_fixup_f64 v[2:3], v[8:9], v[6:7], v[2:3]
	ds_write_b64 v4, v[2:3]
.LBB106_37:
	s_cmp_eq_u32 s10, 0
	s_cbranch_scc1 .LBB106_44
; %bb.38:
	s_lshl_b32 s10, s23, 8
	s_lshl_b32 s9, s8, 3
	s_add_i32 s11, s10, s9
	v_lshl_or_b32 v2, v0, 3, s10
	s_add_i32 s9, s11, 0xffffff00
	v_add_u32_e32 v6, 0x1f00, v2
	s_add_i32 s10, s11, 0xfffffef8
	s_branch .LBB106_40
.LBB106_39:                             ;   in Loop: Header=BB106_40 Depth=1
	s_add_i32 s12, s12, s13
	s_add_i32 s12, s12, -8
	v_mov_b32_e32 v4, s12
	ds_read_b64 v[4:5], v4
	s_add_i32 s8, s8, -2
	s_add_i32 s9, s9, -16
	;; [unrolled: 1-line block ×3, first 2 shown]
	s_cmp_eq_u32 s11, 0
	s_waitcnt lgkmcnt(0)
	v_div_scale_f64 v[8:9], s[12:13], v[4:5], v[4:5], v[2:3]
	v_rcp_f64_e32 v[10:11], v[8:9]
	v_div_scale_f64 v[12:13], vcc, v[2:3], v[4:5], v[2:3]
	v_fma_f64 v[14:15], -v[8:9], v[10:11], 1.0
	v_fmac_f64_e32 v[10:11], v[10:11], v[14:15]
	v_fma_f64 v[14:15], -v[8:9], v[10:11], 1.0
	v_fmac_f64_e32 v[10:11], v[10:11], v[14:15]
	v_mul_f64 v[14:15], v[12:13], v[10:11]
	v_fma_f64 v[8:9], -v[8:9], v[14:15], v[12:13]
	v_div_fmas_f64 v[8:9], v[8:9], v[10:11], v[14:15]
	v_div_fixup_f64 v[2:3], v[8:9], v[4:5], v[2:3]
	ds_write_b64 v7, v[2:3]
	s_cbranch_scc1 .LBB106_44
.LBB106_40:                             ; =>This Loop Header: Depth=1
                                        ;     Child Loop BB106_41 Depth 2
                                        ;     Child Loop BB106_43 Depth 2
	s_lshl_b32 s11, s8, 8
	v_add_u32_e32 v8, s11, v1
	ds_read_b64 v[4:5], v8
	s_cmp_le_i32 s7, s8
	v_mov_b32_e32 v2, v6
	s_mov_b32 s12, s9
	s_mov_b32 s13, s7
	s_cbranch_scc1 .LBB106_42
.LBB106_41:                             ;   Parent Loop BB106_40 Depth=1
                                        ; =>  This Inner Loop Header: Depth=2
	v_mov_b32_e32 v3, s12
	ds_read_b64 v[10:11], v2
	ds_read_b64 v[12:13], v3
	s_add_i32 s13, s13, -1
	s_addk_i32 s12, 0xff00
	v_add_u32_e32 v2, 0xffffff00, v2
	s_cmp_le_u32 s13, s8
	s_waitcnt lgkmcnt(0)
	v_fma_f64 v[4:5], -v[10:11], v[12:13], v[4:5]
	s_cbranch_scc0 .LBB106_41
.LBB106_42:                             ;   in Loop: Header=BB106_40 Depth=1
	s_lshl_b32 s12, s8, 3
	s_add_i32 s11, s12, s11
	v_mov_b32_e32 v2, s11
	ds_read_b64 v[10:11], v2
	s_add_i32 s11, s8, -1
	s_lshl_b32 s13, s11, 8
	v_add_u32_e32 v7, s13, v1
	ds_read_b64 v[2:3], v7
	s_waitcnt lgkmcnt(1)
	v_div_scale_f64 v[12:13], s[14:15], v[10:11], v[10:11], v[4:5]
	v_rcp_f64_e32 v[14:15], v[12:13]
	v_div_scale_f64 v[16:17], vcc, v[4:5], v[10:11], v[4:5]
	s_cmp_le_i32 s23, s8
	v_fma_f64 v[18:19], -v[12:13], v[14:15], 1.0
	v_fmac_f64_e32 v[14:15], v[14:15], v[18:19]
	v_fma_f64 v[18:19], -v[12:13], v[14:15], 1.0
	v_fmac_f64_e32 v[14:15], v[14:15], v[18:19]
	v_mul_f64 v[18:19], v[16:17], v[14:15]
	v_fma_f64 v[12:13], -v[12:13], v[18:19], v[16:17]
	v_div_fmas_f64 v[12:13], v[12:13], v[14:15], v[18:19]
	v_div_fixup_f64 v[4:5], v[12:13], v[10:11], v[4:5]
	ds_write_b64 v8, v[4:5]
	v_mov_b32_e32 v4, v6
	s_mov_b32 s14, s10
	s_mov_b32 s15, s7
	s_cbranch_scc1 .LBB106_39
.LBB106_43:                             ;   Parent Loop BB106_40 Depth=1
                                        ; =>  This Inner Loop Header: Depth=2
	v_mov_b32_e32 v5, s14
	ds_read_b64 v[8:9], v4
	ds_read_b64 v[10:11], v5
	s_add_i32 s15, s15, -1
	s_addk_i32 s14, 0xff00
	v_add_u32_e32 v4, 0xffffff00, v4
	s_cmp_gt_u32 s15, s11
	s_waitcnt lgkmcnt(0)
	v_fma_f64 v[2:3], -v[8:9], v[10:11], v[2:3]
	s_cbranch_scc1 .LBB106_43
	s_branch .LBB106_39
.LBB106_44:
	s_mov_b64 s[12:13], 0
.LBB106_45:
	s_andn2_b64 vcc, exec, s[12:13]
	s_cbranch_vccnz .LBB106_65
; %bb.46:
	s_andn2_b64 vcc, exec, s[4:5]
	s_mov_b32 s8, s7
	s_cbranch_vccnz .LBB106_52
; %bb.47:
	v_lshlrev_b32_e32 v2, 3, v0
	v_lshl_or_b32 v2, s23, 8, v2
	s_mul_i32 s4, s23, 0x108
	v_add_u32_e32 v10, 0x1f00, v2
	s_addk_i32 s4, 0xfbf8
	s_mov_b32 s5, s7
.LBB106_48:                             ; =>This Loop Header: Depth=1
                                        ;     Child Loop BB106_49 Depth 2
	v_lshl_add_u32 v12, s5, 8, v1
	s_add_i32 s10, s5, -1
	s_add_i32 s9, s5, -2
	;; [unrolled: 1-line block ×3, first 2 shown]
	v_lshl_add_u32 v13, s10, 8, v1
	v_lshl_add_u32 v14, s9, 8, v1
	;; [unrolled: 1-line block ×3, first 2 shown]
	ds_read_b64 v[8:9], v12
	ds_read_b64 v[6:7], v13
	;; [unrolled: 1-line block ×4, first 2 shown]
	s_cmp_le_i32 s7, s5
	s_mov_b32 s11, s4
	v_mov_b32_e32 v15, v10
	s_mov_b32 s12, s7
	s_cbranch_scc1 .LBB106_50
.LBB106_49:                             ;   Parent Loop BB106_48 Depth=1
                                        ; =>  This Inner Loop Header: Depth=2
	v_mov_b32_e32 v20, s11
	ds_read_b64 v[24:25], v15
	ds_read2_b64 v[16:19], v20 offset0:64 offset1:96
	ds_read2_b64 v[20:23], v20 offset1:32
	s_add_i32 s12, s12, -1
	s_add_i32 s11, s11, -8
	v_add_u32_e32 v15, 0xffffff00, v15
	s_cmp_le_i32 s12, s5
	s_waitcnt lgkmcnt(1)
	v_fma_f64 v[8:9], -v[24:25], v[18:19], v[8:9]
	v_fma_f64 v[6:7], -v[24:25], v[16:17], v[6:7]
	s_waitcnt lgkmcnt(0)
	v_fma_f64 v[4:5], -v[24:25], v[22:23], v[4:5]
	v_fma_f64 v[2:3], -v[24:25], v[20:21], v[2:3]
	s_cbranch_scc0 .LBB106_49
.LBB106_50:                             ;   in Loop: Header=BB106_48 Depth=1
	s_mul_i32 s14, s5, 0x108
	v_mov_b32_e32 v15, s14
	ds_read_b64 v[20:21], v15
	s_lshl_b32 s13, s10, 5
	s_lshl_b32 s13, s13, 3
	;; [unrolled: 1-line block ×3, first 2 shown]
	s_add_i32 s10, s13, s10
	s_waitcnt lgkmcnt(0)
	v_div_scale_f64 v[22:23], s[14:15], v[20:21], v[20:21], v[8:9]
	v_rcp_f64_e32 v[24:25], v[22:23]
	v_mov_b32_e32 v15, s10
	ds_read2_b64 v[16:19], v15 offset1:1
	s_lshl_b32 s12, s9, 5
	v_fma_f64 v[26:27], -v[22:23], v[24:25], 1.0
	v_fmac_f64_e32 v[24:25], v[24:25], v[26:27]
	v_fma_f64 v[26:27], -v[22:23], v[24:25], 1.0
	v_fmac_f64_e32 v[24:25], v[24:25], v[26:27]
	v_div_scale_f64 v[26:27], vcc, v[8:9], v[20:21], v[8:9]
	v_mul_f64 v[28:29], v[26:27], v[24:25]
	v_fma_f64 v[22:23], -v[22:23], v[28:29], v[26:27]
	s_lshl_b32 s10, s12, 3
	s_nop 0
	v_div_fmas_f64 v[22:23], v[22:23], v[24:25], v[28:29]
	v_div_fixup_f64 v[24:25], v[22:23], v[20:21], v[8:9]
	s_waitcnt lgkmcnt(0)
	v_fma_f64 v[18:19], -v[24:25], v[18:19], v[6:7]
	v_div_scale_f64 v[6:7], s[14:15], v[16:17], v[16:17], v[18:19]
	v_rcp_f64_e32 v[20:21], v[6:7]
	s_lshl_b32 s14, s5, 3
	s_lshl_b32 s9, s9, 3
	s_add_i32 s12, s10, s14
	v_fma_f64 v[8:9], -v[6:7], v[20:21], 1.0
	v_fmac_f64_e32 v[20:21], v[20:21], v[8:9]
	v_fma_f64 v[8:9], -v[6:7], v[20:21], 1.0
	v_fmac_f64_e32 v[20:21], v[20:21], v[8:9]
	v_div_scale_f64 v[8:9], vcc, v[18:19], v[16:17], v[18:19]
	v_mul_f64 v[22:23], v[8:9], v[20:21]
	s_add_i32 s9, s10, s9
	v_fma_f64 v[26:27], -v[6:7], v[22:23], v[8:9]
	v_mov_b32_e32 v6, s12
	v_mov_b32_e32 v7, s9
	ds_read_b64 v[28:29], v6
	ds_read2_b64 v[6:9], v7 offset1:1
	v_div_fmas_f64 v[20:21], v[26:27], v[20:21], v[22:23]
	v_div_fixup_f64 v[26:27], v[20:21], v[16:17], v[18:19]
	s_lshl_b32 s11, s8, 5
	s_waitcnt lgkmcnt(1)
	v_fma_f64 v[4:5], -v[24:25], v[28:29], v[4:5]
	s_waitcnt lgkmcnt(0)
	v_fma_f64 v[4:5], -v[26:27], v[8:9], v[4:5]
	v_div_scale_f64 v[8:9], s[12:13], v[6:7], v[6:7], v[4:5]
	v_rcp_f64_e32 v[28:29], v[8:9]
	s_lshl_b32 s9, s11, 3
	s_add_i32 s10, s9, s14
	s_lshl_b32 s8, s8, 3
	v_fma_f64 v[16:17], -v[8:9], v[28:29], 1.0
	v_fmac_f64_e32 v[28:29], v[28:29], v[16:17]
	v_fma_f64 v[16:17], -v[8:9], v[28:29], 1.0
	v_fmac_f64_e32 v[28:29], v[28:29], v[16:17]
	v_div_scale_f64 v[16:17], vcc, v[4:5], v[6:7], v[4:5]
	s_add_i32 s10, s10, -8
	s_add_i32 s8, s9, s8
	v_mul_f64 v[30:31], v[16:17], v[28:29]
	v_mov_b32_e32 v15, s10
	v_mov_b32_e32 v20, s8
	v_fma_f64 v[8:9], -v[8:9], v[30:31], v[16:17]
	ds_read2_b64 v[16:19], v15 offset1:1
	ds_read2_b64 v[20:23], v20 offset1:1
	v_div_fmas_f64 v[8:9], v[8:9], v[28:29], v[30:31]
	v_div_fixup_f64 v[4:5], v[8:9], v[6:7], v[4:5]
	ds_write_b64 v12, v[24:25]
	ds_write_b64 v13, v[26:27]
	;; [unrolled: 1-line block ×3, first 2 shown]
	s_waitcnt lgkmcnt(4)
	v_fma_f64 v[2:3], -v[24:25], v[18:19], v[2:3]
	v_fma_f64 v[2:3], -v[26:27], v[16:17], v[2:3]
	s_waitcnt lgkmcnt(3)
	v_fma_f64 v[2:3], -v[4:5], v[22:23], v[2:3]
	v_div_scale_f64 v[6:7], s[8:9], v[20:21], v[20:21], v[2:3]
	v_rcp_f64_e32 v[8:9], v[6:7]
	s_add_i32 s8, s5, -4
	s_addk_i32 s4, 0xfc00
	s_cmp_lt_i32 s5, 7
	v_fma_f64 v[4:5], -v[6:7], v[8:9], 1.0
	v_fmac_f64_e32 v[8:9], v[8:9], v[4:5]
	v_fma_f64 v[4:5], -v[6:7], v[8:9], 1.0
	v_fmac_f64_e32 v[8:9], v[8:9], v[4:5]
	v_div_scale_f64 v[4:5], vcc, v[2:3], v[20:21], v[2:3]
	v_mul_f64 v[12:13], v[4:5], v[8:9]
	v_fma_f64 v[4:5], -v[6:7], v[12:13], v[4:5]
	s_nop 1
	v_div_fmas_f64 v[4:5], v[4:5], v[8:9], v[12:13]
	v_div_fixup_f64 v[2:3], v[4:5], v[20:21], v[2:3]
	ds_write_b64 v11, v[2:3]
	s_cbranch_scc1 .LBB106_52
; %bb.51:                               ;   in Loop: Header=BB106_48 Depth=1
	s_mov_b32 s5, s8
	s_branch .LBB106_48
.LBB106_52:
	s_cmp_lt_i32 s8, 0
	s_cbranch_scc1 .LBB106_65
; %bb.53:
	s_bitcmp1_b32 s8, 0
	s_cselect_b64 s[4:5], -1, 0
	s_and_b64 vcc, exec, s[4:5]
	s_mov_b32 s4, s8
	s_cbranch_vccnz .LBB106_58
; %bb.54:
	v_lshl_add_u32 v4, s8, 8, v1
	ds_read_b64 v[2:3], v4
	s_cmp_le_i32 s7, s8
	s_cbranch_scc1 .LBB106_57
; %bb.55:
	s_lshl_b32 s4, s8, 8
	s_lshl_b32 s5, s23, 3
	v_lshlrev_b32_e32 v5, 3, v0
	s_add_i32 s4, s4, s5
	v_lshl_or_b32 v5, s23, 8, v5
	s_add_i32 s4, s4, -8
	v_add_u32_e32 v5, 0x1f00, v5
	s_mov_b32 s5, s7
.LBB106_56:                             ; =>This Inner Loop Header: Depth=1
	v_mov_b32_e32 v8, s4
	ds_read_b64 v[6:7], v5
	ds_read_b64 v[8:9], v8
	s_add_i32 s5, s5, -1
	s_add_i32 s4, s4, -8
	v_add_u32_e32 v5, 0xffffff00, v5
	s_cmp_gt_u32 s5, s8
	s_waitcnt lgkmcnt(0)
	v_fma_f64 v[2:3], -v[6:7], v[8:9], v[2:3]
	s_cbranch_scc1 .LBB106_56
.LBB106_57:
	s_mul_i32 s4, s8, 0x108
	v_mov_b32_e32 v5, s4
	ds_read_b64 v[6:7], v5
	s_waitcnt lgkmcnt(0)
	v_div_scale_f64 v[8:9], s[4:5], v[6:7], v[6:7], v[2:3]
	v_rcp_f64_e32 v[10:11], v[8:9]
	v_div_scale_f64 v[12:13], vcc, v[2:3], v[6:7], v[2:3]
	s_add_i32 s4, s8, -1
	v_fma_f64 v[14:15], -v[8:9], v[10:11], 1.0
	v_fmac_f64_e32 v[10:11], v[10:11], v[14:15]
	v_fma_f64 v[14:15], -v[8:9], v[10:11], 1.0
	v_fmac_f64_e32 v[10:11], v[10:11], v[14:15]
	v_mul_f64 v[14:15], v[12:13], v[10:11]
	v_fma_f64 v[8:9], -v[8:9], v[14:15], v[12:13]
	v_div_fmas_f64 v[8:9], v[8:9], v[10:11], v[14:15]
	v_div_fixup_f64 v[2:3], v[8:9], v[6:7], v[2:3]
	ds_write_b64 v4, v[2:3]
.LBB106_58:
	s_cmp_eq_u32 s8, 0
	s_cbranch_scc1 .LBB106_65
; %bb.59:
	v_lshlrev_b32_e32 v2, 3, v0
	s_lshl_b32 s5, s4, 8
	s_lshl_b32 s8, s23, 3
	v_lshl_or_b32 v2, s23, 8, v2
	s_add_i32 s8, s5, s8
	v_add_u32_e32 v6, 0x1f00, v2
	s_add_i32 s5, s8, -8
	s_addk_i32 s8, 0xfef8
	s_branch .LBB106_61
.LBB106_60:                             ;   in Loop: Header=BB106_61 Depth=1
	s_addk_i32 s10, 0xfef8
	v_mov_b32_e32 v4, s10
	ds_read_b64 v[4:5], v4
	s_add_i32 s4, s4, -2
	s_addk_i32 s5, 0xfe00
	s_addk_i32 s8, 0xfe00
	s_cmp_eq_u32 s9, 0
	s_waitcnt lgkmcnt(0)
	v_div_scale_f64 v[8:9], s[10:11], v[4:5], v[4:5], v[2:3]
	v_rcp_f64_e32 v[10:11], v[8:9]
	v_div_scale_f64 v[12:13], vcc, v[2:3], v[4:5], v[2:3]
	v_fma_f64 v[14:15], -v[8:9], v[10:11], 1.0
	v_fmac_f64_e32 v[10:11], v[10:11], v[14:15]
	v_fma_f64 v[14:15], -v[8:9], v[10:11], 1.0
	v_fmac_f64_e32 v[10:11], v[10:11], v[14:15]
	v_mul_f64 v[14:15], v[12:13], v[10:11]
	v_fma_f64 v[8:9], -v[8:9], v[14:15], v[12:13]
	v_div_fmas_f64 v[8:9], v[8:9], v[10:11], v[14:15]
	v_div_fixup_f64 v[2:3], v[8:9], v[4:5], v[2:3]
	ds_write_b64 v7, v[2:3]
	s_cbranch_scc1 .LBB106_65
.LBB106_61:                             ; =>This Loop Header: Depth=1
                                        ;     Child Loop BB106_62 Depth 2
                                        ;     Child Loop BB106_64 Depth 2
	v_lshl_add_u32 v8, s4, 8, v1
	ds_read_b64 v[4:5], v8
	s_cmp_le_i32 s7, s4
	s_mov_b32 s9, s5
	v_mov_b32_e32 v2, v6
	s_mov_b32 s10, s7
	s_cbranch_scc1 .LBB106_63
.LBB106_62:                             ;   Parent Loop BB106_61 Depth=1
                                        ; =>  This Inner Loop Header: Depth=2
	v_mov_b32_e32 v3, s9
	ds_read_b64 v[10:11], v2
	ds_read_b64 v[12:13], v3
	s_add_i32 s10, s10, -1
	s_add_i32 s9, s9, -8
	v_add_u32_e32 v2, 0xffffff00, v2
	s_cmp_le_u32 s10, s4
	s_waitcnt lgkmcnt(0)
	v_fma_f64 v[4:5], -v[10:11], v[12:13], v[4:5]
	s_cbranch_scc0 .LBB106_62
.LBB106_63:                             ;   in Loop: Header=BB106_61 Depth=1
	s_mul_i32 s10, s4, 0x108
	v_mov_b32_e32 v2, s10
	ds_read_b64 v[10:11], v2
	s_add_i32 s9, s4, -1
	v_lshl_add_u32 v7, s9, 8, v1
	ds_read_b64 v[2:3], v7
	s_cmp_le_i32 s23, s4
	s_waitcnt lgkmcnt(1)
	v_div_scale_f64 v[12:13], s[12:13], v[10:11], v[10:11], v[4:5]
	v_rcp_f64_e32 v[14:15], v[12:13]
	v_div_scale_f64 v[16:17], vcc, v[4:5], v[10:11], v[4:5]
	s_mov_b32 s11, s8
	v_fma_f64 v[18:19], -v[12:13], v[14:15], 1.0
	v_fmac_f64_e32 v[14:15], v[14:15], v[18:19]
	v_fma_f64 v[18:19], -v[12:13], v[14:15], 1.0
	v_fmac_f64_e32 v[14:15], v[14:15], v[18:19]
	v_mul_f64 v[18:19], v[16:17], v[14:15]
	v_fma_f64 v[12:13], -v[12:13], v[18:19], v[16:17]
	v_div_fmas_f64 v[12:13], v[12:13], v[14:15], v[18:19]
	v_div_fixup_f64 v[4:5], v[12:13], v[10:11], v[4:5]
	ds_write_b64 v8, v[4:5]
	v_mov_b32_e32 v4, v6
	s_mov_b32 s12, s7
	s_cbranch_scc1 .LBB106_60
.LBB106_64:                             ;   Parent Loop BB106_61 Depth=1
                                        ; =>  This Inner Loop Header: Depth=2
	v_mov_b32_e32 v5, s11
	ds_read_b64 v[8:9], v4
	ds_read_b64 v[10:11], v5
	s_add_i32 s12, s12, -1
	s_add_i32 s11, s11, -8
	v_add_u32_e32 v4, 0xffffff00, v4
	s_cmp_gt_u32 s12, s9
	s_waitcnt lgkmcnt(0)
	v_fma_f64 v[2:3], -v[8:9], v[10:11], v[2:3]
	s_cbranch_scc1 .LBB106_64
	s_branch .LBB106_60
.LBB106_65:
	s_mov_b64 s[12:13], 0
.LBB106_66:
	s_andn2_b64 vcc, exec, s[12:13]
	s_cbranch_vccnz .LBB106_78
; %bb.67:
	v_mov_b32_e32 v1, 0x2000
	v_lshl_or_b32 v1, v0, 3, v1
	s_cmp_lt_i32 s22, 4
	s_mov_b32 s7, 0
	s_cbranch_scc1 .LBB106_73
; %bb.68:
	s_mov_b32 s4, 0
	s_mov_b32 s5, 0
.LBB106_69:                             ; =>This Loop Header: Depth=1
                                        ;     Child Loop BB106_70 Depth 2
	s_or_b32 s8, s5, 3
	v_lshl_add_u32 v11, s5, 8, v1
	s_or_b32 s9, s5, 1
	s_or_b32 s7, s5, 2
	v_lshl_add_u32 v12, s9, 8, v1
	v_lshl_add_u32 v13, s7, 8, v1
	;; [unrolled: 1-line block ×3, first 2 shown]
	ds_read_b64 v[8:9], v11
	ds_read_b64 v[6:7], v12
	ds_read_b64 v[4:5], v13
	ds_read_b64 v[2:3], v10
	s_cmp_eq_u32 s5, 0
	s_mov_b32 s10, s4
	v_mov_b32_e32 v14, v1
	s_mov_b32 s11, s5
	s_cbranch_scc1 .LBB106_71
.LBB106_70:                             ;   Parent Loop BB106_69 Depth=1
                                        ; =>  This Inner Loop Header: Depth=2
	v_mov_b32_e32 v15, s10
	ds_read_b64 v[24:25], v14
	ds_read2_b64 v[16:19], v15 offset1:32
	ds_read2_b64 v[20:23], v15 offset0:64 offset1:96
	s_add_i32 s11, s11, -1
	s_add_i32 s10, s10, 8
	v_add_u32_e32 v14, 0x100, v14
	s_cmp_eq_u32 s11, 0
	s_waitcnt lgkmcnt(1)
	v_fma_f64 v[8:9], -v[24:25], v[16:17], v[8:9]
	v_fma_f64 v[6:7], -v[24:25], v[18:19], v[6:7]
	s_waitcnt lgkmcnt(0)
	v_fma_f64 v[4:5], -v[24:25], v[20:21], v[4:5]
	v_fma_f64 v[2:3], -v[24:25], v[22:23], v[2:3]
	s_cbranch_scc0 .LBB106_70
.LBB106_71:                             ;   in Loop: Header=BB106_69 Depth=1
	s_mul_i32 s11, s5, 0x108
	v_mov_b32_e32 v14, s11
	ds_read_b64 v[18:19], v14
	s_lshl_b32 s10, s9, 5
	s_lshl_b32 s10, s10, 3
	;; [unrolled: 1-line block ×3, first 2 shown]
	s_add_i32 s10, s10, s12
	v_mov_b32_e32 v14, s10
	s_waitcnt lgkmcnt(0)
	v_div_scale_f64 v[20:21], s[10:11], v[18:19], v[18:19], v[8:9]
	v_rcp_f64_e32 v[22:23], v[20:21]
	ds_read_b128 v[14:17], v14
	s_lshl_b32 s9, s7, 5
	s_lshl_b32 s9, s9, 3
	v_fma_f64 v[24:25], -v[20:21], v[22:23], 1.0
	v_fmac_f64_e32 v[22:23], v[22:23], v[24:25]
	v_fma_f64 v[24:25], -v[20:21], v[22:23], 1.0
	v_fmac_f64_e32 v[22:23], v[22:23], v[24:25]
	v_div_scale_f64 v[24:25], vcc, v[8:9], v[18:19], v[8:9]
	v_mul_f64 v[26:27], v[24:25], v[22:23]
	v_fma_f64 v[20:21], -v[20:21], v[26:27], v[24:25]
	s_lshl_b32 s7, s7, 3
	s_nop 0
	v_div_fmas_f64 v[20:21], v[20:21], v[22:23], v[26:27]
	v_div_fixup_f64 v[18:19], v[20:21], v[18:19], v[8:9]
	s_waitcnt lgkmcnt(0)
	v_fma_f64 v[14:15], -v[18:19], v[14:15], v[6:7]
	v_div_scale_f64 v[6:7], s[10:11], v[16:17], v[16:17], v[14:15]
	v_rcp_f64_e32 v[8:9], v[6:7]
	s_add_i32 s10, s9, s12
	s_add_i32 s7, s9, s7
	s_lshl_b32 s8, s8, 5
	v_fma_f64 v[20:21], -v[6:7], v[8:9], 1.0
	v_fmac_f64_e32 v[8:9], v[8:9], v[20:21]
	v_fma_f64 v[20:21], -v[6:7], v[8:9], 1.0
	v_fmac_f64_e32 v[8:9], v[8:9], v[20:21]
	v_div_scale_f64 v[20:21], vcc, v[14:15], v[16:17], v[14:15]
	v_mul_f64 v[22:23], v[20:21], v[8:9]
	v_fma_f64 v[6:7], -v[6:7], v[22:23], v[20:21]
	s_addk_i32 s4, 0x400
	s_nop 0
	v_div_fmas_f64 v[20:21], v[6:7], v[8:9], v[22:23]
	v_mov_b32_e32 v6, s10
	ds_read_b128 v[6:9], v6
	v_mov_b32_e32 v22, s7
	ds_read_b64 v[22:23], v22
	v_div_fixup_f64 v[20:21], v[20:21], v[16:17], v[14:15]
	s_lshl_b32 s7, s8, 3
	s_waitcnt lgkmcnt(1)
	v_fma_f64 v[4:5], -v[18:19], v[6:7], v[4:5]
	v_fma_f64 v[8:9], -v[20:21], v[8:9], v[4:5]
	s_waitcnt lgkmcnt(0)
	v_div_scale_f64 v[4:5], s[10:11], v[22:23], v[22:23], v[8:9]
	v_rcp_f64_e32 v[24:25], v[4:5]
	s_add_i32 s7, s7, s12
	v_mov_b32_e32 v14, s7
	s_add_i32 s7, s5, 4
	v_fma_f64 v[6:7], -v[4:5], v[24:25], 1.0
	v_fmac_f64_e32 v[24:25], v[24:25], v[6:7]
	v_fma_f64 v[6:7], -v[4:5], v[24:25], 1.0
	v_fmac_f64_e32 v[24:25], v[24:25], v[6:7]
	v_div_scale_f64 v[6:7], vcc, v[8:9], v[22:23], v[8:9]
	v_mul_f64 v[26:27], v[6:7], v[24:25]
	v_fma_f64 v[28:29], -v[4:5], v[26:27], v[6:7]
	ds_read_b128 v[4:7], v14
	ds_read_b128 v[14:17], v14 offset:16
	v_div_fmas_f64 v[24:25], v[28:29], v[24:25], v[26:27]
	v_div_fixup_f64 v[8:9], v[24:25], v[22:23], v[8:9]
	ds_write_b64 v11, v[18:19]
	ds_write_b64 v12, v[20:21]
	;; [unrolled: 1-line block ×3, first 2 shown]
	s_waitcnt lgkmcnt(4)
	v_fma_f64 v[2:3], -v[18:19], v[4:5], v[2:3]
	v_fma_f64 v[2:3], -v[20:21], v[6:7], v[2:3]
	s_waitcnt lgkmcnt(3)
	v_fma_f64 v[2:3], -v[8:9], v[14:15], v[2:3]
	v_div_scale_f64 v[4:5], s[8:9], v[16:17], v[16:17], v[2:3]
	v_rcp_f64_e32 v[6:7], v[4:5]
	s_add_i32 s5, s5, 7
	s_cmp_ge_i32 s5, s23
	v_fma_f64 v[8:9], -v[4:5], v[6:7], 1.0
	v_fmac_f64_e32 v[6:7], v[6:7], v[8:9]
	v_fma_f64 v[8:9], -v[4:5], v[6:7], 1.0
	v_fmac_f64_e32 v[6:7], v[6:7], v[8:9]
	v_div_scale_f64 v[8:9], vcc, v[2:3], v[16:17], v[2:3]
	v_mul_f64 v[12:13], v[8:9], v[6:7]
	v_fma_f64 v[4:5], -v[4:5], v[12:13], v[8:9]
	s_nop 1
	v_div_fmas_f64 v[4:5], v[4:5], v[6:7], v[12:13]
	v_div_fixup_f64 v[2:3], v[4:5], v[16:17], v[2:3]
	ds_write_b64 v10, v[2:3]
	s_cbranch_scc1 .LBB106_73
; %bb.72:                               ;   in Loop: Header=BB106_69 Depth=1
	s_mov_b32 s5, s7
	s_branch .LBB106_69
.LBB106_73:
	s_cmp_ge_i32 s7, s23
	s_cbranch_scc1 .LBB106_78
; %bb.74:
	v_mov_b32_e32 v2, 0x2000
	v_lshl_or_b32 v4, v0, 3, v2
	s_lshl_b32 s4, s7, 8
	s_branch .LBB106_76
.LBB106_75:                             ;   in Loop: Header=BB106_76 Depth=1
	s_mul_i32 s5, s7, 0x108
	v_mov_b32_e32 v6, s5
	ds_read_b64 v[6:7], v6
	s_add_i32 s7, s7, 1
	s_addk_i32 s4, 0x100
	s_cmp_ge_i32 s7, s23
	s_waitcnt lgkmcnt(0)
	v_div_scale_f64 v[8:9], s[8:9], v[6:7], v[6:7], v[2:3]
	v_rcp_f64_e32 v[10:11], v[8:9]
	v_div_scale_f64 v[12:13], vcc, v[2:3], v[6:7], v[2:3]
	v_fma_f64 v[14:15], -v[8:9], v[10:11], 1.0
	v_fmac_f64_e32 v[10:11], v[10:11], v[14:15]
	v_fma_f64 v[14:15], -v[8:9], v[10:11], 1.0
	v_fmac_f64_e32 v[10:11], v[10:11], v[14:15]
	v_mul_f64 v[14:15], v[12:13], v[10:11]
	v_fma_f64 v[8:9], -v[8:9], v[14:15], v[12:13]
	v_div_fmas_f64 v[8:9], v[8:9], v[10:11], v[14:15]
	v_div_fixup_f64 v[2:3], v[8:9], v[6:7], v[2:3]
	ds_write_b64 v5, v[2:3]
	s_cbranch_scc1 .LBB106_78
.LBB106_76:                             ; =>This Loop Header: Depth=1
                                        ;     Child Loop BB106_77 Depth 2
	v_lshl_add_u32 v5, s7, 8, v1
	ds_read_b64 v[2:3], v5
	s_cmp_eq_u32 s7, 0
	s_mov_b32 s5, s4
	v_mov_b32_e32 v6, v4
	s_mov_b32 s8, s7
	s_cbranch_scc1 .LBB106_75
.LBB106_77:                             ;   Parent Loop BB106_76 Depth=1
                                        ; =>  This Inner Loop Header: Depth=2
	v_mov_b32_e32 v7, s5
	ds_read_b64 v[8:9], v6
	ds_read_b64 v[10:11], v7
	s_add_i32 s8, s8, -1
	s_add_i32 s5, s5, 8
	v_add_u32_e32 v6, 0x100, v6
	s_cmp_eq_u32 s8, 0
	s_waitcnt lgkmcnt(0)
	v_fma_f64 v[2:3], -v[8:9], v[10:11], v[2:3]
	s_cbranch_scc0 .LBB106_77
	s_branch .LBB106_75
.LBB106_78:
	s_and_saveexec_b64 s[4:5], s[0:1]
	s_cbranch_execz .LBB106_82
; %bb.79:
	s_cmp_lt_i32 s22, 1
	s_cbranch_scc1 .LBB106_82
; %bb.80:
	s_ashr_i32 s7, s6, 31
	v_lshlrev_b32_e32 v2, 3, v0
	v_mov_b32_e32 v3, 0
	v_lshl_add_u64 v[0:1], s[2:3], 0, v[2:3]
	s_lshl_b64 s[0:1], s[6:7], 3
	v_or_b32_e32 v2, 0x2000, v2
.LBB106_81:                             ; =>This Inner Loop Header: Depth=1
	ds_read_b64 v[4:5], v2
	s_add_i32 s22, s22, -1
	v_add_u32_e32 v2, 0x100, v2
	s_cmp_lg_u32 s22, 0
	s_waitcnt lgkmcnt(0)
	flat_store_dwordx2 v[0:1], v[4:5]
	v_lshl_add_u64 v[0:1], v[0:1], 0, s[0:1]
	s_cbranch_scc1 .LBB106_81
.LBB106_82:
	s_endpgm
	.section	.rodata,"a",@progbits
	.p2align	6, 0x0
	.amdhsa_kernel _ZL31rocblas_trsm_small_right_deviceIddPKPKdPKPdLi32EEv13rocblas_fill_18rocblas_operation_17rocblas_diagonal_iiT0_T1_lilT2_lili
		.amdhsa_group_segment_fixed_size 16384
		.amdhsa_private_segment_fixed_size 0
		.amdhsa_kernarg_size 360
		.amdhsa_user_sgpr_count 2
		.amdhsa_user_sgpr_dispatch_ptr 0
		.amdhsa_user_sgpr_queue_ptr 0
		.amdhsa_user_sgpr_kernarg_segment_ptr 1
		.amdhsa_user_sgpr_dispatch_id 0
		.amdhsa_user_sgpr_kernarg_preload_length 0
		.amdhsa_user_sgpr_kernarg_preload_offset 0
		.amdhsa_user_sgpr_private_segment_size 0
		.amdhsa_uses_dynamic_stack 0
		.amdhsa_enable_private_segment 0
		.amdhsa_system_sgpr_workgroup_id_x 1
		.amdhsa_system_sgpr_workgroup_id_y 0
		.amdhsa_system_sgpr_workgroup_id_z 1
		.amdhsa_system_sgpr_workgroup_info 0
		.amdhsa_system_vgpr_workitem_id 0
		.amdhsa_next_free_vgpr 129
		.amdhsa_next_free_sgpr 96
		.amdhsa_accum_offset 40
		.amdhsa_reserve_vcc 1
		.amdhsa_float_round_mode_32 0
		.amdhsa_float_round_mode_16_64 0
		.amdhsa_float_denorm_mode_32 3
		.amdhsa_float_denorm_mode_16_64 3
		.amdhsa_dx10_clamp 1
		.amdhsa_ieee_mode 1
		.amdhsa_fp16_overflow 0
		.amdhsa_tg_split 0
		.amdhsa_exception_fp_ieee_invalid_op 0
		.amdhsa_exception_fp_denorm_src 0
		.amdhsa_exception_fp_ieee_div_zero 0
		.amdhsa_exception_fp_ieee_overflow 0
		.amdhsa_exception_fp_ieee_underflow 0
		.amdhsa_exception_fp_ieee_inexact 0
		.amdhsa_exception_int_div_zero 0
	.end_amdhsa_kernel
	.section	.text._ZL31rocblas_trsm_small_right_deviceIddPKPKdPKPdLi32EEv13rocblas_fill_18rocblas_operation_17rocblas_diagonal_iiT0_T1_lilT2_lili,"axG",@progbits,_ZL31rocblas_trsm_small_right_deviceIddPKPKdPKPdLi32EEv13rocblas_fill_18rocblas_operation_17rocblas_diagonal_iiT0_T1_lilT2_lili,comdat
.Lfunc_end106:
	.size	_ZL31rocblas_trsm_small_right_deviceIddPKPKdPKPdLi32EEv13rocblas_fill_18rocblas_operation_17rocblas_diagonal_iiT0_T1_lilT2_lili, .Lfunc_end106-_ZL31rocblas_trsm_small_right_deviceIddPKPKdPKPdLi32EEv13rocblas_fill_18rocblas_operation_17rocblas_diagonal_iiT0_T1_lilT2_lili
                                        ; -- End function
	.set _ZL31rocblas_trsm_small_right_deviceIddPKPKdPKPdLi32EEv13rocblas_fill_18rocblas_operation_17rocblas_diagonal_iiT0_T1_lilT2_lili.num_vgpr, 40
	.set _ZL31rocblas_trsm_small_right_deviceIddPKPKdPKPdLi32EEv13rocblas_fill_18rocblas_operation_17rocblas_diagonal_iiT0_T1_lilT2_lili.num_agpr, 0
	.set _ZL31rocblas_trsm_small_right_deviceIddPKPKdPKPdLi32EEv13rocblas_fill_18rocblas_operation_17rocblas_diagonal_iiT0_T1_lilT2_lili.numbered_sgpr, 26
	.set _ZL31rocblas_trsm_small_right_deviceIddPKPKdPKPdLi32EEv13rocblas_fill_18rocblas_operation_17rocblas_diagonal_iiT0_T1_lilT2_lili.num_named_barrier, 0
	.set _ZL31rocblas_trsm_small_right_deviceIddPKPKdPKPdLi32EEv13rocblas_fill_18rocblas_operation_17rocblas_diagonal_iiT0_T1_lilT2_lili.private_seg_size, 0
	.set _ZL31rocblas_trsm_small_right_deviceIddPKPKdPKPdLi32EEv13rocblas_fill_18rocblas_operation_17rocblas_diagonal_iiT0_T1_lilT2_lili.uses_vcc, 1
	.set _ZL31rocblas_trsm_small_right_deviceIddPKPKdPKPdLi32EEv13rocblas_fill_18rocblas_operation_17rocblas_diagonal_iiT0_T1_lilT2_lili.uses_flat_scratch, 0
	.set _ZL31rocblas_trsm_small_right_deviceIddPKPKdPKPdLi32EEv13rocblas_fill_18rocblas_operation_17rocblas_diagonal_iiT0_T1_lilT2_lili.has_dyn_sized_stack, 0
	.set _ZL31rocblas_trsm_small_right_deviceIddPKPKdPKPdLi32EEv13rocblas_fill_18rocblas_operation_17rocblas_diagonal_iiT0_T1_lilT2_lili.has_recursion, 0
	.set _ZL31rocblas_trsm_small_right_deviceIddPKPKdPKPdLi32EEv13rocblas_fill_18rocblas_operation_17rocblas_diagonal_iiT0_T1_lilT2_lili.has_indirect_call, 0
	.section	.AMDGPU.csdata,"",@progbits
; Kernel info:
; codeLenInByte = 5844
; TotalNumSgprs: 32
; NumVgprs: 40
; NumAgprs: 0
; TotalNumVgprs: 40
; ScratchSize: 0
; MemoryBound: 0
; FloatMode: 240
; IeeeMode: 1
; LDSByteSize: 16384 bytes/workgroup (compile time only)
; SGPRBlocks: 12
; VGPRBlocks: 16
; NumSGPRsForWavesPerEU: 102
; NumVGPRsForWavesPerEU: 129
; AccumOffset: 40
; Occupancy: 3
; WaveLimiterHint : 0
; COMPUTE_PGM_RSRC2:SCRATCH_EN: 0
; COMPUTE_PGM_RSRC2:USER_SGPR: 2
; COMPUTE_PGM_RSRC2:TRAP_HANDLER: 0
; COMPUTE_PGM_RSRC2:TGID_X_EN: 1
; COMPUTE_PGM_RSRC2:TGID_Y_EN: 0
; COMPUTE_PGM_RSRC2:TGID_Z_EN: 1
; COMPUTE_PGM_RSRC2:TIDIG_COMP_CNT: 0
; COMPUTE_PGM_RSRC3_GFX90A:ACCUM_OFFSET: 9
; COMPUTE_PGM_RSRC3_GFX90A:TG_SPLIT: 0
	.section	.text._ZL38rocblas_trsm_small_left_device_sharedBILi64ELi32ELb0EddPKPKdPKPdEv13rocblas_fill_18rocblas_operation_17rocblas_diagonal_iiT3_T4_lilT5_lili,"axG",@progbits,_ZL38rocblas_trsm_small_left_device_sharedBILi64ELi32ELb0EddPKPKdPKPdEv13rocblas_fill_18rocblas_operation_17rocblas_diagonal_iiT3_T4_lilT5_lili,comdat
	.globl	_ZL38rocblas_trsm_small_left_device_sharedBILi64ELi32ELb0EddPKPKdPKPdEv13rocblas_fill_18rocblas_operation_17rocblas_diagonal_iiT3_T4_lilT5_lili ; -- Begin function _ZL38rocblas_trsm_small_left_device_sharedBILi64ELi32ELb0EddPKPKdPKPdEv13rocblas_fill_18rocblas_operation_17rocblas_diagonal_iiT3_T4_lilT5_lili
	.p2align	8
	.type	_ZL38rocblas_trsm_small_left_device_sharedBILi64ELi32ELb0EddPKPKdPKPdEv13rocblas_fill_18rocblas_operation_17rocblas_diagonal_iiT3_T4_lilT5_lili,@function
_ZL38rocblas_trsm_small_left_device_sharedBILi64ELi32ELb0EddPKPKdPKPdEv13rocblas_fill_18rocblas_operation_17rocblas_diagonal_iiT3_T4_lilT5_lili: ; @_ZL38rocblas_trsm_small_left_device_sharedBILi64ELi32ELb0EddPKPKdPKPdEv13rocblas_fill_18rocblas_operation_17rocblas_diagonal_iiT3_T4_lilT5_lili
; %bb.0:
	s_load_dwordx2 s[18:19], s[0:1], 0x28
	s_load_dwordx4 s[12:15], s[0:1], 0x40
	s_load_dwordx4 s[4:7], s[0:1], 0x4
	s_load_dwordx4 s[8:11], s[0:1], 0x18
	s_mov_b32 s16, s3
	s_mov_b32 s17, 0
	s_lshl_b64 s[20:21], s[16:17], 3
	s_waitcnt lgkmcnt(0)
	s_add_u32 s12, s12, s20
	s_addc_u32 s13, s13, s21
	s_load_dwordx2 s[12:13], s[12:13], 0x0
	s_min_i32 s22, s6, 64
	v_cmp_gt_i32_e32 vcc, s22, v0
	s_and_saveexec_b64 s[16:17], vcc
	s_cbranch_execz .LBB107_6
; %bb.1:
	s_load_dword s24, s[0:1], 0x30
	v_lshlrev_b32_e32 v2, 3, v0
	v_mov_b32_e32 v3, 0
	v_mov_b32_e32 v1, v2
	s_mov_b32 s3, s22
	s_waitcnt lgkmcnt(0)
	s_ashr_i32 s25, s24, 31
	s_add_u32 s10, s10, s20
	s_addc_u32 s11, s11, s21
	s_load_dwordx2 s[10:11], s[10:11], 0x0
	s_lshl_b64 s[18:19], s[18:19], 3
	s_waitcnt lgkmcnt(0)
	s_add_u32 s18, s10, s18
	s_addc_u32 s19, s11, s19
	s_lshl_b64 s[10:11], s[24:25], 3
	v_lshl_add_u64 v[4:5], s[18:19], 0, v[2:3]
.LBB107_2:                              ; =>This Inner Loop Header: Depth=1
	flat_load_dwordx2 v[6:7], v[4:5]
	s_add_i32 s3, s3, -1
	v_lshl_add_u64 v[4:5], v[4:5], 0, s[10:11]
	s_cmp_eq_u32 s3, 0
	s_waitcnt vmcnt(0) lgkmcnt(0)
	ds_write_b64 v1, v[6:7]
	v_add_u32_e32 v1, 0x200, v1
	s_cbranch_scc0 .LBB107_2
; %bb.3:
	v_lshlrev_b32_e32 v1, 9, v0
	s_cmpk_lg_i32 s5, 0x84
	v_mov_b64_e32 v[4:5], 1.0
	v_add_u32_e32 v1, v2, v1
	s_cbranch_scc0 .LBB107_5
; %bb.4:
	ds_read_b64 v[2:3], v1
	s_waitcnt lgkmcnt(0)
	v_div_scale_f64 v[4:5], s[10:11], v[2:3], v[2:3], 1.0
	v_rcp_f64_e32 v[6:7], v[4:5]
	v_div_scale_f64 v[8:9], vcc, 1.0, v[2:3], 1.0
	v_fma_f64 v[10:11], -v[4:5], v[6:7], 1.0
	v_fmac_f64_e32 v[6:7], v[6:7], v[10:11]
	v_fma_f64 v[10:11], -v[4:5], v[6:7], 1.0
	v_fmac_f64_e32 v[6:7], v[6:7], v[10:11]
	v_mul_f64 v[10:11], v[8:9], v[6:7]
	v_fma_f64 v[4:5], -v[4:5], v[10:11], v[8:9]
	v_div_fmas_f64 v[4:5], v[4:5], v[6:7], v[10:11]
	v_div_fixup_f64 v[4:5], v[4:5], v[2:3], 1.0
.LBB107_5:
	ds_write_b64 v1, v[4:5]
.LBB107_6:
	s_or_b64 exec, exec, s[16:17]
	s_load_dword s3, s[0:1], 0x68
	s_load_dword s16, s[0:1], 0x50
	s_lshl_b64 s[0:1], s[14:15], 3
	s_waitcnt lgkmcnt(0)
	s_add_u32 s5, s12, s0
	s_addc_u32 s10, s13, s1
	s_lshl_b32 s0, s2, 6
	s_add_i32 s3, s3, -1
	s_sub_i32 s1, s7, s0
	s_cmp_ge_u32 s2, s3
	s_cselect_b32 s7, s1, 64
	s_mul_hi_i32 s1, s16, s0
	s_mul_i32 s0, s16, s0
	s_lshl_b64 s[0:1], s[0:1], 3
	s_add_u32 s2, s5, s0
	s_addc_u32 s3, s10, s1
	s_cmp_gt_i32 s6, 0
	v_cmp_gt_i32_e64 s[0:1], s7, v0
	s_cselect_b64 s[10:11], -1, 0
	s_and_b64 s[14:15], s[0:1], s[10:11]
	s_and_saveexec_b64 s[12:13], s[14:15]
	s_cbranch_execz .LBB107_9
; %bb.7:
	v_mad_i64_i32 v[2:3], s[14:15], s16, v0, 0
	v_mov_b32_e32 v1, 0x8000
	v_lshl_add_u64 v[2:3], v[2:3], 3, s[2:3]
	v_lshl_or_b32 v1, v0, 3, v1
	s_mov_b32 s5, s22
.LBB107_8:                              ; =>This Inner Loop Header: Depth=1
	flat_load_dwordx2 v[4:5], v[2:3]
	s_add_i32 s5, s5, -1
	v_lshl_add_u64 v[2:3], v[2:3], 0, 8
	s_cmp_lg_u32 s5, 0
	s_waitcnt vmcnt(0) lgkmcnt(0)
	v_mul_f64 v[4:5], s[8:9], v[4:5]
	ds_write_b64 v1, v[4:5]
	v_add_u32_e32 v1, 0x200, v1
	s_cbranch_scc1 .LBB107_8
.LBB107_9:
	s_or_b64 exec, exec, s[12:13]
	v_mov_b32_e32 v1, 0x8000
	s_cmpk_eq_i32 s4, 0x6f
	v_lshl_or_b32 v1, v0, 3, v1
	s_mov_b64 s[4:5], -1
	s_waitcnt lgkmcnt(0)
	; wave barrier
	s_cbranch_scc1 .LBB107_35
; %bb.10:
	s_cmp_lt_i32 s6, 32
	s_mov_b32 s7, 0
	s_cbranch_scc1 .LBB107_16
; %bb.11:
	v_mov_b32_e32 v2, 0x8000
	v_lshl_or_b32 v70, v0, 3, v2
	s_mov_b32 s4, 0
	s_mov_b32 s5, 0
.LBB107_12:                             ; =>This Loop Header: Depth=1
                                        ;     Child Loop BB107_13 Depth 2
	s_lshl_b32 s7, s5, 9
	v_add_u32_e32 v72, s7, v1
	ds_read2st64_b64 v[62:65], v72 offset1:1
	ds_read2st64_b64 v[58:61], v72 offset0:2 offset1:3
	ds_read2st64_b64 v[54:57], v72 offset0:4 offset1:5
	;; [unrolled: 1-line block ×15, first 2 shown]
	s_cmp_eq_u32 s5, 0
	s_mov_b32 s8, s5
	v_mov_b32_e32 v71, v70
	s_mov_b32 s9, s4
	s_cbranch_scc1 .LBB107_14
.LBB107_13:                             ;   Parent Loop BB107_12 Depth=1
                                        ; =>  This Inner Loop Header: Depth=2
	v_mov_b32_e32 v73, s9
	ds_read2st64_b64 v[66:69], v71 offset1:1
	ds_read_b128 v[74:77], v73
	ds_read_b128 v[78:81], v73 offset:512
	ds_read_b128 v[82:85], v73 offset:1024
	;; [unrolled: 1-line block ×31, first 2 shown]
	s_add_i32 s9, s9, 16
	s_add_i32 s8, s8, -2
	v_add_u32_e32 v71, 0x400, v71
	s_waitcnt lgkmcnt(14)
	v_fma_f64 v[62:63], -v[66:67], v[74:75], v[62:63]
	v_fma_f64 v[64:65], -v[66:67], v[78:79], v[64:65]
	;; [unrolled: 1-line block ×18, first 2 shown]
	s_waitcnt lgkmcnt(13)
	v_fma_f64 v[26:27], -v[66:67], v[146:147], v[26:27]
	s_waitcnt lgkmcnt(12)
	v_fma_f64 v[28:29], -v[66:67], v[150:151], v[28:29]
	s_waitcnt lgkmcnt(11)
	v_fma_f64 v[22:23], -v[66:67], v[154:155], v[22:23]
	s_waitcnt lgkmcnt(10)
	v_fma_f64 v[24:25], -v[66:67], v[158:159], v[24:25]
	s_waitcnt lgkmcnt(9)
	v_fma_f64 v[18:19], -v[66:67], v[162:163], v[18:19]
	s_waitcnt lgkmcnt(8)
	v_fma_f64 v[20:21], -v[66:67], v[166:167], v[20:21]
	s_waitcnt lgkmcnt(7)
	v_fma_f64 v[14:15], -v[66:67], v[170:171], v[14:15]
	s_waitcnt lgkmcnt(6)
	v_fma_f64 v[16:17], -v[66:67], v[174:175], v[16:17]
	s_waitcnt lgkmcnt(5)
	v_fma_f64 v[10:11], -v[66:67], v[178:179], v[10:11]
	s_waitcnt lgkmcnt(4)
	v_fma_f64 v[12:13], -v[66:67], v[182:183], v[12:13]
	s_waitcnt lgkmcnt(3)
	v_fma_f64 v[6:7], -v[66:67], v[186:187], v[6:7]
	s_waitcnt lgkmcnt(2)
	v_fma_f64 v[8:9], -v[66:67], v[190:191], v[8:9]
	s_waitcnt lgkmcnt(1)
	v_fma_f64 v[2:3], -v[66:67], v[194:195], v[2:3]
	s_waitcnt lgkmcnt(0)
	v_fma_f64 v[4:5], -v[66:67], v[198:199], v[4:5]
	s_cmp_eq_u32 s8, 0
	v_fma_f64 v[62:63], -v[68:69], v[76:77], v[62:63]
	v_fma_f64 v[64:65], -v[68:69], v[80:81], v[64:65]
	;; [unrolled: 1-line block ×32, first 2 shown]
	s_cbranch_scc0 .LBB107_13
.LBB107_14:                             ;   in Loop: Header=BB107_12 Depth=1
	s_lshl_b32 s8, s5, 3
	s_add_i32 s9, s8, s7
	v_mov_b32_e32 v71, s9
	ds_read2_b64 v[66:69], v71 offset1:130
	s_or_b32 s9, s7, 0x200
	s_add_i32 s12, s8, s9
	v_mov_b32_e32 v73, s12
	ds_read_b128 v[74:77], v73
	s_or_b32 s12, s7, 0x400
	s_add_i32 s13, s8, s12
	s_waitcnt lgkmcnt(1)
	v_mul_f64 v[62:63], v[66:67], v[62:63]
	v_mov_b32_e32 v66, s13
	ds_read_b128 v[78:81], v66
	s_waitcnt lgkmcnt(1)
	v_fma_f64 v[64:65], -v[62:63], v[74:75], v[64:65]
	v_add_u32_e32 v66, s9, v1
	s_or_b32 s9, s7, 0x600
	v_mul_f64 v[64:65], v[76:77], v[64:65]
	s_add_i32 s13, s8, s9
	ds_write_b64 v66, v[64:65]
	v_mov_b32_e32 v66, s13
	ds_write_b64 v72, v[62:63]
	s_waitcnt lgkmcnt(2)
	v_fma_f64 v[58:59], -v[62:63], v[78:79], v[58:59]
	ds_read_b128 v[72:75], v66
	v_fma_f64 v[58:59], -v[64:65], v[80:81], v[58:59]
	v_mul_f64 v[58:59], v[68:69], v[58:59]
	ds_read_b128 v[66:69], v66 offset:16
	v_add_u32_e32 v76, s12, v1
	s_waitcnt lgkmcnt(1)
	v_fma_f64 v[60:61], -v[62:63], v[72:73], v[60:61]
	v_add_u32_e32 v72, s9, v1
	s_or_b32 s9, s7, 0x800
	v_fma_f64 v[60:61], -v[64:65], v[74:75], v[60:61]
	s_add_i32 s12, s8, s9
	s_waitcnt lgkmcnt(0)
	v_fma_f64 v[60:61], -v[58:59], v[66:67], v[60:61]
	v_mov_b32_e32 v73, s12
	v_mul_f64 v[60:61], v[68:69], v[60:61]
	ds_read_b128 v[66:69], v73
	ds_write_b64 v72, v[60:61]
	ds_read_b128 v[72:75], v73 offset:16
	ds_write_b64 v76, v[58:59]
	v_add_u32_e32 v76, 0x800, v71
	ds_read2_b64 v[76:79], v76 offset0:4 offset1:134
	s_waitcnt lgkmcnt(4)
	v_fma_f64 v[54:55], -v[62:63], v[66:67], v[54:55]
	v_fma_f64 v[54:55], -v[64:65], v[68:69], v[54:55]
	s_waitcnt lgkmcnt(2)
	v_fma_f64 v[54:55], -v[58:59], v[72:73], v[54:55]
	s_or_b32 s12, s7, 0xa00
	v_fma_f64 v[54:55], -v[60:61], v[74:75], v[54:55]
	s_add_i32 s13, s8, s12
	s_waitcnt lgkmcnt(0)
	v_mul_f64 v[54:55], v[76:77], v[54:55]
	v_mov_b32_e32 v76, s13
	ds_read_b128 v[66:69], v76
	ds_read_b128 v[72:75], v76 offset:16
	v_add_u32_e32 v77, s9, v1
	s_or_b32 s9, s7, 0xc00
	ds_read_b128 v[80:83], v76 offset:32
	s_add_i32 s13, s8, s9
	s_waitcnt lgkmcnt(2)
	v_fma_f64 v[56:57], -v[62:63], v[66:67], v[56:57]
	v_mov_b32_e32 v76, s13
	v_fma_f64 v[56:57], -v[64:65], v[68:69], v[56:57]
	ds_read_b128 v[66:69], v76
	s_waitcnt lgkmcnt(2)
	v_fma_f64 v[56:57], -v[58:59], v[72:73], v[56:57]
	v_fma_f64 v[56:57], -v[60:61], v[74:75], v[56:57]
	ds_read_b128 v[72:75], v76 offset:16
	s_waitcnt lgkmcnt(2)
	v_fma_f64 v[56:57], -v[54:55], v[80:81], v[56:57]
	v_mul_f64 v[56:57], v[82:83], v[56:57]
	ds_read_b128 v[80:83], v76 offset:32
	s_waitcnt lgkmcnt(2)
	v_fma_f64 v[50:51], -v[62:63], v[66:67], v[50:51]
	v_fma_f64 v[50:51], -v[64:65], v[68:69], v[50:51]
	s_waitcnt lgkmcnt(1)
	v_fma_f64 v[50:51], -v[58:59], v[72:73], v[50:51]
	v_add_u32_e32 v72, s9, v1
	s_or_b32 s9, s7, 0xe00
	ds_write_b64 v77, v[54:55]
	v_add_u32_e32 v77, s12, v1
	v_fma_f64 v[50:51], -v[60:61], v[74:75], v[50:51]
	s_add_i32 s12, s8, s9
	s_waitcnt lgkmcnt(1)
	v_fma_f64 v[50:51], -v[54:55], v[80:81], v[50:51]
	v_mov_b32_e32 v80, s12
	ds_read_b128 v[66:69], v80
	v_fma_f64 v[50:51], -v[56:57], v[82:83], v[50:51]
	v_mul_f64 v[50:51], v[78:79], v[50:51]
	ds_write_b64 v77, v[56:57]
	ds_write_b64 v72, v[50:51]
	ds_read_b128 v[72:75], v80 offset:16
	ds_read_b128 v[76:79], v80 offset:32
	ds_read_b128 v[80:83], v80 offset:48
	s_waitcnt lgkmcnt(5)
	v_fma_f64 v[52:53], -v[62:63], v[66:67], v[52:53]
	v_fma_f64 v[52:53], -v[64:65], v[68:69], v[52:53]
	s_waitcnt lgkmcnt(2)
	v_fma_f64 v[52:53], -v[58:59], v[72:73], v[52:53]
	v_fma_f64 v[52:53], -v[60:61], v[74:75], v[52:53]
	s_waitcnt lgkmcnt(1)
	v_fma_f64 v[52:53], -v[54:55], v[76:77], v[52:53]
	v_add_u32_e32 v72, s9, v1
	s_or_b32 s9, s7, 0x1000
	v_fma_f64 v[52:53], -v[56:57], v[78:79], v[52:53]
	s_add_i32 s12, s8, s9
	s_waitcnt lgkmcnt(0)
	v_fma_f64 v[52:53], -v[50:51], v[80:81], v[52:53]
	v_mov_b32_e32 v80, s12
	ds_read_b128 v[66:69], v80
	v_mul_f64 v[52:53], v[82:83], v[52:53]
	ds_write_b64 v72, v[52:53]
	ds_read_b128 v[72:75], v80 offset:16
	ds_read_b128 v[76:79], v80 offset:32
	;; [unrolled: 1-line block ×3, first 2 shown]
	s_addk_i32 s4, 0x4000
	s_waitcnt lgkmcnt(4)
	v_fma_f64 v[46:47], -v[62:63], v[66:67], v[46:47]
	v_fma_f64 v[46:47], -v[64:65], v[68:69], v[46:47]
	s_waitcnt lgkmcnt(2)
	v_fma_f64 v[46:47], -v[58:59], v[72:73], v[46:47]
	v_add_u32_e32 v66, 0x1000, v71
	v_fma_f64 v[46:47], -v[60:61], v[74:75], v[46:47]
	ds_read2_b64 v[66:69], v66 offset0:8 offset1:138
	s_waitcnt lgkmcnt(2)
	v_fma_f64 v[46:47], -v[54:55], v[76:77], v[46:47]
	v_fma_f64 v[46:47], -v[56:57], v[78:79], v[46:47]
	s_waitcnt lgkmcnt(1)
	v_fma_f64 v[46:47], -v[50:51], v[80:81], v[46:47]
	v_fma_f64 v[46:47], -v[52:53], v[82:83], v[46:47]
	s_waitcnt lgkmcnt(0)
	v_mul_f64 v[46:47], v[66:67], v[46:47]
	v_add_u32_e32 v66, s9, v1
	s_or_b32 s9, s7, 0x1200
	s_add_i32 s12, s8, s9
	v_mov_b32_e32 v67, s12
	ds_read_b128 v[72:75], v67
	ds_write_b64 v66, v[46:47]
	ds_read_b128 v[76:79], v67 offset:16
	ds_read_b128 v[80:83], v67 offset:32
	;; [unrolled: 1-line block ×3, first 2 shown]
	s_or_b32 s12, s7, 0x1400
	s_add_i32 s13, s8, s12
	s_waitcnt lgkmcnt(4)
	v_fma_f64 v[48:49], -v[62:63], v[72:73], v[48:49]
	v_fma_f64 v[48:49], -v[64:65], v[74:75], v[48:49]
	s_waitcnt lgkmcnt(2)
	v_fma_f64 v[48:49], -v[58:59], v[76:77], v[48:49]
	v_fma_f64 v[48:49], -v[60:61], v[78:79], v[48:49]
	ds_read_b128 v[72:75], v67 offset:64
	s_waitcnt lgkmcnt(2)
	v_fma_f64 v[48:49], -v[54:55], v[80:81], v[48:49]
	v_fma_f64 v[48:49], -v[56:57], v[82:83], v[48:49]
	s_waitcnt lgkmcnt(1)
	v_fma_f64 v[48:49], -v[50:51], v[84:85], v[48:49]
	v_mov_b32_e32 v66, s13
	v_fma_f64 v[48:49], -v[52:53], v[86:87], v[48:49]
	ds_read_b128 v[76:79], v66
	s_waitcnt lgkmcnt(1)
	v_fma_f64 v[48:49], -v[46:47], v[72:73], v[48:49]
	v_mul_f64 v[48:49], v[74:75], v[48:49]
	v_add_u32_e32 v67, s9, v1
	ds_write_b64 v67, v[48:49]
	ds_read_b128 v[72:75], v66 offset:16
	ds_read_b128 v[80:83], v66 offset:32
	;; [unrolled: 1-line block ×3, first 2 shown]
	s_waitcnt lgkmcnt(4)
	v_fma_f64 v[42:43], -v[62:63], v[76:77], v[42:43]
	v_fma_f64 v[42:43], -v[64:65], v[78:79], v[42:43]
	s_waitcnt lgkmcnt(2)
	v_fma_f64 v[42:43], -v[58:59], v[72:73], v[42:43]
	v_fma_f64 v[42:43], -v[60:61], v[74:75], v[42:43]
	ds_read_b128 v[72:75], v66 offset:64
	s_waitcnt lgkmcnt(2)
	v_fma_f64 v[42:43], -v[54:55], v[80:81], v[42:43]
	v_fma_f64 v[42:43], -v[56:57], v[82:83], v[42:43]
	s_waitcnt lgkmcnt(1)
	v_fma_f64 v[42:43], -v[50:51], v[84:85], v[42:43]
	v_fma_f64 v[42:43], -v[52:53], v[86:87], v[42:43]
	s_or_b32 s9, s7, 0x1600
	s_waitcnt lgkmcnt(0)
	v_fma_f64 v[42:43], -v[46:47], v[72:73], v[42:43]
	v_add_u32_e32 v72, s12, v1
	s_add_i32 s12, s8, s9
	v_fma_f64 v[42:43], -v[48:49], v[74:75], v[42:43]
	v_mov_b32_e32 v84, s12
	v_mul_f64 v[42:43], v[68:69], v[42:43]
	ds_read_b128 v[66:69], v84
	ds_write_b64 v72, v[42:43]
	ds_read_b128 v[72:75], v84 offset:16
	ds_read_b128 v[76:79], v84 offset:32
	;; [unrolled: 1-line block ×3, first 2 shown]
	s_waitcnt lgkmcnt(4)
	v_fma_f64 v[44:45], -v[62:63], v[66:67], v[44:45]
	v_fma_f64 v[44:45], -v[64:65], v[68:69], v[44:45]
	s_waitcnt lgkmcnt(2)
	v_fma_f64 v[44:45], -v[58:59], v[72:73], v[44:45]
	v_fma_f64 v[44:45], -v[60:61], v[74:75], v[44:45]
	ds_read_b128 v[66:69], v84 offset:64
	ds_read_b128 v[72:75], v84 offset:80
	s_waitcnt lgkmcnt(3)
	v_fma_f64 v[44:45], -v[54:55], v[76:77], v[44:45]
	v_fma_f64 v[44:45], -v[56:57], v[78:79], v[44:45]
	s_waitcnt lgkmcnt(2)
	v_fma_f64 v[44:45], -v[50:51], v[80:81], v[44:45]
	v_fma_f64 v[44:45], -v[52:53], v[82:83], v[44:45]
	;; [unrolled: 3-line block ×3, first 2 shown]
	s_waitcnt lgkmcnt(0)
	v_fma_f64 v[44:45], -v[42:43], v[72:73], v[44:45]
	v_add_u32_e32 v72, s9, v1
	s_or_b32 s9, s7, 0x1800
	s_add_i32 s12, s8, s9
	v_mov_b32_e32 v84, s12
	ds_read_b128 v[66:69], v84
	v_mul_f64 v[44:45], v[74:75], v[44:45]
	ds_write_b64 v72, v[44:45]
	ds_read_b128 v[72:75], v84 offset:16
	ds_read_b128 v[76:79], v84 offset:32
	;; [unrolled: 1-line block ×3, first 2 shown]
	s_waitcnt lgkmcnt(4)
	v_fma_f64 v[38:39], -v[62:63], v[66:67], v[38:39]
	v_fma_f64 v[38:39], -v[64:65], v[68:69], v[38:39]
	s_waitcnt lgkmcnt(2)
	v_fma_f64 v[38:39], -v[58:59], v[72:73], v[38:39]
	v_fma_f64 v[38:39], -v[60:61], v[74:75], v[38:39]
	ds_read_b128 v[66:69], v84 offset:64
	ds_read_b128 v[72:75], v84 offset:80
	s_waitcnt lgkmcnt(3)
	v_fma_f64 v[38:39], -v[54:55], v[76:77], v[38:39]
	v_fma_f64 v[38:39], -v[56:57], v[78:79], v[38:39]
	s_waitcnt lgkmcnt(2)
	v_fma_f64 v[38:39], -v[50:51], v[80:81], v[38:39]
	v_add_u32_e32 v76, 0x1800, v71
	v_fma_f64 v[38:39], -v[52:53], v[82:83], v[38:39]
	ds_read2_b64 v[76:79], v76 offset0:12 offset1:142
	s_waitcnt lgkmcnt(2)
	v_fma_f64 v[38:39], -v[46:47], v[66:67], v[38:39]
	v_fma_f64 v[38:39], -v[48:49], v[68:69], v[38:39]
	s_waitcnt lgkmcnt(1)
	v_fma_f64 v[38:39], -v[42:43], v[72:73], v[38:39]
	v_add_u32_e32 v72, s9, v1
	s_or_b32 s9, s7, 0x1a00
	v_fma_f64 v[38:39], -v[44:45], v[74:75], v[38:39]
	s_add_i32 s12, s8, s9
	s_waitcnt lgkmcnt(0)
	v_mul_f64 v[38:39], v[76:77], v[38:39]
	v_mov_b32_e32 v76, s12
	ds_read_b128 v[66:69], v76
	ds_write_b64 v72, v[38:39]
	ds_read_b128 v[72:75], v76 offset:16
	ds_read_b128 v[80:83], v76 offset:32
	;; [unrolled: 1-line block ×3, first 2 shown]
	s_or_b32 s12, s7, 0x1c00
	s_add_i32 s13, s8, s12
	s_waitcnt lgkmcnt(4)
	v_fma_f64 v[40:41], -v[62:63], v[66:67], v[40:41]
	v_fma_f64 v[40:41], -v[64:65], v[68:69], v[40:41]
	s_waitcnt lgkmcnt(2)
	v_fma_f64 v[40:41], -v[58:59], v[72:73], v[40:41]
	v_fma_f64 v[40:41], -v[60:61], v[74:75], v[40:41]
	ds_read_b128 v[66:69], v76 offset:64
	ds_read_b128 v[72:75], v76 offset:80
	s_waitcnt lgkmcnt(3)
	v_fma_f64 v[40:41], -v[54:55], v[80:81], v[40:41]
	v_fma_f64 v[40:41], -v[56:57], v[82:83], v[40:41]
	s_waitcnt lgkmcnt(2)
	v_fma_f64 v[40:41], -v[50:51], v[84:85], v[40:41]
	v_fma_f64 v[40:41], -v[52:53], v[86:87], v[40:41]
	;; [unrolled: 3-line block ×3, first 2 shown]
	ds_read_b128 v[66:69], v76 offset:96
	s_waitcnt lgkmcnt(1)
	v_fma_f64 v[40:41], -v[42:43], v[72:73], v[40:41]
	v_mov_b32_e32 v76, s13
	v_fma_f64 v[40:41], -v[44:45], v[74:75], v[40:41]
	ds_read_b128 v[72:75], v76
	s_waitcnt lgkmcnt(1)
	v_fma_f64 v[40:41], -v[38:39], v[66:67], v[40:41]
	v_mul_f64 v[40:41], v[68:69], v[40:41]
	v_add_u32_e32 v66, s9, v1
	ds_write_b64 v66, v[40:41]
	ds_read_b128 v[66:69], v76 offset:16
	ds_read_b128 v[80:83], v76 offset:32
	;; [unrolled: 1-line block ×3, first 2 shown]
	s_waitcnt lgkmcnt(4)
	v_fma_f64 v[34:35], -v[62:63], v[72:73], v[34:35]
	v_fma_f64 v[34:35], -v[64:65], v[74:75], v[34:35]
	s_waitcnt lgkmcnt(2)
	v_fma_f64 v[34:35], -v[58:59], v[66:67], v[34:35]
	v_fma_f64 v[34:35], -v[60:61], v[68:69], v[34:35]
	ds_read_b128 v[66:69], v76 offset:64
	ds_read_b128 v[72:75], v76 offset:80
	s_waitcnt lgkmcnt(3)
	v_fma_f64 v[34:35], -v[54:55], v[80:81], v[34:35]
	v_fma_f64 v[34:35], -v[56:57], v[82:83], v[34:35]
	s_waitcnt lgkmcnt(2)
	v_fma_f64 v[34:35], -v[50:51], v[84:85], v[34:35]
	v_fma_f64 v[34:35], -v[52:53], v[86:87], v[34:35]
	ds_read_b128 v[80:83], v76 offset:96
	s_waitcnt lgkmcnt(2)
	v_fma_f64 v[34:35], -v[46:47], v[66:67], v[34:35]
	v_fma_f64 v[34:35], -v[48:49], v[68:69], v[34:35]
	s_or_b32 s9, s7, 0x1e00
	s_waitcnt lgkmcnt(1)
	v_fma_f64 v[34:35], -v[42:43], v[72:73], v[34:35]
	v_add_u32_e32 v72, s12, v1
	s_add_i32 s12, s8, s9
	v_fma_f64 v[34:35], -v[44:45], v[74:75], v[34:35]
	v_mov_b32_e32 v84, s12
	ds_read_b128 v[66:69], v84
	s_waitcnt lgkmcnt(1)
	v_fma_f64 v[34:35], -v[38:39], v[80:81], v[34:35]
	v_fma_f64 v[34:35], -v[40:41], v[82:83], v[34:35]
	v_mul_f64 v[34:35], v[78:79], v[34:35]
	ds_write_b64 v72, v[34:35]
	ds_read_b128 v[72:75], v84 offset:16
	ds_read_b128 v[76:79], v84 offset:32
	;; [unrolled: 1-line block ×3, first 2 shown]
	s_waitcnt lgkmcnt(4)
	v_fma_f64 v[36:37], -v[62:63], v[66:67], v[36:37]
	v_fma_f64 v[36:37], -v[64:65], v[68:69], v[36:37]
	s_waitcnt lgkmcnt(2)
	v_fma_f64 v[36:37], -v[58:59], v[72:73], v[36:37]
	v_fma_f64 v[36:37], -v[60:61], v[74:75], v[36:37]
	ds_read_b128 v[66:69], v84 offset:64
	ds_read_b128 v[72:75], v84 offset:80
	s_waitcnt lgkmcnt(3)
	v_fma_f64 v[36:37], -v[54:55], v[76:77], v[36:37]
	v_fma_f64 v[36:37], -v[56:57], v[78:79], v[36:37]
	s_waitcnt lgkmcnt(2)
	v_fma_f64 v[36:37], -v[50:51], v[80:81], v[36:37]
	v_fma_f64 v[36:37], -v[52:53], v[82:83], v[36:37]
	ds_read_b128 v[76:79], v84 offset:96
	s_waitcnt lgkmcnt(2)
	v_fma_f64 v[36:37], -v[46:47], v[66:67], v[36:37]
	v_fma_f64 v[36:37], -v[48:49], v[68:69], v[36:37]
	ds_read_b128 v[66:69], v84 offset:112
	s_waitcnt lgkmcnt(2)
	v_fma_f64 v[36:37], -v[42:43], v[72:73], v[36:37]
	v_fma_f64 v[36:37], -v[44:45], v[74:75], v[36:37]
	s_waitcnt lgkmcnt(1)
	v_fma_f64 v[36:37], -v[38:39], v[76:77], v[36:37]
	v_add_u32_e32 v72, s9, v1
	s_or_b32 s9, s7, 0x2000
	v_fma_f64 v[36:37], -v[40:41], v[78:79], v[36:37]
	s_add_i32 s12, s8, s9
	s_waitcnt lgkmcnt(0)
	v_fma_f64 v[36:37], -v[34:35], v[66:67], v[36:37]
	v_mov_b32_e32 v84, s12
	v_mul_f64 v[36:37], v[68:69], v[36:37]
	ds_read_b128 v[66:69], v84
	ds_write_b64 v72, v[36:37]
	ds_read_b128 v[72:75], v84 offset:16
	ds_read_b128 v[76:79], v84 offset:32
	;; [unrolled: 1-line block ×3, first 2 shown]
	s_waitcnt lgkmcnt(4)
	v_fma_f64 v[30:31], -v[62:63], v[66:67], v[30:31]
	v_fma_f64 v[30:31], -v[64:65], v[68:69], v[30:31]
	s_waitcnt lgkmcnt(2)
	v_fma_f64 v[30:31], -v[58:59], v[72:73], v[30:31]
	v_fma_f64 v[30:31], -v[60:61], v[74:75], v[30:31]
	ds_read_b128 v[66:69], v84 offset:64
	ds_read_b128 v[72:75], v84 offset:80
	s_waitcnt lgkmcnt(3)
	v_fma_f64 v[30:31], -v[54:55], v[76:77], v[30:31]
	v_fma_f64 v[30:31], -v[56:57], v[78:79], v[30:31]
	s_waitcnt lgkmcnt(2)
	v_fma_f64 v[30:31], -v[50:51], v[80:81], v[30:31]
	v_fma_f64 v[30:31], -v[52:53], v[82:83], v[30:31]
	;; [unrolled: 3-line block ×3, first 2 shown]
	ds_read_b128 v[66:69], v84 offset:96
	s_waitcnt lgkmcnt(1)
	v_fma_f64 v[30:31], -v[42:43], v[72:73], v[30:31]
	v_fma_f64 v[30:31], -v[44:45], v[74:75], v[30:31]
	ds_read_b128 v[72:75], v84 offset:112
	v_add_u32_e32 v76, 0x2000, v71
	ds_read2_b64 v[76:79], v76 offset0:16 offset1:146
	s_waitcnt lgkmcnt(2)
	v_fma_f64 v[30:31], -v[38:39], v[66:67], v[30:31]
	v_fma_f64 v[30:31], -v[40:41], v[68:69], v[30:31]
	s_waitcnt lgkmcnt(1)
	v_fma_f64 v[30:31], -v[34:35], v[72:73], v[30:31]
	v_add_u32_e32 v72, s9, v1
	s_or_b32 s9, s7, 0x2200
	v_fma_f64 v[30:31], -v[36:37], v[74:75], v[30:31]
	s_add_i32 s12, s8, s9
	s_waitcnt lgkmcnt(0)
	v_mul_f64 v[30:31], v[76:77], v[30:31]
	v_mov_b32_e32 v76, s12
	ds_read_b128 v[66:69], v76
	ds_write_b64 v72, v[30:31]
	ds_read_b128 v[72:75], v76 offset:16
	ds_read_b128 v[80:83], v76 offset:32
	;; [unrolled: 1-line block ×3, first 2 shown]
	s_or_b32 s12, s7, 0x2400
	s_add_i32 s13, s8, s12
	s_waitcnt lgkmcnt(4)
	v_fma_f64 v[32:33], -v[62:63], v[66:67], v[32:33]
	v_fma_f64 v[32:33], -v[64:65], v[68:69], v[32:33]
	s_waitcnt lgkmcnt(2)
	v_fma_f64 v[32:33], -v[58:59], v[72:73], v[32:33]
	v_fma_f64 v[32:33], -v[60:61], v[74:75], v[32:33]
	ds_read_b128 v[66:69], v76 offset:64
	ds_read_b128 v[72:75], v76 offset:80
	s_waitcnt lgkmcnt(3)
	v_fma_f64 v[32:33], -v[54:55], v[80:81], v[32:33]
	v_fma_f64 v[32:33], -v[56:57], v[82:83], v[32:33]
	s_waitcnt lgkmcnt(2)
	v_fma_f64 v[32:33], -v[50:51], v[84:85], v[32:33]
	v_fma_f64 v[32:33], -v[52:53], v[86:87], v[32:33]
	ds_read_b128 v[80:83], v76 offset:96
	s_waitcnt lgkmcnt(2)
	v_fma_f64 v[32:33], -v[46:47], v[66:67], v[32:33]
	v_fma_f64 v[32:33], -v[48:49], v[68:69], v[32:33]
	ds_read_b128 v[66:69], v76 offset:112
	s_waitcnt lgkmcnt(2)
	v_fma_f64 v[32:33], -v[42:43], v[72:73], v[32:33]
	v_fma_f64 v[32:33], -v[44:45], v[74:75], v[32:33]
	s_waitcnt lgkmcnt(1)
	v_fma_f64 v[32:33], -v[38:39], v[80:81], v[32:33]
	v_fma_f64 v[32:33], -v[40:41], v[82:83], v[32:33]
	;; [unrolled: 3-line block ×3, first 2 shown]
	ds_read_b128 v[66:69], v76 offset:128
	v_mov_b32_e32 v76, s13
	ds_read_b128 v[72:75], v76
	s_waitcnt lgkmcnt(1)
	v_fma_f64 v[32:33], -v[30:31], v[66:67], v[32:33]
	v_mul_f64 v[32:33], v[68:69], v[32:33]
	v_add_u32_e32 v66, s9, v1
	ds_write_b64 v66, v[32:33]
	ds_read_b128 v[66:69], v76 offset:16
	ds_read_b128 v[80:83], v76 offset:32
	;; [unrolled: 1-line block ×3, first 2 shown]
	s_waitcnt lgkmcnt(4)
	v_fma_f64 v[26:27], -v[62:63], v[72:73], v[26:27]
	v_fma_f64 v[26:27], -v[64:65], v[74:75], v[26:27]
	s_waitcnt lgkmcnt(2)
	v_fma_f64 v[26:27], -v[58:59], v[66:67], v[26:27]
	v_fma_f64 v[26:27], -v[60:61], v[68:69], v[26:27]
	ds_read_b128 v[66:69], v76 offset:64
	ds_read_b128 v[72:75], v76 offset:80
	s_waitcnt lgkmcnt(3)
	v_fma_f64 v[26:27], -v[54:55], v[80:81], v[26:27]
	v_fma_f64 v[26:27], -v[56:57], v[82:83], v[26:27]
	s_waitcnt lgkmcnt(2)
	v_fma_f64 v[26:27], -v[50:51], v[84:85], v[26:27]
	v_fma_f64 v[26:27], -v[52:53], v[86:87], v[26:27]
	;; [unrolled: 3-line block ×3, first 2 shown]
	ds_read_b128 v[66:69], v76 offset:96
	ds_read_b128 v[80:83], v76 offset:112
	s_waitcnt lgkmcnt(2)
	v_fma_f64 v[26:27], -v[42:43], v[72:73], v[26:27]
	v_fma_f64 v[26:27], -v[44:45], v[74:75], v[26:27]
	ds_read_b128 v[72:75], v76 offset:128
	s_waitcnt lgkmcnt(2)
	v_fma_f64 v[26:27], -v[38:39], v[66:67], v[26:27]
	v_fma_f64 v[26:27], -v[40:41], v[68:69], v[26:27]
	s_waitcnt lgkmcnt(1)
	v_fma_f64 v[26:27], -v[34:35], v[80:81], v[26:27]
	v_fma_f64 v[26:27], -v[36:37], v[82:83], v[26:27]
	s_or_b32 s9, s7, 0x2600
	s_waitcnt lgkmcnt(0)
	v_fma_f64 v[26:27], -v[30:31], v[72:73], v[26:27]
	v_add_u32_e32 v72, s12, v1
	s_add_i32 s12, s8, s9
	v_mov_b32_e32 v84, s12
	ds_read_b128 v[66:69], v84
	v_fma_f64 v[26:27], -v[32:33], v[74:75], v[26:27]
	v_mul_f64 v[26:27], v[78:79], v[26:27]
	ds_write_b64 v72, v[26:27]
	ds_read_b128 v[72:75], v84 offset:16
	ds_read_b128 v[76:79], v84 offset:32
	;; [unrolled: 1-line block ×3, first 2 shown]
	s_waitcnt lgkmcnt(4)
	v_fma_f64 v[28:29], -v[62:63], v[66:67], v[28:29]
	v_fma_f64 v[28:29], -v[64:65], v[68:69], v[28:29]
	s_waitcnt lgkmcnt(2)
	v_fma_f64 v[28:29], -v[58:59], v[72:73], v[28:29]
	v_fma_f64 v[28:29], -v[60:61], v[74:75], v[28:29]
	ds_read_b128 v[66:69], v84 offset:64
	ds_read_b128 v[72:75], v84 offset:80
	s_waitcnt lgkmcnt(3)
	v_fma_f64 v[28:29], -v[54:55], v[76:77], v[28:29]
	v_fma_f64 v[28:29], -v[56:57], v[78:79], v[28:29]
	s_waitcnt lgkmcnt(2)
	v_fma_f64 v[28:29], -v[50:51], v[80:81], v[28:29]
	v_fma_f64 v[28:29], -v[52:53], v[82:83], v[28:29]
	ds_read_b128 v[76:79], v84 offset:96
	s_waitcnt lgkmcnt(2)
	v_fma_f64 v[28:29], -v[46:47], v[66:67], v[28:29]
	v_fma_f64 v[28:29], -v[48:49], v[68:69], v[28:29]
	ds_read_b128 v[66:69], v84 offset:112
	s_waitcnt lgkmcnt(2)
	v_fma_f64 v[28:29], -v[42:43], v[72:73], v[28:29]
	v_fma_f64 v[28:29], -v[44:45], v[74:75], v[28:29]
	ds_read_b128 v[72:75], v84 offset:128
	s_waitcnt lgkmcnt(2)
	v_fma_f64 v[28:29], -v[38:39], v[76:77], v[28:29]
	v_fma_f64 v[28:29], -v[40:41], v[78:79], v[28:29]
	s_waitcnt lgkmcnt(1)
	v_fma_f64 v[28:29], -v[34:35], v[66:67], v[28:29]
	ds_read_b128 v[76:79], v84 offset:144
	v_fma_f64 v[28:29], -v[36:37], v[68:69], v[28:29]
	s_waitcnt lgkmcnt(1)
	v_fma_f64 v[28:29], -v[30:31], v[72:73], v[28:29]
	v_add_u32_e32 v72, s9, v1
	s_or_b32 s9, s7, 0x2800
	s_add_i32 s12, s8, s9
	v_mov_b32_e32 v84, s12
	v_fma_f64 v[28:29], -v[32:33], v[74:75], v[28:29]
	ds_read_b128 v[66:69], v84
	s_waitcnt lgkmcnt(1)
	v_fma_f64 v[28:29], -v[26:27], v[76:77], v[28:29]
	v_mul_f64 v[28:29], v[78:79], v[28:29]
	ds_write_b64 v72, v[28:29]
	ds_read_b128 v[72:75], v84 offset:16
	ds_read_b128 v[76:79], v84 offset:32
	;; [unrolled: 1-line block ×3, first 2 shown]
	s_waitcnt lgkmcnt(4)
	v_fma_f64 v[22:23], -v[62:63], v[66:67], v[22:23]
	v_fma_f64 v[22:23], -v[64:65], v[68:69], v[22:23]
	s_waitcnt lgkmcnt(2)
	v_fma_f64 v[22:23], -v[58:59], v[72:73], v[22:23]
	v_fma_f64 v[22:23], -v[60:61], v[74:75], v[22:23]
	ds_read_b128 v[66:69], v84 offset:64
	ds_read_b128 v[72:75], v84 offset:80
	s_waitcnt lgkmcnt(3)
	v_fma_f64 v[22:23], -v[54:55], v[76:77], v[22:23]
	v_fma_f64 v[22:23], -v[56:57], v[78:79], v[22:23]
	s_waitcnt lgkmcnt(2)
	v_fma_f64 v[22:23], -v[50:51], v[80:81], v[22:23]
	v_fma_f64 v[22:23], -v[52:53], v[82:83], v[22:23]
	ds_read_b128 v[76:79], v84 offset:96
	s_waitcnt lgkmcnt(2)
	v_fma_f64 v[22:23], -v[46:47], v[66:67], v[22:23]
	v_fma_f64 v[22:23], -v[48:49], v[68:69], v[22:23]
	ds_read_b128 v[66:69], v84 offset:112
	s_waitcnt lgkmcnt(2)
	v_fma_f64 v[22:23], -v[42:43], v[72:73], v[22:23]
	v_fma_f64 v[22:23], -v[44:45], v[74:75], v[22:23]
	s_waitcnt lgkmcnt(1)
	v_fma_f64 v[22:23], -v[38:39], v[76:77], v[22:23]
	v_fma_f64 v[22:23], -v[40:41], v[78:79], v[22:23]
	ds_read_b128 v[72:75], v84 offset:128
	s_waitcnt lgkmcnt(1)
	v_fma_f64 v[22:23], -v[34:35], v[66:67], v[22:23]
	v_fma_f64 v[22:23], -v[36:37], v[68:69], v[22:23]
	ds_read_b128 v[66:69], v84 offset:144
	v_add_u32_e32 v76, 0x2800, v71
	ds_read2_b64 v[76:79], v76 offset0:20 offset1:150
	s_waitcnt lgkmcnt(2)
	v_fma_f64 v[22:23], -v[30:31], v[72:73], v[22:23]
	v_fma_f64 v[22:23], -v[32:33], v[74:75], v[22:23]
	s_waitcnt lgkmcnt(1)
	v_fma_f64 v[22:23], -v[26:27], v[66:67], v[22:23]
	v_add_u32_e32 v72, s9, v1
	s_or_b32 s9, s7, 0x2a00
	v_fma_f64 v[22:23], -v[28:29], v[68:69], v[22:23]
	s_add_i32 s12, s8, s9
	s_waitcnt lgkmcnt(0)
	v_mul_f64 v[22:23], v[76:77], v[22:23]
	v_mov_b32_e32 v76, s12
	ds_read_b128 v[66:69], v76
	ds_write_b64 v72, v[22:23]
	ds_read_b128 v[72:75], v76 offset:16
	ds_read_b128 v[80:83], v76 offset:32
	;; [unrolled: 1-line block ×3, first 2 shown]
	s_or_b32 s12, s7, 0x2c00
	s_add_i32 s13, s8, s12
	s_waitcnt lgkmcnt(4)
	v_fma_f64 v[24:25], -v[62:63], v[66:67], v[24:25]
	v_fma_f64 v[24:25], -v[64:65], v[68:69], v[24:25]
	s_waitcnt lgkmcnt(2)
	v_fma_f64 v[24:25], -v[58:59], v[72:73], v[24:25]
	v_fma_f64 v[24:25], -v[60:61], v[74:75], v[24:25]
	ds_read_b128 v[66:69], v76 offset:64
	ds_read_b128 v[72:75], v76 offset:80
	s_waitcnt lgkmcnt(3)
	v_fma_f64 v[24:25], -v[54:55], v[80:81], v[24:25]
	v_fma_f64 v[24:25], -v[56:57], v[82:83], v[24:25]
	s_waitcnt lgkmcnt(2)
	v_fma_f64 v[24:25], -v[50:51], v[84:85], v[24:25]
	v_fma_f64 v[24:25], -v[52:53], v[86:87], v[24:25]
	ds_read_b128 v[80:83], v76 offset:96
	s_waitcnt lgkmcnt(2)
	v_fma_f64 v[24:25], -v[46:47], v[66:67], v[24:25]
	v_fma_f64 v[24:25], -v[48:49], v[68:69], v[24:25]
	ds_read_b128 v[66:69], v76 offset:112
	;; [unrolled: 4-line block ×5, first 2 shown]
	s_waitcnt lgkmcnt(2)
	v_fma_f64 v[24:25], -v[30:31], v[72:73], v[24:25]
	v_fma_f64 v[24:25], -v[32:33], v[74:75], v[24:25]
	s_waitcnt lgkmcnt(1)
	v_fma_f64 v[24:25], -v[26:27], v[80:81], v[24:25]
	v_mov_b32_e32 v76, s13
	v_fma_f64 v[24:25], -v[28:29], v[82:83], v[24:25]
	ds_read_b128 v[72:75], v76
	s_waitcnt lgkmcnt(1)
	v_fma_f64 v[24:25], -v[22:23], v[66:67], v[24:25]
	v_mul_f64 v[24:25], v[68:69], v[24:25]
	v_add_u32_e32 v66, s9, v1
	ds_write_b64 v66, v[24:25]
	ds_read_b128 v[66:69], v76 offset:16
	ds_read_b128 v[80:83], v76 offset:32
	;; [unrolled: 1-line block ×3, first 2 shown]
	s_waitcnt lgkmcnt(4)
	v_fma_f64 v[18:19], -v[62:63], v[72:73], v[18:19]
	v_fma_f64 v[18:19], -v[64:65], v[74:75], v[18:19]
	s_waitcnt lgkmcnt(2)
	v_fma_f64 v[18:19], -v[58:59], v[66:67], v[18:19]
	v_fma_f64 v[18:19], -v[60:61], v[68:69], v[18:19]
	ds_read_b128 v[66:69], v76 offset:64
	ds_read_b128 v[72:75], v76 offset:80
	s_waitcnt lgkmcnt(3)
	v_fma_f64 v[18:19], -v[54:55], v[80:81], v[18:19]
	v_fma_f64 v[18:19], -v[56:57], v[82:83], v[18:19]
	s_waitcnt lgkmcnt(2)
	v_fma_f64 v[18:19], -v[50:51], v[84:85], v[18:19]
	v_fma_f64 v[18:19], -v[52:53], v[86:87], v[18:19]
	ds_read_b128 v[80:83], v76 offset:96
	s_waitcnt lgkmcnt(2)
	v_fma_f64 v[18:19], -v[46:47], v[66:67], v[18:19]
	v_fma_f64 v[18:19], -v[48:49], v[68:69], v[18:19]
	ds_read_b128 v[66:69], v76 offset:112
	;; [unrolled: 4-line block ×5, first 2 shown]
	s_waitcnt lgkmcnt(2)
	v_fma_f64 v[18:19], -v[30:31], v[72:73], v[18:19]
	v_fma_f64 v[18:19], -v[32:33], v[74:75], v[18:19]
	s_waitcnt lgkmcnt(1)
	v_fma_f64 v[18:19], -v[26:27], v[80:81], v[18:19]
	s_or_b32 s9, s7, 0x2e00
	v_fma_f64 v[18:19], -v[28:29], v[82:83], v[18:19]
	v_add_u32_e32 v72, s12, v1
	s_add_i32 s12, s8, s9
	s_waitcnt lgkmcnt(0)
	v_fma_f64 v[18:19], -v[22:23], v[66:67], v[18:19]
	v_mov_b32_e32 v84, s12
	v_fma_f64 v[18:19], -v[24:25], v[68:69], v[18:19]
	ds_read_b128 v[66:69], v84
	v_mul_f64 v[18:19], v[78:79], v[18:19]
	ds_write_b64 v72, v[18:19]
	ds_read_b128 v[72:75], v84 offset:16
	ds_read_b128 v[76:79], v84 offset:32
	;; [unrolled: 1-line block ×3, first 2 shown]
	s_waitcnt lgkmcnt(4)
	v_fma_f64 v[20:21], -v[62:63], v[66:67], v[20:21]
	v_fma_f64 v[20:21], -v[64:65], v[68:69], v[20:21]
	s_waitcnt lgkmcnt(2)
	v_fma_f64 v[20:21], -v[58:59], v[72:73], v[20:21]
	v_fma_f64 v[20:21], -v[60:61], v[74:75], v[20:21]
	ds_read_b128 v[66:69], v84 offset:64
	ds_read_b128 v[72:75], v84 offset:80
	s_waitcnt lgkmcnt(3)
	v_fma_f64 v[20:21], -v[54:55], v[76:77], v[20:21]
	v_fma_f64 v[20:21], -v[56:57], v[78:79], v[20:21]
	s_waitcnt lgkmcnt(2)
	v_fma_f64 v[20:21], -v[50:51], v[80:81], v[20:21]
	v_fma_f64 v[20:21], -v[52:53], v[82:83], v[20:21]
	ds_read_b128 v[76:79], v84 offset:96
	s_waitcnt lgkmcnt(2)
	v_fma_f64 v[20:21], -v[46:47], v[66:67], v[20:21]
	v_fma_f64 v[20:21], -v[48:49], v[68:69], v[20:21]
	ds_read_b128 v[66:69], v84 offset:112
	s_waitcnt lgkmcnt(2)
	v_fma_f64 v[20:21], -v[42:43], v[72:73], v[20:21]
	v_fma_f64 v[20:21], -v[44:45], v[74:75], v[20:21]
	s_waitcnt lgkmcnt(1)
	v_fma_f64 v[20:21], -v[38:39], v[76:77], v[20:21]
	ds_read_b128 v[72:75], v84 offset:128
	v_fma_f64 v[20:21], -v[40:41], v[78:79], v[20:21]
	s_waitcnt lgkmcnt(1)
	v_fma_f64 v[20:21], -v[34:35], v[66:67], v[20:21]
	v_fma_f64 v[20:21], -v[36:37], v[68:69], v[20:21]
	ds_read_b128 v[66:69], v84 offset:144
	ds_read_b128 v[76:79], v84 offset:160
	s_waitcnt lgkmcnt(2)
	v_fma_f64 v[20:21], -v[30:31], v[72:73], v[20:21]
	v_fma_f64 v[20:21], -v[32:33], v[74:75], v[20:21]
	ds_read_b128 v[72:75], v84 offset:176
	s_waitcnt lgkmcnt(2)
	v_fma_f64 v[20:21], -v[26:27], v[66:67], v[20:21]
	v_fma_f64 v[20:21], -v[28:29], v[68:69], v[20:21]
	s_waitcnt lgkmcnt(1)
	v_fma_f64 v[20:21], -v[22:23], v[76:77], v[20:21]
	v_fma_f64 v[20:21], -v[24:25], v[78:79], v[20:21]
	s_waitcnt lgkmcnt(0)
	v_fma_f64 v[20:21], -v[18:19], v[72:73], v[20:21]
	v_add_u32_e32 v72, s9, v1
	s_or_b32 s9, s7, 0x3000
	s_add_i32 s12, s8, s9
	v_mov_b32_e32 v84, s12
	ds_read_b128 v[66:69], v84
	v_mul_f64 v[20:21], v[74:75], v[20:21]
	ds_write_b64 v72, v[20:21]
	ds_read_b128 v[72:75], v84 offset:16
	ds_read_b128 v[76:79], v84 offset:32
	;; [unrolled: 1-line block ×3, first 2 shown]
	s_waitcnt lgkmcnt(4)
	v_fma_f64 v[14:15], -v[62:63], v[66:67], v[14:15]
	v_fma_f64 v[14:15], -v[64:65], v[68:69], v[14:15]
	s_waitcnt lgkmcnt(2)
	v_fma_f64 v[14:15], -v[58:59], v[72:73], v[14:15]
	v_fma_f64 v[14:15], -v[60:61], v[74:75], v[14:15]
	ds_read_b128 v[66:69], v84 offset:64
	ds_read_b128 v[72:75], v84 offset:80
	s_waitcnt lgkmcnt(3)
	v_fma_f64 v[14:15], -v[54:55], v[76:77], v[14:15]
	v_fma_f64 v[14:15], -v[56:57], v[78:79], v[14:15]
	s_waitcnt lgkmcnt(2)
	v_fma_f64 v[14:15], -v[50:51], v[80:81], v[14:15]
	v_fma_f64 v[14:15], -v[52:53], v[82:83], v[14:15]
	ds_read_b128 v[76:79], v84 offset:96
	s_waitcnt lgkmcnt(2)
	v_fma_f64 v[14:15], -v[46:47], v[66:67], v[14:15]
	v_fma_f64 v[14:15], -v[48:49], v[68:69], v[14:15]
	ds_read_b128 v[66:69], v84 offset:112
	;; [unrolled: 4-line block ×6, first 2 shown]
	s_waitcnt lgkmcnt(2)
	v_fma_f64 v[14:15], -v[26:27], v[76:77], v[14:15]
	v_add_u32_e32 v76, 0x3000, v71
	v_fma_f64 v[14:15], -v[28:29], v[78:79], v[14:15]
	ds_read2_b64 v[76:79], v76 offset0:24 offset1:154
	s_waitcnt lgkmcnt(2)
	v_fma_f64 v[14:15], -v[22:23], v[66:67], v[14:15]
	v_fma_f64 v[14:15], -v[24:25], v[68:69], v[14:15]
	s_waitcnt lgkmcnt(1)
	v_fma_f64 v[14:15], -v[18:19], v[72:73], v[14:15]
	v_add_u32_e32 v72, s9, v1
	s_or_b32 s9, s7, 0x3200
	v_fma_f64 v[14:15], -v[20:21], v[74:75], v[14:15]
	s_add_i32 s12, s8, s9
	s_waitcnt lgkmcnt(0)
	v_mul_f64 v[14:15], v[76:77], v[14:15]
	v_mov_b32_e32 v76, s12
	ds_read_b128 v[66:69], v76
	ds_write_b64 v72, v[14:15]
	ds_read_b128 v[72:75], v76 offset:16
	ds_read_b128 v[80:83], v76 offset:32
	;; [unrolled: 1-line block ×3, first 2 shown]
	s_or_b32 s12, s7, 0x3400
	s_add_i32 s13, s8, s12
	s_waitcnt lgkmcnt(4)
	v_fma_f64 v[16:17], -v[62:63], v[66:67], v[16:17]
	v_fma_f64 v[16:17], -v[64:65], v[68:69], v[16:17]
	s_waitcnt lgkmcnt(2)
	v_fma_f64 v[16:17], -v[58:59], v[72:73], v[16:17]
	v_fma_f64 v[16:17], -v[60:61], v[74:75], v[16:17]
	ds_read_b128 v[66:69], v76 offset:64
	ds_read_b128 v[72:75], v76 offset:80
	s_waitcnt lgkmcnt(3)
	v_fma_f64 v[16:17], -v[54:55], v[80:81], v[16:17]
	v_fma_f64 v[16:17], -v[56:57], v[82:83], v[16:17]
	s_waitcnt lgkmcnt(2)
	v_fma_f64 v[16:17], -v[50:51], v[84:85], v[16:17]
	v_fma_f64 v[16:17], -v[52:53], v[86:87], v[16:17]
	ds_read_b128 v[80:83], v76 offset:96
	s_waitcnt lgkmcnt(2)
	v_fma_f64 v[16:17], -v[46:47], v[66:67], v[16:17]
	v_fma_f64 v[16:17], -v[48:49], v[68:69], v[16:17]
	ds_read_b128 v[66:69], v76 offset:112
	s_waitcnt lgkmcnt(2)
	v_fma_f64 v[16:17], -v[42:43], v[72:73], v[16:17]
	v_fma_f64 v[16:17], -v[44:45], v[74:75], v[16:17]
	s_waitcnt lgkmcnt(1)
	v_fma_f64 v[16:17], -v[38:39], v[80:81], v[16:17]
	ds_read_b128 v[72:75], v76 offset:128
	v_fma_f64 v[16:17], -v[40:41], v[82:83], v[16:17]
	s_waitcnt lgkmcnt(1)
	v_fma_f64 v[16:17], -v[34:35], v[66:67], v[16:17]
	v_fma_f64 v[16:17], -v[36:37], v[68:69], v[16:17]
	ds_read_b128 v[66:69], v76 offset:144
	ds_read_b128 v[80:83], v76 offset:160
	s_waitcnt lgkmcnt(2)
	v_fma_f64 v[16:17], -v[30:31], v[72:73], v[16:17]
	v_fma_f64 v[16:17], -v[32:33], v[74:75], v[16:17]
	ds_read_b128 v[72:75], v76 offset:176
	s_waitcnt lgkmcnt(2)
	v_fma_f64 v[16:17], -v[26:27], v[66:67], v[16:17]
	v_fma_f64 v[16:17], -v[28:29], v[68:69], v[16:17]
	;; [unrolled: 4-line block ×3, first 2 shown]
	s_waitcnt lgkmcnt(1)
	v_fma_f64 v[16:17], -v[18:19], v[72:73], v[16:17]
	v_mov_b32_e32 v76, s13
	v_fma_f64 v[16:17], -v[20:21], v[74:75], v[16:17]
	ds_read_b128 v[72:75], v76
	s_waitcnt lgkmcnt(1)
	v_fma_f64 v[16:17], -v[14:15], v[66:67], v[16:17]
	v_mul_f64 v[16:17], v[68:69], v[16:17]
	v_add_u32_e32 v66, s9, v1
	ds_write_b64 v66, v[16:17]
	ds_read_b128 v[66:69], v76 offset:16
	ds_read_b128 v[80:83], v76 offset:32
	;; [unrolled: 1-line block ×3, first 2 shown]
	s_waitcnt lgkmcnt(4)
	v_fma_f64 v[10:11], -v[62:63], v[72:73], v[10:11]
	v_fma_f64 v[10:11], -v[64:65], v[74:75], v[10:11]
	s_waitcnt lgkmcnt(2)
	v_fma_f64 v[10:11], -v[58:59], v[66:67], v[10:11]
	v_fma_f64 v[10:11], -v[60:61], v[68:69], v[10:11]
	ds_read_b128 v[66:69], v76 offset:64
	ds_read_b128 v[72:75], v76 offset:80
	s_waitcnt lgkmcnt(3)
	v_fma_f64 v[10:11], -v[54:55], v[80:81], v[10:11]
	v_fma_f64 v[10:11], -v[56:57], v[82:83], v[10:11]
	s_waitcnt lgkmcnt(2)
	v_fma_f64 v[10:11], -v[50:51], v[84:85], v[10:11]
	v_fma_f64 v[10:11], -v[52:53], v[86:87], v[10:11]
	ds_read_b128 v[80:83], v76 offset:96
	s_waitcnt lgkmcnt(2)
	v_fma_f64 v[10:11], -v[46:47], v[66:67], v[10:11]
	v_fma_f64 v[10:11], -v[48:49], v[68:69], v[10:11]
	ds_read_b128 v[66:69], v76 offset:112
	;; [unrolled: 4-line block ×7, first 2 shown]
	s_waitcnt lgkmcnt(2)
	v_fma_f64 v[10:11], -v[22:23], v[66:67], v[10:11]
	v_fma_f64 v[10:11], -v[24:25], v[68:69], v[10:11]
	s_waitcnt lgkmcnt(1)
	v_fma_f64 v[10:11], -v[18:19], v[72:73], v[10:11]
	v_fma_f64 v[10:11], -v[20:21], v[74:75], v[10:11]
	;; [unrolled: 3-line block ×3, first 2 shown]
	s_or_b32 s9, s7, 0x3600
	v_mul_f64 v[66:67], v[78:79], v[10:11]
	v_add_u32_e32 v10, s12, v1
	s_add_i32 s12, s8, s9
	v_mov_b32_e32 v88, s12
	ds_read_b128 v[72:75], v88
	ds_write_b64 v10, v[66:67]
	ds_read_b128 v[76:79], v88 offset:16
	ds_read_b128 v[80:83], v88 offset:32
	;; [unrolled: 1-line block ×3, first 2 shown]
	s_waitcnt lgkmcnt(4)
	v_fma_f64 v[10:11], -v[62:63], v[72:73], v[12:13]
	v_fma_f64 v[10:11], -v[64:65], v[74:75], v[10:11]
	s_waitcnt lgkmcnt(2)
	v_fma_f64 v[10:11], -v[58:59], v[76:77], v[10:11]
	v_fma_f64 v[10:11], -v[60:61], v[78:79], v[10:11]
	s_waitcnt lgkmcnt(1)
	v_fma_f64 v[68:69], -v[54:55], v[80:81], v[10:11]
	ds_read_b128 v[10:13], v88 offset:64
	ds_read_b128 v[72:75], v88 offset:80
	v_fma_f64 v[68:69], -v[56:57], v[82:83], v[68:69]
	s_waitcnt lgkmcnt(2)
	v_fma_f64 v[68:69], -v[50:51], v[84:85], v[68:69]
	v_fma_f64 v[68:69], -v[52:53], v[86:87], v[68:69]
	s_waitcnt lgkmcnt(1)
	v_fma_f64 v[10:11], -v[46:47], v[10:11], v[68:69]
	ds_read_b128 v[76:79], v88 offset:96
	v_fma_f64 v[10:11], -v[48:49], v[12:13], v[10:11]
	s_waitcnt lgkmcnt(1)
	v_fma_f64 v[68:69], -v[42:43], v[72:73], v[10:11]
	ds_read_b128 v[10:13], v88 offset:112
	v_fma_f64 v[68:69], -v[44:45], v[74:75], v[68:69]
	ds_read_b128 v[72:75], v88 offset:128
	s_waitcnt lgkmcnt(2)
	v_fma_f64 v[68:69], -v[38:39], v[76:77], v[68:69]
	v_fma_f64 v[68:69], -v[40:41], v[78:79], v[68:69]
	s_waitcnt lgkmcnt(1)
	v_fma_f64 v[10:11], -v[34:35], v[10:11], v[68:69]
	ds_read_b128 v[76:79], v88 offset:144
	v_fma_f64 v[10:11], -v[36:37], v[12:13], v[10:11]
	s_waitcnt lgkmcnt(1)
	v_fma_f64 v[68:69], -v[30:31], v[72:73], v[10:11]
	ds_read_b128 v[10:13], v88 offset:160
	v_fma_f64 v[68:69], -v[32:33], v[74:75], v[68:69]
	ds_read_b128 v[72:75], v88 offset:176
	s_waitcnt lgkmcnt(2)
	v_fma_f64 v[68:69], -v[26:27], v[76:77], v[68:69]
	v_fma_f64 v[68:69], -v[28:29], v[78:79], v[68:69]
	ds_read_b128 v[76:79], v88 offset:192
	s_waitcnt lgkmcnt(2)
	v_fma_f64 v[10:11], -v[22:23], v[10:11], v[68:69]
	;; [unrolled: 4-line block ×3, first 2 shown]
	v_fma_f64 v[68:69], -v[20:21], v[74:75], v[68:69]
	s_waitcnt lgkmcnt(1)
	v_fma_f64 v[68:69], -v[14:15], v[76:77], v[68:69]
	v_add_u32_e32 v72, s9, v1
	s_or_b32 s9, s7, 0x3800
	v_fma_f64 v[68:69], -v[16:17], v[78:79], v[68:69]
	s_add_i32 s12, s8, s9
	s_waitcnt lgkmcnt(0)
	v_fma_f64 v[10:11], -v[66:67], v[10:11], v[68:69]
	v_mov_b32_e32 v84, s12
	v_mul_f64 v[68:69], v[12:13], v[10:11]
	ds_read_b128 v[10:13], v84
	ds_write_b64 v72, v[68:69]
	ds_read_b128 v[72:75], v84 offset:16
	ds_read_b128 v[76:79], v84 offset:32
	;; [unrolled: 1-line block ×3, first 2 shown]
	s_waitcnt lgkmcnt(4)
	v_fma_f64 v[6:7], -v[62:63], v[10:11], v[6:7]
	v_fma_f64 v[6:7], -v[64:65], v[12:13], v[6:7]
	s_waitcnt lgkmcnt(2)
	v_fma_f64 v[6:7], -v[58:59], v[72:73], v[6:7]
	v_fma_f64 v[6:7], -v[60:61], v[74:75], v[6:7]
	ds_read_b128 v[10:13], v84 offset:64
	ds_read_b128 v[72:75], v84 offset:80
	s_waitcnt lgkmcnt(3)
	v_fma_f64 v[6:7], -v[54:55], v[76:77], v[6:7]
	v_fma_f64 v[6:7], -v[56:57], v[78:79], v[6:7]
	s_waitcnt lgkmcnt(2)
	v_fma_f64 v[6:7], -v[50:51], v[80:81], v[6:7]
	v_fma_f64 v[6:7], -v[52:53], v[82:83], v[6:7]
	ds_read_b128 v[76:79], v84 offset:96
	s_waitcnt lgkmcnt(2)
	v_fma_f64 v[6:7], -v[46:47], v[10:11], v[6:7]
	v_fma_f64 v[6:7], -v[48:49], v[12:13], v[6:7]
	ds_read_b128 v[10:13], v84 offset:112
	s_waitcnt lgkmcnt(2)
	v_fma_f64 v[6:7], -v[42:43], v[72:73], v[6:7]
	v_fma_f64 v[6:7], -v[44:45], v[74:75], v[6:7]
	s_waitcnt lgkmcnt(1)
	v_fma_f64 v[6:7], -v[38:39], v[76:77], v[6:7]
	ds_read_b128 v[72:75], v84 offset:128
	v_fma_f64 v[6:7], -v[40:41], v[78:79], v[6:7]
	s_waitcnt lgkmcnt(1)
	v_fma_f64 v[6:7], -v[34:35], v[10:11], v[6:7]
	v_fma_f64 v[6:7], -v[36:37], v[12:13], v[6:7]
	ds_read_b128 v[10:13], v84 offset:144
	ds_read_b128 v[76:79], v84 offset:160
	s_waitcnt lgkmcnt(2)
	v_fma_f64 v[6:7], -v[30:31], v[72:73], v[6:7]
	v_fma_f64 v[6:7], -v[32:33], v[74:75], v[6:7]
	ds_read_b128 v[72:75], v84 offset:176
	s_waitcnt lgkmcnt(2)
	v_fma_f64 v[6:7], -v[26:27], v[10:11], v[6:7]
	v_fma_f64 v[6:7], -v[28:29], v[12:13], v[6:7]
	s_waitcnt lgkmcnt(1)
	v_fma_f64 v[6:7], -v[22:23], v[76:77], v[6:7]
	v_fma_f64 v[6:7], -v[24:25], v[78:79], v[6:7]
	ds_read_b128 v[76:79], v84 offset:192
	s_waitcnt lgkmcnt(1)
	v_fma_f64 v[6:7], -v[18:19], v[72:73], v[6:7]
	v_fma_f64 v[6:7], -v[20:21], v[74:75], v[6:7]
	ds_read_b128 v[72:75], v84 offset:208
	v_add_u32_e32 v10, 0x3800, v71
	ds_read2_b64 v[10:13], v10 offset0:28 offset1:158
	s_waitcnt lgkmcnt(2)
	v_fma_f64 v[6:7], -v[14:15], v[76:77], v[6:7]
	v_fma_f64 v[6:7], -v[16:17], v[78:79], v[6:7]
	s_waitcnt lgkmcnt(1)
	v_fma_f64 v[6:7], -v[66:67], v[72:73], v[6:7]
	v_fma_f64 v[6:7], -v[68:69], v[74:75], v[6:7]
	s_waitcnt lgkmcnt(0)
	v_mul_f64 v[6:7], v[10:11], v[6:7]
	v_add_u32_e32 v10, s9, v1
	s_or_b32 s9, s7, 0x3a00
	s_add_i32 s12, s8, s9
	v_mov_b32_e32 v71, s12
	ds_read_b128 v[72:75], v71
	ds_write_b64 v10, v[6:7]
	ds_read_b128 v[76:79], v71 offset:16
	ds_read_b128 v[80:83], v71 offset:32
	ds_read_b128 v[84:87], v71 offset:48
	s_or_b32 s12, s7, 0x3c00
	s_add_i32 s13, s8, s12
	s_waitcnt lgkmcnt(4)
	v_fma_f64 v[8:9], -v[62:63], v[72:73], v[8:9]
	v_fma_f64 v[8:9], -v[64:65], v[74:75], v[8:9]
	s_waitcnt lgkmcnt(2)
	v_fma_f64 v[8:9], -v[58:59], v[76:77], v[8:9]
	v_fma_f64 v[8:9], -v[60:61], v[78:79], v[8:9]
	s_waitcnt lgkmcnt(1)
	v_fma_f64 v[72:73], -v[54:55], v[80:81], v[8:9]
	ds_read_b128 v[8:11], v71 offset:64
	v_fma_f64 v[72:73], -v[56:57], v[82:83], v[72:73]
	s_waitcnt lgkmcnt(1)
	v_fma_f64 v[76:77], -v[50:51], v[84:85], v[72:73]
	ds_read_b128 v[72:75], v71 offset:80
	;; [unrolled: 4-line block ×7, first 2 shown]
	v_fma_f64 v[72:73], -v[32:33], v[74:75], v[72:73]
	s_waitcnt lgkmcnt(1)
	v_fma_f64 v[72:73], -v[26:27], v[76:77], v[72:73]
	v_fma_f64 v[76:77], -v[28:29], v[78:79], v[72:73]
	ds_read_b128 v[72:75], v71 offset:176
	s_waitcnt lgkmcnt(1)
	v_fma_f64 v[8:9], -v[22:23], v[8:9], v[76:77]
	ds_read_b128 v[76:79], v71 offset:192
	v_fma_f64 v[80:81], -v[24:25], v[10:11], v[8:9]
	ds_read_b128 v[8:11], v71 offset:208
	s_waitcnt lgkmcnt(2)
	v_fma_f64 v[72:73], -v[18:19], v[72:73], v[80:81]
	v_fma_f64 v[72:73], -v[20:21], v[74:75], v[72:73]
	s_waitcnt lgkmcnt(1)
	v_fma_f64 v[72:73], -v[14:15], v[76:77], v[72:73]
	v_fma_f64 v[72:73], -v[16:17], v[78:79], v[72:73]
	;; [unrolled: 3-line block ×3, first 2 shown]
	ds_read_b128 v[8:11], v71 offset:224
	v_mov_b32_e32 v71, s13
	ds_read_b128 v[72:75], v71
	s_or_b32 s7, s7, 0x3e00
	s_add_i32 s8, s8, s7
	s_waitcnt lgkmcnt(1)
	v_fma_f64 v[8:9], -v[6:7], v[8:9], v[76:77]
	v_mul_f64 v[8:9], v[10:11], v[8:9]
	v_add_u32_e32 v10, s9, v1
	ds_write_b64 v10, v[8:9]
	ds_read_b128 v[76:79], v71 offset:16
	ds_read_b128 v[80:83], v71 offset:32
	ds_read_b128 v[84:87], v71 offset:48
	s_waitcnt lgkmcnt(4)
	v_fma_f64 v[2:3], -v[62:63], v[72:73], v[2:3]
	v_fma_f64 v[2:3], -v[64:65], v[74:75], v[2:3]
	s_waitcnt lgkmcnt(2)
	v_fma_f64 v[2:3], -v[58:59], v[76:77], v[2:3]
	v_fma_f64 v[2:3], -v[60:61], v[78:79], v[2:3]
	ds_read_b128 v[72:75], v71 offset:64
	ds_read_b128 v[76:79], v71 offset:80
	s_waitcnt lgkmcnt(3)
	v_fma_f64 v[2:3], -v[54:55], v[80:81], v[2:3]
	v_fma_f64 v[2:3], -v[56:57], v[82:83], v[2:3]
	s_waitcnt lgkmcnt(2)
	v_fma_f64 v[2:3], -v[50:51], v[84:85], v[2:3]
	v_fma_f64 v[2:3], -v[52:53], v[86:87], v[2:3]
	ds_read_b128 v[80:83], v71 offset:96
	s_waitcnt lgkmcnt(2)
	v_fma_f64 v[2:3], -v[46:47], v[72:73], v[2:3]
	v_fma_f64 v[2:3], -v[48:49], v[74:75], v[2:3]
	ds_read_b128 v[72:75], v71 offset:112
	;; [unrolled: 4-line block ×5, first 2 shown]
	s_waitcnt lgkmcnt(2)
	v_fma_f64 v[2:3], -v[30:31], v[76:77], v[2:3]
	v_fma_f64 v[2:3], -v[32:33], v[78:79], v[2:3]
	s_waitcnt lgkmcnt(1)
	v_fma_f64 v[2:3], -v[26:27], v[80:81], v[2:3]
	ds_read_b128 v[76:79], v71 offset:176
	v_fma_f64 v[2:3], -v[28:29], v[82:83], v[2:3]
	s_waitcnt lgkmcnt(1)
	v_fma_f64 v[2:3], -v[22:23], v[72:73], v[2:3]
	v_fma_f64 v[2:3], -v[24:25], v[74:75], v[2:3]
	ds_read_b128 v[72:75], v71 offset:192
	ds_read_b128 v[80:83], v71 offset:208
	s_waitcnt lgkmcnt(2)
	v_fma_f64 v[2:3], -v[18:19], v[76:77], v[2:3]
	v_fma_f64 v[2:3], -v[20:21], v[78:79], v[2:3]
	ds_read_b128 v[76:79], v71 offset:224
	s_waitcnt lgkmcnt(2)
	v_fma_f64 v[2:3], -v[14:15], v[72:73], v[2:3]
	v_fma_f64 v[2:3], -v[16:17], v[74:75], v[2:3]
	s_waitcnt lgkmcnt(1)
	v_fma_f64 v[2:3], -v[66:67], v[80:81], v[2:3]
	v_fma_f64 v[2:3], -v[68:69], v[82:83], v[2:3]
	;; [unrolled: 3-line block ×3, first 2 shown]
	v_mov_b32_e32 v71, s8
	v_mul_f64 v[84:85], v[12:13], v[2:3]
	ds_read_b128 v[10:13], v71
	v_add_u32_e32 v2, s12, v1
	ds_write_b64 v2, v[84:85]
	ds_read_b128 v[72:75], v71 offset:16
	ds_read_b128 v[76:79], v71 offset:32
	;; [unrolled: 1-line block ×3, first 2 shown]
	s_waitcnt lgkmcnt(4)
	v_fma_f64 v[2:3], -v[62:63], v[10:11], v[4:5]
	v_fma_f64 v[2:3], -v[64:65], v[12:13], v[2:3]
	s_waitcnt lgkmcnt(2)
	v_fma_f64 v[2:3], -v[58:59], v[72:73], v[2:3]
	v_fma_f64 v[2:3], -v[60:61], v[74:75], v[2:3]
	s_waitcnt lgkmcnt(1)
	v_fma_f64 v[10:11], -v[54:55], v[76:77], v[2:3]
	ds_read_b128 v[2:5], v71 offset:64
	v_fma_f64 v[10:11], -v[56:57], v[78:79], v[10:11]
	s_waitcnt lgkmcnt(1)
	v_fma_f64 v[50:51], -v[50:51], v[80:81], v[10:11]
	ds_read_b128 v[10:13], v71 offset:80
	v_fma_f64 v[50:51], -v[52:53], v[82:83], v[50:51]
	s_waitcnt lgkmcnt(1)
	v_fma_f64 v[2:3], -v[46:47], v[2:3], v[50:51]
	ds_read_b128 v[50:53], v71 offset:96
	v_fma_f64 v[2:3], -v[48:49], v[4:5], v[2:3]
	s_waitcnt lgkmcnt(1)
	v_fma_f64 v[10:11], -v[42:43], v[10:11], v[2:3]
	ds_read_b128 v[2:5], v71 offset:112
	v_fma_f64 v[10:11], -v[44:45], v[12:13], v[10:11]
	s_waitcnt lgkmcnt(1)
	v_fma_f64 v[38:39], -v[38:39], v[50:51], v[10:11]
	ds_read_b128 v[10:13], v71 offset:128
	v_fma_f64 v[38:39], -v[40:41], v[52:53], v[38:39]
	s_waitcnt lgkmcnt(1)
	v_fma_f64 v[2:3], -v[34:35], v[2:3], v[38:39]
	ds_read_b128 v[38:41], v71 offset:144
	v_fma_f64 v[2:3], -v[36:37], v[4:5], v[2:3]
	s_waitcnt lgkmcnt(1)
	v_fma_f64 v[10:11], -v[30:31], v[10:11], v[2:3]
	ds_read_b128 v[2:5], v71 offset:160
	v_fma_f64 v[10:11], -v[32:33], v[12:13], v[10:11]
	s_waitcnt lgkmcnt(1)
	v_fma_f64 v[26:27], -v[26:27], v[38:39], v[10:11]
	ds_read_b128 v[10:13], v71 offset:176
	v_fma_f64 v[26:27], -v[28:29], v[40:41], v[26:27]
	s_waitcnt lgkmcnt(1)
	v_fma_f64 v[2:3], -v[22:23], v[2:3], v[26:27]
	ds_read_b128 v[26:29], v71 offset:192
	v_fma_f64 v[2:3], -v[24:25], v[4:5], v[2:3]
	s_waitcnt lgkmcnt(1)
	v_fma_f64 v[2:3], -v[18:19], v[10:11], v[2:3]
	v_fma_f64 v[10:11], -v[20:21], v[12:13], v[2:3]
	ds_read_b128 v[2:5], v71 offset:208
	s_waitcnt lgkmcnt(1)
	v_fma_f64 v[14:15], -v[14:15], v[26:27], v[10:11]
	ds_read_b128 v[10:13], v71 offset:224
	v_fma_f64 v[18:19], -v[16:17], v[28:29], v[14:15]
	ds_read_b128 v[14:17], v71 offset:240
	s_waitcnt lgkmcnt(2)
	v_fma_f64 v[2:3], -v[66:67], v[2:3], v[18:19]
	v_fma_f64 v[2:3], -v[68:69], v[4:5], v[2:3]
	s_waitcnt lgkmcnt(1)
	v_fma_f64 v[2:3], -v[6:7], v[10:11], v[2:3]
	v_fma_f64 v[2:3], -v[8:9], v[12:13], v[2:3]
	s_waitcnt lgkmcnt(0)
	v_fma_f64 v[2:3], -v[84:85], v[14:15], v[2:3]
	v_add_u32_e32 v4, s7, v1
	s_add_i32 s7, s5, 32
	s_add_i32 s5, s5, 63
	v_mul_f64 v[2:3], v[16:17], v[2:3]
	s_cmp_ge_i32 s5, s22
	ds_write_b64 v4, v[2:3]
	s_cbranch_scc1 .LBB107_16
; %bb.15:                               ;   in Loop: Header=BB107_12 Depth=1
	s_mov_b32 s5, s7
	s_branch .LBB107_12
.LBB107_16:
	s_cmp_lt_i32 s7, s22
	s_cbranch_scc0 .LBB107_34
; %bb.17:
	s_add_i32 s4, s7, 3
	s_cmp_ge_i32 s4, s22
	s_cbranch_scc1 .LBB107_28
; %bb.18:
	v_mov_b32_e32 v2, 0x8000
	s_add_i32 s4, s7, -1
	s_lshl_b32 s5, s7, 9
	v_lshl_or_b32 v10, v0, 3, v2
	s_mov_b32 s8, 0
	s_mov_b32 s9, s7
.LBB107_19:                             ; =>This Loop Header: Depth=1
                                        ;     Child Loop BB107_22 Depth 2
                                        ;     Child Loop BB107_25 Depth 2
	s_lshl_b32 s12, s7, 9
	v_add_u32_e32 v11, s12, v1
	ds_read2st64_b64 v[6:9], v11 offset1:1
	ds_read2st64_b64 v[2:5], v11 offset0:2 offset1:3
	s_cmp_eq_u32 s7, 0
	s_cbranch_scc1 .LBB107_26
; %bb.20:                               ;   in Loop: Header=BB107_19 Depth=1
	s_lshl_b32 s13, s8, 2
	s_add_i32 s13, s4, s13
	s_cmp_lt_u32 s13, 7
	s_mov_b32 s13, 0
	s_cbranch_scc1 .LBB107_23
; %bb.21:                               ;   in Loop: Header=BB107_19 Depth=1
	s_and_b32 s13, s7, -8
	s_mov_b32 s14, 0
	v_mov_b32_e32 v12, v10
	s_mov_b32 s15, s5
.LBB107_22:                             ;   Parent Loop BB107_19 Depth=1
                                        ; =>  This Inner Loop Header: Depth=2
	ds_read2st64_b64 v[14:17], v12 offset1:1
	ds_read2st64_b64 v[18:21], v12 offset0:2 offset1:3
	ds_read2st64_b64 v[22:25], v12 offset0:4 offset1:5
	;; [unrolled: 1-line block ×3, first 2 shown]
	v_mov_b32_e32 v13, s15
	ds_read_b128 v[30:33], v13
	ds_read_b128 v[34:37], v13 offset:16
	ds_read_b128 v[38:41], v13 offset:32
	;; [unrolled: 1-line block ×15, first 2 shown]
	s_waitcnt lgkmcnt(14)
	v_fma_f64 v[6:7], -v[14:15], v[30:31], v[6:7]
	s_waitcnt lgkmcnt(11)
	v_fma_f64 v[8:9], -v[14:15], v[46:47], v[8:9]
	;; [unrolled: 2-line block ×4, first 2 shown]
	v_fma_f64 v[6:7], -v[16:17], v[32:33], v[6:7]
	v_fma_f64 v[8:9], -v[16:17], v[48:49], v[8:9]
	;; [unrolled: 1-line block ×7, first 2 shown]
	s_waitcnt lgkmcnt(6)
	v_fma_f64 v[4:5], -v[18:19], v[66:67], v[4:5]
	v_fma_f64 v[6:7], -v[20:21], v[36:37], v[6:7]
	;; [unrolled: 1-line block ×6, first 2 shown]
	s_waitcnt lgkmcnt(5)
	v_fma_f64 v[8:9], -v[22:23], v[70:71], v[8:9]
	s_waitcnt lgkmcnt(3)
	v_fma_f64 v[2:3], -v[22:23], v[78:79], v[2:3]
	s_waitcnt lgkmcnt(1)
	v_fma_f64 v[4:5], -v[22:23], v[86:87], v[4:5]
	v_fma_f64 v[6:7], -v[24:25], v[40:41], v[6:7]
	v_fma_f64 v[8:9], -v[24:25], v[72:73], v[8:9]
	;; [unrolled: 1-line block ×4, first 2 shown]
	s_add_i32 s14, s14, 8
	s_add_i32 s15, s15, 64
	v_fma_f64 v[6:7], -v[26:27], v[42:43], v[6:7]
	v_fma_f64 v[8:9], -v[26:27], v[74:75], v[8:9]
	;; [unrolled: 1-line block ×3, first 2 shown]
	s_waitcnt lgkmcnt(0)
	v_fma_f64 v[4:5], -v[26:27], v[90:91], v[4:5]
	v_add_u32_e32 v12, 0x1000, v12
	s_cmp_lg_u32 s13, s14
	v_fma_f64 v[6:7], -v[28:29], v[44:45], v[6:7]
	v_fma_f64 v[8:9], -v[28:29], v[76:77], v[8:9]
	;; [unrolled: 1-line block ×4, first 2 shown]
	s_cbranch_scc1 .LBB107_22
.LBB107_23:                             ;   in Loop: Header=BB107_19 Depth=1
	s_and_b32 s14, s7, 7
	s_cmp_eq_u32 s14, 0
	s_cbranch_scc1 .LBB107_26
; %bb.24:                               ;   in Loop: Header=BB107_19 Depth=1
	s_and_b32 s14, s9, 7
	s_lshl_b32 s15, s13, 3
	v_lshl_add_u32 v12, s13, 9, v10
.LBB107_25:                             ;   Parent Loop BB107_19 Depth=1
                                        ; =>  This Inner Loop Header: Depth=2
	s_add_i32 s13, s5, s15
	v_mov_b32_e32 v13, s13
	ds_read_b64 v[22:23], v12
	ds_read2st64_b64 v[14:17], v13 offset1:1
	ds_read2st64_b64 v[18:21], v13 offset0:2 offset1:3
	s_add_i32 s15, s15, 8
	s_add_i32 s14, s14, -1
	v_add_u32_e32 v12, 0x200, v12
	s_cmp_lg_u32 s14, 0
	s_waitcnt lgkmcnt(1)
	v_fma_f64 v[6:7], -v[22:23], v[14:15], v[6:7]
	v_fma_f64 v[8:9], -v[22:23], v[16:17], v[8:9]
	s_waitcnt lgkmcnt(0)
	v_fma_f64 v[2:3], -v[22:23], v[18:19], v[2:3]
	v_fma_f64 v[4:5], -v[22:23], v[20:21], v[4:5]
	s_cbranch_scc1 .LBB107_25
.LBB107_26:                             ;   in Loop: Header=BB107_19 Depth=1
	s_lshl_b32 s13, s7, 3
	s_add_i32 s14, s13, s12
	v_mov_b32_e32 v12, s14
	ds_read2_b64 v[12:15], v12 offset1:130
	s_add_i32 s14, s12, 0x200
	s_add_i32 s15, s13, s14
	v_mov_b32_e32 v16, s15
	s_add_i32 s15, s12, 0x400
	ds_read2_b64 v[16:19], v16 offset1:1
	s_add_i32 s17, s13, s15
	s_waitcnt lgkmcnt(1)
	v_mul_f64 v[24:25], v[12:13], v[6:7]
	v_mov_b32_e32 v6, s17
	ds_read2_b64 v[20:23], v6 offset1:1
	s_addk_i32 s12, 0x600
	s_waitcnt lgkmcnt(1)
	v_fma_f64 v[6:7], -v[24:25], v[16:17], v[8:9]
	s_add_i32 s13, s13, s12
	ds_write_b64 v11, v[24:25]
	v_mul_f64 v[16:17], v[18:19], v[6:7]
	v_add_u32_e32 v6, s14, v1
	v_mov_b32_e32 v11, s13
	ds_write_b64 v6, v[16:17]
	s_waitcnt lgkmcnt(2)
	v_fma_f64 v[2:3], -v[24:25], v[20:21], v[2:3]
	ds_read2_b64 v[6:9], v11 offset1:1
	v_fma_f64 v[2:3], -v[16:17], v[22:23], v[2:3]
	v_mul_f64 v[2:3], v[14:15], v[2:3]
	ds_read2_b64 v[12:15], v11 offset0:2 offset1:3
	v_add_u32_e32 v11, s15, v1
	s_waitcnt lgkmcnt(1)
	v_fma_f64 v[4:5], -v[24:25], v[6:7], v[4:5]
	v_fma_f64 v[4:5], -v[16:17], v[8:9], v[4:5]
	ds_write_b64 v11, v[2:3]
	s_waitcnt lgkmcnt(1)
	v_fma_f64 v[2:3], -v[2:3], v[12:13], v[4:5]
	v_add_u32_e32 v4, s12, v1
	s_add_i32 s12, s7, 4
	s_add_i32 s7, s7, 7
	;; [unrolled: 1-line block ×3, first 2 shown]
	s_addk_i32 s5, 0x800
	s_add_i32 s9, s9, 4
	v_mul_f64 v[2:3], v[14:15], v[2:3]
	s_cmp_lt_i32 s7, s22
	ds_write_b64 v4, v[2:3]
	s_cbranch_scc0 .LBB107_29
; %bb.27:                               ;   in Loop: Header=BB107_19 Depth=1
	s_mov_b32 s7, s12
	s_branch .LBB107_19
.LBB107_28:
	s_mov_b32 s12, s7
.LBB107_29:
	s_cmp_ge_i32 s12, s22
	s_cbranch_scc1 .LBB107_34
; %bb.30:
	v_mov_b32_e32 v2, 0x8000
	s_lshl_b32 s4, s12, 9
	v_lshl_or_b32 v4, v0, 3, v2
	s_branch .LBB107_32
.LBB107_31:                             ;   in Loop: Header=BB107_32 Depth=1
	s_mul_i32 s5, s12, 0x208
	v_mov_b32_e32 v6, s5
	ds_read_b64 v[6:7], v6
	s_add_i32 s12, s12, 1
	s_addk_i32 s4, 0x200
	s_cmp_ge_i32 s12, s22
	s_waitcnt lgkmcnt(0)
	v_mul_f64 v[2:3], v[6:7], v[2:3]
	ds_write_b64 v5, v[2:3]
	s_cbranch_scc1 .LBB107_34
.LBB107_32:                             ; =>This Loop Header: Depth=1
                                        ;     Child Loop BB107_33 Depth 2
	s_lshl_b32 s5, s12, 9
	v_add_u32_e32 v5, s5, v1
	ds_read_b64 v[2:3], v5
	s_cmp_eq_u32 s12, 0
	v_mov_b32_e32 v6, v4
	s_mov_b32 s5, s12
	s_mov_b32 s7, s4
	s_cbranch_scc1 .LBB107_31
.LBB107_33:                             ;   Parent Loop BB107_32 Depth=1
                                        ; =>  This Inner Loop Header: Depth=2
	v_mov_b32_e32 v7, s7
	ds_read_b64 v[8:9], v6
	ds_read_b64 v[10:11], v7
	s_add_i32 s7, s7, 8
	s_add_i32 s5, s5, -1
	v_add_u32_e32 v6, 0x200, v6
	s_cmp_lg_u32 s5, 0
	s_waitcnt lgkmcnt(0)
	v_fma_f64 v[2:3], -v[8:9], v[10:11], v[2:3]
	s_cbranch_scc1 .LBB107_33
	s_branch .LBB107_31
.LBB107_34:
	s_mov_b64 s[4:5], 0
.LBB107_35:
	s_and_b64 vcc, exec, s[4:5]
	s_cbranch_vccz .LBB107_68
; %bb.36:
	s_add_i32 s4, s22, -1
	s_cmp_lt_i32 s6, 32
	s_mov_b32 s5, s4
	s_cbranch_scc1 .LBB107_43
; %bb.37:
	s_lshl_b32 s5, s22, 9
	v_lshl_or_b32 v2, v0, 3, s5
	v_add_u32_e32 v96, 0x7e00, v2
	s_addk_i32 s5, 0xfd08
	s_mov_b32 s41, s4
	s_branch .LBB107_39
.LBB107_38:                             ;   in Loop: Header=BB107_39 Depth=1
	s_add_i32 s8, s6, -1
	s_lshl_b32 s9, s8, 3
	s_add_i32 s12, s9, s7
	v_mov_b32_e32 v67, s12
	ds_read2_b64 v[68:71], v67 offset1:1
	s_lshl_b32 s8, s8, 9
	s_add_i32 s12, s6, -3
	s_add_i32 s9, s9, s8
	s_lshl_b32 s13, s12, 3
	v_mov_b32_e32 v67, s9
	s_waitcnt lgkmcnt(0)
	v_mul_f64 v[36:37], v[70:71], v[36:37]
	s_add_i32 s9, s13, s7
	ds_write_b64 v66, v[36:37]
	v_mov_b32_e32 v66, s9
	s_add_i32 s9, s13, s8
	ds_read_b64 v[74:75], v67
	v_mov_b32_e32 v70, s9
	v_fma_f64 v[38:39], -v[36:37], v[68:69], v[38:39]
	ds_read2_b64 v[66:69], v66 offset1:1
	ds_read2_b64 v[70:73], v70 offset1:1
	s_add_i32 s9, s7, 0xfffffc00
	s_add_i32 s14, s13, s9
	s_waitcnt lgkmcnt(2)
	v_mul_f64 v[38:39], v[74:75], v[38:39]
	v_add_u32_e32 v74, s8, v1
	s_waitcnt lgkmcnt(1)
	v_fma_f64 v[40:41], -v[36:37], v[68:69], v[40:41]
	v_mov_b32_e32 v68, s14
	s_lshl_b32 s12, s12, 9
	ds_write_b64 v74, v[38:39]
	s_waitcnt lgkmcnt(1)
	v_fma_f64 v[40:41], -v[38:39], v[72:73], v[40:41]
	ds_read2_b64 v[72:75], v68 offset1:1
	s_add_i32 s13, s13, s12
	v_mov_b32_e32 v68, s13
	ds_read_b64 v[68:69], v68
	s_add_i32 s14, s6, -5
	s_lshl_b32 s15, s14, 3
	v_fma_f64 v[42:43], -v[36:37], v[66:67], v[42:43]
	s_add_i32 s13, s15, s7
	s_waitcnt lgkmcnt(1)
	v_mul_f64 v[40:41], v[74:75], v[40:41]
	v_add_u32_e32 v74, s9, v1
	v_fma_f64 v[42:43], -v[38:39], v[70:71], v[42:43]
	v_mov_b32_e32 v66, s13
	s_add_i32 s13, s15, s8
	ds_write_b64 v74, v[40:41]
	v_fma_f64 v[42:43], -v[40:41], v[72:73], v[42:43]
	v_mov_b32_e32 v70, s13
	s_add_i32 s13, s15, s9
	s_waitcnt lgkmcnt(1)
	v_mul_f64 v[42:43], v[68:69], v[42:43]
	ds_read2_b64 v[66:69], v66 offset1:1
	ds_read2_b64 v[70:73], v70 offset1:1
	v_mov_b32_e32 v74, s13
	s_add_i32 s13, s15, s12
	v_mov_b32_e32 v78, s13
	ds_read2_b64 v[74:77], v74 offset1:1
	ds_read2_b64 v[78:81], v78 offset1:1
	s_waitcnt lgkmcnt(3)
	v_fma_f64 v[44:45], -v[36:37], v[68:69], v[44:45]
	s_add_i32 s13, s7, 0xfffff800
	s_waitcnt lgkmcnt(2)
	v_fma_f64 v[44:45], -v[38:39], v[72:73], v[44:45]
	s_add_i32 s17, s15, s13
	v_add_u32_e32 v82, s12, v1
	s_waitcnt lgkmcnt(1)
	v_fma_f64 v[44:45], -v[40:41], v[76:77], v[44:45]
	v_mov_b32_e32 v68, s17
	s_lshl_b32 s14, s14, 9
	ds_write_b64 v82, v[42:43]
	s_waitcnt lgkmcnt(1)
	v_fma_f64 v[44:45], -v[42:43], v[80:81], v[44:45]
	ds_read2_b64 v[80:83], v68 offset1:1
	s_add_i32 s15, s15, s14
	v_mov_b32_e32 v68, s15
	ds_read_b64 v[68:69], v68
	v_fma_f64 v[46:47], -v[36:37], v[66:67], v[46:47]
	v_fma_f64 v[46:47], -v[38:39], v[70:71], v[46:47]
	s_add_i32 s17, s6, -7
	v_fma_f64 v[46:47], -v[40:41], v[74:75], v[46:47]
	s_lshl_b32 s18, s17, 3
	s_waitcnt lgkmcnt(1)
	v_mul_f64 v[44:45], v[82:83], v[44:45]
	v_fma_f64 v[46:47], -v[42:43], v[78:79], v[46:47]
	s_add_i32 s15, s18, s7
	v_fma_f64 v[46:47], -v[44:45], v[80:81], v[46:47]
	v_mov_b32_e32 v66, s15
	s_waitcnt lgkmcnt(0)
	v_mul_f64 v[46:47], v[68:69], v[46:47]
	ds_read2_b64 v[66:69], v66 offset1:1
	v_add_u32_e32 v70, s14, v1
	s_add_i32 s15, s18, s8
	v_add_u32_e32 v72, s13, v1
	ds_write_b64 v70, v[46:47]
	v_mov_b32_e32 v70, s15
	ds_write_b64 v72, v[44:45]
	ds_read2_b64 v[70:73], v70 offset1:1
	s_add_i32 s15, s18, s9
	s_waitcnt lgkmcnt(3)
	v_fma_f64 v[48:49], -v[36:37], v[68:69], v[48:49]
	v_mov_b32_e32 v68, s15
	s_add_i32 s15, s18, s12
	v_mov_b32_e32 v69, s15
	ds_read2_b64 v[74:77], v68 offset1:1
	ds_read2_b64 v[78:81], v69 offset1:1
	s_add_i32 s15, s18, s13
	v_mov_b32_e32 v68, s15
	s_add_i32 s15, s18, s14
	v_mov_b32_e32 v69, s15
	ds_read2_b64 v[82:85], v68 offset1:1
	ds_read2_b64 v[86:89], v69 offset1:1
	s_waitcnt lgkmcnt(4)
	v_fma_f64 v[48:49], -v[38:39], v[72:73], v[48:49]
	s_waitcnt lgkmcnt(3)
	v_fma_f64 v[48:49], -v[40:41], v[76:77], v[48:49]
	s_add_i32 s15, s7, 0xfffff400
	s_waitcnt lgkmcnt(2)
	v_fma_f64 v[48:49], -v[42:43], v[80:81], v[48:49]
	s_add_i32 s19, s18, s15
	s_waitcnt lgkmcnt(1)
	v_fma_f64 v[48:49], -v[44:45], v[84:85], v[48:49]
	v_mov_b32_e32 v68, s19
	s_lshl_b32 s17, s17, 9
	s_waitcnt lgkmcnt(0)
	v_fma_f64 v[48:49], -v[46:47], v[88:89], v[48:49]
	ds_read2_b64 v[88:91], v68 offset1:1
	s_add_i32 s18, s18, s17
	v_fma_f64 v[50:51], -v[36:37], v[66:67], v[50:51]
	v_mov_b32_e32 v68, s18
	v_fma_f64 v[50:51], -v[38:39], v[70:71], v[50:51]
	ds_read_b64 v[68:69], v68
	v_fma_f64 v[50:51], -v[40:41], v[74:75], v[50:51]
	v_fma_f64 v[50:51], -v[42:43], v[78:79], v[50:51]
	s_add_i32 s19, s6, -9
	v_fma_f64 v[50:51], -v[44:45], v[82:83], v[50:51]
	s_lshl_b32 s20, s19, 3
	s_waitcnt lgkmcnt(1)
	v_mul_f64 v[48:49], v[90:91], v[48:49]
	v_fma_f64 v[50:51], -v[46:47], v[86:87], v[50:51]
	s_add_i32 s18, s20, s7
	v_fma_f64 v[50:51], -v[48:49], v[88:89], v[50:51]
	v_mov_b32_e32 v66, s18
	s_waitcnt lgkmcnt(0)
	v_mul_f64 v[50:51], v[68:69], v[50:51]
	ds_read2_b64 v[66:69], v66 offset1:1
	v_add_u32_e32 v70, s17, v1
	s_add_i32 s18, s20, s8
	v_add_u32_e32 v72, s15, v1
	ds_write_b64 v70, v[50:51]
	v_mov_b32_e32 v70, s18
	s_add_i32 s18, s20, s9
	ds_write_b64 v72, v[48:49]
	ds_read2_b64 v[70:73], v70 offset1:1
	s_waitcnt lgkmcnt(3)
	v_fma_f64 v[52:53], -v[36:37], v[68:69], v[52:53]
	v_mov_b32_e32 v68, s18
	s_add_i32 s18, s20, s12
	ds_read2_b64 v[74:77], v68 offset1:1
	v_mov_b32_e32 v68, s18
	ds_read2_b64 v[78:81], v68 offset1:1
	s_add_i32 s18, s20, s13
	v_mov_b32_e32 v68, s18
	s_add_i32 s18, s20, s14
	v_mov_b32_e32 v69, s18
	ds_read2_b64 v[82:85], v68 offset1:1
	ds_read2_b64 v[86:89], v69 offset1:1
	s_add_i32 s18, s20, s15
	s_waitcnt lgkmcnt(4)
	v_fma_f64 v[52:53], -v[38:39], v[72:73], v[52:53]
	v_mov_b32_e32 v68, s18
	s_add_i32 s18, s20, s17
	s_waitcnt lgkmcnt(3)
	v_fma_f64 v[52:53], -v[40:41], v[76:77], v[52:53]
	v_mov_b32_e32 v69, s18
	ds_read2_b64 v[90:93], v68 offset1:1
	ds_read2_b64 v[98:101], v69 offset1:1
	s_waitcnt lgkmcnt(4)
	v_fma_f64 v[52:53], -v[42:43], v[80:81], v[52:53]
	s_add_i32 s18, s7, 0xfffff000
	s_waitcnt lgkmcnt(3)
	v_fma_f64 v[52:53], -v[44:45], v[84:85], v[52:53]
	s_add_i32 s21, s20, s18
	v_fma_f64 v[54:55], -v[36:37], v[66:67], v[54:55]
	s_waitcnt lgkmcnt(2)
	v_fma_f64 v[52:53], -v[46:47], v[88:89], v[52:53]
	v_mov_b32_e32 v68, s21
	s_lshl_b32 s19, s19, 9
	v_fma_f64 v[54:55], -v[38:39], v[70:71], v[54:55]
	s_waitcnt lgkmcnt(1)
	v_fma_f64 v[52:53], -v[48:49], v[92:93], v[52:53]
	ds_read2_b64 v[92:95], v68 offset1:1
	s_add_i32 s20, s20, s19
	v_fma_f64 v[54:55], -v[40:41], v[74:75], v[54:55]
	v_mov_b32_e32 v68, s20
	v_fma_f64 v[54:55], -v[42:43], v[78:79], v[54:55]
	ds_read_b64 v[68:69], v68
	v_fma_f64 v[54:55], -v[44:45], v[82:83], v[54:55]
	v_fma_f64 v[54:55], -v[46:47], v[86:87], v[54:55]
	s_add_i32 s21, s6, -11
	s_waitcnt lgkmcnt(2)
	v_fma_f64 v[52:53], -v[50:51], v[100:101], v[52:53]
	v_fma_f64 v[54:55], -v[48:49], v[90:91], v[54:55]
	s_lshl_b32 s23, s21, 3
	s_waitcnt lgkmcnt(1)
	v_mul_f64 v[52:53], v[94:95], v[52:53]
	v_fma_f64 v[54:55], -v[50:51], v[98:99], v[54:55]
	s_add_i32 s20, s23, s7
	v_fma_f64 v[54:55], -v[52:53], v[92:93], v[54:55]
	v_mov_b32_e32 v66, s20
	s_waitcnt lgkmcnt(0)
	v_mul_f64 v[54:55], v[68:69], v[54:55]
	ds_read2_b64 v[66:69], v66 offset1:1
	v_add_u32_e32 v70, s19, v1
	s_add_i32 s20, s23, s8
	v_add_u32_e32 v72, s18, v1
	ds_write_b64 v70, v[54:55]
	v_mov_b32_e32 v70, s20
	s_add_i32 s20, s23, s9
	ds_write_b64 v72, v[52:53]
	ds_read2_b64 v[70:73], v70 offset1:1
	s_waitcnt lgkmcnt(3)
	v_fma_f64 v[56:57], -v[36:37], v[68:69], v[56:57]
	v_mov_b32_e32 v68, s20
	s_add_i32 s20, s23, s12
	ds_read2_b64 v[74:77], v68 offset1:1
	v_mov_b32_e32 v68, s20
	s_add_i32 s20, s23, s13
	ds_read2_b64 v[78:81], v68 offset1:1
	;; [unrolled: 3-line block ×4, first 2 shown]
	v_mov_b32_e32 v68, s20
	s_add_i32 s20, s23, s17
	s_waitcnt lgkmcnt(4)
	v_fma_f64 v[56:57], -v[38:39], v[72:73], v[56:57]
	v_mov_b32_e32 v69, s20
	s_add_i32 s20, s23, s18
	s_waitcnt lgkmcnt(3)
	v_fma_f64 v[56:57], -v[40:41], v[76:77], v[56:57]
	ds_read2_b64 v[90:93], v68 offset1:1
	ds_read2_b64 v[98:101], v69 offset1:1
	v_mov_b32_e32 v68, s20
	s_add_i32 s20, s23, s19
	v_fma_f64 v[58:59], -v[36:37], v[66:67], v[58:59]
	s_waitcnt lgkmcnt(4)
	v_fma_f64 v[56:57], -v[42:43], v[80:81], v[56:57]
	v_mov_b32_e32 v69, s20
	s_add_i32 s20, s7, 0xffffec00
	v_fma_f64 v[58:59], -v[38:39], v[70:71], v[58:59]
	s_waitcnt lgkmcnt(3)
	v_fma_f64 v[56:57], -v[44:45], v[84:85], v[56:57]
	s_add_i32 s24, s23, s20
	v_fma_f64 v[58:59], -v[40:41], v[74:75], v[58:59]
	ds_read2_b64 v[102:105], v68 offset1:1
	ds_read2_b64 v[106:109], v69 offset1:1
	s_waitcnt lgkmcnt(4)
	v_fma_f64 v[56:57], -v[46:47], v[88:89], v[56:57]
	v_mov_b32_e32 v68, s24
	s_lshl_b32 s21, s21, 9
	v_fma_f64 v[58:59], -v[42:43], v[78:79], v[58:59]
	s_waitcnt lgkmcnt(3)
	v_fma_f64 v[56:57], -v[48:49], v[92:93], v[56:57]
	ds_read2_b64 v[92:95], v68 offset1:1
	s_add_i32 s23, s23, s21
	v_fma_f64 v[58:59], -v[44:45], v[82:83], v[58:59]
	v_mov_b32_e32 v68, s23
	v_fma_f64 v[58:59], -v[46:47], v[86:87], v[58:59]
	s_waitcnt lgkmcnt(3)
	v_fma_f64 v[56:57], -v[50:51], v[100:101], v[56:57]
	ds_read_b64 v[68:69], v68
	v_fma_f64 v[58:59], -v[48:49], v[90:91], v[58:59]
	s_waitcnt lgkmcnt(3)
	v_fma_f64 v[56:57], -v[52:53], v[104:105], v[56:57]
	v_fma_f64 v[58:59], -v[50:51], v[98:99], v[58:59]
	s_add_i32 s24, s6, -13
	s_waitcnt lgkmcnt(2)
	v_fma_f64 v[56:57], -v[54:55], v[108:109], v[56:57]
	v_fma_f64 v[58:59], -v[52:53], v[102:103], v[58:59]
	s_lshl_b32 s25, s24, 3
	s_waitcnt lgkmcnt(1)
	v_mul_f64 v[56:57], v[94:95], v[56:57]
	v_fma_f64 v[58:59], -v[54:55], v[106:107], v[58:59]
	s_add_i32 s23, s25, s7
	v_fma_f64 v[58:59], -v[56:57], v[92:93], v[58:59]
	v_mov_b32_e32 v66, s23
	s_waitcnt lgkmcnt(0)
	v_mul_f64 v[58:59], v[68:69], v[58:59]
	ds_read2_b64 v[66:69], v66 offset1:1
	v_add_u32_e32 v70, s21, v1
	s_add_i32 s23, s25, s8
	v_add_u32_e32 v72, s20, v1
	ds_write_b64 v70, v[58:59]
	v_mov_b32_e32 v70, s23
	s_add_i32 s23, s25, s9
	ds_write_b64 v72, v[56:57]
	ds_read2_b64 v[70:73], v70 offset1:1
	s_waitcnt lgkmcnt(3)
	v_fma_f64 v[60:61], -v[36:37], v[68:69], v[60:61]
	v_mov_b32_e32 v68, s23
	s_add_i32 s23, s25, s12
	ds_read2_b64 v[74:77], v68 offset1:1
	v_mov_b32_e32 v68, s23
	s_add_i32 s23, s25, s13
	ds_read2_b64 v[78:81], v68 offset1:1
	;; [unrolled: 3-line block ×4, first 2 shown]
	v_mov_b32_e32 v68, s23
	s_waitcnt lgkmcnt(4)
	v_fma_f64 v[60:61], -v[38:39], v[72:73], v[60:61]
	ds_read2_b64 v[90:93], v68 offset1:1
	s_waitcnt lgkmcnt(4)
	v_fma_f64 v[60:61], -v[40:41], v[76:77], v[60:61]
	s_add_i32 s23, s25, s17
	s_waitcnt lgkmcnt(3)
	v_fma_f64 v[60:61], -v[42:43], v[80:81], v[60:61]
	v_mov_b32_e32 v68, s23
	s_waitcnt lgkmcnt(2)
	v_fma_f64 v[60:61], -v[44:45], v[84:85], v[60:61]
	ds_read2_b64 v[98:101], v68 offset1:1
	s_add_i32 s23, s25, s18
	s_waitcnt lgkmcnt(2)
	v_fma_f64 v[60:61], -v[46:47], v[88:89], v[60:61]
	v_mov_b32_e32 v68, s23
	s_add_i32 s23, s25, s19
	s_waitcnt lgkmcnt(1)
	v_fma_f64 v[60:61], -v[48:49], v[92:93], v[60:61]
	v_mov_b32_e32 v69, s23
	ds_read2_b64 v[92:95], v68 offset1:1
	ds_read2_b64 v[102:105], v69 offset1:1
	s_add_i32 s23, s25, s20
	v_mov_b32_e32 v68, s23
	s_add_i32 s23, s25, s21
	v_fma_f64 v[62:63], -v[36:37], v[66:67], v[62:63]
	v_mov_b32_e32 v69, s23
	ds_read2_b64 v[106:109], v68 offset1:1
	ds_read2_b64 v[110:113], v69 offset1:1
	v_fma_f64 v[62:63], -v[38:39], v[70:71], v[62:63]
	s_waitcnt lgkmcnt(4)
	v_fma_f64 v[60:61], -v[50:51], v[100:101], v[60:61]
	v_fma_f64 v[62:63], -v[40:41], v[74:75], v[62:63]
	s_waitcnt lgkmcnt(3)
	v_fma_f64 v[60:61], -v[52:53], v[94:95], v[60:61]
	s_add_i32 s23, s7, 0xffffe800
	v_fma_f64 v[62:63], -v[42:43], v[78:79], v[62:63]
	s_waitcnt lgkmcnt(2)
	v_fma_f64 v[60:61], -v[54:55], v[104:105], v[60:61]
	s_add_i32 s26, s25, s23
	v_fma_f64 v[62:63], -v[44:45], v[82:83], v[62:63]
	s_waitcnt lgkmcnt(1)
	v_fma_f64 v[60:61], -v[56:57], v[108:109], v[60:61]
	v_mov_b32_e32 v68, s26
	s_lshl_b32 s24, s24, 9
	v_fma_f64 v[62:63], -v[46:47], v[86:87], v[62:63]
	s_waitcnt lgkmcnt(0)
	v_fma_f64 v[60:61], -v[58:59], v[112:113], v[60:61]
	ds_read2_b64 v[112:115], v68 offset1:1
	s_add_i32 s25, s25, s24
	v_fma_f64 v[62:63], -v[48:49], v[90:91], v[62:63]
	v_mov_b32_e32 v68, s25
	v_fma_f64 v[62:63], -v[50:51], v[98:99], v[62:63]
	ds_read_b64 v[68:69], v68
	v_fma_f64 v[62:63], -v[52:53], v[92:93], v[62:63]
	v_fma_f64 v[62:63], -v[54:55], v[102:103], v[62:63]
	s_add_i32 s26, s6, -15
	v_fma_f64 v[62:63], -v[56:57], v[106:107], v[62:63]
	s_lshl_b32 s27, s26, 3
	s_waitcnt lgkmcnt(1)
	v_mul_f64 v[60:61], v[114:115], v[60:61]
	v_fma_f64 v[62:63], -v[58:59], v[110:111], v[62:63]
	s_add_i32 s25, s27, s7
	v_fma_f64 v[62:63], -v[60:61], v[112:113], v[62:63]
	v_mov_b32_e32 v66, s25
	s_waitcnt lgkmcnt(0)
	v_mul_f64 v[62:63], v[68:69], v[62:63]
	ds_read2_b64 v[66:69], v66 offset1:1
	v_add_u32_e32 v70, s24, v1
	s_add_i32 s25, s27, s8
	v_add_u32_e32 v72, s23, v1
	ds_write_b64 v70, v[62:63]
	v_mov_b32_e32 v70, s25
	s_add_i32 s25, s27, s9
	ds_write_b64 v72, v[60:61]
	ds_read2_b64 v[70:73], v70 offset1:1
	s_waitcnt lgkmcnt(3)
	v_fma_f64 v[64:65], -v[36:37], v[68:69], v[64:65]
	v_mov_b32_e32 v68, s25
	s_add_i32 s25, s27, s12
	ds_read2_b64 v[74:77], v68 offset1:1
	v_mov_b32_e32 v68, s25
	s_add_i32 s25, s27, s13
	ds_read2_b64 v[78:81], v68 offset1:1
	;; [unrolled: 3-line block ×4, first 2 shown]
	v_mov_b32_e32 v68, s25
	s_add_i32 s25, s27, s17
	s_waitcnt lgkmcnt(4)
	v_fma_f64 v[64:65], -v[38:39], v[72:73], v[64:65]
	ds_read2_b64 v[90:93], v68 offset1:1
	v_mov_b32_e32 v68, s25
	s_waitcnt lgkmcnt(4)
	v_fma_f64 v[64:65], -v[40:41], v[76:77], v[64:65]
	ds_read2_b64 v[98:101], v68 offset1:1
	s_waitcnt lgkmcnt(4)
	v_fma_f64 v[64:65], -v[42:43], v[80:81], v[64:65]
	s_waitcnt lgkmcnt(3)
	v_fma_f64 v[64:65], -v[44:45], v[84:85], v[64:65]
	s_add_i32 s25, s27, s18
	s_waitcnt lgkmcnt(2)
	v_fma_f64 v[64:65], -v[46:47], v[88:89], v[64:65]
	v_mov_b32_e32 v68, s25
	s_add_i32 s25, s27, s19
	s_waitcnt lgkmcnt(1)
	v_fma_f64 v[64:65], -v[48:49], v[92:93], v[64:65]
	ds_read2_b64 v[92:95], v68 offset1:1
	v_mov_b32_e32 v68, s25
	s_waitcnt lgkmcnt(1)
	v_fma_f64 v[64:65], -v[50:51], v[100:101], v[64:65]
	ds_read2_b64 v[100:103], v68 offset1:1
	s_add_i32 s25, s27, s20
	v_mov_b32_e32 v68, s25
	s_add_i32 s25, s27, s21
	v_fma_f64 v[32:33], -v[36:37], v[66:67], v[32:33]
	v_mov_b32_e32 v69, s25
	ds_read2_b64 v[104:107], v68 offset1:1
	ds_read2_b64 v[108:111], v69 offset1:1
	s_add_i32 s25, s27, s23
	v_fma_f64 v[32:33], -v[38:39], v[70:71], v[32:33]
	v_mov_b32_e32 v68, s25
	s_add_i32 s25, s27, s24
	v_fma_f64 v[32:33], -v[40:41], v[74:75], v[32:33]
	s_waitcnt lgkmcnt(3)
	v_fma_f64 v[64:65], -v[52:53], v[94:95], v[64:65]
	v_mov_b32_e32 v69, s25
	ds_read2_b64 v[112:115], v68 offset1:1
	ds_read2_b64 v[116:119], v69 offset1:1
	v_fma_f64 v[32:33], -v[42:43], v[78:79], v[32:33]
	s_waitcnt lgkmcnt(4)
	v_fma_f64 v[64:65], -v[54:55], v[102:103], v[64:65]
	v_fma_f64 v[32:33], -v[44:45], v[82:83], v[32:33]
	s_waitcnt lgkmcnt(3)
	v_fma_f64 v[64:65], -v[56:57], v[106:107], v[64:65]
	s_add_i32 s25, s7, 0xffffe400
	v_fma_f64 v[32:33], -v[46:47], v[86:87], v[32:33]
	s_waitcnt lgkmcnt(2)
	v_fma_f64 v[64:65], -v[58:59], v[110:111], v[64:65]
	s_add_i32 s28, s27, s25
	v_fma_f64 v[32:33], -v[48:49], v[90:91], v[32:33]
	s_waitcnt lgkmcnt(1)
	v_fma_f64 v[64:65], -v[60:61], v[114:115], v[64:65]
	v_mov_b32_e32 v68, s28
	s_lshl_b32 s26, s26, 9
	v_fma_f64 v[32:33], -v[50:51], v[98:99], v[32:33]
	s_waitcnt lgkmcnt(0)
	v_fma_f64 v[64:65], -v[62:63], v[118:119], v[64:65]
	ds_read2_b64 v[118:121], v68 offset1:1
	s_add_i32 s27, s27, s26
	v_fma_f64 v[32:33], -v[52:53], v[92:93], v[32:33]
	v_mov_b32_e32 v68, s27
	v_fma_f64 v[32:33], -v[54:55], v[100:101], v[32:33]
	ds_read_b64 v[68:69], v68
	v_fma_f64 v[32:33], -v[56:57], v[104:105], v[32:33]
	v_fma_f64 v[32:33], -v[58:59], v[108:109], v[32:33]
	v_fma_f64 v[32:33], -v[60:61], v[112:113], v[32:33]
	s_sub_i32 s28, s6, 17
	s_waitcnt lgkmcnt(1)
	v_mul_f64 v[64:65], v[120:121], v[64:65]
	v_fma_f64 v[32:33], -v[62:63], v[116:117], v[32:33]
	s_lshl_b32 s29, s28, 3
	v_fma_f64 v[32:33], -v[64:65], v[118:119], v[32:33]
	s_add_i32 s27, s29, s7
	v_add_u32_e32 v72, s25, v1
	s_waitcnt lgkmcnt(0)
	v_mul_f64 v[66:67], v[68:69], v[32:33]
	v_mov_b32_e32 v33, s27
	ds_write_b64 v72, v[64:65]
	ds_read2_b64 v[70:73], v33 offset1:1
	v_add_u32_e32 v32, s26, v1
	s_add_i32 s27, s29, s8
	ds_write_b64 v32, v[66:67]
	v_mov_b32_e32 v32, s27
	s_add_i32 s27, s29, s9
	ds_read2_b64 v[74:77], v32 offset1:1
	s_waitcnt lgkmcnt(2)
	v_fma_f64 v[68:69], -v[36:37], v[72:73], v[30:31]
	v_mov_b32_e32 v30, s27
	ds_read2_b64 v[30:33], v30 offset1:1
	s_add_i32 s27, s29, s12
	s_waitcnt lgkmcnt(1)
	v_fma_f64 v[68:69], -v[38:39], v[76:77], v[68:69]
	v_mov_b32_e32 v72, s27
	s_add_i32 s27, s29, s13
	ds_read2_b64 v[76:79], v72 offset1:1
	s_waitcnt lgkmcnt(1)
	v_fma_f64 v[32:33], -v[40:41], v[32:33], v[68:69]
	v_mov_b32_e32 v68, s27
	s_add_i32 s27, s29, s14
	ds_read2_b64 v[80:83], v68 offset1:1
	v_mov_b32_e32 v68, s27
	s_add_i32 s27, s29, s15
	ds_read2_b64 v[84:87], v68 offset1:1
	;; [unrolled: 3-line block ×4, first 2 shown]
	v_mov_b32_e32 v68, s27
	s_add_i32 s27, s29, s19
	s_waitcnt lgkmcnt(4)
	v_fma_f64 v[32:33], -v[42:43], v[78:79], v[32:33]
	ds_read2_b64 v[98:101], v68 offset1:1
	v_mov_b32_e32 v68, s27
	s_add_i32 s27, s29, s20
	s_waitcnt lgkmcnt(4)
	v_fma_f64 v[32:33], -v[44:45], v[82:83], v[32:33]
	ds_read2_b64 v[102:105], v68 offset1:1
	;; [unrolled: 5-line block ×3, first 2 shown]
	v_mov_b32_e32 v68, s27
	v_fma_f64 v[24:25], -v[36:37], v[70:71], v[24:25]
	s_waitcnt lgkmcnt(4)
	v_fma_f64 v[32:33], -v[48:49], v[90:91], v[32:33]
	ds_read2_b64 v[110:113], v68 offset1:1
	s_add_i32 s27, s29, s23
	v_fma_f64 v[24:25], -v[38:39], v[74:75], v[24:25]
	s_waitcnt lgkmcnt(4)
	v_fma_f64 v[32:33], -v[50:51], v[94:95], v[32:33]
	v_mov_b32_e32 v68, s27
	s_add_i32 s27, s29, s24
	v_fma_f64 v[24:25], -v[40:41], v[30:31], v[24:25]
	s_waitcnt lgkmcnt(3)
	v_fma_f64 v[32:33], -v[52:53], v[100:101], v[32:33]
	v_mov_b32_e32 v69, s27
	ds_read2_b64 v[114:117], v68 offset1:1
	ds_read2_b64 v[118:121], v69 offset1:1
	s_add_i32 s27, s29, s25
	v_fma_f64 v[24:25], -v[42:43], v[76:77], v[24:25]
	s_waitcnt lgkmcnt(4)
	v_fma_f64 v[32:33], -v[54:55], v[104:105], v[32:33]
	v_mov_b32_e32 v68, s27
	s_add_i32 s27, s29, s26
	v_fma_f64 v[24:25], -v[44:45], v[80:81], v[24:25]
	s_waitcnt lgkmcnt(3)
	v_fma_f64 v[32:33], -v[56:57], v[108:109], v[32:33]
	v_mov_b32_e32 v69, s27
	ds_read2_b64 v[122:125], v68 offset1:1
	ds_read2_b64 v[126:129], v69 offset1:1
	v_fma_f64 v[24:25], -v[46:47], v[84:85], v[24:25]
	s_waitcnt lgkmcnt(4)
	v_fma_f64 v[32:33], -v[58:59], v[112:113], v[32:33]
	v_fma_f64 v[24:25], -v[48:49], v[88:89], v[24:25]
	s_waitcnt lgkmcnt(3)
	v_fma_f64 v[32:33], -v[60:61], v[116:117], v[32:33]
	s_add_i32 s27, s7, 0xffffe000
	v_fma_f64 v[24:25], -v[50:51], v[92:93], v[24:25]
	s_waitcnt lgkmcnt(2)
	v_fma_f64 v[32:33], -v[62:63], v[120:121], v[32:33]
	s_add_i32 s30, s29, s27
	v_fma_f64 v[24:25], -v[52:53], v[98:99], v[24:25]
	s_waitcnt lgkmcnt(1)
	v_fma_f64 v[32:33], -v[64:65], v[124:125], v[32:33]
	v_mov_b32_e32 v68, s30
	s_lshl_b32 s28, s28, 9
	v_fma_f64 v[24:25], -v[54:55], v[102:103], v[24:25]
	s_waitcnt lgkmcnt(0)
	v_fma_f64 v[32:33], -v[66:67], v[128:129], v[32:33]
	ds_read2_b64 v[128:131], v68 offset1:1
	s_add_i32 s29, s29, s28
	v_fma_f64 v[24:25], -v[56:57], v[106:107], v[24:25]
	v_mov_b32_e32 v68, s29
	v_fma_f64 v[24:25], -v[58:59], v[110:111], v[24:25]
	ds_read_b64 v[72:73], v68
	v_fma_f64 v[24:25], -v[60:61], v[114:115], v[24:25]
	v_fma_f64 v[24:25], -v[62:63], v[118:119], v[24:25]
	;; [unrolled: 1-line block ×3, first 2 shown]
	s_sub_i32 s30, s6, 19
	s_waitcnt lgkmcnt(1)
	v_mul_f64 v[68:69], v[130:131], v[32:33]
	v_fma_f64 v[24:25], -v[66:67], v[126:127], v[24:25]
	s_lshl_b32 s31, s30, 3
	v_fma_f64 v[24:25], -v[68:69], v[128:129], v[24:25]
	s_add_i32 s29, s31, s7
	v_add_u32_e32 v32, s27, v1
	s_waitcnt lgkmcnt(0)
	v_mul_f64 v[70:71], v[72:73], v[24:25]
	v_mov_b32_e32 v25, s29
	ds_write_b64 v32, v[68:69]
	ds_read2_b64 v[30:33], v25 offset1:1
	v_add_u32_e32 v24, s28, v1
	s_add_i32 s29, s31, s8
	ds_write_b64 v24, v[70:71]
	v_mov_b32_e32 v24, s29
	s_add_i32 s29, s31, s9
	ds_read2_b64 v[74:77], v24 offset1:1
	s_waitcnt lgkmcnt(2)
	v_fma_f64 v[32:33], -v[36:37], v[32:33], v[22:23]
	v_mov_b32_e32 v22, s29
	ds_read2_b64 v[22:25], v22 offset1:1
	s_add_i32 s29, s31, s12
	s_waitcnt lgkmcnt(1)
	v_fma_f64 v[32:33], -v[38:39], v[76:77], v[32:33]
	v_mov_b32_e32 v72, s29
	s_add_i32 s29, s31, s13
	ds_read2_b64 v[76:79], v72 offset1:1
	s_waitcnt lgkmcnt(1)
	v_fma_f64 v[24:25], -v[40:41], v[24:25], v[32:33]
	v_mov_b32_e32 v32, s29
	s_add_i32 s29, s31, s14
	ds_read2_b64 v[80:83], v32 offset1:1
	v_mov_b32_e32 v32, s29
	s_add_i32 s29, s31, s15
	ds_read2_b64 v[84:87], v32 offset1:1
	;; [unrolled: 3-line block ×4, first 2 shown]
	v_mov_b32_e32 v32, s29
	s_add_i32 s29, s31, s19
	s_waitcnt lgkmcnt(4)
	v_fma_f64 v[24:25], -v[42:43], v[78:79], v[24:25]
	ds_read2_b64 v[98:101], v32 offset1:1
	v_mov_b32_e32 v32, s29
	s_add_i32 s29, s31, s20
	s_waitcnt lgkmcnt(4)
	v_fma_f64 v[24:25], -v[44:45], v[82:83], v[24:25]
	ds_read2_b64 v[102:105], v32 offset1:1
	;; [unrolled: 5-line block ×3, first 2 shown]
	v_mov_b32_e32 v32, s29
	s_add_i32 s29, s31, s23
	v_fma_f64 v[20:21], -v[36:37], v[30:31], v[20:21]
	s_waitcnt lgkmcnt(4)
	v_fma_f64 v[24:25], -v[48:49], v[90:91], v[24:25]
	ds_read2_b64 v[110:113], v32 offset1:1
	v_mov_b32_e32 v32, s29
	s_add_i32 s29, s31, s24
	v_fma_f64 v[20:21], -v[38:39], v[74:75], v[20:21]
	s_waitcnt lgkmcnt(4)
	v_fma_f64 v[24:25], -v[50:51], v[94:95], v[24:25]
	ds_read2_b64 v[114:117], v32 offset1:1
	v_mov_b32_e32 v32, s29
	v_fma_f64 v[20:21], -v[40:41], v[22:23], v[20:21]
	s_waitcnt lgkmcnt(4)
	v_fma_f64 v[24:25], -v[52:53], v[100:101], v[24:25]
	ds_read2_b64 v[118:121], v32 offset1:1
	s_add_i32 s29, s31, s25
	v_fma_f64 v[20:21], -v[42:43], v[76:77], v[20:21]
	s_waitcnt lgkmcnt(4)
	v_fma_f64 v[24:25], -v[54:55], v[104:105], v[24:25]
	v_mov_b32_e32 v32, s29
	s_add_i32 s29, s31, s26
	v_fma_f64 v[20:21], -v[44:45], v[80:81], v[20:21]
	s_waitcnt lgkmcnt(3)
	v_fma_f64 v[24:25], -v[56:57], v[108:109], v[24:25]
	v_mov_b32_e32 v33, s29
	ds_read2_b64 v[122:125], v32 offset1:1
	ds_read2_b64 v[126:129], v33 offset1:1
	s_add_i32 s29, s31, s27
	v_fma_f64 v[20:21], -v[46:47], v[84:85], v[20:21]
	s_waitcnt lgkmcnt(4)
	v_fma_f64 v[24:25], -v[58:59], v[112:113], v[24:25]
	v_mov_b32_e32 v32, s29
	s_add_i32 s29, s31, s28
	v_fma_f64 v[20:21], -v[48:49], v[88:89], v[20:21]
	s_waitcnt lgkmcnt(3)
	v_fma_f64 v[24:25], -v[60:61], v[116:117], v[24:25]
	v_mov_b32_e32 v33, s29
	ds_read2_b64 v[130:133], v32 offset1:1
	ds_read2_b64 v[134:137], v33 offset1:1
	v_fma_f64 v[20:21], -v[50:51], v[92:93], v[20:21]
	s_waitcnt lgkmcnt(4)
	v_fma_f64 v[24:25], -v[62:63], v[120:121], v[24:25]
	v_fma_f64 v[20:21], -v[52:53], v[98:99], v[20:21]
	s_waitcnt lgkmcnt(3)
	v_fma_f64 v[24:25], -v[64:65], v[124:125], v[24:25]
	s_add_i32 s29, s7, 0xffffdc00
	v_fma_f64 v[20:21], -v[54:55], v[102:103], v[20:21]
	s_waitcnt lgkmcnt(2)
	v_fma_f64 v[24:25], -v[66:67], v[128:129], v[24:25]
	s_add_i32 s33, s31, s29
	v_fma_f64 v[20:21], -v[56:57], v[106:107], v[20:21]
	s_waitcnt lgkmcnt(1)
	v_fma_f64 v[24:25], -v[68:69], v[132:133], v[24:25]
	v_mov_b32_e32 v32, s33
	s_lshl_b32 s30, s30, 9
	v_fma_f64 v[20:21], -v[58:59], v[110:111], v[20:21]
	s_waitcnt lgkmcnt(0)
	v_fma_f64 v[24:25], -v[70:71], v[136:137], v[24:25]
	ds_read2_b64 v[136:139], v32 offset1:1
	s_add_i32 s31, s31, s30
	v_fma_f64 v[20:21], -v[60:61], v[114:115], v[20:21]
	v_mov_b32_e32 v32, s31
	v_fma_f64 v[20:21], -v[62:63], v[118:119], v[20:21]
	ds_read_b64 v[32:33], v32
	v_fma_f64 v[20:21], -v[64:65], v[122:123], v[20:21]
	v_fma_f64 v[20:21], -v[66:67], v[126:127], v[20:21]
	;; [unrolled: 1-line block ×3, first 2 shown]
	s_sub_i32 s33, s6, 21
	s_waitcnt lgkmcnt(1)
	v_mul_f64 v[72:73], v[138:139], v[24:25]
	v_fma_f64 v[20:21], -v[70:71], v[134:135], v[20:21]
	s_lshl_b32 s34, s33, 3
	v_fma_f64 v[20:21], -v[72:73], v[136:137], v[20:21]
	s_add_i32 s31, s34, s7
	s_waitcnt lgkmcnt(0)
	v_mul_f64 v[74:75], v[32:33], v[20:21]
	v_mov_b32_e32 v20, s31
	ds_read2_b64 v[20:23], v20 offset1:1
	v_add_u32_e32 v24, s29, v1
	ds_write_b64 v24, v[72:73]
	v_add_u32_e32 v24, s30, v1
	s_add_i32 s31, s34, s8
	ds_write_b64 v24, v[74:75]
	v_mov_b32_e32 v24, s31
	s_add_i32 s31, s34, s9
	ds_read2_b64 v[30:33], v24 offset1:1
	s_waitcnt lgkmcnt(3)
	v_fma_f64 v[18:19], -v[36:37], v[22:23], v[18:19]
	v_mov_b32_e32 v22, s31
	ds_read2_b64 v[22:25], v22 offset1:1
	s_add_i32 s31, s34, s12
	s_waitcnt lgkmcnt(1)
	v_fma_f64 v[18:19], -v[38:39], v[32:33], v[18:19]
	v_mov_b32_e32 v32, s31
	s_add_i32 s31, s34, s13
	ds_read2_b64 v[78:81], v32 offset1:1
	s_waitcnt lgkmcnt(1)
	v_fma_f64 v[18:19], -v[40:41], v[24:25], v[18:19]
	v_mov_b32_e32 v24, s31
	s_add_i32 s31, s34, s14
	ds_read2_b64 v[82:85], v24 offset1:1
	v_mov_b32_e32 v24, s31
	s_add_i32 s31, s34, s15
	ds_read2_b64 v[86:89], v24 offset1:1
	;; [unrolled: 3-line block ×3, first 2 shown]
	v_mov_b32_e32 v24, s31
	ds_read2_b64 v[98:101], v24 offset1:1
	s_waitcnt lgkmcnt(4)
	v_fma_f64 v[18:19], -v[42:43], v[80:81], v[18:19]
	s_waitcnt lgkmcnt(3)
	v_fma_f64 v[18:19], -v[44:45], v[84:85], v[18:19]
	s_add_i32 s31, s34, s18
	s_waitcnt lgkmcnt(2)
	v_fma_f64 v[18:19], -v[46:47], v[88:89], v[18:19]
	v_mov_b32_e32 v24, s31
	s_add_i32 s31, s34, s19
	s_waitcnt lgkmcnt(1)
	v_fma_f64 v[18:19], -v[48:49], v[92:93], v[18:19]
	ds_read2_b64 v[92:95], v24 offset1:1
	v_mov_b32_e32 v24, s31
	s_add_i32 s31, s34, s20
	s_waitcnt lgkmcnt(1)
	v_fma_f64 v[18:19], -v[50:51], v[100:101], v[18:19]
	ds_read2_b64 v[100:103], v24 offset1:1
	v_mov_b32_e32 v24, s31
	s_add_i32 s31, s34, s21
	ds_read2_b64 v[104:107], v24 offset1:1
	v_mov_b32_e32 v24, s31
	s_add_i32 s31, s34, s23
	v_fma_f64 v[12:13], -v[36:37], v[20:21], v[12:13]
	ds_read2_b64 v[108:111], v24 offset1:1
	v_mov_b32_e32 v24, s31
	s_add_i32 s31, s34, s24
	v_fma_f64 v[12:13], -v[38:39], v[30:31], v[12:13]
	;; [unrolled: 4-line block ×3, first 2 shown]
	s_waitcnt lgkmcnt(4)
	v_fma_f64 v[18:19], -v[52:53], v[94:95], v[18:19]
	ds_read2_b64 v[116:119], v24 offset1:1
	v_mov_b32_e32 v24, s31
	s_add_i32 s31, s34, s26
	v_fma_f64 v[12:13], -v[42:43], v[78:79], v[12:13]
	s_waitcnt lgkmcnt(4)
	v_fma_f64 v[18:19], -v[54:55], v[102:103], v[18:19]
	ds_read2_b64 v[120:123], v24 offset1:1
	v_mov_b32_e32 v24, s31
	v_fma_f64 v[12:13], -v[44:45], v[82:83], v[12:13]
	s_waitcnt lgkmcnt(4)
	v_fma_f64 v[18:19], -v[56:57], v[106:107], v[18:19]
	ds_read2_b64 v[124:127], v24 offset1:1
	s_add_i32 s31, s34, s27
	v_fma_f64 v[12:13], -v[46:47], v[86:87], v[12:13]
	s_waitcnt lgkmcnt(4)
	v_fma_f64 v[18:19], -v[58:59], v[110:111], v[18:19]
	v_mov_b32_e32 v24, s31
	s_add_i32 s31, s34, s28
	v_fma_f64 v[12:13], -v[48:49], v[90:91], v[12:13]
	s_waitcnt lgkmcnt(3)
	v_fma_f64 v[18:19], -v[60:61], v[114:115], v[18:19]
	v_mov_b32_e32 v25, s31
	ds_read2_b64 v[128:131], v24 offset1:1
	ds_read2_b64 v[132:135], v25 offset1:1
	s_add_i32 s31, s34, s29
	v_fma_f64 v[12:13], -v[50:51], v[98:99], v[12:13]
	s_waitcnt lgkmcnt(4)
	v_fma_f64 v[18:19], -v[62:63], v[118:119], v[18:19]
	v_mov_b32_e32 v24, s31
	s_add_i32 s31, s34, s30
	v_fma_f64 v[12:13], -v[52:53], v[92:93], v[12:13]
	s_waitcnt lgkmcnt(3)
	v_fma_f64 v[18:19], -v[64:65], v[122:123], v[18:19]
	v_mov_b32_e32 v25, s31
	ds_read2_b64 v[136:139], v24 offset1:1
	ds_read2_b64 v[140:143], v25 offset1:1
	v_fma_f64 v[12:13], -v[54:55], v[100:101], v[12:13]
	s_waitcnt lgkmcnt(4)
	v_fma_f64 v[18:19], -v[66:67], v[126:127], v[18:19]
	v_fma_f64 v[12:13], -v[56:57], v[104:105], v[12:13]
	s_waitcnt lgkmcnt(3)
	v_fma_f64 v[18:19], -v[68:69], v[130:131], v[18:19]
	s_add_i32 s31, s7, 0xffffd800
	v_fma_f64 v[12:13], -v[58:59], v[108:109], v[12:13]
	s_waitcnt lgkmcnt(2)
	v_fma_f64 v[18:19], -v[70:71], v[134:135], v[18:19]
	s_add_i32 s35, s34, s31
	v_fma_f64 v[12:13], -v[60:61], v[112:113], v[12:13]
	s_waitcnt lgkmcnt(1)
	v_fma_f64 v[18:19], -v[72:73], v[138:139], v[18:19]
	v_mov_b32_e32 v24, s35
	s_lshl_b32 s33, s33, 9
	v_fma_f64 v[12:13], -v[62:63], v[116:117], v[12:13]
	s_waitcnt lgkmcnt(0)
	v_fma_f64 v[18:19], -v[74:75], v[142:143], v[18:19]
	ds_read2_b64 v[142:145], v24 offset1:1
	s_add_i32 s34, s34, s33
	v_fma_f64 v[12:13], -v[64:65], v[120:121], v[12:13]
	v_mov_b32_e32 v24, s34
	v_fma_f64 v[12:13], -v[66:67], v[124:125], v[12:13]
	ds_read_b64 v[24:25], v24
	v_fma_f64 v[12:13], -v[68:69], v[128:129], v[12:13]
	v_fma_f64 v[12:13], -v[70:71], v[132:133], v[12:13]
	;; [unrolled: 1-line block ×3, first 2 shown]
	s_sub_i32 s35, s6, 23
	s_waitcnt lgkmcnt(1)
	v_mul_f64 v[76:77], v[144:145], v[18:19]
	v_fma_f64 v[12:13], -v[74:75], v[140:141], v[12:13]
	s_lshl_b32 s36, s35, 3
	v_fma_f64 v[12:13], -v[76:77], v[142:143], v[12:13]
	s_add_i32 s34, s36, s7
	v_add_u32_e32 v18, s31, v1
	s_waitcnt lgkmcnt(0)
	v_mul_f64 v[78:79], v[24:25], v[12:13]
	v_add_u32_e32 v12, s33, v1
	v_mov_b32_e32 v13, s34
	s_add_i32 s34, s36, s8
	ds_write_b64 v18, v[76:77]
	ds_read2_b64 v[18:21], v13 offset1:1
	ds_write_b64 v12, v[78:79]
	v_mov_b32_e32 v12, s34
	s_add_i32 s34, s36, s9
	ds_read2_b64 v[22:25], v12 offset1:1
	v_mov_b32_e32 v12, s34
	s_add_i32 s34, s36, s12
	ds_read2_b64 v[30:33], v12 offset1:1
	;; [unrolled: 3-line block ×4, first 2 shown]
	v_mov_b32_e32 v12, s34
	s_add_i32 s34, s36, s15
	s_waitcnt lgkmcnt(5)
	v_fma_f64 v[4:5], -v[36:37], v[20:21], v[4:5]
	ds_read2_b64 v[90:93], v12 offset1:1
	v_mov_b32_e32 v12, s34
	s_waitcnt lgkmcnt(4)
	v_fma_f64 v[4:5], -v[38:39], v[24:25], v[4:5]
	ds_read2_b64 v[98:101], v12 offset1:1
	s_waitcnt lgkmcnt(4)
	v_fma_f64 v[4:5], -v[40:41], v[32:33], v[4:5]
	s_waitcnt lgkmcnt(3)
	v_fma_f64 v[4:5], -v[42:43], v[84:85], v[4:5]
	s_add_i32 s34, s36, s17
	s_waitcnt lgkmcnt(2)
	v_fma_f64 v[4:5], -v[44:45], v[88:89], v[4:5]
	v_mov_b32_e32 v12, s34
	s_add_i32 s34, s36, s18
	s_waitcnt lgkmcnt(1)
	v_fma_f64 v[4:5], -v[46:47], v[92:93], v[4:5]
	ds_read2_b64 v[92:95], v12 offset1:1
	v_mov_b32_e32 v12, s34
	s_add_i32 s34, s36, s19
	s_waitcnt lgkmcnt(1)
	v_fma_f64 v[4:5], -v[48:49], v[100:101], v[4:5]
	ds_read2_b64 v[100:103], v12 offset1:1
	v_mov_b32_e32 v12, s34
	s_add_i32 s34, s36, s20
	ds_read2_b64 v[104:107], v12 offset1:1
	v_mov_b32_e32 v12, s34
	s_add_i32 s34, s36, s21
	;; [unrolled: 3-line block ×3, first 2 shown]
	v_fma_f64 v[2:3], -v[36:37], v[18:19], v[2:3]
	ds_read2_b64 v[112:115], v12 offset1:1
	v_mov_b32_e32 v12, s34
	s_add_i32 s34, s36, s24
	v_fma_f64 v[2:3], -v[38:39], v[22:23], v[2:3]
	s_waitcnt lgkmcnt(4)
	v_fma_f64 v[4:5], -v[50:51], v[94:95], v[4:5]
	ds_read2_b64 v[116:119], v12 offset1:1
	v_mov_b32_e32 v12, s34
	s_add_i32 s34, s36, s25
	v_fma_f64 v[2:3], -v[40:41], v[30:31], v[2:3]
	s_waitcnt lgkmcnt(4)
	;; [unrolled: 6-line block ×5, first 2 shown]
	v_fma_f64 v[4:5], -v[58:59], v[114:115], v[4:5]
	ds_read2_b64 v[132:135], v12 offset1:1
	v_mov_b32_e32 v12, s34
	v_fma_f64 v[2:3], -v[48:49], v[98:99], v[2:3]
	s_waitcnt lgkmcnt(4)
	v_fma_f64 v[4:5], -v[60:61], v[118:119], v[4:5]
	ds_read2_b64 v[136:139], v12 offset1:1
	s_add_i32 s34, s36, s29
	v_fma_f64 v[2:3], -v[50:51], v[92:93], v[2:3]
	s_waitcnt lgkmcnt(4)
	v_fma_f64 v[4:5], -v[62:63], v[122:123], v[4:5]
	v_mov_b32_e32 v12, s34
	s_add_i32 s34, s36, s30
	v_fma_f64 v[2:3], -v[52:53], v[100:101], v[2:3]
	s_waitcnt lgkmcnt(3)
	v_fma_f64 v[4:5], -v[64:65], v[126:127], v[4:5]
	v_mov_b32_e32 v13, s34
	ds_read2_b64 v[140:143], v12 offset1:1
	ds_read2_b64 v[144:147], v13 offset1:1
	s_add_i32 s34, s36, s31
	v_fma_f64 v[2:3], -v[54:55], v[104:105], v[2:3]
	s_waitcnt lgkmcnt(4)
	v_fma_f64 v[4:5], -v[66:67], v[130:131], v[4:5]
	v_mov_b32_e32 v12, s34
	s_add_i32 s34, s36, s33
	v_fma_f64 v[2:3], -v[56:57], v[108:109], v[2:3]
	s_waitcnt lgkmcnt(3)
	v_fma_f64 v[4:5], -v[68:69], v[134:135], v[4:5]
	v_mov_b32_e32 v13, s34
	ds_read2_b64 v[148:151], v12 offset1:1
	ds_read2_b64 v[152:155], v13 offset1:1
	v_fma_f64 v[2:3], -v[58:59], v[112:113], v[2:3]
	s_waitcnt lgkmcnt(4)
	v_fma_f64 v[4:5], -v[70:71], v[138:139], v[4:5]
	v_fma_f64 v[2:3], -v[60:61], v[116:117], v[2:3]
	s_waitcnt lgkmcnt(3)
	v_fma_f64 v[4:5], -v[72:73], v[142:143], v[4:5]
	s_add_i32 s34, s7, 0xffffd400
	v_fma_f64 v[2:3], -v[62:63], v[120:121], v[2:3]
	s_waitcnt lgkmcnt(2)
	v_fma_f64 v[4:5], -v[74:75], v[146:147], v[4:5]
	s_add_i32 s37, s36, s34
	v_fma_f64 v[2:3], -v[64:65], v[124:125], v[2:3]
	s_waitcnt lgkmcnt(1)
	v_fma_f64 v[4:5], -v[76:77], v[150:151], v[4:5]
	v_mov_b32_e32 v12, s37
	s_lshl_b32 s35, s35, 9
	v_fma_f64 v[2:3], -v[66:67], v[128:129], v[2:3]
	s_waitcnt lgkmcnt(0)
	v_fma_f64 v[4:5], -v[78:79], v[154:155], v[4:5]
	ds_read2_b64 v[154:157], v12 offset1:1
	s_add_i32 s36, s36, s35
	v_fma_f64 v[2:3], -v[68:69], v[132:133], v[2:3]
	v_mov_b32_e32 v12, s36
	v_fma_f64 v[2:3], -v[70:71], v[136:137], v[2:3]
	ds_read_b64 v[12:13], v12
	v_fma_f64 v[2:3], -v[72:73], v[140:141], v[2:3]
	v_fma_f64 v[2:3], -v[74:75], v[144:145], v[2:3]
	;; [unrolled: 1-line block ×3, first 2 shown]
	s_sub_i32 s38, s6, 25
	s_waitcnt lgkmcnt(1)
	v_mul_f64 v[80:81], v[156:157], v[4:5]
	v_fma_f64 v[2:3], -v[78:79], v[152:153], v[2:3]
	s_lshl_b32 s36, s38, 3
	v_fma_f64 v[2:3], -v[80:81], v[154:155], v[2:3]
	s_add_i32 s37, s36, s7
	v_add_u32_e32 v4, s34, v1
	s_waitcnt lgkmcnt(0)
	v_mul_f64 v[82:83], v[12:13], v[2:3]
	v_mov_b32_e32 v2, s37
	ds_write_b64 v4, v[80:81]
	ds_read2_b64 v[2:5], v2 offset1:1
	v_add_u32_e32 v12, s35, v1
	s_add_i32 s37, s36, s8
	ds_write_b64 v12, v[82:83]
	v_mov_b32_e32 v12, s37
	s_add_i32 s37, s36, s9
	ds_read2_b64 v[18:21], v12 offset1:1
	s_waitcnt lgkmcnt(2)
	v_fma_f64 v[4:5], -v[36:37], v[4:5], v[8:9]
	v_mov_b32_e32 v8, s37
	s_add_i32 s37, s36, s12
	ds_read2_b64 v[22:25], v8 offset1:1
	v_mov_b32_e32 v8, s37
	s_add_i32 s37, s36, s13
	ds_read2_b64 v[30:33], v8 offset1:1
	;; [unrolled: 3-line block ×4, first 2 shown]
	v_mov_b32_e32 v8, s37
	s_waitcnt lgkmcnt(4)
	v_fma_f64 v[4:5], -v[38:39], v[20:21], v[4:5]
	ds_read2_b64 v[98:101], v8 offset1:1
	s_waitcnt lgkmcnt(4)
	v_fma_f64 v[4:5], -v[40:41], v[24:25], v[4:5]
	s_waitcnt lgkmcnt(3)
	v_fma_f64 v[4:5], -v[42:43], v[32:33], v[4:5]
	s_add_i32 s37, s36, s17
	s_waitcnt lgkmcnt(2)
	v_fma_f64 v[4:5], -v[44:45], v[88:89], v[4:5]
	v_mov_b32_e32 v8, s37
	s_add_i32 s37, s36, s18
	s_waitcnt lgkmcnt(1)
	v_fma_f64 v[4:5], -v[46:47], v[92:93], v[4:5]
	ds_read2_b64 v[92:95], v8 offset1:1
	v_mov_b32_e32 v8, s37
	s_add_i32 s37, s36, s19
	s_waitcnt lgkmcnt(1)
	v_fma_f64 v[4:5], -v[48:49], v[100:101], v[4:5]
	ds_read2_b64 v[100:103], v8 offset1:1
	v_mov_b32_e32 v8, s37
	s_add_i32 s37, s36, s20
	ds_read2_b64 v[104:107], v8 offset1:1
	v_mov_b32_e32 v8, s37
	s_add_i32 s37, s36, s21
	;; [unrolled: 3-line block ×3, first 2 shown]
	v_fma_f64 v[2:3], -v[36:37], v[2:3], v[6:7]
	ds_read2_b64 v[112:115], v8 offset1:1
	v_mov_b32_e32 v8, s37
	s_add_i32 s37, s36, s24
	v_fma_f64 v[2:3], -v[38:39], v[18:19], v[2:3]
	s_waitcnt lgkmcnt(4)
	v_fma_f64 v[4:5], -v[50:51], v[94:95], v[4:5]
	ds_read2_b64 v[116:119], v8 offset1:1
	v_mov_b32_e32 v8, s37
	s_add_i32 s37, s36, s25
	v_fma_f64 v[2:3], -v[40:41], v[22:23], v[2:3]
	s_waitcnt lgkmcnt(4)
	;; [unrolled: 6-line block ×7, first 2 shown]
	v_fma_f64 v[4:5], -v[62:63], v[122:123], v[4:5]
	ds_read2_b64 v[140:143], v8 offset1:1
	v_mov_b32_e32 v8, s37
	v_fma_f64 v[2:3], -v[52:53], v[100:101], v[2:3]
	s_waitcnt lgkmcnt(4)
	v_fma_f64 v[4:5], -v[64:65], v[126:127], v[4:5]
	ds_read2_b64 v[144:147], v8 offset1:1
	s_add_i32 s37, s36, s31
	v_fma_f64 v[2:3], -v[54:55], v[104:105], v[2:3]
	s_waitcnt lgkmcnt(4)
	v_fma_f64 v[4:5], -v[66:67], v[130:131], v[4:5]
	v_mov_b32_e32 v8, s37
	s_add_i32 s37, s36, s33
	v_fma_f64 v[2:3], -v[56:57], v[108:109], v[2:3]
	s_waitcnt lgkmcnt(3)
	v_fma_f64 v[4:5], -v[68:69], v[134:135], v[4:5]
	v_mov_b32_e32 v9, s37
	ds_read2_b64 v[148:151], v8 offset1:1
	ds_read2_b64 v[152:155], v9 offset1:1
	s_add_i32 s37, s36, s34
	v_fma_f64 v[2:3], -v[58:59], v[112:113], v[2:3]
	s_waitcnt lgkmcnt(4)
	v_fma_f64 v[4:5], -v[70:71], v[138:139], v[4:5]
	v_mov_b32_e32 v8, s37
	s_add_i32 s37, s36, s35
	v_fma_f64 v[2:3], -v[60:61], v[116:117], v[2:3]
	s_waitcnt lgkmcnt(3)
	v_fma_f64 v[4:5], -v[72:73], v[142:143], v[4:5]
	v_mov_b32_e32 v9, s37
	ds_read2_b64 v[156:159], v8 offset1:1
	ds_read2_b64 v[160:163], v9 offset1:1
	v_fma_f64 v[2:3], -v[62:63], v[120:121], v[2:3]
	s_waitcnt lgkmcnt(4)
	v_fma_f64 v[4:5], -v[74:75], v[146:147], v[4:5]
	v_fma_f64 v[2:3], -v[64:65], v[124:125], v[2:3]
	s_waitcnt lgkmcnt(3)
	v_fma_f64 v[4:5], -v[76:77], v[150:151], v[4:5]
	s_add_i32 s37, s7, 0xffffd000
	v_fma_f64 v[2:3], -v[66:67], v[128:129], v[2:3]
	s_waitcnt lgkmcnt(2)
	v_fma_f64 v[4:5], -v[78:79], v[154:155], v[4:5]
	s_add_i32 s36, s36, s37
	v_fma_f64 v[2:3], -v[68:69], v[132:133], v[2:3]
	s_waitcnt lgkmcnt(1)
	v_fma_f64 v[4:5], -v[80:81], v[158:159], v[4:5]
	v_mov_b32_e32 v8, s36
	s_mul_i32 s36, s6, 0x208
	v_fma_f64 v[2:3], -v[70:71], v[136:137], v[2:3]
	s_waitcnt lgkmcnt(0)
	v_fma_f64 v[4:5], -v[82:83], v[162:163], v[4:5]
	ds_read2_b64 v[162:165], v8 offset1:1
	s_add_i32 s39, s36, 0xffffcd38
	v_fma_f64 v[2:3], -v[72:73], v[140:141], v[2:3]
	v_mov_b32_e32 v8, s39
	v_fma_f64 v[2:3], -v[74:75], v[144:145], v[2:3]
	ds_read_b64 v[8:9], v8
	v_fma_f64 v[2:3], -v[76:77], v[148:149], v[2:3]
	v_fma_f64 v[2:3], -v[78:79], v[152:153], v[2:3]
	;; [unrolled: 1-line block ×3, first 2 shown]
	s_sub_i32 s40, s6, 27
	s_waitcnt lgkmcnt(1)
	v_mul_f64 v[84:85], v[164:165], v[4:5]
	v_fma_f64 v[2:3], -v[82:83], v[160:161], v[2:3]
	s_lshl_b32 s41, s40, 3
	v_fma_f64 v[2:3], -v[84:85], v[162:163], v[2:3]
	s_lshl_b32 s38, s38, 9
	s_add_i32 s39, s41, s7
	v_add_u32_e32 v4, s37, v1
	s_waitcnt lgkmcnt(0)
	v_mul_f64 v[86:87], v[8:9], v[2:3]
	v_add_u32_e32 v6, s38, v1
	v_mov_b32_e32 v2, s39
	s_add_i32 s39, s41, s8
	ds_write_b64 v4, v[84:85]
	ds_read2_b64 v[2:5], v2 offset1:1
	ds_write_b64 v6, v[86:87]
	v_mov_b32_e32 v6, s39
	ds_read2_b64 v[6:9], v6 offset1:1
	s_add_i32 s39, s41, s9
	s_waitcnt lgkmcnt(2)
	v_fma_f64 v[4:5], -v[36:37], v[4:5], v[10:11]
	v_mov_b32_e32 v10, s39
	s_add_i32 s39, s41, s12
	ds_read2_b64 v[10:13], v10 offset1:1
	s_waitcnt lgkmcnt(1)
	v_fma_f64 v[4:5], -v[38:39], v[8:9], v[4:5]
	v_mov_b32_e32 v8, s39
	s_add_i32 s39, s41, s13
	ds_read2_b64 v[18:21], v8 offset1:1
	v_mov_b32_e32 v8, s39
	s_add_i32 s39, s41, s14
	ds_read2_b64 v[22:25], v8 offset1:1
	;; [unrolled: 3-line block ×4, first 2 shown]
	v_mov_b32_e32 v8, s39
	s_waitcnt lgkmcnt(4)
	v_fma_f64 v[4:5], -v[40:41], v[12:13], v[4:5]
	ds_read2_b64 v[98:101], v8 offset1:1
	s_waitcnt lgkmcnt(4)
	v_fma_f64 v[4:5], -v[42:43], v[20:21], v[4:5]
	s_waitcnt lgkmcnt(3)
	v_fma_f64 v[4:5], -v[44:45], v[24:25], v[4:5]
	s_add_i32 s39, s41, s18
	s_waitcnt lgkmcnt(2)
	v_fma_f64 v[4:5], -v[46:47], v[32:33], v[4:5]
	v_mov_b32_e32 v8, s39
	s_add_i32 s39, s41, s19
	v_fma_f64 v[2:3], -v[36:37], v[2:3], v[16:17]
	s_waitcnt lgkmcnt(1)
	v_fma_f64 v[4:5], -v[48:49], v[92:93], v[4:5]
	ds_read2_b64 v[92:95], v8 offset1:1
	v_mov_b32_e32 v8, s39
	s_add_i32 s39, s41, s20
	v_fma_f64 v[2:3], -v[38:39], v[6:7], v[2:3]
	s_waitcnt lgkmcnt(1)
	v_fma_f64 v[4:5], -v[50:51], v[100:101], v[4:5]
	ds_read2_b64 v[100:103], v8 offset1:1
	v_mov_b32_e32 v8, s39
	s_add_i32 s39, s41, s21
	v_fma_f64 v[2:3], -v[40:41], v[10:11], v[2:3]
	ds_read2_b64 v[104:107], v8 offset1:1
	v_mov_b32_e32 v8, s39
	s_add_i32 s39, s41, s23
	v_fma_f64 v[2:3], -v[42:43], v[18:19], v[2:3]
	ds_read2_b64 v[108:111], v8 offset1:1
	v_mov_b32_e32 v8, s39
	s_add_i32 s39, s41, s24
	v_fma_f64 v[2:3], -v[44:45], v[22:23], v[2:3]
	ds_read2_b64 v[112:115], v8 offset1:1
	v_mov_b32_e32 v8, s39
	s_add_i32 s39, s41, s25
	v_fma_f64 v[2:3], -v[46:47], v[30:31], v[2:3]
	ds_read2_b64 v[116:119], v8 offset1:1
	v_mov_b32_e32 v8, s39
	s_add_i32 s39, s41, s26
	v_fma_f64 v[2:3], -v[48:49], v[90:91], v[2:3]
	s_waitcnt lgkmcnt(5)
	v_fma_f64 v[4:5], -v[52:53], v[94:95], v[4:5]
	ds_read2_b64 v[120:123], v8 offset1:1
	v_mov_b32_e32 v8, s39
	s_add_i32 s39, s41, s27
	v_fma_f64 v[2:3], -v[50:51], v[98:99], v[2:3]
	s_waitcnt lgkmcnt(5)
	v_fma_f64 v[4:5], -v[54:55], v[102:103], v[4:5]
	ds_read2_b64 v[124:127], v8 offset1:1
	v_mov_b32_e32 v8, s39
	s_add_i32 s39, s41, s28
	;; [unrolled: 6-line block ×11, first 2 shown]
	v_fma_f64 v[2:3], -v[70:71], v[132:133], v[2:3]
	s_waitcnt lgkmcnt(5)
	v_fma_f64 v[4:5], -v[74:75], v[142:143], v[4:5]
	s_add_i32 s41, s41, s39
	v_fma_f64 v[2:3], -v[72:73], v[136:137], v[2:3]
	s_waitcnt lgkmcnt(4)
	v_fma_f64 v[4:5], -v[76:77], v[146:147], v[4:5]
	ds_read2_b64 v[164:167], v8 offset1:1
	v_mov_b32_e32 v8, s41
	v_fma_f64 v[2:3], -v[74:75], v[140:141], v[2:3]
	s_waitcnt lgkmcnt(4)
	v_fma_f64 v[4:5], -v[78:79], v[150:151], v[4:5]
	ds_read2_b64 v[168:171], v8 offset1:1
	s_add_i32 s41, s36, 0xffffc928
	v_fma_f64 v[2:3], -v[76:77], v[144:145], v[2:3]
	s_waitcnt lgkmcnt(4)
	v_fma_f64 v[4:5], -v[80:81], v[154:155], v[4:5]
	v_mov_b32_e32 v8, s41
	v_fma_f64 v[2:3], -v[78:79], v[148:149], v[2:3]
	s_waitcnt lgkmcnt(3)
	v_fma_f64 v[4:5], -v[82:83], v[158:159], v[4:5]
	ds_read_b64 v[8:9], v8
	v_fma_f64 v[2:3], -v[80:81], v[152:153], v[2:3]
	s_waitcnt lgkmcnt(3)
	v_fma_f64 v[4:5], -v[84:85], v[162:163], v[4:5]
	v_fma_f64 v[2:3], -v[82:83], v[156:157], v[2:3]
	s_waitcnt lgkmcnt(2)
	v_fma_f64 v[4:5], -v[86:87], v[166:167], v[4:5]
	v_fma_f64 v[2:3], -v[84:85], v[160:161], v[2:3]
	s_sub_i32 s41, s6, 29
	s_waitcnt lgkmcnt(1)
	v_mul_f64 v[88:89], v[170:171], v[4:5]
	v_fma_f64 v[2:3], -v[86:87], v[164:165], v[2:3]
	s_lshl_b32 s42, s41, 3
	v_fma_f64 v[2:3], -v[88:89], v[168:169], v[2:3]
	s_lshl_b32 s40, s40, 9
	s_add_i32 s43, s42, s7
	v_add_u32_e32 v4, s39, v1
	s_waitcnt lgkmcnt(0)
	v_mul_f64 v[90:91], v[8:9], v[2:3]
	v_add_u32_e32 v6, s40, v1
	v_mov_b32_e32 v2, s43
	s_add_i32 s43, s42, s8
	ds_write_b64 v4, v[88:89]
	ds_read2_b64 v[2:5], v2 offset1:1
	ds_write_b64 v6, v[90:91]
	v_mov_b32_e32 v6, s43
	ds_read2_b64 v[6:9], v6 offset1:1
	s_add_i32 s43, s42, s9
	s_waitcnt lgkmcnt(2)
	v_fma_f64 v[4:5], -v[36:37], v[4:5], v[14:15]
	v_mov_b32_e32 v10, s43
	s_add_i32 s43, s42, s12
	s_waitcnt lgkmcnt(0)
	v_fma_f64 v[4:5], -v[38:39], v[8:9], v[4:5]
	v_mov_b32_e32 v8, s43
	s_add_i32 s43, s42, s13
	ds_read2_b64 v[10:13], v10 offset1:1
	ds_read2_b64 v[14:17], v8 offset1:1
	v_mov_b32_e32 v8, s43
	s_add_i32 s43, s42, s14
	ds_read2_b64 v[18:21], v8 offset1:1
	v_mov_b32_e32 v8, s43
	s_add_i32 s43, s42, s15
	;; [unrolled: 3-line block ×5, first 2 shown]
	v_fma_f64 v[2:3], -v[36:37], v[2:3], v[28:29]
	s_waitcnt lgkmcnt(5)
	v_fma_f64 v[4:5], -v[40:41], v[12:13], v[4:5]
	ds_read2_b64 v[102:105], v8 offset1:1
	v_mov_b32_e32 v8, s43
	s_add_i32 s43, s42, s20
	v_fma_f64 v[2:3], -v[38:39], v[6:7], v[2:3]
	s_waitcnt lgkmcnt(5)
	v_fma_f64 v[4:5], -v[42:43], v[16:17], v[4:5]
	ds_read2_b64 v[106:109], v8 offset1:1
	v_mov_b32_e32 v8, s43
	s_add_i32 s43, s42, s21
	;; [unrolled: 6-line block ×19, first 2 shown]
	v_fma_f64 v[2:3], -v[74:75], v[146:147], v[2:3]
	s_waitcnt lgkmcnt(5)
	v_fma_f64 v[4:5], -v[78:79], v[156:157], v[4:5]
	s_add_i32 s42, s42, s43
	v_fma_f64 v[2:3], -v[76:77], v[150:151], v[2:3]
	s_waitcnt lgkmcnt(4)
	v_fma_f64 v[4:5], -v[80:81], v[160:161], v[4:5]
	ds_read2_b64 v[178:181], v8 offset1:1
	v_mov_b32_e32 v8, s42
	v_fma_f64 v[2:3], -v[78:79], v[154:155], v[2:3]
	s_waitcnt lgkmcnt(4)
	v_fma_f64 v[4:5], -v[82:83], v[164:165], v[4:5]
	ds_read2_b64 v[182:185], v8 offset1:1
	s_add_i32 s42, s36, 0xffffc518
	v_fma_f64 v[2:3], -v[80:81], v[158:159], v[2:3]
	s_waitcnt lgkmcnt(4)
	v_fma_f64 v[4:5], -v[84:85], v[168:169], v[4:5]
	v_mov_b32_e32 v8, s42
	v_fma_f64 v[2:3], -v[82:83], v[162:163], v[2:3]
	s_waitcnt lgkmcnt(3)
	v_fma_f64 v[4:5], -v[86:87], v[172:173], v[4:5]
	ds_read_b64 v[8:9], v8
	v_fma_f64 v[2:3], -v[84:85], v[166:167], v[2:3]
	s_sub_i32 s42, s6, 31
	s_waitcnt lgkmcnt(3)
	v_fma_f64 v[4:5], -v[88:89], v[176:177], v[4:5]
	v_fma_f64 v[2:3], -v[86:87], v[170:171], v[2:3]
	s_lshl_b32 s44, s42, 3
	s_waitcnt lgkmcnt(2)
	v_fma_f64 v[4:5], -v[90:91], v[180:181], v[4:5]
	v_fma_f64 v[2:3], -v[88:89], v[174:175], v[2:3]
	s_add_i32 s8, s44, s8
	s_waitcnt lgkmcnt(1)
	v_mul_f64 v[92:93], v[184:185], v[4:5]
	v_fma_f64 v[2:3], -v[90:91], v[178:179], v[2:3]
	v_mov_b32_e32 v6, s8
	s_add_i32 s8, s44, s9
	v_fma_f64 v[2:3], -v[92:93], v[182:183], v[2:3]
	s_lshl_b32 s45, s41, 9
	v_mov_b32_e32 v10, s8
	s_add_i32 s41, s44, s7
	ds_read2_b64 v[10:13], v10 offset1:1
	s_waitcnt lgkmcnt(1)
	v_mul_f64 v[94:95], v[8:9], v[2:3]
	v_add_u32_e32 v2, s45, v1
	v_add_u32_e32 v4, s43, v1
	ds_write_b64 v2, v[94:95]
	v_mov_b32_e32 v2, s41
	ds_write_b64 v4, v[92:93]
	ds_read2_b64 v[2:5], v2 offset1:1
	ds_read2_b64 v[6:9], v6 offset1:1
	s_add_i32 s8, s44, s12
	s_addk_i32 s7, 0xc400
	s_mov_b32 s41, 31
	s_waitcnt lgkmcnt(1)
	v_fma_f64 v[4:5], -v[36:37], v[4:5], v[26:27]
	s_waitcnt lgkmcnt(0)
	v_fma_f64 v[4:5], -v[38:39], v[8:9], v[4:5]
	v_mov_b32_e32 v8, s8
	s_add_i32 s8, s44, s13
	ds_read2_b64 v[14:17], v8 offset1:1
	v_mov_b32_e32 v8, s8
	s_add_i32 s8, s44, s14
	ds_read2_b64 v[18:21], v8 offset1:1
	;; [unrolled: 3-line block ×4, first 2 shown]
	v_mov_b32_e32 v8, s8
	s_add_i32 s8, s44, s18
	v_fma_f64 v[2:3], -v[36:37], v[2:3], v[34:35]
	v_fma_f64 v[4:5], -v[40:41], v[12:13], v[4:5]
	ds_read2_b64 v[30:33], v8 offset1:1
	v_mov_b32_e32 v8, s8
	s_add_i32 s8, s44, s19
	v_fma_f64 v[2:3], -v[38:39], v[6:7], v[2:3]
	s_waitcnt lgkmcnt(4)
	v_fma_f64 v[4:5], -v[42:43], v[16:17], v[4:5]
	ds_read2_b64 v[98:101], v8 offset1:1
	v_mov_b32_e32 v8, s8
	s_add_i32 s8, s44, s20
	v_fma_f64 v[2:3], -v[40:41], v[10:11], v[2:3]
	s_waitcnt lgkmcnt(4)
	;; [unrolled: 6-line block ×22, first 2 shown]
	v_fma_f64 v[4:5], -v[84:85], v[164:165], v[4:5]
	ds_read2_b64 v[182:185], v8 offset1:1
	v_mov_b32_e32 v8, s8
	v_fma_f64 v[2:3], -v[82:83], v[158:159], v[2:3]
	s_waitcnt lgkmcnt(4)
	v_fma_f64 v[4:5], -v[86:87], v[168:169], v[4:5]
	ds_read2_b64 v[186:189], v8 offset1:1
	s_add_i32 s8, s36, 0xffffc108
	v_fma_f64 v[2:3], -v[84:85], v[162:163], v[2:3]
	s_waitcnt lgkmcnt(4)
	v_fma_f64 v[4:5], -v[88:89], v[172:173], v[4:5]
	v_mov_b32_e32 v8, s8
	v_fma_f64 v[2:3], -v[86:87], v[166:167], v[2:3]
	s_waitcnt lgkmcnt(3)
	v_fma_f64 v[4:5], -v[90:91], v[176:177], v[4:5]
	ds_read_b64 v[8:9], v8
	v_fma_f64 v[2:3], -v[88:89], v[170:171], v[2:3]
	s_waitcnt lgkmcnt(3)
	v_fma_f64 v[4:5], -v[92:93], v[180:181], v[4:5]
	v_fma_f64 v[2:3], -v[90:91], v[174:175], v[2:3]
	s_waitcnt lgkmcnt(2)
	v_fma_f64 v[4:5], -v[94:95], v[184:185], v[4:5]
	v_fma_f64 v[2:3], -v[92:93], v[178:179], v[2:3]
	s_waitcnt lgkmcnt(1)
	v_mul_f64 v[4:5], v[188:189], v[4:5]
	v_fma_f64 v[2:3], -v[94:95], v[182:183], v[2:3]
	v_add_u32_e32 v12, s7, v1
	v_fma_f64 v[2:3], -v[4:5], v[186:187], v[2:3]
	ds_write_b64 v12, v[4:5]
	s_waitcnt lgkmcnt(1)
	v_mul_f64 v[2:3], v[8:9], v[2:3]
	v_lshl_add_u32 v4, s42, 9, v1
	s_cmp_gt_i32 s6, 62
	ds_write_b64 v4, v[2:3]
	s_cbranch_scc0 .LBB107_42
.LBB107_39:                             ; =>This Loop Header: Depth=1
                                        ;     Child Loop BB107_41 Depth 2
	s_lshl_b32 s7, s41, 9
	v_add_u32_e32 v66, s7, v1
	v_add_u32_e32 v2, 0xfffffe00, v66
	v_add_u32_e32 v3, 0xfffffc00, v66
	v_add_u32_e32 v4, 0xfffffa00, v66
	ds_read_b64 v[36:37], v66
	ds_read_b64 v[38:39], v2
	ds_read_b64 v[40:41], v3
	ds_read_b64 v[42:43], v4
	v_add_u32_e32 v2, 0xfffff800, v66
	v_add_u32_e32 v3, 0xfffff600, v66
	v_add_u32_e32 v4, 0xfffff400, v66
	v_add_u32_e32 v5, 0xfffff200, v66
	ds_read_b64 v[44:45], v2
	ds_read_b64 v[46:47], v3
	ds_read_b64 v[48:49], v4
	ds_read_b64 v[50:51], v5
	;; [unrolled: 8-line block ×8, first 2 shown]
	s_mov_b32 s6, s41
	s_cmp_le_i32 s4, s41
	s_cbranch_scc1 .LBB107_38
; %bb.40:                               ;   in Loop: Header=BB107_39 Depth=1
	s_lshl_b32 s8, s6, 3
	s_add_i32 s8, s5, s8
	v_mov_b32_e32 v67, v96
	s_mov_b32 s9, s4
.LBB107_41:                             ;   Parent Loop BB107_39 Depth=1
                                        ; =>  This Inner Loop Header: Depth=2
	v_mov_b32_e32 v97, s8
	ds_read_b64 v[134:135], v67
	ds_read2_b64 v[68:71], v97 offset0:30 offset1:31
	ds_read2_b64 v[72:75], v97 offset0:28 offset1:29
	;; [unrolled: 1-line block ×15, first 2 shown]
	ds_read2_b64 v[130:133], v97 offset1:1
	s_add_i32 s9, s9, -1
	s_addk_i32 s8, 0xfe00
	v_add_u32_e32 v67, 0xfffffe00, v67
	s_cmp_gt_i32 s9, s6
	s_waitcnt lgkmcnt(14)
	v_fma_f64 v[36:37], -v[134:135], v[70:71], v[36:37]
	v_fma_f64 v[38:39], -v[134:135], v[68:69], v[38:39]
	;; [unrolled: 1-line block ×4, first 2 shown]
	s_waitcnt lgkmcnt(13)
	v_fma_f64 v[44:45], -v[134:135], v[78:79], v[44:45]
	v_fma_f64 v[46:47], -v[134:135], v[76:77], v[46:47]
	s_waitcnt lgkmcnt(12)
	v_fma_f64 v[48:49], -v[134:135], v[82:83], v[48:49]
	v_fma_f64 v[50:51], -v[134:135], v[80:81], v[50:51]
	;; [unrolled: 3-line block ×14, first 2 shown]
	s_cbranch_scc1 .LBB107_41
	s_branch .LBB107_38
.LBB107_42:
	s_sub_i32 s5, s6, 32
.LBB107_43:
	s_cmp_gt_i32 s5, -1
	s_cbranch_scc0 .LBB107_68
; %bb.44:
	s_cmp_lt_u32 s5, 3
	s_cbranch_scc1 .LBB107_50
; %bb.45:
	s_lshl_b32 s6, s22, 9
	s_lshl_b32 s7, s5, 3
	v_lshl_or_b32 v2, v0, 3, s6
	s_add_i32 s6, s6, s7
	v_add_u32_e32 v10, 0x7e00, v2
	s_addk_i32 s6, 0xfde8
.LBB107_46:                             ; =>This Loop Header: Depth=1
                                        ;     Child Loop BB107_47 Depth 2
	s_lshl_b32 s7, s5, 9
	v_add_u32_e32 v11, s7, v1
	v_add_u32_e32 v2, 0xfffffe00, v11
	;; [unrolled: 1-line block ×4, first 2 shown]
	ds_read_b64 v[8:9], v11
	ds_read_b64 v[6:7], v2
	;; [unrolled: 1-line block ×4, first 2 shown]
	s_cmp_le_i32 s4, s5
	s_mov_b32 s8, s6
	v_mov_b32_e32 v12, v10
	s_mov_b32 s9, s4
	s_cbranch_scc1 .LBB107_48
.LBB107_47:                             ;   Parent Loop BB107_46 Depth=1
                                        ; =>  This Inner Loop Header: Depth=2
	v_mov_b32_e32 v13, s8
	ds_read_b64 v[22:23], v12
	ds_read2_b64 v[14:17], v13 offset0:2 offset1:3
	ds_read2_b64 v[18:21], v13 offset1:1
	s_add_i32 s9, s9, -1
	s_addk_i32 s8, 0xfe00
	v_add_u32_e32 v12, 0xfffffe00, v12
	s_cmp_gt_i32 s9, s5
	s_waitcnt lgkmcnt(1)
	v_fma_f64 v[8:9], -v[22:23], v[16:17], v[8:9]
	v_fma_f64 v[6:7], -v[22:23], v[14:15], v[6:7]
	s_waitcnt lgkmcnt(0)
	v_fma_f64 v[4:5], -v[22:23], v[20:21], v[4:5]
	v_fma_f64 v[2:3], -v[22:23], v[18:19], v[2:3]
	s_cbranch_scc1 .LBB107_47
.LBB107_48:                             ;   in Loop: Header=BB107_46 Depth=1
	s_add_i32 s8, s5, -1
	s_lshl_b32 s9, s8, 3
	s_add_i32 s12, s9, s7
	v_mov_b32_e32 v12, s12
	ds_read2_b64 v[12:15], v12 offset1:1
	s_lshl_b32 s8, s8, 9
	s_add_i32 s9, s9, s8
	v_mov_b32_e32 v16, s9
	s_add_i32 s9, s5, -3
	s_lshl_b32 s12, s9, 3
	ds_read_b64 v[16:17], v16
	s_waitcnt lgkmcnt(1)
	v_mul_f64 v[18:19], v[14:15], v[8:9]
	s_add_i32 s13, s12, s7
	ds_write_b64 v11, v[18:19]
	v_fma_f64 v[20:21], -v[18:19], v[12:13], v[6:7]
	v_mov_b32_e32 v6, s13
	s_add_i32 s13, s12, s8
	v_mov_b32_e32 v11, s13
	ds_read2_b64 v[6:9], v6 offset1:1
	ds_read2_b64 v[12:15], v11 offset1:1
	s_addk_i32 s7, 0xfc00
	v_add_u32_e32 v11, s8, v1
	s_add_i32 s8, s12, s7
	s_waitcnt lgkmcnt(3)
	v_mul_f64 v[20:21], v[16:17], v[20:21]
	s_waitcnt lgkmcnt(1)
	v_fma_f64 v[4:5], -v[18:19], v[8:9], v[4:5]
	v_mov_b32_e32 v8, s8
	s_lshl_b32 s8, s9, 9
	s_waitcnt lgkmcnt(0)
	v_fma_f64 v[4:5], -v[20:21], v[14:15], v[4:5]
	ds_read2_b64 v[14:17], v8 offset1:1
	s_add_i32 s9, s12, s8
	v_mov_b32_e32 v8, s9
	ds_read_b64 v[8:9], v8
	v_fma_f64 v[2:3], -v[18:19], v[6:7], v[2:3]
	s_waitcnt lgkmcnt(1)
	v_mul_f64 v[4:5], v[16:17], v[4:5]
	v_fma_f64 v[2:3], -v[20:21], v[12:13], v[2:3]
	ds_write_b64 v11, v[20:21]
	v_add_u32_e32 v11, s7, v1
	v_fma_f64 v[2:3], -v[4:5], v[14:15], v[2:3]
	s_add_i32 s7, s5, -4
	s_sub_i32 s6, s6, 32
	ds_write_b64 v11, v[4:5]
	s_waitcnt lgkmcnt(2)
	v_mul_f64 v[2:3], v[8:9], v[2:3]
	v_add_u32_e32 v4, s8, v1
	s_cmp_gt_i32 s5, 6
	ds_write_b64 v4, v[2:3]
	s_cbranch_scc0 .LBB107_51
; %bb.49:                               ;   in Loop: Header=BB107_46 Depth=1
	s_mov_b32 s5, s7
	s_branch .LBB107_46
.LBB107_50:
	s_mov_b32 s7, s5
.LBB107_51:
	s_cmp_lt_i32 s7, 0
	s_cbranch_scc1 .LBB107_68
; %bb.52:
	s_and_b32 s5, s7, 3
	s_cmp_eq_u32 s5, 3
	s_mov_b32 s5, s7
	s_cbranch_scc1 .LBB107_57
; %bb.53:
	s_add_i32 s5, s7, 1
	s_and_b32 s6, s5, 3
	s_lshl_b32 s5, s22, 9
	s_lshl_b32 s8, s7, 3
	s_add_i32 s8, s5, s8
	v_lshl_or_b32 v2, v0, 3, s5
	s_addk_i32 s8, 0xfe00
	v_add_u32_e32 v4, 0x7e00, v2
	s_mov_b32 s9, 0
	s_mov_b32 s5, s7
	s_branch .LBB107_55
.LBB107_54:                             ;   in Loop: Header=BB107_55 Depth=1
	s_mul_i32 s12, s5, 0x208
	v_mov_b32_e32 v6, s12
	ds_read_b64 v[6:7], v6
	s_add_i32 s5, s5, -1
	s_add_i32 s9, s9, 1
	s_add_i32 s8, s8, -8
	s_cmp_lg_u32 s9, s6
	s_waitcnt lgkmcnt(0)
	v_mul_f64 v[2:3], v[6:7], v[2:3]
	ds_write_b64 v5, v[2:3]
	s_cbranch_scc0 .LBB107_57
.LBB107_55:                             ; =>This Loop Header: Depth=1
                                        ;     Child Loop BB107_56 Depth 2
	s_lshl_b32 s12, s5, 9
	v_add_u32_e32 v5, s12, v1
	ds_read_b64 v[2:3], v5
	s_cmp_le_i32 s4, s5
	v_mov_b32_e32 v6, v4
	s_mov_b32 s12, s8
	s_mov_b32 s13, s4
	s_cbranch_scc1 .LBB107_54
.LBB107_56:                             ;   Parent Loop BB107_55 Depth=1
                                        ; =>  This Inner Loop Header: Depth=2
	v_mov_b32_e32 v7, s12
	ds_read_b64 v[8:9], v6
	ds_read_b64 v[10:11], v7
	s_add_i32 s13, s13, -1
	s_addk_i32 s12, 0xfe00
	v_add_u32_e32 v6, 0xfffffe00, v6
	s_cmp_gt_i32 s13, s5
	s_waitcnt lgkmcnt(0)
	v_fma_f64 v[2:3], -v[8:9], v[10:11], v[2:3]
	s_cbranch_scc1 .LBB107_56
	s_branch .LBB107_54
.LBB107_57:
	s_cmp_lt_u32 s7, 3
	s_cbranch_scc1 .LBB107_68
; %bb.58:
	s_lshl_b32 s7, s22, 9
	s_lshl_b32 s6, s5, 3
	s_add_i32 s9, s7, s6
	v_lshl_or_b32 v2, v0, 3, s7
	s_add_i32 s6, s9, 0xfffffe00
	v_add_u32_e32 v6, 0x7e00, v2
	s_add_i32 s7, s9, 0xfffffdf8
	s_add_i32 s8, s9, 0xfffffdf0
	s_addk_i32 s9, 0xfde8
	s_branch .LBB107_60
.LBB107_59:                             ;   in Loop: Header=BB107_60 Depth=1
	s_addk_i32 s12, 0xfdf8
	v_mov_b32_e32 v2, s12
	ds_read_b64 v[2:3], v2
	s_add_i32 s12, s5, -4
	s_sub_i32 s6, s6, 32
	s_sub_i32 s7, s7, 32
	;; [unrolled: 1-line block ×4, first 2 shown]
	s_waitcnt lgkmcnt(0)
	v_mul_f64 v[2:3], v[2:3], v[4:5]
	s_cmp_lt_i32 s5, 4
	s_mov_b32 s5, s12
	ds_write_b64 v7, v[2:3]
	s_cbranch_scc1 .LBB107_68
.LBB107_60:                             ; =>This Loop Header: Depth=1
                                        ;     Child Loop BB107_61 Depth 2
                                        ;     Child Loop BB107_63 Depth 2
	;; [unrolled: 1-line block ×4, first 2 shown]
	s_lshl_b32 s13, s5, 9
	v_add_u32_e32 v8, s13, v1
	ds_read_b64 v[2:3], v8
	s_cmp_le_i32 s4, s5
	v_mov_b32_e32 v4, v6
	s_mov_b32 s12, s6
	s_mov_b32 s14, s4
	s_cbranch_scc1 .LBB107_62
.LBB107_61:                             ;   Parent Loop BB107_60 Depth=1
                                        ; =>  This Inner Loop Header: Depth=2
	v_mov_b32_e32 v5, s12
	ds_read_b64 v[10:11], v4
	ds_read_b64 v[12:13], v5
	s_add_i32 s14, s14, -1
	s_addk_i32 s12, 0xfe00
	v_add_u32_e32 v4, 0xfffffe00, v4
	s_cmp_gt_i32 s14, s5
	s_waitcnt lgkmcnt(0)
	v_fma_f64 v[2:3], -v[10:11], v[12:13], v[2:3]
	s_cbranch_scc1 .LBB107_61
.LBB107_62:                             ;   in Loop: Header=BB107_60 Depth=1
	s_mul_i32 s12, s5, 0x208
	v_mov_b32_e32 v4, s12
	ds_read_b64 v[10:11], v4
	s_addk_i32 s13, 0xfe00
	v_add_u32_e32 v7, s13, v1
	ds_read_b64 v[4:5], v7
	s_cmp_le_i32 s22, s5
	s_waitcnt lgkmcnt(1)
	v_mul_f64 v[2:3], v[10:11], v[2:3]
	ds_write_b64 v8, v[2:3]
	v_mov_b32_e32 v2, v6
	s_mov_b32 s13, s7
	s_mov_b32 s14, s22
	s_cbranch_scc1 .LBB107_64
.LBB107_63:                             ;   Parent Loop BB107_60 Depth=1
                                        ; =>  This Inner Loop Header: Depth=2
	v_mov_b32_e32 v3, s13
	ds_read_b64 v[8:9], v2
	ds_read_b64 v[10:11], v3
	s_add_i32 s14, s14, -1
	s_addk_i32 s13, 0xfe00
	v_add_u32_e32 v2, 0xfffffe00, v2
	s_cmp_gt_i32 s14, s5
	s_waitcnt lgkmcnt(0)
	v_fma_f64 v[4:5], -v[8:9], v[10:11], v[4:5]
	s_cbranch_scc1 .LBB107_63
.LBB107_64:                             ;   in Loop: Header=BB107_60 Depth=1
	s_addk_i32 s12, 0xfdf8
	v_mov_b32_e32 v2, s12
	s_add_i32 s13, s5, -2
	ds_read_b64 v[10:11], v2
	s_lshl_b32 s14, s13, 9
	v_add_u32_e32 v8, s14, v1
	ds_read_b64 v[2:3], v8
	s_cmp_le_i32 s4, s13
	s_waitcnt lgkmcnt(1)
	v_mul_f64 v[4:5], v[10:11], v[4:5]
	ds_write_b64 v7, v[4:5]
	v_mov_b32_e32 v4, v6
	s_mov_b32 s14, s8
	s_mov_b32 s15, s4
	s_cbranch_scc1 .LBB107_66
.LBB107_65:                             ;   Parent Loop BB107_60 Depth=1
                                        ; =>  This Inner Loop Header: Depth=2
	v_mov_b32_e32 v5, s14
	ds_read_b64 v[10:11], v4
	ds_read_b64 v[12:13], v5
	s_add_i32 s15, s15, -1
	s_addk_i32 s14, 0xfe00
	v_add_u32_e32 v4, 0xfffffe00, v4
	s_cmp_gt_i32 s15, s13
	s_waitcnt lgkmcnt(0)
	v_fma_f64 v[2:3], -v[10:11], v[12:13], v[2:3]
	s_cbranch_scc1 .LBB107_65
.LBB107_66:                             ;   in Loop: Header=BB107_60 Depth=1
	s_addk_i32 s12, 0xfdf8
	v_mov_b32_e32 v4, s12
	s_add_i32 s13, s5, -3
	ds_read_b64 v[10:11], v4
	s_lshl_b32 s14, s13, 9
	v_add_u32_e32 v7, s14, v1
	ds_read_b64 v[4:5], v7
	s_cmp_le_i32 s4, s13
	s_waitcnt lgkmcnt(1)
	v_mul_f64 v[2:3], v[10:11], v[2:3]
	ds_write_b64 v8, v[2:3]
	v_mov_b32_e32 v2, v6
	s_mov_b32 s14, s9
	s_mov_b32 s15, s4
	s_cbranch_scc1 .LBB107_59
.LBB107_67:                             ;   Parent Loop BB107_60 Depth=1
                                        ; =>  This Inner Loop Header: Depth=2
	v_mov_b32_e32 v3, s14
	ds_read_b64 v[8:9], v2
	ds_read_b64 v[10:11], v3
	s_add_i32 s15, s15, -1
	s_addk_i32 s14, 0xfe00
	v_add_u32_e32 v2, 0xfffffe00, v2
	s_cmp_gt_i32 s15, s13
	s_waitcnt lgkmcnt(0)
	v_fma_f64 v[4:5], -v[8:9], v[10:11], v[4:5]
	s_cbranch_scc1 .LBB107_67
	s_branch .LBB107_59
.LBB107_68:
	s_waitcnt lgkmcnt(0)
	; wave barrier
	s_and_saveexec_b64 s[4:5], s[0:1]
	s_cbranch_execz .LBB107_72
; %bb.69:
	s_andn2_b64 vcc, exec, s[10:11]
	s_cbranch_vccnz .LBB107_72
; %bb.70:
	v_mad_i64_i32 v[2:3], s[0:1], s16, v0, 0
	v_mov_b32_e32 v1, 0x8000
	v_lshl_add_u64 v[2:3], v[2:3], 3, s[2:3]
	v_lshl_or_b32 v0, v0, 3, v1
.LBB107_71:                             ; =>This Inner Loop Header: Depth=1
	ds_read_b64 v[4:5], v0
	s_add_i32 s22, s22, -1
	v_add_u32_e32 v0, 0x200, v0
	s_cmp_lg_u32 s22, 0
	s_waitcnt lgkmcnt(0)
	flat_store_dwordx2 v[2:3], v[4:5]
	v_lshl_add_u64 v[2:3], v[2:3], 0, 8
	s_cbranch_scc1 .LBB107_71
.LBB107_72:
	s_endpgm
	.section	.rodata,"a",@progbits
	.p2align	6, 0x0
	.amdhsa_kernel _ZL38rocblas_trsm_small_left_device_sharedBILi64ELi32ELb0EddPKPKdPKPdEv13rocblas_fill_18rocblas_operation_17rocblas_diagonal_iiT3_T4_lilT5_lili
		.amdhsa_group_segment_fixed_size 65536
		.amdhsa_private_segment_fixed_size 0
		.amdhsa_kernarg_size 360
		.amdhsa_user_sgpr_count 2
		.amdhsa_user_sgpr_dispatch_ptr 0
		.amdhsa_user_sgpr_queue_ptr 0
		.amdhsa_user_sgpr_kernarg_segment_ptr 1
		.amdhsa_user_sgpr_dispatch_id 0
		.amdhsa_user_sgpr_kernarg_preload_length 0
		.amdhsa_user_sgpr_kernarg_preload_offset 0
		.amdhsa_user_sgpr_private_segment_size 0
		.amdhsa_uses_dynamic_stack 0
		.amdhsa_enable_private_segment 0
		.amdhsa_system_sgpr_workgroup_id_x 1
		.amdhsa_system_sgpr_workgroup_id_y 0
		.amdhsa_system_sgpr_workgroup_id_z 1
		.amdhsa_system_sgpr_workgroup_info 0
		.amdhsa_system_vgpr_workitem_id 0
		.amdhsa_next_free_vgpr 257
		.amdhsa_next_free_sgpr 96
		.amdhsa_accum_offset 204
		.amdhsa_reserve_vcc 1
		.amdhsa_float_round_mode_32 0
		.amdhsa_float_round_mode_16_64 0
		.amdhsa_float_denorm_mode_32 3
		.amdhsa_float_denorm_mode_16_64 3
		.amdhsa_dx10_clamp 1
		.amdhsa_ieee_mode 1
		.amdhsa_fp16_overflow 0
		.amdhsa_tg_split 0
		.amdhsa_exception_fp_ieee_invalid_op 0
		.amdhsa_exception_fp_denorm_src 0
		.amdhsa_exception_fp_ieee_div_zero 0
		.amdhsa_exception_fp_ieee_overflow 0
		.amdhsa_exception_fp_ieee_underflow 0
		.amdhsa_exception_fp_ieee_inexact 0
		.amdhsa_exception_int_div_zero 0
	.end_amdhsa_kernel
	.section	.text._ZL38rocblas_trsm_small_left_device_sharedBILi64ELi32ELb0EddPKPKdPKPdEv13rocblas_fill_18rocblas_operation_17rocblas_diagonal_iiT3_T4_lilT5_lili,"axG",@progbits,_ZL38rocblas_trsm_small_left_device_sharedBILi64ELi32ELb0EddPKPKdPKPdEv13rocblas_fill_18rocblas_operation_17rocblas_diagonal_iiT3_T4_lilT5_lili,comdat
.Lfunc_end107:
	.size	_ZL38rocblas_trsm_small_left_device_sharedBILi64ELi32ELb0EddPKPKdPKPdEv13rocblas_fill_18rocblas_operation_17rocblas_diagonal_iiT3_T4_lilT5_lili, .Lfunc_end107-_ZL38rocblas_trsm_small_left_device_sharedBILi64ELi32ELb0EddPKPKdPKPdEv13rocblas_fill_18rocblas_operation_17rocblas_diagonal_iiT3_T4_lilT5_lili
                                        ; -- End function
	.set _ZL38rocblas_trsm_small_left_device_sharedBILi64ELi32ELb0EddPKPKdPKPdEv13rocblas_fill_18rocblas_operation_17rocblas_diagonal_iiT3_T4_lilT5_lili.num_vgpr, 202
	.set _ZL38rocblas_trsm_small_left_device_sharedBILi64ELi32ELb0EddPKPKdPKPdEv13rocblas_fill_18rocblas_operation_17rocblas_diagonal_iiT3_T4_lilT5_lili.num_agpr, 0
	.set _ZL38rocblas_trsm_small_left_device_sharedBILi64ELi32ELb0EddPKPKdPKPdEv13rocblas_fill_18rocblas_operation_17rocblas_diagonal_iiT3_T4_lilT5_lili.numbered_sgpr, 46
	.set _ZL38rocblas_trsm_small_left_device_sharedBILi64ELi32ELb0EddPKPKdPKPdEv13rocblas_fill_18rocblas_operation_17rocblas_diagonal_iiT3_T4_lilT5_lili.num_named_barrier, 0
	.set _ZL38rocblas_trsm_small_left_device_sharedBILi64ELi32ELb0EddPKPKdPKPdEv13rocblas_fill_18rocblas_operation_17rocblas_diagonal_iiT3_T4_lilT5_lili.private_seg_size, 0
	.set _ZL38rocblas_trsm_small_left_device_sharedBILi64ELi32ELb0EddPKPKdPKPdEv13rocblas_fill_18rocblas_operation_17rocblas_diagonal_iiT3_T4_lilT5_lili.uses_vcc, 1
	.set _ZL38rocblas_trsm_small_left_device_sharedBILi64ELi32ELb0EddPKPKdPKPdEv13rocblas_fill_18rocblas_operation_17rocblas_diagonal_iiT3_T4_lilT5_lili.uses_flat_scratch, 0
	.set _ZL38rocblas_trsm_small_left_device_sharedBILi64ELi32ELb0EddPKPKdPKPdEv13rocblas_fill_18rocblas_operation_17rocblas_diagonal_iiT3_T4_lilT5_lili.has_dyn_sized_stack, 0
	.set _ZL38rocblas_trsm_small_left_device_sharedBILi64ELi32ELb0EddPKPKdPKPdEv13rocblas_fill_18rocblas_operation_17rocblas_diagonal_iiT3_T4_lilT5_lili.has_recursion, 0
	.set _ZL38rocblas_trsm_small_left_device_sharedBILi64ELi32ELb0EddPKPKdPKPdEv13rocblas_fill_18rocblas_operation_17rocblas_diagonal_iiT3_T4_lilT5_lili.has_indirect_call, 0
	.section	.AMDGPU.csdata,"",@progbits
; Kernel info:
; codeLenInByte = 24120
; TotalNumSgprs: 52
; NumVgprs: 202
; NumAgprs: 0
; TotalNumVgprs: 202
; ScratchSize: 0
; MemoryBound: 0
; FloatMode: 240
; IeeeMode: 1
; LDSByteSize: 65536 bytes/workgroup (compile time only)
; SGPRBlocks: 12
; VGPRBlocks: 32
; NumSGPRsForWavesPerEU: 102
; NumVGPRsForWavesPerEU: 257
; AccumOffset: 204
; Occupancy: 1
; WaveLimiterHint : 0
; COMPUTE_PGM_RSRC2:SCRATCH_EN: 0
; COMPUTE_PGM_RSRC2:USER_SGPR: 2
; COMPUTE_PGM_RSRC2:TRAP_HANDLER: 0
; COMPUTE_PGM_RSRC2:TGID_X_EN: 1
; COMPUTE_PGM_RSRC2:TGID_Y_EN: 0
; COMPUTE_PGM_RSRC2:TGID_Z_EN: 1
; COMPUTE_PGM_RSRC2:TIDIG_COMP_CNT: 0
; COMPUTE_PGM_RSRC3_GFX90A:ACCUM_OFFSET: 50
; COMPUTE_PGM_RSRC3_GFX90A:TG_SPLIT: 0
	.section	.text._ZL30rocblas_trsm_small_left_deviceILi64ELi32ELb0EddPKPKdPKPdEv13rocblas_fill_18rocblas_operation_17rocblas_diagonal_iiT3_T4_lilT5_lili,"axG",@progbits,_ZL30rocblas_trsm_small_left_deviceILi64ELi32ELb0EddPKPKdPKPdEv13rocblas_fill_18rocblas_operation_17rocblas_diagonal_iiT3_T4_lilT5_lili,comdat
	.globl	_ZL30rocblas_trsm_small_left_deviceILi64ELi32ELb0EddPKPKdPKPdEv13rocblas_fill_18rocblas_operation_17rocblas_diagonal_iiT3_T4_lilT5_lili ; -- Begin function _ZL30rocblas_trsm_small_left_deviceILi64ELi32ELb0EddPKPKdPKPdEv13rocblas_fill_18rocblas_operation_17rocblas_diagonal_iiT3_T4_lilT5_lili
	.p2align	8
	.type	_ZL30rocblas_trsm_small_left_deviceILi64ELi32ELb0EddPKPKdPKPdEv13rocblas_fill_18rocblas_operation_17rocblas_diagonal_iiT3_T4_lilT5_lili,@function
_ZL30rocblas_trsm_small_left_deviceILi64ELi32ELb0EddPKPKdPKPdEv13rocblas_fill_18rocblas_operation_17rocblas_diagonal_iiT3_T4_lilT5_lili: ; @_ZL30rocblas_trsm_small_left_deviceILi64ELi32ELb0EddPKPKdPKPdEv13rocblas_fill_18rocblas_operation_17rocblas_diagonal_iiT3_T4_lilT5_lili
; %bb.0:
	s_load_dwordx2 s[18:19], s[0:1], 0x28
	s_load_dwordx4 s[12:15], s[0:1], 0x40
	s_load_dwordx4 s[8:11], s[0:1], 0x4
	;; [unrolled: 1-line block ×3, first 2 shown]
	s_mov_b32 s16, s3
	s_mov_b32 s17, 0
	s_lshl_b64 s[20:21], s[16:17], 3
	s_waitcnt lgkmcnt(0)
	s_add_u32 s12, s12, s20
	s_addc_u32 s13, s13, s21
	s_load_dwordx2 s[12:13], s[12:13], 0x0
	s_min_i32 s22, s10, 64
	v_cmp_gt_i32_e32 vcc, s22, v0
	s_and_saveexec_b64 s[16:17], vcc
	s_cbranch_execz .LBB108_6
; %bb.1:
	s_load_dword s24, s[0:1], 0x30
	v_lshlrev_b32_e32 v2, 3, v0
	v_mov_b32_e32 v3, 0
	v_mov_b32_e32 v1, v2
	s_mov_b32 s3, s22
	s_waitcnt lgkmcnt(0)
	s_ashr_i32 s25, s24, 31
	s_add_u32 s6, s6, s20
	s_addc_u32 s7, s7, s21
	s_load_dwordx2 s[6:7], s[6:7], 0x0
	s_lshl_b64 s[18:19], s[18:19], 3
	s_waitcnt lgkmcnt(0)
	s_add_u32 s18, s6, s18
	s_addc_u32 s19, s7, s19
	s_lshl_b64 s[6:7], s[24:25], 3
	v_lshl_add_u64 v[4:5], s[18:19], 0, v[2:3]
.LBB108_2:                              ; =>This Inner Loop Header: Depth=1
	flat_load_dwordx2 v[6:7], v[4:5]
	s_add_i32 s3, s3, -1
	v_lshl_add_u64 v[4:5], v[4:5], 0, s[6:7]
	s_cmp_eq_u32 s3, 0
	s_waitcnt vmcnt(0) lgkmcnt(0)
	ds_write_b64 v1, v[6:7]
	v_add_u32_e32 v1, 0x200, v1
	s_cbranch_scc0 .LBB108_2
; %bb.3:
	v_lshlrev_b32_e32 v1, 9, v0
	s_cmpk_lg_i32 s9, 0x84
	v_mov_b64_e32 v[4:5], 1.0
	v_add_u32_e32 v1, v2, v1
	s_cbranch_scc0 .LBB108_5
; %bb.4:
	ds_read_b64 v[2:3], v1
	s_waitcnt lgkmcnt(0)
	v_div_scale_f64 v[4:5], s[6:7], v[2:3], v[2:3], 1.0
	v_rcp_f64_e32 v[6:7], v[4:5]
	v_div_scale_f64 v[8:9], vcc, 1.0, v[2:3], 1.0
	v_fma_f64 v[10:11], -v[4:5], v[6:7], 1.0
	v_fmac_f64_e32 v[6:7], v[6:7], v[10:11]
	v_fma_f64 v[10:11], -v[4:5], v[6:7], 1.0
	v_fmac_f64_e32 v[6:7], v[6:7], v[10:11]
	v_mul_f64 v[10:11], v[8:9], v[6:7]
	v_fma_f64 v[4:5], -v[4:5], v[10:11], v[8:9]
	v_div_fmas_f64 v[4:5], v[4:5], v[6:7], v[10:11]
	v_div_fixup_f64 v[4:5], v[4:5], v[2:3], 1.0
.LBB108_5:
	ds_write_b64 v1, v[4:5]
.LBB108_6:
	s_or_b64 exec, exec, s[16:17]
	s_load_dword s3, s[0:1], 0x68
	s_waitcnt lgkmcnt(0)
	; wave barrier
	s_add_i32 s6, s3, -1
	s_lshl_b32 s3, s2, 6
	s_sub_i32 s7, s11, s3
	s_cmp_ge_u32 s2, s6
	s_cselect_b32 s2, s7, 64
	v_cmp_gt_i32_e32 vcc, s2, v0
	s_and_saveexec_b64 s[6:7], vcc
	s_cbranch_execz .LBB108_70
; %bb.7:
	s_load_dword s2, s[0:1], 0x50
	s_lshl_b64 s[0:1], s[14:15], 3
	s_add_u32 s6, s12, s0
	v_add_u32_e32 v0, s3, v0
	s_addc_u32 s7, s13, s1
	s_waitcnt lgkmcnt(0)
	v_mad_i64_i32 v[6:7], s[2:3], s2, v0, 0
	v_lshl_add_u64 v[4:5], v[6:7], 3, s[6:7]
	s_cmpk_eq_i32 s8, 0x6f
	s_mov_b64 s[2:3], -1
	s_cbranch_scc1 .LBB108_37
; %bb.8:
	s_cmp_lt_i32 s10, 32
	s_mov_b32 s6, 0
	s_cbranch_scc1 .LBB108_16
; %bb.9:
	s_mov_b32 s3, 0
	s_mov_b32 s7, 0
	s_mov_b32 s2, s3
.LBB108_10:                             ; =>This Loop Header: Depth=1
                                        ;     Child Loop BB108_12 Depth 2
	v_lshl_add_u64 v[8:9], s[2:3], 3, v[4:5]
	flat_load_dwordx4 v[0:3], v[8:9]
	flat_load_dwordx4 v[10:13], v[8:9] offset:16
	flat_load_dwordx4 v[14:17], v[8:9] offset:32
	;; [unrolled: 1-line block ×15, first 2 shown]
	s_cmp_eq_u32 s2, 0
	s_waitcnt vmcnt(0) lgkmcnt(0)
	v_mul_f64 v[72:73], s[4:5], v[0:1]
	v_mul_f64 v[70:71], s[4:5], v[2:3]
	v_mul_f64 v[20:21], s[4:5], v[10:11]
	v_mul_f64 v[22:23], s[4:5], v[12:13]
	v_mul_f64 v[24:25], s[4:5], v[14:15]
	v_mul_f64 v[26:27], s[4:5], v[16:17]
	v_mul_f64 v[28:29], s[4:5], v[28:29]
	v_mul_f64 v[32:33], s[4:5], v[30:31]
	v_mul_f64 v[34:35], s[4:5], v[34:35]
	v_mul_f64 v[36:37], s[4:5], v[36:37]
	v_mul_f64 v[40:41], s[4:5], v[40:41]
	v_mul_f64 v[42:43], s[4:5], v[42:43]
	v_mul_f64 v[46:47], s[4:5], v[46:47]
	v_mul_f64 v[48:49], s[4:5], v[48:49]
	v_mul_f64 v[52:53], s[4:5], v[52:53]
	v_mul_f64 v[56:57], s[4:5], v[54:55]
	v_mul_f64 v[58:59], s[4:5], v[58:59]
	v_mul_f64 v[62:63], s[4:5], v[60:61]
	v_mul_f64 v[66:67], s[4:5], v[66:67]
	v_mul_f64 v[68:69], s[4:5], v[68:69]
	v_mul_f64 v[64:65], s[4:5], v[74:75]
	v_mul_f64 v[60:61], s[4:5], v[76:77]
	v_mul_f64 v[54:55], s[4:5], v[78:79]
	v_mul_f64 v[50:51], s[4:5], v[80:81]
	v_mul_f64 v[44:45], s[4:5], v[82:83]
	v_mul_f64 v[38:39], s[4:5], v[84:85]
	v_mul_f64 v[30:31], s[4:5], v[86:87]
	v_mul_f64 v[18:19], s[4:5], v[88:89]
	v_mul_f64 v[16:17], s[4:5], v[90:91]
	v_mul_f64 v[14:15], s[4:5], v[92:93]
	v_mul_f64 v[12:13], s[4:5], v[94:95]
	v_mul_f64 v[10:11], s[4:5], v[96:97]
	s_cbranch_scc1 .LBB108_13
; %bb.11:                               ;   in Loop: Header=BB108_10 Depth=1
	s_lshl_b32 s6, s2, 9
	v_mov_b64_e32 v[74:75], v[4:5]
	s_mov_b32 s8, s2
	s_mov_b32 s9, s7
.LBB108_12:                             ;   Parent Loop BB108_10 Depth=1
                                        ; =>  This Inner Loop Header: Depth=2
	flat_load_dwordx4 v[0:3], v[74:75]
	v_mov_b32_e32 v200, s9
	ds_read_b128 v[76:79], v200
	ds_read_b128 v[80:83], v200 offset:512
	ds_read_b128 v[84:87], v200 offset:1024
	;; [unrolled: 1-line block ×31, first 2 shown]
	s_add_i32 s9, s9, 16
	s_add_i32 s8, s8, -2
	v_lshl_add_u64 v[74:75], v[74:75], 0, 16
	s_cmp_eq_u32 s8, 0
	s_waitcnt vmcnt(0) lgkmcnt(0)
	v_fma_f64 v[72:73], -v[0:1], v[76:77], v[72:73]
	v_fma_f64 v[70:71], -v[0:1], v[80:81], v[70:71]
	;; [unrolled: 1-line block ×64, first 2 shown]
	s_cbranch_scc0 .LBB108_12
	s_branch .LBB108_14
.LBB108_13:                             ;   in Loop: Header=BB108_10 Depth=1
	s_mov_b32 s6, 0
.LBB108_14:                             ;   in Loop: Header=BB108_10 Depth=1
	s_lshl_b32 s8, s2, 3
	s_add_i32 s6, s8, s6
	v_mov_b32_e32 v74, s6
	ds_read_b64 v[0:1], v74
	s_lshl_b32 s6, s2, 9
	s_add_i32 s6, s8, s6
	v_mov_b32_e32 v75, s6
	s_add_i32 s6, s2, 32
	s_waitcnt lgkmcnt(0)
	v_mul_f64 v[0:1], v[0:1], v[72:73]
	flat_store_dwordx2 v[8:9], v[0:1]
	ds_read_b64 v[2:3], v75 offset:512
	ds_read_b64 v[72:73], v74 offset:520
	s_add_i32 s2, s2, 63
	s_addk_i32 s7, 0x4000
	s_cmp_ge_i32 s2, s22
	s_waitcnt lgkmcnt(0)
	v_fma_f64 v[2:3], -v[0:1], v[2:3], v[70:71]
	v_mul_f64 v[2:3], v[72:73], v[2:3]
	flat_store_dwordx2 v[8:9], v[2:3] offset:8
	ds_read_b128 v[70:73], v75 offset:1024
	ds_read_b64 v[76:77], v74 offset:1040
	s_waitcnt lgkmcnt(0)
	v_fma_f64 v[20:21], -v[0:1], v[70:71], v[20:21]
	v_fma_f64 v[20:21], -v[2:3], v[72:73], v[20:21]
	v_mul_f64 v[20:21], v[76:77], v[20:21]
	flat_store_dwordx2 v[8:9], v[20:21] offset:16
	ds_read_b128 v[70:73], v75 offset:1536
	ds_read_b64 v[76:77], v75 offset:1552
	ds_read_b64 v[78:79], v74 offset:1560
	s_waitcnt lgkmcnt(0)
	v_fma_f64 v[22:23], -v[0:1], v[70:71], v[22:23]
	v_fma_f64 v[22:23], -v[2:3], v[72:73], v[22:23]
	;; [unrolled: 1-line block ×3, first 2 shown]
	v_mul_f64 v[22:23], v[78:79], v[22:23]
	flat_store_dwordx2 v[8:9], v[22:23] offset:24
	ds_read_b128 v[70:73], v75 offset:2048
	ds_read_b128 v[76:79], v75 offset:2064
	ds_read_b64 v[80:81], v74 offset:2080
	s_waitcnt lgkmcnt(0)
	v_fma_f64 v[24:25], -v[0:1], v[70:71], v[24:25]
	v_fma_f64 v[24:25], -v[2:3], v[72:73], v[24:25]
	;; [unrolled: 1-line block ×4, first 2 shown]
	v_mul_f64 v[24:25], v[80:81], v[24:25]
	flat_store_dwordx2 v[8:9], v[24:25] offset:32
	ds_read_b128 v[70:73], v75 offset:2560
	ds_read_b128 v[76:79], v75 offset:2576
	ds_read_b64 v[80:81], v75 offset:2592
	ds_read_b64 v[82:83], v74 offset:2600
	s_waitcnt lgkmcnt(0)
	v_fma_f64 v[26:27], -v[0:1], v[70:71], v[26:27]
	v_fma_f64 v[26:27], -v[2:3], v[72:73], v[26:27]
	;; [unrolled: 1-line block ×5, first 2 shown]
	v_mul_f64 v[26:27], v[82:83], v[26:27]
	flat_store_dwordx2 v[8:9], v[26:27] offset:40
	ds_read_b128 v[70:73], v75 offset:3072
	ds_read_b128 v[76:79], v75 offset:3088
	;; [unrolled: 1-line block ×3, first 2 shown]
	ds_read_b64 v[84:85], v74 offset:3120
	s_waitcnt lgkmcnt(0)
	v_fma_f64 v[28:29], -v[0:1], v[70:71], v[28:29]
	v_fma_f64 v[28:29], -v[2:3], v[72:73], v[28:29]
	;; [unrolled: 1-line block ×6, first 2 shown]
	v_mul_f64 v[28:29], v[84:85], v[28:29]
	flat_store_dwordx2 v[8:9], v[28:29] offset:48
	ds_read_b128 v[70:73], v75 offset:3584
	ds_read_b128 v[76:79], v75 offset:3600
	;; [unrolled: 1-line block ×3, first 2 shown]
	ds_read_b64 v[84:85], v75 offset:3632
	ds_read_b64 v[86:87], v74 offset:3640
	s_waitcnt lgkmcnt(0)
	v_fma_f64 v[32:33], -v[0:1], v[70:71], v[32:33]
	v_fma_f64 v[32:33], -v[2:3], v[72:73], v[32:33]
	;; [unrolled: 1-line block ×7, first 2 shown]
	v_mul_f64 v[32:33], v[86:87], v[32:33]
	flat_store_dwordx2 v[8:9], v[32:33] offset:56
	ds_read_b128 v[70:73], v75 offset:4096
	ds_read_b128 v[76:79], v75 offset:4112
	;; [unrolled: 1-line block ×4, first 2 shown]
	ds_read_b64 v[88:89], v74 offset:4160
	s_waitcnt lgkmcnt(0)
	v_fma_f64 v[34:35], -v[0:1], v[70:71], v[34:35]
	v_fma_f64 v[34:35], -v[2:3], v[72:73], v[34:35]
	;; [unrolled: 1-line block ×8, first 2 shown]
	v_mul_f64 v[34:35], v[88:89], v[34:35]
	flat_store_dwordx2 v[8:9], v[34:35] offset:64
	ds_read_b128 v[70:73], v75 offset:4608
	ds_read_b128 v[76:79], v75 offset:4624
	;; [unrolled: 1-line block ×4, first 2 shown]
	ds_read_b64 v[88:89], v75 offset:4672
	ds_read_b64 v[90:91], v74 offset:4680
	s_waitcnt lgkmcnt(0)
	v_fma_f64 v[36:37], -v[0:1], v[70:71], v[36:37]
	v_fma_f64 v[36:37], -v[2:3], v[72:73], v[36:37]
	;; [unrolled: 1-line block ×9, first 2 shown]
	v_mul_f64 v[36:37], v[90:91], v[36:37]
	flat_store_dwordx2 v[8:9], v[36:37] offset:72
	ds_read_b128 v[70:73], v75 offset:5120
	ds_read_b128 v[76:79], v75 offset:5136
	;; [unrolled: 1-line block ×5, first 2 shown]
	ds_read_b64 v[92:93], v74 offset:5200
	s_waitcnt lgkmcnt(0)
	v_fma_f64 v[40:41], -v[0:1], v[70:71], v[40:41]
	v_fma_f64 v[40:41], -v[2:3], v[72:73], v[40:41]
	;; [unrolled: 1-line block ×10, first 2 shown]
	v_mul_f64 v[40:41], v[92:93], v[40:41]
	flat_store_dwordx2 v[8:9], v[40:41] offset:80
	ds_read_b128 v[70:73], v75 offset:5632
	ds_read_b128 v[76:79], v75 offset:5648
	;; [unrolled: 1-line block ×5, first 2 shown]
	ds_read_b64 v[92:93], v75 offset:5712
	ds_read_b64 v[94:95], v74 offset:5720
	s_waitcnt lgkmcnt(0)
	v_fma_f64 v[42:43], -v[0:1], v[70:71], v[42:43]
	v_fma_f64 v[42:43], -v[2:3], v[72:73], v[42:43]
	;; [unrolled: 1-line block ×11, first 2 shown]
	v_mul_f64 v[42:43], v[94:95], v[42:43]
	flat_store_dwordx2 v[8:9], v[42:43] offset:88
	ds_read_b128 v[70:73], v75 offset:6144
	ds_read_b128 v[76:79], v75 offset:6160
	;; [unrolled: 1-line block ×6, first 2 shown]
	ds_read_b64 v[96:97], v74 offset:6240
	s_waitcnt lgkmcnt(0)
	v_fma_f64 v[46:47], -v[0:1], v[70:71], v[46:47]
	v_fma_f64 v[46:47], -v[2:3], v[72:73], v[46:47]
	;; [unrolled: 1-line block ×12, first 2 shown]
	v_mul_f64 v[46:47], v[96:97], v[46:47]
	flat_store_dwordx2 v[8:9], v[46:47] offset:96
	ds_read_b128 v[70:73], v75 offset:6656
	ds_read_b128 v[76:79], v75 offset:6672
	;; [unrolled: 1-line block ×6, first 2 shown]
	ds_read_b64 v[96:97], v75 offset:6752
	ds_read_b64 v[98:99], v74 offset:6760
	s_waitcnt lgkmcnt(0)
	v_fma_f64 v[48:49], -v[0:1], v[70:71], v[48:49]
	v_fma_f64 v[48:49], -v[2:3], v[72:73], v[48:49]
	;; [unrolled: 1-line block ×13, first 2 shown]
	v_mul_f64 v[48:49], v[98:99], v[48:49]
	flat_store_dwordx2 v[8:9], v[48:49] offset:104
	ds_read_b128 v[70:73], v75 offset:7168
	ds_read_b128 v[76:79], v75 offset:7184
	;; [unrolled: 1-line block ×7, first 2 shown]
	ds_read_b64 v[100:101], v74 offset:7280
	s_waitcnt lgkmcnt(0)
	v_fma_f64 v[52:53], -v[0:1], v[70:71], v[52:53]
	v_fma_f64 v[52:53], -v[2:3], v[72:73], v[52:53]
	;; [unrolled: 1-line block ×14, first 2 shown]
	v_mul_f64 v[52:53], v[100:101], v[52:53]
	flat_store_dwordx2 v[8:9], v[52:53] offset:112
	ds_read_b128 v[70:73], v75 offset:7680
	ds_read_b128 v[76:79], v75 offset:7696
	;; [unrolled: 1-line block ×6, first 2 shown]
	s_waitcnt lgkmcnt(0)
	v_fma_f64 v[56:57], -v[0:1], v[70:71], v[56:57]
	v_fma_f64 v[56:57], -v[2:3], v[72:73], v[56:57]
	;; [unrolled: 1-line block ×8, first 2 shown]
	ds_read_b128 v[70:73], v75 offset:7776
	v_fma_f64 v[56:57], -v[34:35], v[88:89], v[56:57]
	v_fma_f64 v[56:57], -v[36:37], v[90:91], v[56:57]
	;; [unrolled: 1-line block ×3, first 2 shown]
	ds_read_b64 v[76:77], v75 offset:7792
	ds_read_b64 v[78:79], v74 offset:7800
	v_fma_f64 v[56:57], -v[42:43], v[94:95], v[56:57]
	s_waitcnt lgkmcnt(0)
	v_fma_f64 v[56:57], -v[46:47], v[70:71], v[56:57]
	v_fma_f64 v[56:57], -v[48:49], v[72:73], v[56:57]
	v_fma_f64 v[56:57], -v[52:53], v[76:77], v[56:57]
	v_mul_f64 v[56:57], v[78:79], v[56:57]
	flat_store_dwordx2 v[8:9], v[56:57] offset:120
	ds_read_b128 v[70:73], v75 offset:8192
	ds_read_b128 v[76:79], v75 offset:8208
	;; [unrolled: 1-line block ×4, first 2 shown]
	s_waitcnt lgkmcnt(0)
	v_fma_f64 v[58:59], -v[0:1], v[70:71], v[58:59]
	v_fma_f64 v[58:59], -v[2:3], v[72:73], v[58:59]
	;; [unrolled: 1-line block ×4, first 2 shown]
	ds_read_b128 v[70:73], v75 offset:8256
	ds_read_b128 v[76:79], v75 offset:8272
	v_fma_f64 v[58:59], -v[24:25], v[80:81], v[58:59]
	v_fma_f64 v[58:59], -v[26:27], v[82:83], v[58:59]
	;; [unrolled: 1-line block ×4, first 2 shown]
	s_waitcnt lgkmcnt(0)
	v_fma_f64 v[58:59], -v[34:35], v[70:71], v[58:59]
	v_fma_f64 v[58:59], -v[36:37], v[72:73], v[58:59]
	ds_read_b128 v[70:73], v75 offset:8288
	ds_read_b128 v[80:83], v75 offset:8304
	v_fma_f64 v[58:59], -v[40:41], v[76:77], v[58:59]
	v_fma_f64 v[58:59], -v[42:43], v[78:79], v[58:59]
	ds_read_b64 v[76:77], v74 offset:8320
	s_waitcnt lgkmcnt(0)
	v_fma_f64 v[58:59], -v[46:47], v[70:71], v[58:59]
	v_fma_f64 v[58:59], -v[48:49], v[72:73], v[58:59]
	;; [unrolled: 1-line block ×4, first 2 shown]
	v_mul_f64 v[58:59], v[76:77], v[58:59]
	flat_store_dwordx2 v[8:9], v[58:59] offset:128
	ds_read_b128 v[70:73], v75 offset:8704
	ds_read_b128 v[76:79], v75 offset:8720
	;; [unrolled: 1-line block ×4, first 2 shown]
	s_waitcnt lgkmcnt(0)
	v_fma_f64 v[62:63], -v[0:1], v[70:71], v[62:63]
	v_fma_f64 v[62:63], -v[2:3], v[72:73], v[62:63]
	;; [unrolled: 1-line block ×4, first 2 shown]
	ds_read_b128 v[70:73], v75 offset:8768
	ds_read_b128 v[76:79], v75 offset:8784
	v_fma_f64 v[62:63], -v[24:25], v[80:81], v[62:63]
	v_fma_f64 v[62:63], -v[26:27], v[82:83], v[62:63]
	;; [unrolled: 1-line block ×4, first 2 shown]
	ds_read_b128 v[80:83], v75 offset:8800
	s_waitcnt lgkmcnt(0)
	v_fma_f64 v[62:63], -v[34:35], v[70:71], v[62:63]
	v_fma_f64 v[62:63], -v[36:37], v[72:73], v[62:63]
	ds_read_b128 v[70:73], v75 offset:8816
	v_fma_f64 v[62:63], -v[40:41], v[76:77], v[62:63]
	v_fma_f64 v[62:63], -v[42:43], v[78:79], v[62:63]
	;; [unrolled: 1-line block ×3, first 2 shown]
	ds_read_b64 v[76:77], v75 offset:8832
	ds_read_b64 v[78:79], v74 offset:8840
	v_fma_f64 v[62:63], -v[48:49], v[82:83], v[62:63]
	s_waitcnt lgkmcnt(0)
	v_fma_f64 v[62:63], -v[52:53], v[70:71], v[62:63]
	v_fma_f64 v[62:63], -v[56:57], v[72:73], v[62:63]
	;; [unrolled: 1-line block ×3, first 2 shown]
	v_mul_f64 v[62:63], v[78:79], v[62:63]
	flat_store_dwordx2 v[8:9], v[62:63] offset:136
	ds_read_b128 v[70:73], v75 offset:9216
	ds_read_b128 v[76:79], v75 offset:9232
	;; [unrolled: 1-line block ×4, first 2 shown]
	s_waitcnt lgkmcnt(0)
	v_fma_f64 v[66:67], -v[0:1], v[70:71], v[66:67]
	v_fma_f64 v[66:67], -v[2:3], v[72:73], v[66:67]
	;; [unrolled: 1-line block ×4, first 2 shown]
	ds_read_b128 v[70:73], v75 offset:9280
	ds_read_b128 v[76:79], v75 offset:9296
	v_fma_f64 v[66:67], -v[24:25], v[80:81], v[66:67]
	v_fma_f64 v[66:67], -v[26:27], v[82:83], v[66:67]
	;; [unrolled: 1-line block ×4, first 2 shown]
	ds_read_b128 v[80:83], v75 offset:9312
	s_waitcnt lgkmcnt(0)
	v_fma_f64 v[66:67], -v[34:35], v[70:71], v[66:67]
	v_fma_f64 v[66:67], -v[36:37], v[72:73], v[66:67]
	ds_read_b128 v[70:73], v75 offset:9328
	v_fma_f64 v[66:67], -v[40:41], v[76:77], v[66:67]
	v_fma_f64 v[66:67], -v[42:43], v[78:79], v[66:67]
	ds_read_b128 v[76:79], v75 offset:9344
	v_fma_f64 v[66:67], -v[46:47], v[80:81], v[66:67]
	v_fma_f64 v[66:67], -v[48:49], v[82:83], v[66:67]
	ds_read_b64 v[80:81], v74 offset:9360
	s_waitcnt lgkmcnt(0)
	v_fma_f64 v[66:67], -v[52:53], v[70:71], v[66:67]
	v_fma_f64 v[66:67], -v[56:57], v[72:73], v[66:67]
	;; [unrolled: 1-line block ×4, first 2 shown]
	v_mul_f64 v[66:67], v[80:81], v[66:67]
	flat_store_dwordx2 v[8:9], v[66:67] offset:144
	ds_read_b128 v[70:73], v75 offset:9728
	ds_read_b128 v[76:79], v75 offset:9744
	;; [unrolled: 1-line block ×4, first 2 shown]
	s_waitcnt lgkmcnt(0)
	v_fma_f64 v[68:69], -v[0:1], v[70:71], v[68:69]
	v_fma_f64 v[68:69], -v[2:3], v[72:73], v[68:69]
	;; [unrolled: 1-line block ×5, first 2 shown]
	ds_read_b128 v[68:71], v75 offset:9792
	ds_read_b128 v[76:79], v75 offset:9808
	v_fma_f64 v[72:73], -v[26:27], v[82:83], v[72:73]
	v_fma_f64 v[72:73], -v[28:29], v[84:85], v[72:73]
	;; [unrolled: 1-line block ×3, first 2 shown]
	s_waitcnt lgkmcnt(0)
	v_fma_f64 v[68:69], -v[34:35], v[68:69], v[72:73]
	ds_read_b128 v[80:83], v75 offset:9824
	v_fma_f64 v[68:69], -v[36:37], v[70:71], v[68:69]
	v_fma_f64 v[72:73], -v[40:41], v[76:77], v[68:69]
	ds_read_b128 v[68:71], v75 offset:9840
	v_fma_f64 v[72:73], -v[42:43], v[78:79], v[72:73]
	ds_read_b128 v[76:79], v75 offset:9856
	s_waitcnt lgkmcnt(0)
	v_fma_f64 v[72:73], -v[46:47], v[80:81], v[72:73]
	v_fma_f64 v[72:73], -v[48:49], v[82:83], v[72:73]
	v_fma_f64 v[68:69], -v[52:53], v[68:69], v[72:73]
	ds_read_b64 v[72:73], v75 offset:9872
	ds_read_b64 v[80:81], v74 offset:9880
	v_fma_f64 v[68:69], -v[56:57], v[70:71], v[68:69]
	v_fma_f64 v[68:69], -v[58:59], v[76:77], v[68:69]
	;; [unrolled: 1-line block ×3, first 2 shown]
	s_waitcnt lgkmcnt(0)
	v_fma_f64 v[68:69], -v[66:67], v[72:73], v[68:69]
	v_mul_f64 v[68:69], v[80:81], v[68:69]
	flat_store_dwordx2 v[8:9], v[68:69] offset:152
	ds_read_b128 v[70:73], v75 offset:10240
	ds_read_b128 v[76:79], v75 offset:10256
	;; [unrolled: 1-line block ×4, first 2 shown]
	s_waitcnt lgkmcnt(0)
	v_fma_f64 v[64:65], -v[0:1], v[70:71], v[64:65]
	v_fma_f64 v[64:65], -v[2:3], v[72:73], v[64:65]
	;; [unrolled: 1-line block ×4, first 2 shown]
	ds_read_b128 v[70:73], v75 offset:10304
	ds_read_b128 v[76:79], v75 offset:10320
	v_fma_f64 v[64:65], -v[24:25], v[80:81], v[64:65]
	v_fma_f64 v[64:65], -v[26:27], v[82:83], v[64:65]
	;; [unrolled: 1-line block ×4, first 2 shown]
	ds_read_b128 v[80:83], v75 offset:10336
	s_waitcnt lgkmcnt(0)
	v_fma_f64 v[64:65], -v[34:35], v[70:71], v[64:65]
	v_fma_f64 v[64:65], -v[36:37], v[72:73], v[64:65]
	ds_read_b128 v[70:73], v75 offset:10352
	v_fma_f64 v[64:65], -v[40:41], v[76:77], v[64:65]
	v_fma_f64 v[64:65], -v[42:43], v[78:79], v[64:65]
	ds_read_b128 v[76:79], v75 offset:10368
	;; [unrolled: 3-line block ×3, first 2 shown]
	s_waitcnt lgkmcnt(0)
	v_fma_f64 v[64:65], -v[52:53], v[70:71], v[64:65]
	v_fma_f64 v[64:65], -v[56:57], v[72:73], v[64:65]
	ds_read_b64 v[70:71], v74 offset:10400
	v_fma_f64 v[64:65], -v[58:59], v[76:77], v[64:65]
	v_fma_f64 v[64:65], -v[62:63], v[78:79], v[64:65]
	;; [unrolled: 1-line block ×4, first 2 shown]
	s_waitcnt lgkmcnt(0)
	v_mul_f64 v[64:65], v[70:71], v[64:65]
	flat_store_dwordx2 v[8:9], v[64:65] offset:160
	ds_read_b128 v[70:73], v75 offset:10752
	ds_read_b128 v[76:79], v75 offset:10768
	;; [unrolled: 1-line block ×4, first 2 shown]
	s_waitcnt lgkmcnt(0)
	v_fma_f64 v[60:61], -v[0:1], v[70:71], v[60:61]
	v_fma_f64 v[60:61], -v[2:3], v[72:73], v[60:61]
	;; [unrolled: 1-line block ×4, first 2 shown]
	ds_read_b128 v[70:73], v75 offset:10816
	ds_read_b128 v[76:79], v75 offset:10832
	v_fma_f64 v[60:61], -v[24:25], v[80:81], v[60:61]
	v_fma_f64 v[60:61], -v[26:27], v[82:83], v[60:61]
	;; [unrolled: 1-line block ×4, first 2 shown]
	ds_read_b128 v[80:83], v75 offset:10848
	s_waitcnt lgkmcnt(0)
	v_fma_f64 v[60:61], -v[34:35], v[70:71], v[60:61]
	v_fma_f64 v[60:61], -v[36:37], v[72:73], v[60:61]
	ds_read_b128 v[70:73], v75 offset:10864
	v_fma_f64 v[60:61], -v[40:41], v[76:77], v[60:61]
	v_fma_f64 v[60:61], -v[42:43], v[78:79], v[60:61]
	;; [unrolled: 1-line block ×3, first 2 shown]
	ds_read_b128 v[76:79], v75 offset:10880
	v_fma_f64 v[60:61], -v[48:49], v[82:83], v[60:61]
	s_waitcnt lgkmcnt(0)
	v_fma_f64 v[60:61], -v[52:53], v[70:71], v[60:61]
	v_fma_f64 v[60:61], -v[56:57], v[72:73], v[60:61]
	ds_read_b128 v[70:73], v75 offset:10896
	v_fma_f64 v[60:61], -v[58:59], v[76:77], v[60:61]
	ds_read_b64 v[76:77], v75 offset:10912
	ds_read_b64 v[80:81], v74 offset:10920
	v_fma_f64 v[60:61], -v[62:63], v[78:79], v[60:61]
	s_waitcnt lgkmcnt(0)
	v_fma_f64 v[60:61], -v[66:67], v[70:71], v[60:61]
	v_fma_f64 v[60:61], -v[68:69], v[72:73], v[60:61]
	v_fma_f64 v[60:61], -v[64:65], v[76:77], v[60:61]
	v_mul_f64 v[60:61], v[80:81], v[60:61]
	flat_store_dwordx2 v[8:9], v[60:61] offset:168
	ds_read_b128 v[70:73], v75 offset:11264
	ds_read_b128 v[76:79], v75 offset:11280
	;; [unrolled: 1-line block ×4, first 2 shown]
	s_waitcnt lgkmcnt(0)
	v_fma_f64 v[54:55], -v[0:1], v[70:71], v[54:55]
	v_fma_f64 v[54:55], -v[2:3], v[72:73], v[54:55]
	;; [unrolled: 1-line block ×4, first 2 shown]
	ds_read_b128 v[70:73], v75 offset:11328
	ds_read_b128 v[76:79], v75 offset:11344
	v_fma_f64 v[54:55], -v[24:25], v[80:81], v[54:55]
	v_fma_f64 v[54:55], -v[26:27], v[82:83], v[54:55]
	;; [unrolled: 1-line block ×4, first 2 shown]
	ds_read_b128 v[80:83], v75 offset:11360
	s_waitcnt lgkmcnt(0)
	v_fma_f64 v[54:55], -v[34:35], v[70:71], v[54:55]
	v_fma_f64 v[54:55], -v[36:37], v[72:73], v[54:55]
	ds_read_b128 v[70:73], v75 offset:11376
	v_fma_f64 v[54:55], -v[40:41], v[76:77], v[54:55]
	v_fma_f64 v[54:55], -v[42:43], v[78:79], v[54:55]
	;; [unrolled: 1-line block ×3, first 2 shown]
	ds_read_b128 v[76:79], v75 offset:11392
	v_fma_f64 v[54:55], -v[48:49], v[82:83], v[54:55]
	s_waitcnt lgkmcnt(0)
	v_fma_f64 v[54:55], -v[52:53], v[70:71], v[54:55]
	v_fma_f64 v[54:55], -v[56:57], v[72:73], v[54:55]
	ds_read_b128 v[70:73], v75 offset:11408
	ds_read_b128 v[80:83], v75 offset:11424
	v_fma_f64 v[54:55], -v[58:59], v[76:77], v[54:55]
	v_fma_f64 v[54:55], -v[62:63], v[78:79], v[54:55]
	ds_read_b64 v[76:77], v74 offset:11440
	s_waitcnt lgkmcnt(0)
	v_fma_f64 v[54:55], -v[66:67], v[70:71], v[54:55]
	v_fma_f64 v[54:55], -v[68:69], v[72:73], v[54:55]
	;; [unrolled: 1-line block ×4, first 2 shown]
	v_mul_f64 v[54:55], v[76:77], v[54:55]
	flat_store_dwordx2 v[8:9], v[54:55] offset:176
	ds_read_b128 v[70:73], v75 offset:11776
	ds_read_b128 v[76:79], v75 offset:11792
	;; [unrolled: 1-line block ×4, first 2 shown]
	s_waitcnt lgkmcnt(0)
	v_fma_f64 v[50:51], -v[0:1], v[70:71], v[50:51]
	v_fma_f64 v[50:51], -v[2:3], v[72:73], v[50:51]
	;; [unrolled: 1-line block ×4, first 2 shown]
	ds_read_b128 v[70:73], v75 offset:11840
	ds_read_b128 v[76:79], v75 offset:11856
	v_fma_f64 v[50:51], -v[24:25], v[80:81], v[50:51]
	v_fma_f64 v[50:51], -v[26:27], v[82:83], v[50:51]
	;; [unrolled: 1-line block ×4, first 2 shown]
	ds_read_b128 v[80:83], v75 offset:11872
	s_waitcnt lgkmcnt(0)
	v_fma_f64 v[50:51], -v[34:35], v[70:71], v[50:51]
	v_fma_f64 v[50:51], -v[36:37], v[72:73], v[50:51]
	ds_read_b128 v[70:73], v75 offset:11888
	v_fma_f64 v[50:51], -v[40:41], v[76:77], v[50:51]
	v_fma_f64 v[50:51], -v[42:43], v[78:79], v[50:51]
	ds_read_b128 v[76:79], v75 offset:11904
	;; [unrolled: 3-line block ×3, first 2 shown]
	s_waitcnt lgkmcnt(0)
	v_fma_f64 v[50:51], -v[52:53], v[70:71], v[50:51]
	v_fma_f64 v[50:51], -v[56:57], v[72:73], v[50:51]
	ds_read_b128 v[70:73], v75 offset:11936
	v_fma_f64 v[50:51], -v[58:59], v[76:77], v[50:51]
	v_fma_f64 v[50:51], -v[62:63], v[78:79], v[50:51]
	;; [unrolled: 1-line block ×3, first 2 shown]
	ds_read_b64 v[76:77], v75 offset:11952
	ds_read_b64 v[78:79], v74 offset:11960
	v_fma_f64 v[50:51], -v[68:69], v[82:83], v[50:51]
	s_waitcnt lgkmcnt(0)
	v_fma_f64 v[50:51], -v[64:65], v[70:71], v[50:51]
	v_fma_f64 v[50:51], -v[60:61], v[72:73], v[50:51]
	;; [unrolled: 1-line block ×3, first 2 shown]
	v_mul_f64 v[50:51], v[78:79], v[50:51]
	flat_store_dwordx2 v[8:9], v[50:51] offset:184
	ds_read_b128 v[70:73], v75 offset:12288
	ds_read_b128 v[76:79], v75 offset:12304
	;; [unrolled: 1-line block ×4, first 2 shown]
	s_waitcnt lgkmcnt(0)
	v_fma_f64 v[44:45], -v[0:1], v[70:71], v[44:45]
	v_fma_f64 v[44:45], -v[2:3], v[72:73], v[44:45]
	v_fma_f64 v[44:45], -v[20:21], v[76:77], v[44:45]
	v_fma_f64 v[44:45], -v[22:23], v[78:79], v[44:45]
	ds_read_b128 v[70:73], v75 offset:12352
	ds_read_b128 v[76:79], v75 offset:12368
	v_fma_f64 v[44:45], -v[24:25], v[80:81], v[44:45]
	v_fma_f64 v[44:45], -v[26:27], v[82:83], v[44:45]
	;; [unrolled: 1-line block ×4, first 2 shown]
	ds_read_b128 v[80:83], v75 offset:12384
	s_waitcnt lgkmcnt(0)
	v_fma_f64 v[44:45], -v[34:35], v[70:71], v[44:45]
	v_fma_f64 v[44:45], -v[36:37], v[72:73], v[44:45]
	ds_read_b128 v[70:73], v75 offset:12400
	v_fma_f64 v[44:45], -v[40:41], v[76:77], v[44:45]
	v_fma_f64 v[44:45], -v[42:43], v[78:79], v[44:45]
	ds_read_b128 v[76:79], v75 offset:12416
	;; [unrolled: 3-line block ×3, first 2 shown]
	s_waitcnt lgkmcnt(0)
	v_fma_f64 v[44:45], -v[52:53], v[70:71], v[44:45]
	v_fma_f64 v[44:45], -v[56:57], v[72:73], v[44:45]
	ds_read_b128 v[70:73], v75 offset:12448
	v_fma_f64 v[44:45], -v[58:59], v[76:77], v[44:45]
	v_fma_f64 v[44:45], -v[62:63], v[78:79], v[44:45]
	ds_read_b128 v[76:79], v75 offset:12464
	v_fma_f64 v[44:45], -v[66:67], v[80:81], v[44:45]
	v_fma_f64 v[44:45], -v[68:69], v[82:83], v[44:45]
	ds_read_b64 v[80:81], v74 offset:12480
	s_waitcnt lgkmcnt(0)
	v_fma_f64 v[44:45], -v[64:65], v[70:71], v[44:45]
	v_fma_f64 v[44:45], -v[60:61], v[72:73], v[44:45]
	;; [unrolled: 1-line block ×4, first 2 shown]
	v_mul_f64 v[44:45], v[80:81], v[44:45]
	flat_store_dwordx2 v[8:9], v[44:45] offset:192
	ds_read_b128 v[70:73], v75 offset:12800
	ds_read_b128 v[76:79], v75 offset:12816
	;; [unrolled: 1-line block ×4, first 2 shown]
	s_waitcnt lgkmcnt(0)
	v_fma_f64 v[38:39], -v[0:1], v[70:71], v[38:39]
	v_fma_f64 v[38:39], -v[2:3], v[72:73], v[38:39]
	;; [unrolled: 1-line block ×4, first 2 shown]
	ds_read_b128 v[70:73], v75 offset:12864
	ds_read_b128 v[76:79], v75 offset:12880
	v_fma_f64 v[38:39], -v[24:25], v[80:81], v[38:39]
	v_fma_f64 v[38:39], -v[26:27], v[82:83], v[38:39]
	;; [unrolled: 1-line block ×4, first 2 shown]
	ds_read_b128 v[80:83], v75 offset:12896
	s_waitcnt lgkmcnt(0)
	v_fma_f64 v[38:39], -v[34:35], v[70:71], v[38:39]
	v_fma_f64 v[38:39], -v[36:37], v[72:73], v[38:39]
	ds_read_b128 v[70:73], v75 offset:12912
	v_fma_f64 v[38:39], -v[40:41], v[76:77], v[38:39]
	v_fma_f64 v[38:39], -v[42:43], v[78:79], v[38:39]
	ds_read_b128 v[76:79], v75 offset:12928
	v_fma_f64 v[38:39], -v[46:47], v[80:81], v[38:39]
	v_fma_f64 v[38:39], -v[48:49], v[82:83], v[38:39]
	ds_read_b128 v[80:83], v75 offset:12944
	s_waitcnt lgkmcnt(0)
	v_fma_f64 v[38:39], -v[52:53], v[70:71], v[38:39]
	v_fma_f64 v[38:39], -v[56:57], v[72:73], v[38:39]
	ds_read_b128 v[70:73], v75 offset:12960
	v_fma_f64 v[38:39], -v[58:59], v[76:77], v[38:39]
	v_fma_f64 v[38:39], -v[62:63], v[78:79], v[38:39]
	ds_read_b128 v[76:79], v75 offset:12976
	v_fma_f64 v[38:39], -v[66:67], v[80:81], v[38:39]
	v_fma_f64 v[38:39], -v[68:69], v[82:83], v[38:39]
	s_waitcnt lgkmcnt(0)
	v_fma_f64 v[38:39], -v[64:65], v[70:71], v[38:39]
	ds_read_b64 v[70:71], v75 offset:12992
	ds_read_b64 v[80:81], v74 offset:13000
	v_fma_f64 v[38:39], -v[60:61], v[72:73], v[38:39]
	v_fma_f64 v[38:39], -v[54:55], v[76:77], v[38:39]
	;; [unrolled: 1-line block ×3, first 2 shown]
	s_waitcnt lgkmcnt(0)
	v_fma_f64 v[38:39], -v[44:45], v[70:71], v[38:39]
	v_mul_f64 v[38:39], v[80:81], v[38:39]
	flat_store_dwordx2 v[8:9], v[38:39] offset:200
	ds_read_b128 v[70:73], v75 offset:13312
	ds_read_b128 v[76:79], v75 offset:13328
	;; [unrolled: 1-line block ×4, first 2 shown]
	s_waitcnt lgkmcnt(0)
	v_fma_f64 v[30:31], -v[0:1], v[70:71], v[30:31]
	v_fma_f64 v[30:31], -v[2:3], v[72:73], v[30:31]
	v_fma_f64 v[30:31], -v[20:21], v[76:77], v[30:31]
	v_fma_f64 v[30:31], -v[22:23], v[78:79], v[30:31]
	ds_read_b128 v[70:73], v75 offset:13376
	ds_read_b128 v[76:79], v75 offset:13392
	v_fma_f64 v[30:31], -v[24:25], v[80:81], v[30:31]
	v_fma_f64 v[30:31], -v[26:27], v[82:83], v[30:31]
	;; [unrolled: 1-line block ×4, first 2 shown]
	ds_read_b128 v[80:83], v75 offset:13408
	s_waitcnt lgkmcnt(0)
	v_fma_f64 v[30:31], -v[34:35], v[70:71], v[30:31]
	v_fma_f64 v[30:31], -v[36:37], v[72:73], v[30:31]
	ds_read_b128 v[70:73], v75 offset:13424
	v_fma_f64 v[30:31], -v[40:41], v[76:77], v[30:31]
	v_fma_f64 v[30:31], -v[42:43], v[78:79], v[30:31]
	ds_read_b128 v[76:79], v75 offset:13440
	;; [unrolled: 3-line block ×3, first 2 shown]
	s_waitcnt lgkmcnt(0)
	v_fma_f64 v[30:31], -v[52:53], v[70:71], v[30:31]
	v_fma_f64 v[30:31], -v[56:57], v[72:73], v[30:31]
	ds_read_b128 v[70:73], v75 offset:13472
	v_fma_f64 v[30:31], -v[58:59], v[76:77], v[30:31]
	v_fma_f64 v[30:31], -v[62:63], v[78:79], v[30:31]
	ds_read_b128 v[76:79], v75 offset:13488
	;; [unrolled: 3-line block ×3, first 2 shown]
	s_waitcnt lgkmcnt(0)
	v_fma_f64 v[30:31], -v[64:65], v[70:71], v[30:31]
	v_fma_f64 v[30:31], -v[60:61], v[72:73], v[30:31]
	ds_read_b64 v[70:71], v74 offset:13520
	v_fma_f64 v[30:31], -v[54:55], v[76:77], v[30:31]
	v_fma_f64 v[30:31], -v[50:51], v[78:79], v[30:31]
	;; [unrolled: 1-line block ×4, first 2 shown]
	s_waitcnt lgkmcnt(0)
	v_mul_f64 v[30:31], v[70:71], v[30:31]
	flat_store_dwordx2 v[8:9], v[30:31] offset:208
	ds_read_b128 v[70:73], v75 offset:13824
	ds_read_b128 v[76:79], v75 offset:13840
	;; [unrolled: 1-line block ×4, first 2 shown]
	s_waitcnt lgkmcnt(0)
	v_fma_f64 v[18:19], -v[0:1], v[70:71], v[18:19]
	v_fma_f64 v[18:19], -v[2:3], v[72:73], v[18:19]
	;; [unrolled: 1-line block ×4, first 2 shown]
	ds_read_b128 v[70:73], v75 offset:13888
	ds_read_b128 v[76:79], v75 offset:13904
	v_fma_f64 v[18:19], -v[24:25], v[80:81], v[18:19]
	v_fma_f64 v[18:19], -v[26:27], v[82:83], v[18:19]
	;; [unrolled: 1-line block ×4, first 2 shown]
	ds_read_b128 v[80:83], v75 offset:13920
	s_waitcnt lgkmcnt(0)
	v_fma_f64 v[18:19], -v[34:35], v[70:71], v[18:19]
	v_fma_f64 v[18:19], -v[36:37], v[72:73], v[18:19]
	ds_read_b128 v[70:73], v75 offset:13936
	v_fma_f64 v[18:19], -v[40:41], v[76:77], v[18:19]
	v_fma_f64 v[18:19], -v[42:43], v[78:79], v[18:19]
	ds_read_b128 v[76:79], v75 offset:13952
	;; [unrolled: 3-line block ×3, first 2 shown]
	s_waitcnt lgkmcnt(0)
	v_fma_f64 v[18:19], -v[52:53], v[70:71], v[18:19]
	v_fma_f64 v[18:19], -v[56:57], v[72:73], v[18:19]
	ds_read_b128 v[70:73], v75 offset:13984
	v_fma_f64 v[18:19], -v[58:59], v[76:77], v[18:19]
	v_fma_f64 v[18:19], -v[62:63], v[78:79], v[18:19]
	;; [unrolled: 1-line block ×3, first 2 shown]
	ds_read_b128 v[76:79], v75 offset:14000
	v_fma_f64 v[18:19], -v[68:69], v[82:83], v[18:19]
	s_waitcnt lgkmcnt(0)
	v_fma_f64 v[18:19], -v[64:65], v[70:71], v[18:19]
	v_fma_f64 v[18:19], -v[60:61], v[72:73], v[18:19]
	ds_read_b128 v[70:73], v75 offset:14016
	v_fma_f64 v[18:19], -v[54:55], v[76:77], v[18:19]
	ds_read_b64 v[76:77], v75 offset:14032
	ds_read_b64 v[80:81], v74 offset:14040
	v_fma_f64 v[18:19], -v[50:51], v[78:79], v[18:19]
	s_waitcnt lgkmcnt(0)
	v_fma_f64 v[18:19], -v[44:45], v[70:71], v[18:19]
	v_fma_f64 v[18:19], -v[38:39], v[72:73], v[18:19]
	;; [unrolled: 1-line block ×3, first 2 shown]
	v_mul_f64 v[18:19], v[80:81], v[18:19]
	flat_store_dwordx2 v[8:9], v[18:19] offset:216
	ds_read_b128 v[70:73], v75 offset:14336
	ds_read_b128 v[76:79], v75 offset:14352
	;; [unrolled: 1-line block ×4, first 2 shown]
	s_waitcnt lgkmcnt(0)
	v_fma_f64 v[16:17], -v[0:1], v[70:71], v[16:17]
	v_fma_f64 v[16:17], -v[2:3], v[72:73], v[16:17]
	;; [unrolled: 1-line block ×4, first 2 shown]
	ds_read_b128 v[70:73], v75 offset:14400
	ds_read_b128 v[76:79], v75 offset:14416
	v_fma_f64 v[16:17], -v[24:25], v[80:81], v[16:17]
	v_fma_f64 v[16:17], -v[26:27], v[82:83], v[16:17]
	;; [unrolled: 1-line block ×4, first 2 shown]
	ds_read_b128 v[80:83], v75 offset:14432
	s_waitcnt lgkmcnt(0)
	v_fma_f64 v[16:17], -v[34:35], v[70:71], v[16:17]
	v_fma_f64 v[16:17], -v[36:37], v[72:73], v[16:17]
	ds_read_b128 v[70:73], v75 offset:14448
	v_fma_f64 v[16:17], -v[40:41], v[76:77], v[16:17]
	v_fma_f64 v[16:17], -v[42:43], v[78:79], v[16:17]
	ds_read_b128 v[76:79], v75 offset:14464
	;; [unrolled: 3-line block ×3, first 2 shown]
	s_waitcnt lgkmcnt(0)
	v_fma_f64 v[16:17], -v[52:53], v[70:71], v[16:17]
	v_fma_f64 v[16:17], -v[56:57], v[72:73], v[16:17]
	ds_read_b128 v[70:73], v75 offset:14496
	v_fma_f64 v[16:17], -v[58:59], v[76:77], v[16:17]
	v_fma_f64 v[16:17], -v[62:63], v[78:79], v[16:17]
	;; [unrolled: 1-line block ×3, first 2 shown]
	ds_read_b128 v[76:79], v75 offset:14512
	v_fma_f64 v[16:17], -v[68:69], v[82:83], v[16:17]
	s_waitcnt lgkmcnt(0)
	v_fma_f64 v[16:17], -v[64:65], v[70:71], v[16:17]
	v_fma_f64 v[16:17], -v[60:61], v[72:73], v[16:17]
	ds_read_b128 v[70:73], v75 offset:14528
	ds_read_b128 v[80:83], v75 offset:14544
	v_fma_f64 v[16:17], -v[54:55], v[76:77], v[16:17]
	v_fma_f64 v[16:17], -v[50:51], v[78:79], v[16:17]
	ds_read_b64 v[76:77], v74 offset:14560
	s_waitcnt lgkmcnt(0)
	v_fma_f64 v[16:17], -v[44:45], v[70:71], v[16:17]
	v_fma_f64 v[16:17], -v[38:39], v[72:73], v[16:17]
	;; [unrolled: 1-line block ×4, first 2 shown]
	v_mul_f64 v[16:17], v[76:77], v[16:17]
	flat_store_dwordx2 v[8:9], v[16:17] offset:224
	ds_read_b128 v[70:73], v75 offset:14848
	ds_read_b128 v[76:79], v75 offset:14864
	;; [unrolled: 1-line block ×4, first 2 shown]
	s_waitcnt lgkmcnt(0)
	v_fma_f64 v[14:15], -v[0:1], v[70:71], v[14:15]
	v_fma_f64 v[14:15], -v[2:3], v[72:73], v[14:15]
	;; [unrolled: 1-line block ×4, first 2 shown]
	ds_read_b128 v[70:73], v75 offset:14912
	ds_read_b128 v[76:79], v75 offset:14928
	v_fma_f64 v[14:15], -v[24:25], v[80:81], v[14:15]
	v_fma_f64 v[14:15], -v[26:27], v[82:83], v[14:15]
	;; [unrolled: 1-line block ×4, first 2 shown]
	ds_read_b128 v[80:83], v75 offset:14944
	s_waitcnt lgkmcnt(0)
	v_fma_f64 v[14:15], -v[34:35], v[70:71], v[14:15]
	v_fma_f64 v[14:15], -v[36:37], v[72:73], v[14:15]
	ds_read_b128 v[70:73], v75 offset:14960
	v_fma_f64 v[14:15], -v[40:41], v[76:77], v[14:15]
	v_fma_f64 v[14:15], -v[42:43], v[78:79], v[14:15]
	ds_read_b128 v[76:79], v75 offset:14976
	;; [unrolled: 3-line block ×3, first 2 shown]
	s_waitcnt lgkmcnt(0)
	v_fma_f64 v[14:15], -v[52:53], v[70:71], v[14:15]
	v_fma_f64 v[14:15], -v[56:57], v[72:73], v[14:15]
	ds_read_b128 v[70:73], v75 offset:15008
	v_fma_f64 v[14:15], -v[58:59], v[76:77], v[14:15]
	v_fma_f64 v[14:15], -v[62:63], v[78:79], v[14:15]
	ds_read_b128 v[76:79], v75 offset:15024
	;; [unrolled: 3-line block ×3, first 2 shown]
	s_waitcnt lgkmcnt(0)
	v_fma_f64 v[14:15], -v[64:65], v[70:71], v[14:15]
	v_fma_f64 v[14:15], -v[60:61], v[72:73], v[14:15]
	ds_read_b128 v[70:73], v75 offset:15056
	v_fma_f64 v[14:15], -v[54:55], v[76:77], v[14:15]
	v_fma_f64 v[14:15], -v[50:51], v[78:79], v[14:15]
	;; [unrolled: 1-line block ×3, first 2 shown]
	ds_read_b64 v[76:77], v75 offset:15072
	ds_read_b64 v[78:79], v74 offset:15080
	v_fma_f64 v[14:15], -v[38:39], v[82:83], v[14:15]
	s_waitcnt lgkmcnt(0)
	v_fma_f64 v[14:15], -v[30:31], v[70:71], v[14:15]
	v_fma_f64 v[14:15], -v[18:19], v[72:73], v[14:15]
	;; [unrolled: 1-line block ×3, first 2 shown]
	v_mul_f64 v[14:15], v[78:79], v[14:15]
	flat_store_dwordx2 v[8:9], v[14:15] offset:232
	ds_read_b128 v[70:73], v75 offset:15360
	ds_read_b128 v[76:79], v75 offset:15376
	;; [unrolled: 1-line block ×4, first 2 shown]
	s_waitcnt lgkmcnt(0)
	v_fma_f64 v[12:13], -v[0:1], v[70:71], v[12:13]
	v_fma_f64 v[12:13], -v[2:3], v[72:73], v[12:13]
	v_fma_f64 v[12:13], -v[20:21], v[76:77], v[12:13]
	v_fma_f64 v[12:13], -v[22:23], v[78:79], v[12:13]
	ds_read_b128 v[70:73], v75 offset:15424
	ds_read_b128 v[76:79], v75 offset:15440
	v_fma_f64 v[12:13], -v[24:25], v[80:81], v[12:13]
	v_fma_f64 v[12:13], -v[26:27], v[82:83], v[12:13]
	;; [unrolled: 1-line block ×4, first 2 shown]
	ds_read_b128 v[80:83], v75 offset:15456
	s_waitcnt lgkmcnt(0)
	v_fma_f64 v[12:13], -v[34:35], v[70:71], v[12:13]
	v_fma_f64 v[12:13], -v[36:37], v[72:73], v[12:13]
	ds_read_b128 v[70:73], v75 offset:15472
	v_fma_f64 v[12:13], -v[40:41], v[76:77], v[12:13]
	v_fma_f64 v[12:13], -v[42:43], v[78:79], v[12:13]
	ds_read_b128 v[76:79], v75 offset:15488
	v_fma_f64 v[12:13], -v[46:47], v[80:81], v[12:13]
	v_fma_f64 v[12:13], -v[48:49], v[82:83], v[12:13]
	ds_read_b128 v[80:83], v75 offset:15504
	s_waitcnt lgkmcnt(0)
	v_fma_f64 v[12:13], -v[52:53], v[70:71], v[12:13]
	v_fma_f64 v[12:13], -v[56:57], v[72:73], v[12:13]
	ds_read_b128 v[70:73], v75 offset:15520
	v_fma_f64 v[12:13], -v[58:59], v[76:77], v[12:13]
	v_fma_f64 v[12:13], -v[62:63], v[78:79], v[12:13]
	ds_read_b128 v[76:79], v75 offset:15536
	v_fma_f64 v[12:13], -v[66:67], v[80:81], v[12:13]
	v_fma_f64 v[12:13], -v[68:69], v[82:83], v[12:13]
	;; [unrolled: 10-line block ×3, first 2 shown]
	ds_read_b64 v[80:81], v74 offset:15600
	s_waitcnt lgkmcnt(0)
	v_fma_f64 v[12:13], -v[30:31], v[70:71], v[12:13]
	v_fma_f64 v[12:13], -v[18:19], v[72:73], v[12:13]
	;; [unrolled: 1-line block ×4, first 2 shown]
	v_mul_f64 v[88:89], v[80:81], v[12:13]
	flat_store_dwordx2 v[8:9], v[88:89] offset:240
	ds_read_b128 v[70:73], v75 offset:15872
	ds_read_b128 v[76:79], v75 offset:15888
	;; [unrolled: 1-line block ×4, first 2 shown]
	s_waitcnt lgkmcnt(0)
	v_fma_f64 v[0:1], -v[0:1], v[70:71], v[10:11]
	v_fma_f64 v[0:1], -v[2:3], v[72:73], v[0:1]
	v_fma_f64 v[0:1], -v[20:21], v[76:77], v[0:1]
	v_fma_f64 v[0:1], -v[22:23], v[78:79], v[0:1]
	v_fma_f64 v[10:11], -v[24:25], v[80:81], v[0:1]
	ds_read_b128 v[0:3], v75 offset:15936
	v_fma_f64 v[10:11], -v[26:27], v[82:83], v[10:11]
	v_fma_f64 v[20:21], -v[28:29], v[84:85], v[10:11]
	ds_read_b128 v[10:13], v75 offset:15952
	v_fma_f64 v[20:21], -v[32:33], v[86:87], v[20:21]
	s_waitcnt lgkmcnt(0)
	v_fma_f64 v[0:1], -v[34:35], v[0:1], v[20:21]
	ds_read_b128 v[20:23], v75 offset:15968
	v_fma_f64 v[0:1], -v[36:37], v[2:3], v[0:1]
	v_fma_f64 v[10:11], -v[40:41], v[10:11], v[0:1]
	ds_read_b128 v[0:3], v75 offset:15984
	v_fma_f64 v[10:11], -v[42:43], v[12:13], v[10:11]
	s_waitcnt lgkmcnt(0)
	v_fma_f64 v[20:21], -v[46:47], v[20:21], v[10:11]
	ds_read_b128 v[10:13], v75 offset:16000
	v_fma_f64 v[20:21], -v[48:49], v[22:23], v[20:21]
	v_fma_f64 v[0:1], -v[52:53], v[0:1], v[20:21]
	ds_read_b128 v[20:23], v75 offset:16016
	v_fma_f64 v[0:1], -v[56:57], v[2:3], v[0:1]
	s_waitcnt lgkmcnt(0)
	v_fma_f64 v[10:11], -v[58:59], v[10:11], v[0:1]
	ds_read_b128 v[0:3], v75 offset:16032
	v_fma_f64 v[10:11], -v[62:63], v[12:13], v[10:11]
	v_fma_f64 v[20:21], -v[66:67], v[20:21], v[10:11]
	ds_read_b128 v[10:13], v75 offset:16048
	v_fma_f64 v[20:21], -v[68:69], v[22:23], v[20:21]
	s_waitcnt lgkmcnt(0)
	v_fma_f64 v[0:1], -v[64:65], v[0:1], v[20:21]
	ds_read_b128 v[20:23], v75 offset:16064
	v_fma_f64 v[0:1], -v[60:61], v[2:3], v[0:1]
	v_fma_f64 v[10:11], -v[54:55], v[10:11], v[0:1]
	ds_read_b128 v[0:3], v75 offset:16080
	v_fma_f64 v[10:11], -v[50:51], v[12:13], v[10:11]
	s_waitcnt lgkmcnt(0)
	v_fma_f64 v[10:11], -v[44:45], v[20:21], v[10:11]
	v_fma_f64 v[20:21], -v[38:39], v[22:23], v[10:11]
	ds_read_b128 v[10:13], v75 offset:16096
	v_fma_f64 v[0:1], -v[30:31], v[0:1], v[20:21]
	ds_read_b64 v[20:21], v75 offset:16112
	ds_read_b64 v[22:23], v74 offset:16120
	v_fma_f64 v[0:1], -v[18:19], v[2:3], v[0:1]
	s_waitcnt lgkmcnt(0)
	v_fma_f64 v[0:1], -v[16:17], v[10:11], v[0:1]
	v_fma_f64 v[0:1], -v[14:15], v[12:13], v[0:1]
	;; [unrolled: 1-line block ×3, first 2 shown]
	v_mul_f64 v[0:1], v[22:23], v[0:1]
	flat_store_dwordx2 v[8:9], v[0:1] offset:248
	s_cbranch_scc1 .LBB108_16
; %bb.15:                               ;   in Loop: Header=BB108_10 Depth=1
	s_mov_b32 s2, s6
	s_branch .LBB108_10
.LBB108_16:
	s_cmp_lt_i32 s6, s22
	s_cbranch_scc0 .LBB108_36
; %bb.17:
	s_add_i32 s2, s6, 3
	s_cmp_ge_i32 s2, s22
	s_cbranch_scc1 .LBB108_30
; %bb.18:
	s_add_i32 s2, s6, -1
	s_lshl_b32 s3, s6, 9
	s_add_u32 s0, s12, s0
	s_addc_u32 s1, s13, s1
	v_lshl_add_u64 v[0:1], v[6:7], 3, s[0:1]
	s_mov_b32 s1, 0
	s_mov_b32 s8, s6
	;; [unrolled: 1-line block ×3, first 2 shown]
.LBB108_19:                             ; =>This Loop Header: Depth=1
                                        ;     Child Loop BB108_22 Depth 2
                                        ;     Child Loop BB108_25 Depth 2
	s_ashr_i32 s7, s6, 31
	v_lshl_add_u64 v[2:3], s[6:7], 3, v[4:5]
	flat_load_dwordx4 v[6:9], v[2:3]
	flat_load_dwordx4 v[14:17], v[2:3] offset:16
	s_cmp_eq_u32 s6, 0
	s_waitcnt vmcnt(0) lgkmcnt(0)
	v_mul_f64 v[12:13], s[4:5], v[6:7]
	v_mul_f64 v[10:11], s[4:5], v[8:9]
	;; [unrolled: 1-line block ×4, first 2 shown]
	s_cbranch_scc1 .LBB108_27
; %bb.20:                               ;   in Loop: Header=BB108_19 Depth=1
	s_lshl_b32 s0, s9, 2
	s_add_i32 s0, s2, s0
	s_cmp_lt_u32 s0, 7
	s_mov_b32 s0, 0
	s_cbranch_scc1 .LBB108_23
; %bb.21:                               ;   in Loop: Header=BB108_19 Depth=1
	s_and_b32 s0, s6, -8
	s_mov_b32 s7, 0
	v_mov_b64_e32 v[14:15], v[4:5]
	s_mov_b32 s11, s3
.LBB108_22:                             ;   Parent Loop BB108_19 Depth=1
                                        ; =>  This Inner Loop Header: Depth=2
	flat_load_dwordx4 v[16:19], v[14:15]
	flat_load_dwordx4 v[20:23], v[14:15] offset:16
	flat_load_dwordx4 v[24:27], v[14:15] offset:32
	;; [unrolled: 1-line block ×3, first 2 shown]
	v_mov_b32_e32 v92, s11
	ds_read_b128 v[32:35], v92
	ds_read_b128 v[36:39], v92 offset:16
	ds_read_b128 v[40:43], v92 offset:32
	;; [unrolled: 1-line block ×15, first 2 shown]
	s_add_i32 s7, s7, 8
	s_add_i32 s11, s11, 64
	v_lshl_add_u64 v[14:15], v[14:15], 0, 64
	s_cmp_lg_u32 s0, s7
	s_waitcnt vmcnt(0) lgkmcnt(0)
	v_fma_f64 v[12:13], -v[16:17], v[32:33], v[12:13]
	v_fma_f64 v[10:11], -v[16:17], v[48:49], v[10:11]
	;; [unrolled: 1-line block ×32, first 2 shown]
	s_cbranch_scc1 .LBB108_22
.LBB108_23:                             ;   in Loop: Header=BB108_19 Depth=1
	s_and_b32 s7, s6, 7
	s_cmp_eq_u32 s7, 0
	s_cbranch_scc1 .LBB108_26
; %bb.24:                               ;   in Loop: Header=BB108_19 Depth=1
	s_and_b32 s7, s8, 7
	s_lshl_b32 s11, s0, 3
	v_lshl_add_u64 v[14:15], s[0:1], 3, v[0:1]
.LBB108_25:                             ;   Parent Loop BB108_19 Depth=1
                                        ; =>  This Inner Loop Header: Depth=2
	flat_load_dwordx2 v[24:25], v[14:15]
	s_add_i32 s0, s3, s11
	v_mov_b32_e32 v20, s0
	ds_read2st64_b64 v[16:19], v20 offset1:1
	ds_read2st64_b64 v[20:23], v20 offset0:2 offset1:3
	s_add_i32 s11, s11, 8
	s_add_i32 s7, s7, -1
	v_lshl_add_u64 v[14:15], v[14:15], 0, 8
	s_cmp_lg_u32 s7, 0
	s_waitcnt vmcnt(0) lgkmcnt(0)
	v_fma_f64 v[12:13], -v[24:25], v[16:17], v[12:13]
	v_fma_f64 v[10:11], -v[24:25], v[18:19], v[10:11]
	;; [unrolled: 1-line block ×4, first 2 shown]
	s_cbranch_scc1 .LBB108_25
.LBB108_26:                             ;   in Loop: Header=BB108_19 Depth=1
	s_lshl_b32 s0, s6, 9
	s_branch .LBB108_28
.LBB108_27:                             ;   in Loop: Header=BB108_19 Depth=1
	s_mov_b32 s0, 0
.LBB108_28:                             ;   in Loop: Header=BB108_19 Depth=1
	s_lshl_b32 s7, s6, 3
	s_add_i32 s0, s7, s0
	v_mov_b32_e32 v20, s0
	ds_read_b64 v[14:15], v20
	s_lshl_b32 s0, s6, 9
	s_add_i32 s0, s0, s7
	v_mov_b32_e32 v21, s0
	s_add_i32 s0, s6, 4
	s_waitcnt lgkmcnt(0)
	v_mul_f64 v[14:15], v[14:15], v[12:13]
	flat_store_dwordx2 v[2:3], v[14:15]
	ds_read_b64 v[12:13], v21 offset:512
	ds_read_b64 v[16:17], v20 offset:520
	s_add_i32 s6, s6, 7
	s_add_i32 s9, s9, 1
	s_addk_i32 s3, 0x800
	s_waitcnt lgkmcnt(0)
	v_fma_f64 v[10:11], -v[14:15], v[12:13], v[10:11]
	v_mul_f64 v[16:17], v[16:17], v[10:11]
	flat_store_dwordx2 v[2:3], v[16:17] offset:8
	ds_read2_b64 v[10:13], v21 offset0:128 offset1:129
	ds_read_b64 v[18:19], v20 offset:1040
	s_add_i32 s8, s8, 4
	s_cmp_lt_i32 s6, s22
	s_waitcnt lgkmcnt(0)
	v_fma_f64 v[8:9], -v[14:15], v[10:11], v[8:9]
	v_fma_f64 v[8:9], -v[16:17], v[12:13], v[8:9]
	v_mul_f64 v[12:13], v[18:19], v[8:9]
	flat_store_dwordx2 v[2:3], v[12:13] offset:16
	ds_read2_b64 v[8:11], v21 offset0:192 offset1:193
	ds_read_b64 v[18:19], v21 offset:1552
	ds_read_b64 v[20:21], v20 offset:1560
	s_waitcnt lgkmcnt(0)
	v_fma_f64 v[6:7], -v[14:15], v[8:9], v[6:7]
	v_fma_f64 v[6:7], -v[16:17], v[10:11], v[6:7]
	;; [unrolled: 1-line block ×3, first 2 shown]
	v_mul_f64 v[6:7], v[20:21], v[6:7]
	flat_store_dwordx2 v[2:3], v[6:7] offset:24
	s_cbranch_scc0 .LBB108_31
; %bb.29:                               ;   in Loop: Header=BB108_19 Depth=1
	s_mov_b32 s6, s0
	s_branch .LBB108_19
.LBB108_30:
	s_mov_b32 s0, s6
.LBB108_31:
	s_cmp_ge_i32 s0, s22
	s_cbranch_scc1 .LBB108_36
; %bb.32:
	s_lshl_b32 s2, s0, 9
	s_branch .LBB108_34
.LBB108_33:                             ;   in Loop: Header=BB108_34 Depth=1
	s_mul_i32 s1, s0, 0x208
	v_mov_b32_e32 v6, s1
	ds_read_b64 v[6:7], v6
	s_add_i32 s0, s0, 1
	s_addk_i32 s2, 0x200
	s_cmp_ge_i32 s0, s22
	s_waitcnt lgkmcnt(0)
	v_mul_f64 v[2:3], v[6:7], v[2:3]
	flat_store_dwordx2 v[0:1], v[2:3]
	s_cbranch_scc1 .LBB108_36
.LBB108_34:                             ; =>This Loop Header: Depth=1
                                        ;     Child Loop BB108_35 Depth 2
	s_ashr_i32 s1, s0, 31
	v_lshl_add_u64 v[0:1], s[0:1], 3, v[4:5]
	flat_load_dwordx2 v[2:3], v[0:1]
	v_mov_b64_e32 v[6:7], v[4:5]
	s_mov_b32 s1, s0
	s_cmp_eq_u32 s0, 0
	s_mov_b32 s3, s2
	s_waitcnt vmcnt(0) lgkmcnt(0)
	v_mul_f64 v[2:3], s[4:5], v[2:3]
	s_cbranch_scc1 .LBB108_33
.LBB108_35:                             ;   Parent Loop BB108_34 Depth=1
                                        ; =>  This Inner Loop Header: Depth=2
	flat_load_dwordx2 v[8:9], v[6:7]
	v_mov_b32_e32 v10, s3
	ds_read_b64 v[10:11], v10
	s_add_i32 s3, s3, 8
	s_add_i32 s1, s1, -1
	v_lshl_add_u64 v[6:7], v[6:7], 0, 8
	s_cmp_lg_u32 s1, 0
	s_waitcnt vmcnt(0) lgkmcnt(0)
	v_fma_f64 v[2:3], -v[8:9], v[10:11], v[2:3]
	s_cbranch_scc1 .LBB108_35
	s_branch .LBB108_33
.LBB108_36:
	s_mov_b64 s[2:3], 0
.LBB108_37:
	s_and_b64 vcc, exec, s[2:3]
	s_cbranch_vccz .LBB108_70
; %bb.38:
	s_add_i32 s8, s22, -1
	s_cmp_lt_i32 s10, 32
	s_mov_b32 s0, s8
	s_cbranch_scc1 .LBB108_45
; %bb.39:
	s_lshl_b32 s9, s22, 9
	s_addk_i32 s9, 0xfd08
	s_mov_b32 s1, 0
	s_mov_b32 s41, s8
	s_branch .LBB108_41
.LBB108_40:                             ;   in Loop: Header=BB108_41 Depth=1
	s_mul_i32 s3, s2, 0x208
	v_mov_b32_e32 v68, s3
	ds_read_b64 v[68:69], v68
	s_add_i32 s0, s2, -1
	s_lshl_b32 s10, s2, 9
	s_lshl_b32 s6, s0, 3
	;; [unrolled: 1-line block ×3, first 2 shown]
	s_add_i32 s7, s6, s10
	s_waitcnt lgkmcnt(0)
	v_mul_f64 v[8:9], v[68:69], v[8:9]
	s_add_i32 s6, s6, s11
	flat_store_dwordx2 v[10:11], v[8:9]
	v_mov_b32_e32 v10, s7
	v_mov_b32_e32 v68, s6
	ds_read_b64 v[10:11], v10
	ds_read_b64 v[68:69], v68
	s_waitcnt lgkmcnt(0)
	v_fma_f64 v[10:11], -v[8:9], v[10:11], v[66:67]
	v_lshl_add_u64 v[66:67], s[0:1], 3, v[4:5]
	s_add_i32 s0, s2, -2
	s_lshl_b32 s6, s0, 3
	v_mul_f64 v[10:11], v[68:69], v[10:11]
	s_add_i32 s7, s6, s10
	s_lshl_b32 s12, s0, 9
	flat_store_dwordx2 v[66:67], v[10:11]
	v_mov_b32_e32 v66, s7
	s_add_i32 s7, s6, s11
	s_add_i32 s6, s6, s12
	v_mov_b32_e32 v68, s7
	v_mov_b32_e32 v70, s6
	ds_read_b64 v[66:67], v66
	ds_read_b64 v[68:69], v68
	;; [unrolled: 1-line block ×3, first 2 shown]
	s_waitcnt lgkmcnt(0)
	v_fma_f64 v[12:13], -v[8:9], v[66:67], v[12:13]
	v_lshl_add_u64 v[66:67], s[0:1], 3, v[4:5]
	s_add_i32 s0, s2, -3
	v_fma_f64 v[12:13], -v[10:11], v[68:69], v[12:13]
	s_lshl_b32 s6, s0, 3
	v_mul_f64 v[12:13], v[70:71], v[12:13]
	s_add_i32 s7, s6, s10
	flat_store_dwordx2 v[66:67], v[12:13]
	v_mov_b32_e32 v66, s7
	s_add_i32 s7, s6, s11
	s_lshl_b32 s13, s0, 9
	v_mov_b32_e32 v68, s7
	s_add_i32 s7, s6, s12
	s_add_i32 s6, s6, s13
	v_mov_b32_e32 v70, s7
	v_mov_b32_e32 v72, s6
	ds_read_b64 v[66:67], v66
	ds_read_b64 v[68:69], v68
	ds_read_b64 v[70:71], v70
	ds_read_b64 v[72:73], v72
	s_waitcnt lgkmcnt(0)
	v_fma_f64 v[14:15], -v[8:9], v[66:67], v[14:15]
	v_fma_f64 v[14:15], -v[10:11], v[68:69], v[14:15]
	v_lshl_add_u64 v[66:67], s[0:1], 3, v[4:5]
	s_add_i32 s0, s2, -4
	v_fma_f64 v[14:15], -v[12:13], v[70:71], v[14:15]
	s_lshl_b32 s6, s0, 3
	v_mul_f64 v[14:15], v[72:73], v[14:15]
	s_add_i32 s7, s6, s10
	flat_store_dwordx2 v[66:67], v[14:15]
	v_mov_b32_e32 v66, s7
	s_add_i32 s7, s6, s11
	v_mov_b32_e32 v68, s7
	s_add_i32 s7, s6, s12
	;; [unrolled: 2-line block ×3, first 2 shown]
	s_lshl_b32 s14, s0, 9
	v_mov_b32_e32 v72, s7
	s_add_i32 s6, s6, s14
	ds_read_b64 v[66:67], v66
	ds_read_b64 v[68:69], v68
	;; [unrolled: 1-line block ×4, first 2 shown]
	v_mov_b32_e32 v74, s6
	ds_read_b64 v[74:75], v74
	s_waitcnt lgkmcnt(0)
	v_fma_f64 v[16:17], -v[8:9], v[66:67], v[16:17]
	v_fma_f64 v[16:17], -v[10:11], v[68:69], v[16:17]
	;; [unrolled: 1-line block ×3, first 2 shown]
	v_lshl_add_u64 v[66:67], s[0:1], 3, v[4:5]
	s_add_i32 s0, s2, -5
	v_fma_f64 v[16:17], -v[14:15], v[72:73], v[16:17]
	s_lshl_b32 s6, s0, 3
	v_mul_f64 v[16:17], v[74:75], v[16:17]
	s_add_i32 s7, s6, s10
	flat_store_dwordx2 v[66:67], v[16:17]
	v_mov_b32_e32 v66, s7
	ds_read_b64 v[66:67], v66
	s_add_i32 s7, s6, s11
	v_mov_b32_e32 v68, s7
	s_add_i32 s7, s6, s12
	v_mov_b32_e32 v70, s7
	;; [unrolled: 2-line block ×3, first 2 shown]
	s_lshl_b32 s15, s0, 9
	ds_read_b64 v[68:69], v68
	ds_read_b64 v[70:71], v70
	;; [unrolled: 1-line block ×3, first 2 shown]
	s_add_i32 s7, s6, s14
	s_add_i32 s6, s6, s15
	s_waitcnt lgkmcnt(0)
	v_fma_f64 v[18:19], -v[8:9], v[66:67], v[18:19]
	v_mov_b32_e32 v66, s7
	v_mov_b32_e32 v74, s6
	ds_read_b64 v[66:67], v66
	ds_read_b64 v[74:75], v74
	v_fma_f64 v[18:19], -v[10:11], v[68:69], v[18:19]
	v_fma_f64 v[18:19], -v[12:13], v[70:71], v[18:19]
	;; [unrolled: 1-line block ×3, first 2 shown]
	s_waitcnt lgkmcnt(0)
	v_fma_f64 v[18:19], -v[16:17], v[66:67], v[18:19]
	v_lshl_add_u64 v[66:67], s[0:1], 3, v[4:5]
	s_add_i32 s0, s2, -6
	s_lshl_b32 s6, s0, 3
	v_mul_f64 v[18:19], v[74:75], v[18:19]
	s_add_i32 s7, s6, s10
	flat_store_dwordx2 v[66:67], v[18:19]
	v_mov_b32_e32 v66, s7
	s_add_i32 s7, s6, s11
	v_mov_b32_e32 v68, s7
	ds_read_b64 v[66:67], v66
	ds_read_b64 v[68:69], v68
	s_add_i32 s7, s6, s12
	v_mov_b32_e32 v70, s7
	s_add_i32 s7, s6, s13
	v_mov_b32_e32 v72, s7
	ds_read_b64 v[70:71], v70
	ds_read_b64 v[72:73], v72
	s_add_i32 s7, s6, s14
	s_lshl_b32 s16, s0, 9
	s_waitcnt lgkmcnt(0)
	v_fma_f64 v[22:23], -v[8:9], v[66:67], v[22:23]
	v_mov_b32_e32 v66, s7
	s_add_i32 s7, s6, s15
	s_add_i32 s6, s6, s16
	v_fma_f64 v[22:23], -v[10:11], v[68:69], v[22:23]
	v_mov_b32_e32 v68, s7
	v_mov_b32_e32 v74, s6
	ds_read_b64 v[66:67], v66
	ds_read_b64 v[68:69], v68
	;; [unrolled: 1-line block ×3, first 2 shown]
	v_fma_f64 v[22:23], -v[12:13], v[70:71], v[22:23]
	v_fma_f64 v[22:23], -v[14:15], v[72:73], v[22:23]
	s_waitcnt lgkmcnt(0)
	v_fma_f64 v[22:23], -v[16:17], v[66:67], v[22:23]
	v_lshl_add_u64 v[66:67], s[0:1], 3, v[4:5]
	s_add_i32 s0, s2, -7
	v_fma_f64 v[22:23], -v[18:19], v[68:69], v[22:23]
	s_lshl_b32 s6, s0, 3
	v_mul_f64 v[22:23], v[74:75], v[22:23]
	s_add_i32 s7, s6, s10
	flat_store_dwordx2 v[66:67], v[22:23]
	v_mov_b32_e32 v66, s7
	s_add_i32 s7, s6, s11
	v_mov_b32_e32 v68, s7
	s_add_i32 s7, s6, s12
	v_mov_b32_e32 v70, s7
	ds_read_b64 v[66:67], v66
	ds_read_b64 v[68:69], v68
	ds_read_b64 v[70:71], v70
	s_add_i32 s7, s6, s13
	v_mov_b32_e32 v72, s7
	ds_read_b64 v[72:73], v72
	s_add_i32 s7, s6, s14
	s_waitcnt lgkmcnt(0)
	v_fma_f64 v[24:25], -v[8:9], v[66:67], v[24:25]
	v_mov_b32_e32 v66, s7
	s_add_i32 s7, s6, s15
	s_lshl_b32 s17, s0, 9
	v_fma_f64 v[24:25], -v[10:11], v[68:69], v[24:25]
	v_mov_b32_e32 v68, s7
	s_add_i32 s7, s6, s16
	s_add_i32 s6, s6, s17
	v_fma_f64 v[24:25], -v[12:13], v[70:71], v[24:25]
	v_mov_b32_e32 v70, s7
	v_mov_b32_e32 v74, s6
	ds_read_b64 v[66:67], v66
	ds_read_b64 v[68:69], v68
	;; [unrolled: 1-line block ×4, first 2 shown]
	v_fma_f64 v[24:25], -v[14:15], v[72:73], v[24:25]
	s_waitcnt lgkmcnt(0)
	v_fma_f64 v[24:25], -v[16:17], v[66:67], v[24:25]
	v_fma_f64 v[24:25], -v[18:19], v[68:69], v[24:25]
	v_lshl_add_u64 v[66:67], s[0:1], 3, v[4:5]
	s_add_i32 s0, s2, -8
	v_fma_f64 v[24:25], -v[22:23], v[70:71], v[24:25]
	s_lshl_b32 s6, s0, 3
	v_mul_f64 v[24:25], v[74:75], v[24:25]
	s_add_i32 s7, s6, s10
	flat_store_dwordx2 v[66:67], v[24:25]
	v_mov_b32_e32 v66, s7
	s_add_i32 s7, s6, s11
	v_mov_b32_e32 v68, s7
	s_add_i32 s7, s6, s12
	;; [unrolled: 2-line block ×3, first 2 shown]
	v_mov_b32_e32 v72, s7
	ds_read_b64 v[66:67], v66
	ds_read_b64 v[68:69], v68
	ds_read_b64 v[70:71], v70
	ds_read_b64 v[72:73], v72
	s_add_i32 s7, s6, s14
	s_waitcnt lgkmcnt(0)
	v_fma_f64 v[26:27], -v[8:9], v[66:67], v[26:27]
	v_mov_b32_e32 v66, s7
	s_add_i32 s7, s6, s15
	v_fma_f64 v[26:27], -v[10:11], v[68:69], v[26:27]
	v_mov_b32_e32 v68, s7
	s_add_i32 s7, s6, s16
	;; [unrolled: 3-line block ×3, first 2 shown]
	s_lshl_b32 s18, s0, 9
	v_fma_f64 v[26:27], -v[14:15], v[72:73], v[26:27]
	v_mov_b32_e32 v72, s7
	s_add_i32 s6, s6, s18
	ds_read_b64 v[66:67], v66
	ds_read_b64 v[68:69], v68
	;; [unrolled: 1-line block ×4, first 2 shown]
	v_mov_b32_e32 v74, s6
	ds_read_b64 v[74:75], v74
	s_waitcnt lgkmcnt(0)
	v_fma_f64 v[26:27], -v[16:17], v[66:67], v[26:27]
	v_fma_f64 v[26:27], -v[18:19], v[68:69], v[26:27]
	;; [unrolled: 1-line block ×3, first 2 shown]
	v_lshl_add_u64 v[66:67], s[0:1], 3, v[4:5]
	s_add_i32 s0, s2, -9
	v_fma_f64 v[26:27], -v[24:25], v[72:73], v[26:27]
	s_lshl_b32 s6, s0, 3
	v_mul_f64 v[26:27], v[74:75], v[26:27]
	s_add_i32 s7, s6, s10
	flat_store_dwordx2 v[66:67], v[26:27]
	v_mov_b32_e32 v66, s7
	s_add_i32 s7, s6, s11
	v_mov_b32_e32 v68, s7
	s_add_i32 s7, s6, s12
	;; [unrolled: 2-line block ×3, first 2 shown]
	v_mov_b32_e32 v72, s7
	ds_read_b64 v[66:67], v66
	ds_read_b64 v[68:69], v68
	;; [unrolled: 1-line block ×4, first 2 shown]
	s_add_i32 s7, s6, s14
	s_waitcnt lgkmcnt(0)
	v_fma_f64 v[30:31], -v[8:9], v[66:67], v[30:31]
	v_mov_b32_e32 v66, s7
	ds_read_b64 v[66:67], v66
	s_add_i32 s7, s6, s15
	v_fma_f64 v[30:31], -v[10:11], v[68:69], v[30:31]
	v_mov_b32_e32 v68, s7
	s_add_i32 s7, s6, s16
	v_fma_f64 v[30:31], -v[12:13], v[70:71], v[30:31]
	v_mov_b32_e32 v70, s7
	;; [unrolled: 3-line block ×3, first 2 shown]
	s_lshl_b32 s19, s0, 9
	ds_read_b64 v[68:69], v68
	ds_read_b64 v[70:71], v70
	;; [unrolled: 1-line block ×3, first 2 shown]
	s_add_i32 s7, s6, s18
	s_add_i32 s6, s6, s19
	s_waitcnt lgkmcnt(0)
	v_fma_f64 v[30:31], -v[16:17], v[66:67], v[30:31]
	v_mov_b32_e32 v66, s7
	v_mov_b32_e32 v74, s6
	ds_read_b64 v[66:67], v66
	ds_read_b64 v[74:75], v74
	v_fma_f64 v[30:31], -v[18:19], v[68:69], v[30:31]
	v_fma_f64 v[30:31], -v[22:23], v[70:71], v[30:31]
	;; [unrolled: 1-line block ×3, first 2 shown]
	s_waitcnt lgkmcnt(0)
	v_fma_f64 v[30:31], -v[26:27], v[66:67], v[30:31]
	v_lshl_add_u64 v[66:67], s[0:1], 3, v[4:5]
	s_add_i32 s0, s2, -10
	s_lshl_b32 s6, s0, 3
	v_mul_f64 v[30:31], v[74:75], v[30:31]
	s_add_i32 s7, s6, s10
	flat_store_dwordx2 v[66:67], v[30:31]
	v_mov_b32_e32 v66, s7
	s_add_i32 s7, s6, s11
	v_mov_b32_e32 v68, s7
	s_add_i32 s7, s6, s12
	;; [unrolled: 2-line block ×3, first 2 shown]
	v_mov_b32_e32 v72, s7
	ds_read_b64 v[66:67], v66
	ds_read_b64 v[68:69], v68
	;; [unrolled: 1-line block ×4, first 2 shown]
	s_add_i32 s7, s6, s14
	s_waitcnt lgkmcnt(0)
	v_fma_f64 v[32:33], -v[8:9], v[66:67], v[32:33]
	v_mov_b32_e32 v66, s7
	s_add_i32 s7, s6, s15
	v_fma_f64 v[32:33], -v[10:11], v[68:69], v[32:33]
	v_mov_b32_e32 v68, s7
	ds_read_b64 v[66:67], v66
	ds_read_b64 v[68:69], v68
	s_add_i32 s7, s6, s16
	v_fma_f64 v[32:33], -v[12:13], v[70:71], v[32:33]
	v_mov_b32_e32 v70, s7
	s_add_i32 s7, s6, s17
	v_fma_f64 v[32:33], -v[14:15], v[72:73], v[32:33]
	v_mov_b32_e32 v72, s7
	ds_read_b64 v[70:71], v70
	ds_read_b64 v[72:73], v72
	s_add_i32 s7, s6, s18
	s_lshl_b32 s20, s0, 9
	s_waitcnt lgkmcnt(0)
	v_fma_f64 v[32:33], -v[16:17], v[66:67], v[32:33]
	v_mov_b32_e32 v66, s7
	s_add_i32 s7, s6, s19
	s_add_i32 s6, s6, s20
	v_fma_f64 v[32:33], -v[18:19], v[68:69], v[32:33]
	v_mov_b32_e32 v68, s7
	v_mov_b32_e32 v74, s6
	ds_read_b64 v[66:67], v66
	ds_read_b64 v[68:69], v68
	;; [unrolled: 1-line block ×3, first 2 shown]
	v_fma_f64 v[32:33], -v[22:23], v[70:71], v[32:33]
	v_fma_f64 v[32:33], -v[24:25], v[72:73], v[32:33]
	s_waitcnt lgkmcnt(0)
	v_fma_f64 v[32:33], -v[26:27], v[66:67], v[32:33]
	v_lshl_add_u64 v[66:67], s[0:1], 3, v[4:5]
	s_add_i32 s0, s2, -11
	v_fma_f64 v[32:33], -v[30:31], v[68:69], v[32:33]
	s_lshl_b32 s6, s0, 3
	v_mul_f64 v[32:33], v[74:75], v[32:33]
	s_add_i32 s7, s6, s10
	flat_store_dwordx2 v[66:67], v[32:33]
	v_mov_b32_e32 v66, s7
	s_add_i32 s7, s6, s11
	v_mov_b32_e32 v68, s7
	s_add_i32 s7, s6, s12
	;; [unrolled: 2-line block ×3, first 2 shown]
	v_mov_b32_e32 v72, s7
	ds_read_b64 v[66:67], v66
	ds_read_b64 v[68:69], v68
	;; [unrolled: 1-line block ×4, first 2 shown]
	s_add_i32 s7, s6, s14
	s_waitcnt lgkmcnt(0)
	v_fma_f64 v[34:35], -v[8:9], v[66:67], v[34:35]
	v_mov_b32_e32 v66, s7
	s_add_i32 s7, s6, s15
	v_fma_f64 v[34:35], -v[10:11], v[68:69], v[34:35]
	v_mov_b32_e32 v68, s7
	s_add_i32 s7, s6, s16
	v_fma_f64 v[34:35], -v[12:13], v[70:71], v[34:35]
	v_mov_b32_e32 v70, s7
	ds_read_b64 v[66:67], v66
	ds_read_b64 v[68:69], v68
	;; [unrolled: 1-line block ×3, first 2 shown]
	s_add_i32 s7, s6, s17
	v_fma_f64 v[34:35], -v[14:15], v[72:73], v[34:35]
	v_mov_b32_e32 v72, s7
	ds_read_b64 v[72:73], v72
	s_add_i32 s7, s6, s18
	s_waitcnt lgkmcnt(0)
	v_fma_f64 v[34:35], -v[16:17], v[66:67], v[34:35]
	v_mov_b32_e32 v66, s7
	s_add_i32 s7, s6, s19
	s_lshl_b32 s21, s0, 9
	v_fma_f64 v[34:35], -v[18:19], v[68:69], v[34:35]
	v_mov_b32_e32 v68, s7
	s_add_i32 s7, s6, s20
	s_add_i32 s6, s6, s21
	v_fma_f64 v[34:35], -v[22:23], v[70:71], v[34:35]
	v_mov_b32_e32 v70, s7
	v_mov_b32_e32 v74, s6
	ds_read_b64 v[66:67], v66
	ds_read_b64 v[68:69], v68
	;; [unrolled: 1-line block ×4, first 2 shown]
	v_fma_f64 v[34:35], -v[24:25], v[72:73], v[34:35]
	s_waitcnt lgkmcnt(0)
	v_fma_f64 v[34:35], -v[26:27], v[66:67], v[34:35]
	v_fma_f64 v[34:35], -v[30:31], v[68:69], v[34:35]
	v_lshl_add_u64 v[66:67], s[0:1], 3, v[4:5]
	s_add_i32 s0, s2, -12
	v_fma_f64 v[34:35], -v[32:33], v[70:71], v[34:35]
	s_lshl_b32 s6, s0, 3
	v_mul_f64 v[34:35], v[74:75], v[34:35]
	s_add_i32 s7, s6, s10
	flat_store_dwordx2 v[66:67], v[34:35]
	v_mov_b32_e32 v66, s7
	s_add_i32 s7, s6, s11
	v_mov_b32_e32 v68, s7
	s_add_i32 s7, s6, s12
	v_mov_b32_e32 v70, s7
	ds_read_b64 v[66:67], v66
	ds_read_b64 v[68:69], v68
	;; [unrolled: 1-line block ×3, first 2 shown]
	s_add_i32 s7, s6, s13
	v_mov_b32_e32 v72, s7
	s_add_i32 s7, s6, s14
	ds_read_b64 v[72:73], v72
	s_waitcnt lgkmcnt(0)
	v_fma_f64 v[38:39], -v[8:9], v[66:67], v[38:39]
	v_mov_b32_e32 v66, s7
	s_add_i32 s7, s6, s15
	v_fma_f64 v[38:39], -v[10:11], v[68:69], v[38:39]
	v_mov_b32_e32 v68, s7
	s_add_i32 s7, s6, s16
	;; [unrolled: 3-line block ×3, first 2 shown]
	v_mov_b32_e32 v74, s7
	ds_read_b64 v[66:67], v66
	ds_read_b64 v[68:69], v68
	ds_read_b64 v[70:71], v70
	ds_read_b64 v[74:75], v74
	v_fma_f64 v[38:39], -v[14:15], v[72:73], v[38:39]
	s_add_i32 s7, s6, s18
	s_waitcnt lgkmcnt(0)
	v_fma_f64 v[38:39], -v[16:17], v[66:67], v[38:39]
	v_mov_b32_e32 v66, s7
	s_add_i32 s7, s6, s19
	v_fma_f64 v[38:39], -v[18:19], v[68:69], v[38:39]
	v_mov_b32_e32 v68, s7
	s_add_i32 s7, s6, s20
	;; [unrolled: 3-line block ×3, first 2 shown]
	s_lshl_b32 s23, s0, 9
	v_mov_b32_e32 v72, s7
	s_add_i32 s6, s6, s23
	v_fma_f64 v[38:39], -v[24:25], v[74:75], v[38:39]
	ds_read_b64 v[66:67], v66
	ds_read_b64 v[68:69], v68
	;; [unrolled: 1-line block ×4, first 2 shown]
	v_mov_b32_e32 v74, s6
	ds_read_b64 v[74:75], v74
	s_waitcnt lgkmcnt(0)
	v_fma_f64 v[38:39], -v[26:27], v[66:67], v[38:39]
	v_fma_f64 v[38:39], -v[30:31], v[68:69], v[38:39]
	;; [unrolled: 1-line block ×3, first 2 shown]
	v_lshl_add_u64 v[66:67], s[0:1], 3, v[4:5]
	s_add_i32 s0, s2, -13
	v_fma_f64 v[38:39], -v[34:35], v[72:73], v[38:39]
	s_lshl_b32 s6, s0, 3
	v_mul_f64 v[38:39], v[74:75], v[38:39]
	s_add_i32 s7, s6, s10
	flat_store_dwordx2 v[66:67], v[38:39]
	v_mov_b32_e32 v66, s7
	s_add_i32 s7, s6, s11
	v_mov_b32_e32 v68, s7
	s_add_i32 s7, s6, s12
	v_mov_b32_e32 v70, s7
	ds_read_b64 v[66:67], v66
	ds_read_b64 v[68:69], v68
	;; [unrolled: 1-line block ×3, first 2 shown]
	s_add_i32 s7, s6, s13
	v_mov_b32_e32 v72, s7
	s_add_i32 s7, s6, s14
	ds_read_b64 v[72:73], v72
	s_waitcnt lgkmcnt(0)
	v_fma_f64 v[42:43], -v[8:9], v[66:67], v[42:43]
	v_mov_b32_e32 v66, s7
	s_add_i32 s7, s6, s15
	v_fma_f64 v[42:43], -v[10:11], v[68:69], v[42:43]
	v_mov_b32_e32 v68, s7
	s_add_i32 s7, s6, s16
	;; [unrolled: 3-line block ×3, first 2 shown]
	v_mov_b32_e32 v74, s7
	ds_read_b64 v[66:67], v66
	ds_read_b64 v[68:69], v68
	;; [unrolled: 1-line block ×4, first 2 shown]
	v_fma_f64 v[42:43], -v[14:15], v[72:73], v[42:43]
	s_add_i32 s7, s6, s18
	s_waitcnt lgkmcnt(0)
	v_fma_f64 v[42:43], -v[16:17], v[66:67], v[42:43]
	v_mov_b32_e32 v66, s7
	ds_read_b64 v[66:67], v66
	s_add_i32 s7, s6, s19
	v_fma_f64 v[42:43], -v[18:19], v[68:69], v[42:43]
	v_mov_b32_e32 v68, s7
	s_add_i32 s7, s6, s20
	v_fma_f64 v[42:43], -v[22:23], v[70:71], v[42:43]
	v_mov_b32_e32 v70, s7
	s_add_i32 s7, s6, s21
	v_mov_b32_e32 v72, s7
	s_lshl_b32 s24, s0, 9
	v_fma_f64 v[42:43], -v[24:25], v[74:75], v[42:43]
	ds_read_b64 v[68:69], v68
	ds_read_b64 v[70:71], v70
	;; [unrolled: 1-line block ×3, first 2 shown]
	s_add_i32 s7, s6, s23
	s_add_i32 s6, s6, s24
	s_waitcnt lgkmcnt(0)
	v_fma_f64 v[42:43], -v[26:27], v[66:67], v[42:43]
	v_mov_b32_e32 v66, s7
	v_mov_b32_e32 v74, s6
	ds_read_b64 v[66:67], v66
	ds_read_b64 v[74:75], v74
	v_fma_f64 v[42:43], -v[30:31], v[68:69], v[42:43]
	v_fma_f64 v[42:43], -v[32:33], v[70:71], v[42:43]
	;; [unrolled: 1-line block ×3, first 2 shown]
	s_waitcnt lgkmcnt(0)
	v_fma_f64 v[42:43], -v[38:39], v[66:67], v[42:43]
	v_lshl_add_u64 v[66:67], s[0:1], 3, v[4:5]
	s_add_i32 s0, s2, -14
	s_lshl_b32 s6, s0, 3
	v_mul_f64 v[42:43], v[74:75], v[42:43]
	s_add_i32 s7, s6, s10
	flat_store_dwordx2 v[66:67], v[42:43]
	v_mov_b32_e32 v66, s7
	s_add_i32 s7, s6, s11
	v_mov_b32_e32 v68, s7
	s_add_i32 s7, s6, s12
	v_mov_b32_e32 v70, s7
	ds_read_b64 v[66:67], v66
	ds_read_b64 v[68:69], v68
	ds_read_b64 v[70:71], v70
	s_add_i32 s7, s6, s13
	v_mov_b32_e32 v72, s7
	s_add_i32 s7, s6, s14
	ds_read_b64 v[72:73], v72
	s_waitcnt lgkmcnt(0)
	v_fma_f64 v[44:45], -v[8:9], v[66:67], v[44:45]
	v_mov_b32_e32 v66, s7
	s_add_i32 s7, s6, s15
	v_fma_f64 v[44:45], -v[10:11], v[68:69], v[44:45]
	v_mov_b32_e32 v68, s7
	s_add_i32 s7, s6, s16
	v_fma_f64 v[44:45], -v[12:13], v[70:71], v[44:45]
	v_mov_b32_e32 v70, s7
	s_add_i32 s7, s6, s17
	v_mov_b32_e32 v74, s7
	ds_read_b64 v[66:67], v66
	ds_read_b64 v[68:69], v68
	;; [unrolled: 1-line block ×4, first 2 shown]
	v_fma_f64 v[44:45], -v[14:15], v[72:73], v[44:45]
	s_add_i32 s7, s6, s18
	s_waitcnt lgkmcnt(0)
	v_fma_f64 v[44:45], -v[16:17], v[66:67], v[44:45]
	v_mov_b32_e32 v66, s7
	s_add_i32 s7, s6, s19
	v_fma_f64 v[44:45], -v[18:19], v[68:69], v[44:45]
	v_mov_b32_e32 v68, s7
	ds_read_b64 v[66:67], v66
	ds_read_b64 v[68:69], v68
	s_add_i32 s7, s6, s20
	v_fma_f64 v[44:45], -v[22:23], v[70:71], v[44:45]
	v_mov_b32_e32 v70, s7
	s_add_i32 s7, s6, s21
	v_mov_b32_e32 v72, s7
	v_fma_f64 v[44:45], -v[24:25], v[74:75], v[44:45]
	ds_read_b64 v[70:71], v70
	ds_read_b64 v[72:73], v72
	s_add_i32 s7, s6, s23
	s_lshl_b32 s25, s0, 9
	s_waitcnt lgkmcnt(0)
	v_fma_f64 v[44:45], -v[26:27], v[66:67], v[44:45]
	v_mov_b32_e32 v66, s7
	s_add_i32 s7, s6, s24
	s_add_i32 s6, s6, s25
	v_fma_f64 v[44:45], -v[30:31], v[68:69], v[44:45]
	v_mov_b32_e32 v68, s7
	v_mov_b32_e32 v74, s6
	ds_read_b64 v[66:67], v66
	ds_read_b64 v[68:69], v68
	;; [unrolled: 1-line block ×3, first 2 shown]
	v_fma_f64 v[44:45], -v[32:33], v[70:71], v[44:45]
	v_fma_f64 v[44:45], -v[34:35], v[72:73], v[44:45]
	s_waitcnt lgkmcnt(0)
	v_fma_f64 v[44:45], -v[38:39], v[66:67], v[44:45]
	v_lshl_add_u64 v[66:67], s[0:1], 3, v[4:5]
	s_add_i32 s0, s2, -15
	v_fma_f64 v[44:45], -v[42:43], v[68:69], v[44:45]
	s_lshl_b32 s6, s0, 3
	v_mul_f64 v[44:45], v[74:75], v[44:45]
	s_add_i32 s7, s6, s10
	flat_store_dwordx2 v[66:67], v[44:45]
	v_mov_b32_e32 v66, s7
	s_add_i32 s7, s6, s11
	v_mov_b32_e32 v68, s7
	s_add_i32 s7, s6, s12
	v_mov_b32_e32 v70, s7
	ds_read_b64 v[66:67], v66
	ds_read_b64 v[68:69], v68
	;; [unrolled: 1-line block ×3, first 2 shown]
	s_add_i32 s7, s6, s13
	v_mov_b32_e32 v72, s7
	s_add_i32 s7, s6, s14
	ds_read_b64 v[72:73], v72
	s_waitcnt lgkmcnt(0)
	v_fma_f64 v[48:49], -v[8:9], v[66:67], v[48:49]
	v_mov_b32_e32 v66, s7
	s_add_i32 s7, s6, s15
	v_fma_f64 v[48:49], -v[10:11], v[68:69], v[48:49]
	v_mov_b32_e32 v68, s7
	s_add_i32 s7, s6, s16
	;; [unrolled: 3-line block ×3, first 2 shown]
	v_mov_b32_e32 v74, s7
	ds_read_b64 v[66:67], v66
	ds_read_b64 v[68:69], v68
	;; [unrolled: 1-line block ×4, first 2 shown]
	v_fma_f64 v[48:49], -v[14:15], v[72:73], v[48:49]
	s_add_i32 s7, s6, s18
	s_waitcnt lgkmcnt(0)
	v_fma_f64 v[48:49], -v[16:17], v[66:67], v[48:49]
	v_mov_b32_e32 v66, s7
	s_add_i32 s7, s6, s19
	v_fma_f64 v[48:49], -v[18:19], v[68:69], v[48:49]
	v_mov_b32_e32 v68, s7
	s_add_i32 s7, s6, s20
	v_fma_f64 v[48:49], -v[22:23], v[70:71], v[48:49]
	v_mov_b32_e32 v70, s7
	ds_read_b64 v[66:67], v66
	ds_read_b64 v[68:69], v68
	;; [unrolled: 1-line block ×3, first 2 shown]
	s_add_i32 s7, s6, s21
	v_mov_b32_e32 v72, s7
	v_fma_f64 v[48:49], -v[24:25], v[74:75], v[48:49]
	ds_read_b64 v[72:73], v72
	s_add_i32 s7, s6, s23
	s_waitcnt lgkmcnt(0)
	v_fma_f64 v[48:49], -v[26:27], v[66:67], v[48:49]
	v_mov_b32_e32 v66, s7
	s_add_i32 s7, s6, s24
	s_lshl_b32 s26, s0, 9
	v_fma_f64 v[48:49], -v[30:31], v[68:69], v[48:49]
	v_mov_b32_e32 v68, s7
	s_add_i32 s7, s6, s25
	s_add_i32 s6, s6, s26
	v_fma_f64 v[48:49], -v[32:33], v[70:71], v[48:49]
	v_mov_b32_e32 v70, s7
	v_mov_b32_e32 v74, s6
	ds_read_b64 v[66:67], v66
	ds_read_b64 v[68:69], v68
	;; [unrolled: 1-line block ×4, first 2 shown]
	v_fma_f64 v[48:49], -v[34:35], v[72:73], v[48:49]
	s_waitcnt lgkmcnt(0)
	v_fma_f64 v[48:49], -v[38:39], v[66:67], v[48:49]
	v_fma_f64 v[48:49], -v[42:43], v[68:69], v[48:49]
	v_lshl_add_u64 v[66:67], s[0:1], 3, v[4:5]
	s_add_i32 s0, s2, -16
	v_fma_f64 v[48:49], -v[44:45], v[70:71], v[48:49]
	s_lshl_b32 s6, s0, 3
	v_mul_f64 v[48:49], v[74:75], v[48:49]
	s_add_i32 s7, s6, s10
	flat_store_dwordx2 v[66:67], v[48:49]
	v_mov_b32_e32 v66, s7
	s_add_i32 s7, s6, s11
	v_mov_b32_e32 v68, s7
	s_add_i32 s7, s6, s12
	;; [unrolled: 2-line block ×3, first 2 shown]
	v_mov_b32_e32 v72, s7
	ds_read_b64 v[66:67], v66
	ds_read_b64 v[68:69], v68
	;; [unrolled: 1-line block ×4, first 2 shown]
	s_add_i32 s7, s6, s14
	s_waitcnt lgkmcnt(0)
	v_fma_f64 v[50:51], -v[8:9], v[66:67], v[50:51]
	v_mov_b32_e32 v66, s7
	s_add_i32 s7, s6, s15
	v_fma_f64 v[50:51], -v[10:11], v[68:69], v[50:51]
	v_mov_b32_e32 v68, s7
	s_add_i32 s7, s6, s16
	v_fma_f64 v[50:51], -v[12:13], v[70:71], v[50:51]
	v_mov_b32_e32 v70, s7
	ds_read_b64 v[66:67], v66
	ds_read_b64 v[68:69], v68
	;; [unrolled: 1-line block ×3, first 2 shown]
	s_add_i32 s7, s6, s17
	v_fma_f64 v[50:51], -v[14:15], v[72:73], v[50:51]
	v_mov_b32_e32 v72, s7
	s_add_i32 s7, s6, s18
	ds_read_b64 v[72:73], v72
	s_waitcnt lgkmcnt(0)
	v_fma_f64 v[50:51], -v[16:17], v[66:67], v[50:51]
	v_mov_b32_e32 v66, s7
	s_add_i32 s7, s6, s19
	v_fma_f64 v[50:51], -v[18:19], v[68:69], v[50:51]
	v_mov_b32_e32 v68, s7
	s_add_i32 s7, s6, s20
	;; [unrolled: 3-line block ×3, first 2 shown]
	v_mov_b32_e32 v74, s7
	ds_read_b64 v[66:67], v66
	ds_read_b64 v[68:69], v68
	;; [unrolled: 1-line block ×4, first 2 shown]
	v_fma_f64 v[50:51], -v[24:25], v[72:73], v[50:51]
	s_add_i32 s7, s6, s23
	s_waitcnt lgkmcnt(0)
	v_fma_f64 v[50:51], -v[26:27], v[66:67], v[50:51]
	v_mov_b32_e32 v66, s7
	s_add_i32 s7, s6, s24
	v_fma_f64 v[50:51], -v[30:31], v[68:69], v[50:51]
	v_mov_b32_e32 v68, s7
	s_add_i32 s7, s6, s25
	;; [unrolled: 3-line block ×3, first 2 shown]
	s_lshl_b32 s27, s0, 9
	v_mov_b32_e32 v72, s7
	s_add_i32 s6, s6, s27
	v_fma_f64 v[50:51], -v[34:35], v[74:75], v[50:51]
	ds_read_b64 v[66:67], v66
	ds_read_b64 v[68:69], v68
	;; [unrolled: 1-line block ×4, first 2 shown]
	v_mov_b32_e32 v74, s6
	ds_read_b64 v[74:75], v74
	s_waitcnt lgkmcnt(0)
	v_fma_f64 v[50:51], -v[38:39], v[66:67], v[50:51]
	v_fma_f64 v[50:51], -v[42:43], v[68:69], v[50:51]
	;; [unrolled: 1-line block ×3, first 2 shown]
	v_lshl_add_u64 v[66:67], s[0:1], 3, v[4:5]
	s_sub_i32 s0, s2, 17
	v_fma_f64 v[50:51], -v[48:49], v[72:73], v[50:51]
	s_lshl_b32 s6, s0, 3
	v_mul_f64 v[50:51], v[74:75], v[50:51]
	s_add_i32 s7, s6, s10
	flat_store_dwordx2 v[66:67], v[50:51]
	v_mov_b32_e32 v66, s7
	s_add_i32 s7, s6, s11
	v_mov_b32_e32 v68, s7
	s_add_i32 s7, s6, s12
	v_mov_b32_e32 v70, s7
	s_add_i32 s7, s6, s13
	v_mov_b32_e32 v72, s7
	ds_read_b64 v[66:67], v66
	ds_read_b64 v[68:69], v68
	;; [unrolled: 1-line block ×4, first 2 shown]
	s_add_i32 s7, s6, s14
	s_waitcnt lgkmcnt(0)
	v_fma_f64 v[54:55], -v[8:9], v[66:67], v[54:55]
	v_mov_b32_e32 v66, s7
	s_add_i32 s7, s6, s15
	v_fma_f64 v[54:55], -v[10:11], v[68:69], v[54:55]
	v_mov_b32_e32 v68, s7
	s_add_i32 s7, s6, s16
	v_fma_f64 v[54:55], -v[12:13], v[70:71], v[54:55]
	v_mov_b32_e32 v70, s7
	ds_read_b64 v[66:67], v66
	ds_read_b64 v[68:69], v68
	;; [unrolled: 1-line block ×3, first 2 shown]
	s_add_i32 s7, s6, s17
	v_fma_f64 v[54:55], -v[14:15], v[72:73], v[54:55]
	v_mov_b32_e32 v72, s7
	s_add_i32 s7, s6, s18
	ds_read_b64 v[72:73], v72
	s_waitcnt lgkmcnt(0)
	v_fma_f64 v[54:55], -v[16:17], v[66:67], v[54:55]
	v_mov_b32_e32 v66, s7
	s_add_i32 s7, s6, s19
	v_fma_f64 v[54:55], -v[18:19], v[68:69], v[54:55]
	v_mov_b32_e32 v68, s7
	s_add_i32 s7, s6, s20
	;; [unrolled: 3-line block ×3, first 2 shown]
	v_mov_b32_e32 v74, s7
	ds_read_b64 v[66:67], v66
	ds_read_b64 v[68:69], v68
	ds_read_b64 v[70:71], v70
	ds_read_b64 v[74:75], v74
	v_fma_f64 v[54:55], -v[24:25], v[72:73], v[54:55]
	s_add_i32 s7, s6, s23
	s_waitcnt lgkmcnt(0)
	v_fma_f64 v[54:55], -v[26:27], v[66:67], v[54:55]
	v_mov_b32_e32 v66, s7
	ds_read_b64 v[66:67], v66
	s_add_i32 s7, s6, s24
	v_fma_f64 v[54:55], -v[30:31], v[68:69], v[54:55]
	v_mov_b32_e32 v68, s7
	s_add_i32 s7, s6, s25
	v_fma_f64 v[54:55], -v[32:33], v[70:71], v[54:55]
	v_mov_b32_e32 v70, s7
	s_add_i32 s7, s6, s26
	v_mov_b32_e32 v72, s7
	s_lshl_b32 s28, s0, 9
	v_fma_f64 v[54:55], -v[34:35], v[74:75], v[54:55]
	ds_read_b64 v[68:69], v68
	ds_read_b64 v[70:71], v70
	;; [unrolled: 1-line block ×3, first 2 shown]
	s_add_i32 s7, s6, s27
	s_add_i32 s6, s6, s28
	s_waitcnt lgkmcnt(0)
	v_fma_f64 v[54:55], -v[38:39], v[66:67], v[54:55]
	v_mov_b32_e32 v66, s7
	v_mov_b32_e32 v74, s6
	ds_read_b64 v[66:67], v66
	ds_read_b64 v[74:75], v74
	v_fma_f64 v[54:55], -v[42:43], v[68:69], v[54:55]
	v_fma_f64 v[54:55], -v[44:45], v[70:71], v[54:55]
	;; [unrolled: 1-line block ×3, first 2 shown]
	s_waitcnt lgkmcnt(0)
	v_fma_f64 v[54:55], -v[50:51], v[66:67], v[54:55]
	v_lshl_add_u64 v[66:67], s[0:1], 3, v[4:5]
	s_sub_i32 s0, s2, 18
	s_lshl_b32 s6, s0, 3
	v_mul_f64 v[54:55], v[74:75], v[54:55]
	s_add_i32 s7, s6, s10
	flat_store_dwordx2 v[66:67], v[54:55]
	v_mov_b32_e32 v66, s7
	s_add_i32 s7, s6, s11
	v_mov_b32_e32 v68, s7
	s_add_i32 s7, s6, s12
	;; [unrolled: 2-line block ×3, first 2 shown]
	v_mov_b32_e32 v72, s7
	ds_read_b64 v[66:67], v66
	ds_read_b64 v[68:69], v68
	;; [unrolled: 1-line block ×4, first 2 shown]
	s_add_i32 s7, s6, s14
	s_waitcnt lgkmcnt(0)
	v_fma_f64 v[58:59], -v[8:9], v[66:67], v[58:59]
	v_mov_b32_e32 v66, s7
	s_add_i32 s7, s6, s15
	v_fma_f64 v[58:59], -v[10:11], v[68:69], v[58:59]
	v_mov_b32_e32 v68, s7
	s_add_i32 s7, s6, s16
	v_fma_f64 v[58:59], -v[12:13], v[70:71], v[58:59]
	v_mov_b32_e32 v70, s7
	ds_read_b64 v[66:67], v66
	ds_read_b64 v[68:69], v68
	;; [unrolled: 1-line block ×3, first 2 shown]
	s_add_i32 s7, s6, s17
	v_fma_f64 v[58:59], -v[14:15], v[72:73], v[58:59]
	v_mov_b32_e32 v72, s7
	s_add_i32 s7, s6, s18
	ds_read_b64 v[72:73], v72
	s_waitcnt lgkmcnt(0)
	v_fma_f64 v[58:59], -v[16:17], v[66:67], v[58:59]
	v_mov_b32_e32 v66, s7
	s_add_i32 s7, s6, s19
	v_fma_f64 v[58:59], -v[18:19], v[68:69], v[58:59]
	v_mov_b32_e32 v68, s7
	s_add_i32 s7, s6, s20
	;; [unrolled: 3-line block ×3, first 2 shown]
	v_mov_b32_e32 v74, s7
	ds_read_b64 v[66:67], v66
	ds_read_b64 v[68:69], v68
	;; [unrolled: 1-line block ×4, first 2 shown]
	v_fma_f64 v[58:59], -v[24:25], v[72:73], v[58:59]
	s_add_i32 s7, s6, s23
	s_waitcnt lgkmcnt(0)
	v_fma_f64 v[58:59], -v[26:27], v[66:67], v[58:59]
	v_mov_b32_e32 v66, s7
	s_add_i32 s7, s6, s24
	v_fma_f64 v[58:59], -v[30:31], v[68:69], v[58:59]
	v_mov_b32_e32 v68, s7
	ds_read_b64 v[66:67], v66
	ds_read_b64 v[68:69], v68
	s_add_i32 s7, s6, s25
	v_fma_f64 v[58:59], -v[32:33], v[70:71], v[58:59]
	v_mov_b32_e32 v70, s7
	s_add_i32 s7, s6, s26
	v_mov_b32_e32 v72, s7
	v_fma_f64 v[58:59], -v[34:35], v[74:75], v[58:59]
	ds_read_b64 v[70:71], v70
	ds_read_b64 v[72:73], v72
	s_add_i32 s7, s6, s27
	s_lshl_b32 s29, s0, 9
	s_waitcnt lgkmcnt(0)
	v_fma_f64 v[58:59], -v[38:39], v[66:67], v[58:59]
	v_mov_b32_e32 v66, s7
	s_add_i32 s7, s6, s28
	s_add_i32 s6, s6, s29
	v_fma_f64 v[58:59], -v[42:43], v[68:69], v[58:59]
	v_mov_b32_e32 v68, s7
	v_mov_b32_e32 v74, s6
	ds_read_b64 v[66:67], v66
	ds_read_b64 v[68:69], v68
	;; [unrolled: 1-line block ×3, first 2 shown]
	v_fma_f64 v[58:59], -v[44:45], v[70:71], v[58:59]
	v_fma_f64 v[58:59], -v[48:49], v[72:73], v[58:59]
	s_waitcnt lgkmcnt(0)
	v_fma_f64 v[58:59], -v[50:51], v[66:67], v[58:59]
	v_lshl_add_u64 v[66:67], s[0:1], 3, v[4:5]
	s_sub_i32 s0, s2, 19
	v_fma_f64 v[58:59], -v[54:55], v[68:69], v[58:59]
	s_lshl_b32 s6, s0, 3
	v_mul_f64 v[58:59], v[74:75], v[58:59]
	s_add_i32 s7, s6, s10
	flat_store_dwordx2 v[66:67], v[58:59]
	v_mov_b32_e32 v66, s7
	s_add_i32 s7, s6, s11
	v_mov_b32_e32 v68, s7
	s_add_i32 s7, s6, s12
	;; [unrolled: 2-line block ×3, first 2 shown]
	v_mov_b32_e32 v72, s7
	ds_read_b64 v[66:67], v66
	ds_read_b64 v[68:69], v68
	;; [unrolled: 1-line block ×4, first 2 shown]
	s_add_i32 s7, s6, s14
	s_waitcnt lgkmcnt(0)
	v_fma_f64 v[62:63], -v[8:9], v[66:67], v[62:63]
	v_mov_b32_e32 v66, s7
	s_add_i32 s7, s6, s15
	v_fma_f64 v[62:63], -v[10:11], v[68:69], v[62:63]
	v_mov_b32_e32 v68, s7
	s_add_i32 s7, s6, s16
	v_fma_f64 v[62:63], -v[12:13], v[70:71], v[62:63]
	v_mov_b32_e32 v70, s7
	ds_read_b64 v[66:67], v66
	ds_read_b64 v[68:69], v68
	;; [unrolled: 1-line block ×3, first 2 shown]
	s_add_i32 s7, s6, s17
	v_fma_f64 v[62:63], -v[14:15], v[72:73], v[62:63]
	v_mov_b32_e32 v72, s7
	s_add_i32 s7, s6, s18
	ds_read_b64 v[72:73], v72
	s_waitcnt lgkmcnt(0)
	v_fma_f64 v[62:63], -v[16:17], v[66:67], v[62:63]
	v_mov_b32_e32 v66, s7
	s_add_i32 s7, s6, s19
	v_fma_f64 v[62:63], -v[18:19], v[68:69], v[62:63]
	v_mov_b32_e32 v68, s7
	s_add_i32 s7, s6, s20
	;; [unrolled: 3-line block ×3, first 2 shown]
	v_mov_b32_e32 v74, s7
	ds_read_b64 v[66:67], v66
	ds_read_b64 v[68:69], v68
	;; [unrolled: 1-line block ×4, first 2 shown]
	v_fma_f64 v[62:63], -v[24:25], v[72:73], v[62:63]
	s_add_i32 s7, s6, s23
	s_waitcnt lgkmcnt(0)
	v_fma_f64 v[62:63], -v[26:27], v[66:67], v[62:63]
	v_mov_b32_e32 v66, s7
	s_add_i32 s7, s6, s24
	v_fma_f64 v[62:63], -v[30:31], v[68:69], v[62:63]
	v_mov_b32_e32 v68, s7
	s_add_i32 s7, s6, s25
	v_fma_f64 v[62:63], -v[32:33], v[70:71], v[62:63]
	v_mov_b32_e32 v70, s7
	ds_read_b64 v[66:67], v66
	ds_read_b64 v[68:69], v68
	ds_read_b64 v[70:71], v70
	s_add_i32 s7, s6, s26
	v_mov_b32_e32 v72, s7
	v_fma_f64 v[62:63], -v[34:35], v[74:75], v[62:63]
	ds_read_b64 v[72:73], v72
	s_add_i32 s7, s6, s27
	s_waitcnt lgkmcnt(0)
	v_fma_f64 v[62:63], -v[38:39], v[66:67], v[62:63]
	v_mov_b32_e32 v66, s7
	s_add_i32 s7, s6, s28
	s_lshl_b32 s30, s0, 9
	v_fma_f64 v[62:63], -v[42:43], v[68:69], v[62:63]
	v_mov_b32_e32 v68, s7
	s_add_i32 s7, s6, s29
	s_add_i32 s6, s6, s30
	v_fma_f64 v[62:63], -v[44:45], v[70:71], v[62:63]
	v_mov_b32_e32 v70, s7
	v_mov_b32_e32 v74, s6
	ds_read_b64 v[66:67], v66
	ds_read_b64 v[68:69], v68
	;; [unrolled: 1-line block ×4, first 2 shown]
	v_fma_f64 v[62:63], -v[48:49], v[72:73], v[62:63]
	s_waitcnt lgkmcnt(0)
	v_fma_f64 v[62:63], -v[50:51], v[66:67], v[62:63]
	v_fma_f64 v[62:63], -v[54:55], v[68:69], v[62:63]
	v_lshl_add_u64 v[66:67], s[0:1], 3, v[4:5]
	s_sub_i32 s0, s2, 20
	v_fma_f64 v[62:63], -v[58:59], v[70:71], v[62:63]
	s_lshl_b32 s6, s0, 3
	v_mul_f64 v[62:63], v[74:75], v[62:63]
	s_add_i32 s7, s6, s10
	flat_store_dwordx2 v[66:67], v[62:63]
	v_mov_b32_e32 v66, s7
	s_add_i32 s7, s6, s11
	v_mov_b32_e32 v68, s7
	s_add_i32 s7, s6, s12
	v_mov_b32_e32 v70, s7
	ds_read_b64 v[66:67], v66
	ds_read_b64 v[68:69], v68
	;; [unrolled: 1-line block ×3, first 2 shown]
	s_add_i32 s7, s6, s13
	v_mov_b32_e32 v72, s7
	s_add_i32 s7, s6, s14
	ds_read_b64 v[72:73], v72
	s_waitcnt lgkmcnt(0)
	v_fma_f64 v[64:65], -v[8:9], v[66:67], v[64:65]
	v_mov_b32_e32 v66, s7
	s_add_i32 s7, s6, s15
	v_fma_f64 v[64:65], -v[10:11], v[68:69], v[64:65]
	v_mov_b32_e32 v68, s7
	s_add_i32 s7, s6, s16
	;; [unrolled: 3-line block ×3, first 2 shown]
	v_mov_b32_e32 v74, s7
	ds_read_b64 v[66:67], v66
	ds_read_b64 v[68:69], v68
	;; [unrolled: 1-line block ×4, first 2 shown]
	v_fma_f64 v[64:65], -v[14:15], v[72:73], v[64:65]
	s_add_i32 s7, s6, s18
	s_waitcnt lgkmcnt(0)
	v_fma_f64 v[64:65], -v[16:17], v[66:67], v[64:65]
	v_mov_b32_e32 v66, s7
	s_add_i32 s7, s6, s19
	v_fma_f64 v[64:65], -v[18:19], v[68:69], v[64:65]
	v_mov_b32_e32 v68, s7
	s_add_i32 s7, s6, s20
	v_fma_f64 v[64:65], -v[22:23], v[70:71], v[64:65]
	v_mov_b32_e32 v70, s7
	ds_read_b64 v[66:67], v66
	ds_read_b64 v[68:69], v68
	;; [unrolled: 1-line block ×3, first 2 shown]
	s_add_i32 s7, s6, s21
	v_fma_f64 v[64:65], -v[24:25], v[74:75], v[64:65]
	v_mov_b32_e32 v72, s7
	s_add_i32 s7, s6, s23
	ds_read_b64 v[72:73], v72
	s_waitcnt lgkmcnt(0)
	v_fma_f64 v[64:65], -v[26:27], v[66:67], v[64:65]
	v_mov_b32_e32 v66, s7
	s_add_i32 s7, s6, s24
	v_fma_f64 v[64:65], -v[30:31], v[68:69], v[64:65]
	v_mov_b32_e32 v68, s7
	s_add_i32 s7, s6, s25
	;; [unrolled: 3-line block ×3, first 2 shown]
	v_mov_b32_e32 v74, s7
	ds_read_b64 v[66:67], v66
	ds_read_b64 v[68:69], v68
	;; [unrolled: 1-line block ×4, first 2 shown]
	v_fma_f64 v[64:65], -v[34:35], v[72:73], v[64:65]
	s_add_i32 s7, s6, s27
	s_waitcnt lgkmcnt(0)
	v_fma_f64 v[64:65], -v[38:39], v[66:67], v[64:65]
	v_mov_b32_e32 v66, s7
	s_add_i32 s7, s6, s28
	v_fma_f64 v[64:65], -v[42:43], v[68:69], v[64:65]
	v_mov_b32_e32 v68, s7
	s_add_i32 s7, s6, s29
	v_fma_f64 v[64:65], -v[44:45], v[70:71], v[64:65]
	v_mov_b32_e32 v70, s7
	s_add_i32 s7, s6, s30
	s_lshl_b32 s31, s0, 9
	v_mov_b32_e32 v72, s7
	s_add_i32 s6, s6, s31
	v_fma_f64 v[64:65], -v[48:49], v[74:75], v[64:65]
	ds_read_b64 v[66:67], v66
	ds_read_b64 v[68:69], v68
	ds_read_b64 v[70:71], v70
	ds_read_b64 v[72:73], v72
	v_mov_b32_e32 v74, s6
	ds_read_b64 v[74:75], v74
	s_waitcnt lgkmcnt(0)
	v_fma_f64 v[64:65], -v[50:51], v[66:67], v[64:65]
	v_fma_f64 v[64:65], -v[54:55], v[68:69], v[64:65]
	;; [unrolled: 1-line block ×3, first 2 shown]
	v_lshl_add_u64 v[66:67], s[0:1], 3, v[4:5]
	s_sub_i32 s0, s2, 21
	v_fma_f64 v[64:65], -v[62:63], v[72:73], v[64:65]
	s_lshl_b32 s6, s0, 3
	v_mul_f64 v[64:65], v[74:75], v[64:65]
	s_add_i32 s7, s6, s10
	flat_store_dwordx2 v[66:67], v[64:65]
	v_mov_b32_e32 v66, s7
	s_add_i32 s7, s6, s11
	v_mov_b32_e32 v68, s7
	s_add_i32 s7, s6, s12
	v_mov_b32_e32 v70, s7
	ds_read_b64 v[66:67], v66
	ds_read_b64 v[68:69], v68
	;; [unrolled: 1-line block ×3, first 2 shown]
	s_add_i32 s7, s6, s13
	v_mov_b32_e32 v72, s7
	s_add_i32 s7, s6, s14
	ds_read_b64 v[72:73], v72
	s_waitcnt lgkmcnt(0)
	v_fma_f64 v[60:61], -v[8:9], v[66:67], v[60:61]
	v_mov_b32_e32 v66, s7
	s_add_i32 s7, s6, s15
	v_fma_f64 v[60:61], -v[10:11], v[68:69], v[60:61]
	v_mov_b32_e32 v68, s7
	s_add_i32 s7, s6, s16
	;; [unrolled: 3-line block ×3, first 2 shown]
	v_mov_b32_e32 v74, s7
	ds_read_b64 v[66:67], v66
	ds_read_b64 v[68:69], v68
	;; [unrolled: 1-line block ×4, first 2 shown]
	v_fma_f64 v[60:61], -v[14:15], v[72:73], v[60:61]
	s_add_i32 s7, s6, s18
	s_waitcnt lgkmcnt(0)
	v_fma_f64 v[60:61], -v[16:17], v[66:67], v[60:61]
	v_mov_b32_e32 v66, s7
	s_add_i32 s7, s6, s19
	v_fma_f64 v[60:61], -v[18:19], v[68:69], v[60:61]
	v_mov_b32_e32 v68, s7
	s_add_i32 s7, s6, s20
	v_fma_f64 v[60:61], -v[22:23], v[70:71], v[60:61]
	v_mov_b32_e32 v70, s7
	ds_read_b64 v[66:67], v66
	ds_read_b64 v[68:69], v68
	ds_read_b64 v[70:71], v70
	s_add_i32 s7, s6, s21
	v_fma_f64 v[60:61], -v[24:25], v[74:75], v[60:61]
	v_mov_b32_e32 v72, s7
	s_add_i32 s7, s6, s23
	ds_read_b64 v[72:73], v72
	s_waitcnt lgkmcnt(0)
	v_fma_f64 v[60:61], -v[26:27], v[66:67], v[60:61]
	v_mov_b32_e32 v66, s7
	s_add_i32 s7, s6, s24
	v_fma_f64 v[60:61], -v[30:31], v[68:69], v[60:61]
	v_mov_b32_e32 v68, s7
	s_add_i32 s7, s6, s25
	;; [unrolled: 3-line block ×3, first 2 shown]
	v_mov_b32_e32 v74, s7
	ds_read_b64 v[66:67], v66
	ds_read_b64 v[68:69], v68
	;; [unrolled: 1-line block ×4, first 2 shown]
	v_fma_f64 v[60:61], -v[34:35], v[72:73], v[60:61]
	s_add_i32 s7, s6, s27
	s_waitcnt lgkmcnt(0)
	v_fma_f64 v[60:61], -v[38:39], v[66:67], v[60:61]
	v_mov_b32_e32 v66, s7
	ds_read_b64 v[66:67], v66
	s_add_i32 s7, s6, s28
	v_fma_f64 v[60:61], -v[42:43], v[68:69], v[60:61]
	v_mov_b32_e32 v68, s7
	s_add_i32 s7, s6, s29
	v_fma_f64 v[60:61], -v[44:45], v[70:71], v[60:61]
	v_mov_b32_e32 v70, s7
	s_add_i32 s7, s6, s30
	v_mov_b32_e32 v72, s7
	s_lshl_b32 s33, s0, 9
	v_fma_f64 v[60:61], -v[48:49], v[74:75], v[60:61]
	ds_read_b64 v[68:69], v68
	ds_read_b64 v[70:71], v70
	;; [unrolled: 1-line block ×3, first 2 shown]
	s_add_i32 s7, s6, s31
	s_add_i32 s6, s6, s33
	s_waitcnt lgkmcnt(0)
	v_fma_f64 v[60:61], -v[50:51], v[66:67], v[60:61]
	v_mov_b32_e32 v66, s7
	v_mov_b32_e32 v74, s6
	ds_read_b64 v[66:67], v66
	ds_read_b64 v[74:75], v74
	v_fma_f64 v[60:61], -v[54:55], v[68:69], v[60:61]
	v_fma_f64 v[60:61], -v[58:59], v[70:71], v[60:61]
	;; [unrolled: 1-line block ×3, first 2 shown]
	s_waitcnt lgkmcnt(0)
	v_fma_f64 v[60:61], -v[64:65], v[66:67], v[60:61]
	v_lshl_add_u64 v[66:67], s[0:1], 3, v[4:5]
	s_sub_i32 s0, s2, 22
	s_lshl_b32 s6, s0, 3
	v_mul_f64 v[60:61], v[74:75], v[60:61]
	s_add_i32 s7, s6, s10
	flat_store_dwordx2 v[66:67], v[60:61]
	v_mov_b32_e32 v66, s7
	s_add_i32 s7, s6, s11
	v_mov_b32_e32 v68, s7
	s_add_i32 s7, s6, s12
	v_mov_b32_e32 v70, s7
	ds_read_b64 v[66:67], v66
	ds_read_b64 v[68:69], v68
	;; [unrolled: 1-line block ×3, first 2 shown]
	s_add_i32 s7, s6, s13
	v_mov_b32_e32 v72, s7
	s_add_i32 s7, s6, s14
	ds_read_b64 v[72:73], v72
	s_waitcnt lgkmcnt(0)
	v_fma_f64 v[56:57], -v[8:9], v[66:67], v[56:57]
	v_mov_b32_e32 v66, s7
	s_add_i32 s7, s6, s15
	v_fma_f64 v[56:57], -v[10:11], v[68:69], v[56:57]
	v_mov_b32_e32 v68, s7
	s_add_i32 s7, s6, s16
	;; [unrolled: 3-line block ×3, first 2 shown]
	v_mov_b32_e32 v74, s7
	ds_read_b64 v[66:67], v66
	ds_read_b64 v[68:69], v68
	;; [unrolled: 1-line block ×4, first 2 shown]
	v_fma_f64 v[56:57], -v[14:15], v[72:73], v[56:57]
	s_add_i32 s7, s6, s18
	s_waitcnt lgkmcnt(0)
	v_fma_f64 v[56:57], -v[16:17], v[66:67], v[56:57]
	v_mov_b32_e32 v66, s7
	s_add_i32 s7, s6, s19
	v_fma_f64 v[56:57], -v[18:19], v[68:69], v[56:57]
	v_mov_b32_e32 v68, s7
	s_add_i32 s7, s6, s20
	v_fma_f64 v[56:57], -v[22:23], v[70:71], v[56:57]
	v_mov_b32_e32 v70, s7
	ds_read_b64 v[66:67], v66
	ds_read_b64 v[68:69], v68
	;; [unrolled: 1-line block ×3, first 2 shown]
	s_add_i32 s7, s6, s21
	v_fma_f64 v[56:57], -v[24:25], v[74:75], v[56:57]
	v_mov_b32_e32 v72, s7
	s_add_i32 s7, s6, s23
	ds_read_b64 v[72:73], v72
	s_waitcnt lgkmcnt(0)
	v_fma_f64 v[56:57], -v[26:27], v[66:67], v[56:57]
	v_mov_b32_e32 v66, s7
	s_add_i32 s7, s6, s24
	v_fma_f64 v[56:57], -v[30:31], v[68:69], v[56:57]
	v_mov_b32_e32 v68, s7
	s_add_i32 s7, s6, s25
	;; [unrolled: 3-line block ×3, first 2 shown]
	v_mov_b32_e32 v74, s7
	ds_read_b64 v[66:67], v66
	ds_read_b64 v[68:69], v68
	;; [unrolled: 1-line block ×4, first 2 shown]
	v_fma_f64 v[56:57], -v[34:35], v[72:73], v[56:57]
	s_add_i32 s7, s6, s27
	s_waitcnt lgkmcnt(0)
	v_fma_f64 v[56:57], -v[38:39], v[66:67], v[56:57]
	v_mov_b32_e32 v66, s7
	s_add_i32 s7, s6, s28
	v_fma_f64 v[56:57], -v[42:43], v[68:69], v[56:57]
	v_mov_b32_e32 v68, s7
	ds_read_b64 v[66:67], v66
	ds_read_b64 v[68:69], v68
	s_add_i32 s7, s6, s29
	v_fma_f64 v[56:57], -v[44:45], v[70:71], v[56:57]
	v_mov_b32_e32 v70, s7
	s_add_i32 s7, s6, s30
	v_mov_b32_e32 v72, s7
	v_fma_f64 v[56:57], -v[48:49], v[74:75], v[56:57]
	ds_read_b64 v[70:71], v70
	ds_read_b64 v[72:73], v72
	s_add_i32 s7, s6, s31
	s_lshl_b32 s34, s0, 9
	s_waitcnt lgkmcnt(0)
	v_fma_f64 v[56:57], -v[50:51], v[66:67], v[56:57]
	v_mov_b32_e32 v66, s7
	s_add_i32 s7, s6, s33
	s_add_i32 s6, s6, s34
	v_fma_f64 v[56:57], -v[54:55], v[68:69], v[56:57]
	v_mov_b32_e32 v68, s7
	v_mov_b32_e32 v74, s6
	ds_read_b64 v[66:67], v66
	ds_read_b64 v[68:69], v68
	;; [unrolled: 1-line block ×3, first 2 shown]
	v_fma_f64 v[56:57], -v[58:59], v[70:71], v[56:57]
	v_fma_f64 v[56:57], -v[62:63], v[72:73], v[56:57]
	s_waitcnt lgkmcnt(0)
	v_fma_f64 v[56:57], -v[64:65], v[66:67], v[56:57]
	v_lshl_add_u64 v[66:67], s[0:1], 3, v[4:5]
	s_sub_i32 s0, s2, 23
	v_fma_f64 v[56:57], -v[60:61], v[68:69], v[56:57]
	s_lshl_b32 s6, s0, 3
	v_mul_f64 v[56:57], v[74:75], v[56:57]
	s_add_i32 s7, s6, s10
	flat_store_dwordx2 v[66:67], v[56:57]
	v_mov_b32_e32 v66, s7
	s_add_i32 s7, s6, s11
	v_mov_b32_e32 v68, s7
	s_add_i32 s7, s6, s12
	v_mov_b32_e32 v70, s7
	ds_read_b64 v[66:67], v66
	ds_read_b64 v[68:69], v68
	;; [unrolled: 1-line block ×3, first 2 shown]
	s_add_i32 s7, s6, s13
	v_mov_b32_e32 v72, s7
	s_add_i32 s7, s6, s14
	ds_read_b64 v[72:73], v72
	s_waitcnt lgkmcnt(0)
	v_fma_f64 v[52:53], -v[8:9], v[66:67], v[52:53]
	v_mov_b32_e32 v66, s7
	s_add_i32 s7, s6, s15
	v_fma_f64 v[52:53], -v[10:11], v[68:69], v[52:53]
	v_mov_b32_e32 v68, s7
	s_add_i32 s7, s6, s16
	;; [unrolled: 3-line block ×3, first 2 shown]
	v_mov_b32_e32 v74, s7
	ds_read_b64 v[66:67], v66
	ds_read_b64 v[68:69], v68
	;; [unrolled: 1-line block ×4, first 2 shown]
	v_fma_f64 v[52:53], -v[14:15], v[72:73], v[52:53]
	s_add_i32 s7, s6, s18
	s_waitcnt lgkmcnt(0)
	v_fma_f64 v[52:53], -v[16:17], v[66:67], v[52:53]
	v_mov_b32_e32 v66, s7
	s_add_i32 s7, s6, s19
	v_fma_f64 v[52:53], -v[18:19], v[68:69], v[52:53]
	v_mov_b32_e32 v68, s7
	s_add_i32 s7, s6, s20
	v_fma_f64 v[52:53], -v[22:23], v[70:71], v[52:53]
	v_mov_b32_e32 v70, s7
	ds_read_b64 v[66:67], v66
	ds_read_b64 v[68:69], v68
	;; [unrolled: 1-line block ×3, first 2 shown]
	s_add_i32 s7, s6, s21
	v_fma_f64 v[52:53], -v[24:25], v[74:75], v[52:53]
	v_mov_b32_e32 v72, s7
	s_add_i32 s7, s6, s23
	ds_read_b64 v[72:73], v72
	s_waitcnt lgkmcnt(0)
	v_fma_f64 v[52:53], -v[26:27], v[66:67], v[52:53]
	v_mov_b32_e32 v66, s7
	s_add_i32 s7, s6, s24
	v_fma_f64 v[52:53], -v[30:31], v[68:69], v[52:53]
	v_mov_b32_e32 v68, s7
	s_add_i32 s7, s6, s25
	;; [unrolled: 3-line block ×3, first 2 shown]
	v_mov_b32_e32 v74, s7
	ds_read_b64 v[66:67], v66
	ds_read_b64 v[68:69], v68
	;; [unrolled: 1-line block ×4, first 2 shown]
	v_fma_f64 v[52:53], -v[34:35], v[72:73], v[52:53]
	s_add_i32 s7, s6, s27
	s_waitcnt lgkmcnt(0)
	v_fma_f64 v[52:53], -v[38:39], v[66:67], v[52:53]
	v_mov_b32_e32 v66, s7
	s_add_i32 s7, s6, s28
	v_fma_f64 v[52:53], -v[42:43], v[68:69], v[52:53]
	v_mov_b32_e32 v68, s7
	s_add_i32 s7, s6, s29
	v_fma_f64 v[52:53], -v[44:45], v[70:71], v[52:53]
	v_mov_b32_e32 v70, s7
	ds_read_b64 v[66:67], v66
	ds_read_b64 v[68:69], v68
	;; [unrolled: 1-line block ×3, first 2 shown]
	s_add_i32 s7, s6, s30
	v_mov_b32_e32 v72, s7
	v_fma_f64 v[52:53], -v[48:49], v[74:75], v[52:53]
	ds_read_b64 v[72:73], v72
	s_add_i32 s7, s6, s31
	s_waitcnt lgkmcnt(0)
	v_fma_f64 v[52:53], -v[50:51], v[66:67], v[52:53]
	v_mov_b32_e32 v66, s7
	s_add_i32 s7, s6, s33
	s_lshl_b32 s35, s0, 9
	v_fma_f64 v[52:53], -v[54:55], v[68:69], v[52:53]
	v_mov_b32_e32 v68, s7
	s_add_i32 s7, s6, s34
	s_add_i32 s6, s6, s35
	v_fma_f64 v[52:53], -v[58:59], v[70:71], v[52:53]
	v_mov_b32_e32 v70, s7
	v_mov_b32_e32 v74, s6
	ds_read_b64 v[66:67], v66
	ds_read_b64 v[68:69], v68
	;; [unrolled: 1-line block ×4, first 2 shown]
	v_fma_f64 v[52:53], -v[62:63], v[72:73], v[52:53]
	s_waitcnt lgkmcnt(0)
	v_fma_f64 v[52:53], -v[64:65], v[66:67], v[52:53]
	v_fma_f64 v[52:53], -v[60:61], v[68:69], v[52:53]
	v_lshl_add_u64 v[66:67], s[0:1], 3, v[4:5]
	s_sub_i32 s0, s2, 24
	v_fma_f64 v[52:53], -v[56:57], v[70:71], v[52:53]
	s_lshl_b32 s6, s0, 3
	v_mul_f64 v[52:53], v[74:75], v[52:53]
	s_add_i32 s7, s6, s10
	flat_store_dwordx2 v[66:67], v[52:53]
	v_mov_b32_e32 v66, s7
	s_add_i32 s7, s6, s11
	v_mov_b32_e32 v68, s7
	s_add_i32 s7, s6, s12
	;; [unrolled: 2-line block ×3, first 2 shown]
	v_mov_b32_e32 v72, s7
	ds_read_b64 v[66:67], v66
	ds_read_b64 v[68:69], v68
	;; [unrolled: 1-line block ×4, first 2 shown]
	s_add_i32 s7, s6, s14
	s_waitcnt lgkmcnt(0)
	v_fma_f64 v[46:47], -v[8:9], v[66:67], v[46:47]
	v_mov_b32_e32 v66, s7
	s_add_i32 s7, s6, s15
	v_fma_f64 v[46:47], -v[10:11], v[68:69], v[46:47]
	v_mov_b32_e32 v68, s7
	s_add_i32 s7, s6, s16
	v_fma_f64 v[46:47], -v[12:13], v[70:71], v[46:47]
	v_mov_b32_e32 v70, s7
	ds_read_b64 v[66:67], v66
	ds_read_b64 v[68:69], v68
	ds_read_b64 v[70:71], v70
	s_add_i32 s7, s6, s17
	v_fma_f64 v[46:47], -v[14:15], v[72:73], v[46:47]
	v_mov_b32_e32 v72, s7
	s_add_i32 s7, s6, s18
	ds_read_b64 v[72:73], v72
	s_waitcnt lgkmcnt(0)
	v_fma_f64 v[46:47], -v[16:17], v[66:67], v[46:47]
	v_mov_b32_e32 v66, s7
	s_add_i32 s7, s6, s19
	v_fma_f64 v[46:47], -v[18:19], v[68:69], v[46:47]
	v_mov_b32_e32 v68, s7
	s_add_i32 s7, s6, s20
	;; [unrolled: 3-line block ×3, first 2 shown]
	v_mov_b32_e32 v74, s7
	ds_read_b64 v[66:67], v66
	ds_read_b64 v[68:69], v68
	;; [unrolled: 1-line block ×4, first 2 shown]
	v_fma_f64 v[46:47], -v[24:25], v[72:73], v[46:47]
	s_add_i32 s7, s6, s23
	s_waitcnt lgkmcnt(0)
	v_fma_f64 v[46:47], -v[26:27], v[66:67], v[46:47]
	v_mov_b32_e32 v66, s7
	s_add_i32 s7, s6, s24
	v_fma_f64 v[46:47], -v[30:31], v[68:69], v[46:47]
	v_mov_b32_e32 v68, s7
	s_add_i32 s7, s6, s25
	v_fma_f64 v[46:47], -v[32:33], v[70:71], v[46:47]
	v_mov_b32_e32 v70, s7
	ds_read_b64 v[66:67], v66
	ds_read_b64 v[68:69], v68
	ds_read_b64 v[70:71], v70
	s_add_i32 s7, s6, s26
	v_fma_f64 v[46:47], -v[34:35], v[74:75], v[46:47]
	v_mov_b32_e32 v72, s7
	s_add_i32 s7, s6, s27
	ds_read_b64 v[72:73], v72
	s_waitcnt lgkmcnt(0)
	v_fma_f64 v[46:47], -v[38:39], v[66:67], v[46:47]
	v_mov_b32_e32 v66, s7
	s_add_i32 s7, s6, s28
	v_fma_f64 v[46:47], -v[42:43], v[68:69], v[46:47]
	v_mov_b32_e32 v68, s7
	s_add_i32 s7, s6, s29
	;; [unrolled: 3-line block ×3, first 2 shown]
	v_mov_b32_e32 v74, s7
	ds_read_b64 v[66:67], v66
	ds_read_b64 v[68:69], v68
	;; [unrolled: 1-line block ×4, first 2 shown]
	v_fma_f64 v[46:47], -v[48:49], v[72:73], v[46:47]
	s_add_i32 s7, s6, s31
	s_waitcnt lgkmcnt(0)
	v_fma_f64 v[46:47], -v[50:51], v[66:67], v[46:47]
	v_mov_b32_e32 v66, s7
	s_add_i32 s7, s6, s33
	v_fma_f64 v[46:47], -v[54:55], v[68:69], v[46:47]
	v_mov_b32_e32 v68, s7
	s_add_i32 s7, s6, s34
	s_add_i32 s6, s6, s35
	v_fma_f64 v[46:47], -v[58:59], v[70:71], v[46:47]
	v_mov_b32_e32 v70, s7
	v_mov_b32_e32 v72, s6
	s_add_i32 s6, s3, 0xffffcf40
	v_fma_f64 v[46:47], -v[62:63], v[74:75], v[46:47]
	ds_read_b64 v[66:67], v66
	ds_read_b64 v[68:69], v68
	;; [unrolled: 1-line block ×4, first 2 shown]
	v_mov_b32_e32 v74, s6
	ds_read_b64 v[74:75], v74
	s_waitcnt lgkmcnt(0)
	v_fma_f64 v[46:47], -v[64:65], v[66:67], v[46:47]
	v_fma_f64 v[46:47], -v[60:61], v[68:69], v[46:47]
	;; [unrolled: 1-line block ×3, first 2 shown]
	s_sub_i32 s6, s2, 25
	v_fma_f64 v[46:47], -v[52:53], v[72:73], v[46:47]
	s_lshl_b32 s7, s6, 3
	v_mul_f64 v[46:47], v[74:75], v[46:47]
	v_lshl_add_u64 v[66:67], s[0:1], 3, v[4:5]
	s_add_i32 s36, s7, s10
	flat_store_dwordx2 v[66:67], v[46:47]
	v_mov_b32_e32 v66, s36
	s_add_i32 s36, s7, s11
	v_mov_b32_e32 v68, s36
	s_add_i32 s36, s7, s12
	;; [unrolled: 2-line block ×3, first 2 shown]
	v_mov_b32_e32 v72, s36
	ds_read_b64 v[66:67], v66
	ds_read_b64 v[68:69], v68
	;; [unrolled: 1-line block ×4, first 2 shown]
	s_add_i32 s36, s7, s14
	s_waitcnt lgkmcnt(0)
	v_fma_f64 v[40:41], -v[8:9], v[66:67], v[40:41]
	v_mov_b32_e32 v66, s36
	s_add_i32 s36, s7, s15
	v_fma_f64 v[40:41], -v[10:11], v[68:69], v[40:41]
	v_mov_b32_e32 v68, s36
	s_add_i32 s36, s7, s16
	v_fma_f64 v[40:41], -v[12:13], v[70:71], v[40:41]
	v_mov_b32_e32 v70, s36
	ds_read_b64 v[66:67], v66
	ds_read_b64 v[68:69], v68
	;; [unrolled: 1-line block ×3, first 2 shown]
	s_add_i32 s36, s7, s17
	v_fma_f64 v[40:41], -v[14:15], v[72:73], v[40:41]
	v_mov_b32_e32 v72, s36
	s_add_i32 s36, s7, s18
	ds_read_b64 v[72:73], v72
	s_waitcnt lgkmcnt(0)
	v_fma_f64 v[40:41], -v[16:17], v[66:67], v[40:41]
	v_mov_b32_e32 v66, s36
	s_add_i32 s36, s7, s19
	v_fma_f64 v[40:41], -v[18:19], v[68:69], v[40:41]
	v_mov_b32_e32 v68, s36
	s_add_i32 s36, s7, s20
	;; [unrolled: 3-line block ×3, first 2 shown]
	v_mov_b32_e32 v74, s36
	ds_read_b64 v[66:67], v66
	ds_read_b64 v[68:69], v68
	;; [unrolled: 1-line block ×4, first 2 shown]
	v_fma_f64 v[40:41], -v[24:25], v[72:73], v[40:41]
	s_add_i32 s36, s7, s23
	s_waitcnt lgkmcnt(0)
	v_fma_f64 v[40:41], -v[26:27], v[66:67], v[40:41]
	v_mov_b32_e32 v66, s36
	s_add_i32 s36, s7, s24
	v_fma_f64 v[40:41], -v[30:31], v[68:69], v[40:41]
	v_mov_b32_e32 v68, s36
	s_add_i32 s36, s7, s25
	v_fma_f64 v[40:41], -v[32:33], v[70:71], v[40:41]
	v_mov_b32_e32 v70, s36
	ds_read_b64 v[66:67], v66
	ds_read_b64 v[68:69], v68
	;; [unrolled: 1-line block ×3, first 2 shown]
	s_add_i32 s36, s7, s26
	v_fma_f64 v[40:41], -v[34:35], v[74:75], v[40:41]
	v_mov_b32_e32 v72, s36
	s_add_i32 s36, s7, s27
	ds_read_b64 v[72:73], v72
	s_waitcnt lgkmcnt(0)
	v_fma_f64 v[40:41], -v[38:39], v[66:67], v[40:41]
	v_mov_b32_e32 v66, s36
	s_add_i32 s36, s7, s28
	v_fma_f64 v[40:41], -v[42:43], v[68:69], v[40:41]
	v_mov_b32_e32 v68, s36
	s_add_i32 s36, s7, s29
	;; [unrolled: 3-line block ×3, first 2 shown]
	v_mov_b32_e32 v74, s36
	ds_read_b64 v[66:67], v66
	ds_read_b64 v[68:69], v68
	;; [unrolled: 1-line block ×4, first 2 shown]
	v_fma_f64 v[40:41], -v[48:49], v[72:73], v[40:41]
	s_add_i32 s36, s7, s31
	s_waitcnt lgkmcnt(0)
	v_fma_f64 v[40:41], -v[50:51], v[66:67], v[40:41]
	v_mov_b32_e32 v66, s36
	ds_read_b64 v[66:67], v66
	s_add_i32 s36, s7, s33
	v_fma_f64 v[40:41], -v[54:55], v[68:69], v[40:41]
	v_mov_b32_e32 v68, s36
	s_add_i32 s36, s7, s34
	v_fma_f64 v[40:41], -v[58:59], v[70:71], v[40:41]
	v_mov_b32_e32 v70, s36
	s_add_i32 s36, s7, s35
	v_mov_b32_e32 v72, s36
	s_lshl_b32 s36, s0, 9
	v_fma_f64 v[40:41], -v[62:63], v[74:75], v[40:41]
	s_add_i32 s0, s7, s36
	ds_read_b64 v[68:69], v68
	ds_read_b64 v[70:71], v70
	;; [unrolled: 1-line block ×3, first 2 shown]
	s_waitcnt lgkmcnt(0)
	v_fma_f64 v[40:41], -v[64:65], v[66:67], v[40:41]
	v_mov_b32_e32 v66, s0
	s_add_i32 s0, s3, 0xffffcd38
	v_mov_b32_e32 v74, s0
	ds_read_b64 v[66:67], v66
	ds_read_b64 v[74:75], v74
	v_fma_f64 v[40:41], -v[60:61], v[68:69], v[40:41]
	v_fma_f64 v[40:41], -v[56:57], v[70:71], v[40:41]
	;; [unrolled: 1-line block ×3, first 2 shown]
	s_mov_b32 s7, s1
	s_sub_i32 s0, s2, 26
	s_waitcnt lgkmcnt(0)
	v_fma_f64 v[40:41], -v[46:47], v[66:67], v[40:41]
	v_lshl_add_u64 v[66:67], s[6:7], 3, v[4:5]
	s_lshl_b32 s7, s0, 3
	v_mul_f64 v[40:41], v[74:75], v[40:41]
	s_add_i32 s37, s7, s10
	flat_store_dwordx2 v[66:67], v[40:41]
	v_mov_b32_e32 v66, s37
	s_add_i32 s37, s7, s11
	v_mov_b32_e32 v68, s37
	s_add_i32 s37, s7, s12
	;; [unrolled: 2-line block ×3, first 2 shown]
	v_mov_b32_e32 v72, s37
	ds_read_b64 v[66:67], v66
	ds_read_b64 v[68:69], v68
	;; [unrolled: 1-line block ×4, first 2 shown]
	s_add_i32 s37, s7, s14
	s_waitcnt lgkmcnt(0)
	v_fma_f64 v[36:37], -v[8:9], v[66:67], v[36:37]
	v_mov_b32_e32 v66, s37
	s_add_i32 s37, s7, s15
	v_fma_f64 v[36:37], -v[10:11], v[68:69], v[36:37]
	v_mov_b32_e32 v68, s37
	s_add_i32 s37, s7, s16
	v_fma_f64 v[36:37], -v[12:13], v[70:71], v[36:37]
	v_mov_b32_e32 v70, s37
	ds_read_b64 v[66:67], v66
	ds_read_b64 v[68:69], v68
	;; [unrolled: 1-line block ×3, first 2 shown]
	s_add_i32 s37, s7, s17
	v_fma_f64 v[36:37], -v[14:15], v[72:73], v[36:37]
	v_mov_b32_e32 v72, s37
	s_add_i32 s37, s7, s18
	ds_read_b64 v[72:73], v72
	s_waitcnt lgkmcnt(0)
	v_fma_f64 v[36:37], -v[16:17], v[66:67], v[36:37]
	v_mov_b32_e32 v66, s37
	s_add_i32 s37, s7, s19
	v_fma_f64 v[36:37], -v[18:19], v[68:69], v[36:37]
	v_mov_b32_e32 v68, s37
	s_add_i32 s37, s7, s20
	;; [unrolled: 3-line block ×3, first 2 shown]
	v_mov_b32_e32 v74, s37
	ds_read_b64 v[66:67], v66
	ds_read_b64 v[68:69], v68
	;; [unrolled: 1-line block ×4, first 2 shown]
	v_fma_f64 v[36:37], -v[24:25], v[72:73], v[36:37]
	s_add_i32 s37, s7, s23
	s_waitcnt lgkmcnt(0)
	v_fma_f64 v[36:37], -v[26:27], v[66:67], v[36:37]
	v_mov_b32_e32 v66, s37
	s_add_i32 s37, s7, s24
	v_fma_f64 v[36:37], -v[30:31], v[68:69], v[36:37]
	v_mov_b32_e32 v68, s37
	s_add_i32 s37, s7, s25
	v_fma_f64 v[36:37], -v[32:33], v[70:71], v[36:37]
	v_mov_b32_e32 v70, s37
	ds_read_b64 v[66:67], v66
	ds_read_b64 v[68:69], v68
	;; [unrolled: 1-line block ×3, first 2 shown]
	s_add_i32 s37, s7, s26
	v_fma_f64 v[36:37], -v[34:35], v[74:75], v[36:37]
	v_mov_b32_e32 v72, s37
	s_add_i32 s37, s7, s27
	ds_read_b64 v[72:73], v72
	s_waitcnt lgkmcnt(0)
	v_fma_f64 v[36:37], -v[38:39], v[66:67], v[36:37]
	v_mov_b32_e32 v66, s37
	s_add_i32 s37, s7, s28
	v_fma_f64 v[36:37], -v[42:43], v[68:69], v[36:37]
	v_mov_b32_e32 v68, s37
	s_add_i32 s37, s7, s29
	v_fma_f64 v[36:37], -v[44:45], v[70:71], v[36:37]
	v_mov_b32_e32 v70, s37
	s_add_i32 s37, s7, s30
	v_mov_b32_e32 v74, s37
	ds_read_b64 v[66:67], v66
	ds_read_b64 v[68:69], v68
	;; [unrolled: 1-line block ×4, first 2 shown]
	v_fma_f64 v[36:37], -v[48:49], v[72:73], v[36:37]
	s_add_i32 s37, s7, s31
	s_waitcnt lgkmcnt(0)
	v_fma_f64 v[36:37], -v[50:51], v[66:67], v[36:37]
	v_mov_b32_e32 v66, s37
	s_add_i32 s37, s7, s33
	v_fma_f64 v[36:37], -v[54:55], v[68:69], v[36:37]
	v_mov_b32_e32 v68, s37
	ds_read_b64 v[66:67], v66
	ds_read_b64 v[68:69], v68
	s_add_i32 s37, s7, s34
	v_fma_f64 v[36:37], -v[58:59], v[70:71], v[36:37]
	v_mov_b32_e32 v70, s37
	s_add_i32 s37, s7, s35
	v_fma_f64 v[36:37], -v[62:63], v[74:75], v[36:37]
	v_mov_b32_e32 v72, s37
	s_add_i32 s37, s7, s36
	s_waitcnt lgkmcnt(0)
	v_fma_f64 v[36:37], -v[64:65], v[66:67], v[36:37]
	v_mov_b32_e32 v66, s37
	s_lshl_b32 s37, s6, 9
	ds_read_b64 v[70:71], v70
	ds_read_b64 v[72:73], v72
	s_add_i32 s6, s7, s37
	v_fma_f64 v[36:37], -v[60:61], v[68:69], v[36:37]
	v_mov_b32_e32 v68, s6
	s_add_i32 s6, s3, 0xffffcb30
	v_mov_b32_e32 v74, s6
	ds_read_b64 v[66:67], v66
	ds_read_b64 v[68:69], v68
	;; [unrolled: 1-line block ×3, first 2 shown]
	s_waitcnt lgkmcnt(0)
	v_fma_f64 v[36:37], -v[56:57], v[70:71], v[36:37]
	v_fma_f64 v[36:37], -v[52:53], v[72:73], v[36:37]
	;; [unrolled: 1-line block ×3, first 2 shown]
	s_sub_i32 s6, s2, 27
	v_fma_f64 v[36:37], -v[40:41], v[68:69], v[36:37]
	s_lshl_b32 s7, s6, 3
	v_mul_f64 v[36:37], v[74:75], v[36:37]
	v_lshl_add_u64 v[66:67], s[0:1], 3, v[4:5]
	s_add_i32 s38, s7, s10
	flat_store_dwordx2 v[66:67], v[36:37]
	v_mov_b32_e32 v66, s38
	s_add_i32 s38, s7, s11
	v_mov_b32_e32 v68, s38
	s_add_i32 s38, s7, s12
	;; [unrolled: 2-line block ×3, first 2 shown]
	v_mov_b32_e32 v72, s38
	ds_read_b64 v[66:67], v66
	ds_read_b64 v[68:69], v68
	;; [unrolled: 1-line block ×4, first 2 shown]
	s_add_i32 s38, s7, s14
	s_waitcnt lgkmcnt(0)
	v_fma_f64 v[28:29], -v[8:9], v[66:67], v[28:29]
	v_mov_b32_e32 v66, s38
	s_add_i32 s38, s7, s15
	v_fma_f64 v[28:29], -v[10:11], v[68:69], v[28:29]
	v_mov_b32_e32 v68, s38
	s_add_i32 s38, s7, s16
	v_fma_f64 v[28:29], -v[12:13], v[70:71], v[28:29]
	v_mov_b32_e32 v70, s38
	ds_read_b64 v[66:67], v66
	ds_read_b64 v[68:69], v68
	;; [unrolled: 1-line block ×3, first 2 shown]
	s_add_i32 s38, s7, s17
	v_fma_f64 v[28:29], -v[14:15], v[72:73], v[28:29]
	v_mov_b32_e32 v72, s38
	s_add_i32 s38, s7, s18
	ds_read_b64 v[72:73], v72
	s_waitcnt lgkmcnt(0)
	v_fma_f64 v[28:29], -v[16:17], v[66:67], v[28:29]
	v_mov_b32_e32 v66, s38
	s_add_i32 s38, s7, s19
	v_fma_f64 v[28:29], -v[18:19], v[68:69], v[28:29]
	v_mov_b32_e32 v68, s38
	s_add_i32 s38, s7, s20
	;; [unrolled: 3-line block ×3, first 2 shown]
	v_mov_b32_e32 v74, s38
	ds_read_b64 v[66:67], v66
	ds_read_b64 v[68:69], v68
	;; [unrolled: 1-line block ×4, first 2 shown]
	v_fma_f64 v[28:29], -v[24:25], v[72:73], v[28:29]
	s_add_i32 s38, s7, s23
	s_waitcnt lgkmcnt(0)
	v_fma_f64 v[28:29], -v[26:27], v[66:67], v[28:29]
	v_mov_b32_e32 v66, s38
	s_add_i32 s38, s7, s24
	v_fma_f64 v[28:29], -v[30:31], v[68:69], v[28:29]
	v_mov_b32_e32 v68, s38
	s_add_i32 s38, s7, s25
	v_fma_f64 v[28:29], -v[32:33], v[70:71], v[28:29]
	v_mov_b32_e32 v70, s38
	ds_read_b64 v[66:67], v66
	ds_read_b64 v[68:69], v68
	;; [unrolled: 1-line block ×3, first 2 shown]
	s_add_i32 s38, s7, s26
	v_fma_f64 v[28:29], -v[34:35], v[74:75], v[28:29]
	v_mov_b32_e32 v72, s38
	s_add_i32 s38, s7, s27
	ds_read_b64 v[72:73], v72
	s_waitcnt lgkmcnt(0)
	v_fma_f64 v[28:29], -v[38:39], v[66:67], v[28:29]
	v_mov_b32_e32 v66, s38
	s_add_i32 s38, s7, s28
	v_fma_f64 v[28:29], -v[42:43], v[68:69], v[28:29]
	v_mov_b32_e32 v68, s38
	s_add_i32 s38, s7, s29
	;; [unrolled: 3-line block ×3, first 2 shown]
	v_mov_b32_e32 v74, s38
	ds_read_b64 v[66:67], v66
	ds_read_b64 v[68:69], v68
	;; [unrolled: 1-line block ×4, first 2 shown]
	v_fma_f64 v[28:29], -v[48:49], v[72:73], v[28:29]
	s_add_i32 s38, s7, s31
	s_waitcnt lgkmcnt(0)
	v_fma_f64 v[28:29], -v[50:51], v[66:67], v[28:29]
	v_mov_b32_e32 v66, s38
	s_add_i32 s38, s7, s33
	v_fma_f64 v[28:29], -v[54:55], v[68:69], v[28:29]
	v_mov_b32_e32 v68, s38
	s_add_i32 s38, s7, s34
	v_fma_f64 v[28:29], -v[58:59], v[70:71], v[28:29]
	v_mov_b32_e32 v70, s38
	ds_read_b64 v[66:67], v66
	ds_read_b64 v[68:69], v68
	;; [unrolled: 1-line block ×3, first 2 shown]
	s_add_i32 s38, s7, s35
	v_fma_f64 v[28:29], -v[62:63], v[74:75], v[28:29]
	v_mov_b32_e32 v72, s38
	s_add_i32 s38, s7, s36
	s_waitcnt lgkmcnt(0)
	v_fma_f64 v[28:29], -v[64:65], v[66:67], v[28:29]
	v_mov_b32_e32 v66, s38
	s_add_i32 s38, s7, s37
	ds_read_b64 v[72:73], v72
	v_fma_f64 v[28:29], -v[60:61], v[68:69], v[28:29]
	v_mov_b32_e32 v68, s38
	s_lshl_b32 s38, s0, 9
	s_add_i32 s0, s7, s38
	v_fma_f64 v[28:29], -v[56:57], v[70:71], v[28:29]
	v_mov_b32_e32 v70, s0
	s_add_i32 s0, s3, 0xffffc928
	v_mov_b32_e32 v74, s0
	ds_read_b64 v[66:67], v66
	ds_read_b64 v[68:69], v68
	;; [unrolled: 1-line block ×4, first 2 shown]
	s_waitcnt lgkmcnt(0)
	v_fma_f64 v[28:29], -v[52:53], v[72:73], v[28:29]
	v_fma_f64 v[28:29], -v[46:47], v[66:67], v[28:29]
	v_fma_f64 v[28:29], -v[40:41], v[68:69], v[28:29]
	s_mov_b32 s7, s1
	s_sub_i32 s0, s2, 28
	v_fma_f64 v[28:29], -v[36:37], v[70:71], v[28:29]
	v_lshl_add_u64 v[66:67], s[6:7], 3, v[4:5]
	s_lshl_b32 s7, s0, 3
	v_mul_f64 v[28:29], v[74:75], v[28:29]
	s_add_i32 s39, s7, s10
	flat_store_dwordx2 v[66:67], v[28:29]
	v_mov_b32_e32 v66, s39
	s_add_i32 s39, s7, s11
	v_mov_b32_e32 v68, s39
	s_add_i32 s39, s7, s12
	v_mov_b32_e32 v70, s39
	ds_read_b64 v[66:67], v66
	ds_read_b64 v[68:69], v68
	;; [unrolled: 1-line block ×3, first 2 shown]
	s_add_i32 s39, s7, s13
	v_mov_b32_e32 v72, s39
	s_add_i32 s39, s7, s14
	ds_read_b64 v[72:73], v72
	s_waitcnt lgkmcnt(0)
	v_fma_f64 v[20:21], -v[8:9], v[66:67], v[20:21]
	v_mov_b32_e32 v66, s39
	s_add_i32 s39, s7, s15
	v_fma_f64 v[20:21], -v[10:11], v[68:69], v[20:21]
	v_mov_b32_e32 v68, s39
	s_add_i32 s39, s7, s16
	;; [unrolled: 3-line block ×3, first 2 shown]
	v_mov_b32_e32 v74, s39
	ds_read_b64 v[66:67], v66
	ds_read_b64 v[68:69], v68
	;; [unrolled: 1-line block ×4, first 2 shown]
	v_fma_f64 v[20:21], -v[14:15], v[72:73], v[20:21]
	s_add_i32 s39, s7, s18
	s_waitcnt lgkmcnt(0)
	v_fma_f64 v[20:21], -v[16:17], v[66:67], v[20:21]
	v_mov_b32_e32 v66, s39
	s_add_i32 s39, s7, s19
	v_fma_f64 v[20:21], -v[18:19], v[68:69], v[20:21]
	v_mov_b32_e32 v68, s39
	s_add_i32 s39, s7, s20
	v_fma_f64 v[20:21], -v[22:23], v[70:71], v[20:21]
	v_mov_b32_e32 v70, s39
	ds_read_b64 v[66:67], v66
	ds_read_b64 v[68:69], v68
	;; [unrolled: 1-line block ×3, first 2 shown]
	s_add_i32 s39, s7, s21
	v_fma_f64 v[20:21], -v[24:25], v[74:75], v[20:21]
	v_mov_b32_e32 v72, s39
	s_add_i32 s39, s7, s23
	ds_read_b64 v[72:73], v72
	s_waitcnt lgkmcnt(0)
	v_fma_f64 v[20:21], -v[26:27], v[66:67], v[20:21]
	v_mov_b32_e32 v66, s39
	s_add_i32 s39, s7, s24
	v_fma_f64 v[20:21], -v[30:31], v[68:69], v[20:21]
	v_mov_b32_e32 v68, s39
	s_add_i32 s39, s7, s25
	;; [unrolled: 3-line block ×3, first 2 shown]
	v_mov_b32_e32 v74, s39
	ds_read_b64 v[66:67], v66
	ds_read_b64 v[68:69], v68
	;; [unrolled: 1-line block ×4, first 2 shown]
	v_fma_f64 v[20:21], -v[34:35], v[72:73], v[20:21]
	s_add_i32 s39, s7, s27
	s_waitcnt lgkmcnt(0)
	v_fma_f64 v[20:21], -v[38:39], v[66:67], v[20:21]
	v_mov_b32_e32 v66, s39
	s_add_i32 s39, s7, s28
	v_fma_f64 v[20:21], -v[42:43], v[68:69], v[20:21]
	v_mov_b32_e32 v68, s39
	s_add_i32 s39, s7, s29
	v_fma_f64 v[20:21], -v[44:45], v[70:71], v[20:21]
	v_mov_b32_e32 v70, s39
	ds_read_b64 v[66:67], v66
	ds_read_b64 v[68:69], v68
	;; [unrolled: 1-line block ×3, first 2 shown]
	s_add_i32 s39, s7, s30
	v_fma_f64 v[20:21], -v[48:49], v[74:75], v[20:21]
	v_mov_b32_e32 v72, s39
	s_add_i32 s39, s7, s31
	ds_read_b64 v[72:73], v72
	s_waitcnt lgkmcnt(0)
	v_fma_f64 v[20:21], -v[50:51], v[66:67], v[20:21]
	v_mov_b32_e32 v66, s39
	s_add_i32 s39, s7, s33
	v_fma_f64 v[20:21], -v[54:55], v[68:69], v[20:21]
	v_mov_b32_e32 v68, s39
	s_add_i32 s39, s7, s34
	;; [unrolled: 3-line block ×3, first 2 shown]
	v_mov_b32_e32 v74, s39
	ds_read_b64 v[66:67], v66
	ds_read_b64 v[68:69], v68
	;; [unrolled: 1-line block ×4, first 2 shown]
	v_fma_f64 v[20:21], -v[62:63], v[72:73], v[20:21]
	s_add_i32 s39, s7, s36
	s_waitcnt lgkmcnt(0)
	v_fma_f64 v[20:21], -v[64:65], v[66:67], v[20:21]
	v_mov_b32_e32 v66, s39
	s_add_i32 s39, s7, s37
	v_fma_f64 v[20:21], -v[60:61], v[68:69], v[20:21]
	v_mov_b32_e32 v68, s39
	s_add_i32 s39, s7, s38
	v_fma_f64 v[20:21], -v[56:57], v[70:71], v[20:21]
	v_mov_b32_e32 v70, s39
	s_lshl_b32 s39, s6, 9
	s_add_i32 s6, s7, s39
	v_mov_b32_e32 v72, s6
	s_add_i32 s6, s3, 0xffffc720
	v_fma_f64 v[20:21], -v[52:53], v[74:75], v[20:21]
	ds_read_b64 v[66:67], v66
	ds_read_b64 v[68:69], v68
	;; [unrolled: 1-line block ×4, first 2 shown]
	v_mov_b32_e32 v74, s6
	ds_read_b64 v[74:75], v74
	s_waitcnt lgkmcnt(0)
	v_fma_f64 v[20:21], -v[46:47], v[66:67], v[20:21]
	v_fma_f64 v[20:21], -v[40:41], v[68:69], v[20:21]
	;; [unrolled: 1-line block ×3, first 2 shown]
	s_sub_i32 s6, s2, 29
	v_fma_f64 v[20:21], -v[28:29], v[72:73], v[20:21]
	s_lshl_b32 s7, s6, 3
	v_mul_f64 v[20:21], v[74:75], v[20:21]
	v_lshl_add_u64 v[66:67], s[0:1], 3, v[4:5]
	s_add_i32 s40, s7, s10
	flat_store_dwordx2 v[66:67], v[20:21]
	v_mov_b32_e32 v66, s40
	s_add_i32 s40, s7, s11
	v_mov_b32_e32 v68, s40
	s_add_i32 s40, s7, s12
	v_mov_b32_e32 v70, s40
	ds_read_b64 v[66:67], v66
	ds_read_b64 v[68:69], v68
	;; [unrolled: 1-line block ×3, first 2 shown]
	s_add_i32 s40, s7, s13
	v_mov_b32_e32 v72, s40
	s_add_i32 s40, s7, s14
	ds_read_b64 v[72:73], v72
	s_waitcnt lgkmcnt(0)
	v_fma_f64 v[6:7], -v[8:9], v[66:67], v[6:7]
	v_mov_b32_e32 v66, s40
	s_add_i32 s40, s7, s15
	v_fma_f64 v[6:7], -v[10:11], v[68:69], v[6:7]
	v_mov_b32_e32 v68, s40
	s_add_i32 s40, s7, s16
	;; [unrolled: 3-line block ×3, first 2 shown]
	v_mov_b32_e32 v74, s40
	ds_read_b64 v[66:67], v66
	ds_read_b64 v[68:69], v68
	ds_read_b64 v[70:71], v70
	ds_read_b64 v[74:75], v74
	v_fma_f64 v[6:7], -v[14:15], v[72:73], v[6:7]
	s_add_i32 s40, s7, s18
	s_waitcnt lgkmcnt(0)
	v_fma_f64 v[6:7], -v[16:17], v[66:67], v[6:7]
	v_mov_b32_e32 v66, s40
	s_add_i32 s40, s7, s19
	v_fma_f64 v[6:7], -v[18:19], v[68:69], v[6:7]
	v_mov_b32_e32 v68, s40
	s_add_i32 s40, s7, s20
	v_fma_f64 v[6:7], -v[22:23], v[70:71], v[6:7]
	v_mov_b32_e32 v70, s40
	ds_read_b64 v[66:67], v66
	ds_read_b64 v[68:69], v68
	;; [unrolled: 1-line block ×3, first 2 shown]
	s_add_i32 s40, s7, s21
	v_fma_f64 v[6:7], -v[24:25], v[74:75], v[6:7]
	v_mov_b32_e32 v72, s40
	s_add_i32 s40, s7, s23
	ds_read_b64 v[72:73], v72
	s_waitcnt lgkmcnt(0)
	v_fma_f64 v[6:7], -v[26:27], v[66:67], v[6:7]
	v_mov_b32_e32 v66, s40
	s_add_i32 s40, s7, s24
	v_fma_f64 v[6:7], -v[30:31], v[68:69], v[6:7]
	v_mov_b32_e32 v68, s40
	s_add_i32 s40, s7, s25
	;; [unrolled: 3-line block ×3, first 2 shown]
	v_mov_b32_e32 v74, s40
	ds_read_b64 v[66:67], v66
	ds_read_b64 v[68:69], v68
	ds_read_b64 v[70:71], v70
	ds_read_b64 v[74:75], v74
	v_fma_f64 v[6:7], -v[34:35], v[72:73], v[6:7]
	s_add_i32 s40, s7, s27
	s_waitcnt lgkmcnt(0)
	v_fma_f64 v[6:7], -v[38:39], v[66:67], v[6:7]
	v_mov_b32_e32 v66, s40
	s_add_i32 s40, s7, s28
	v_fma_f64 v[6:7], -v[42:43], v[68:69], v[6:7]
	v_mov_b32_e32 v68, s40
	s_add_i32 s40, s7, s29
	v_fma_f64 v[6:7], -v[44:45], v[70:71], v[6:7]
	v_mov_b32_e32 v70, s40
	ds_read_b64 v[66:67], v66
	ds_read_b64 v[68:69], v68
	;; [unrolled: 1-line block ×3, first 2 shown]
	s_add_i32 s40, s7, s30
	v_fma_f64 v[6:7], -v[48:49], v[74:75], v[6:7]
	v_mov_b32_e32 v72, s40
	s_add_i32 s40, s7, s31
	ds_read_b64 v[72:73], v72
	s_waitcnt lgkmcnt(0)
	v_fma_f64 v[6:7], -v[50:51], v[66:67], v[6:7]
	v_mov_b32_e32 v66, s40
	s_add_i32 s40, s7, s33
	v_fma_f64 v[6:7], -v[54:55], v[68:69], v[6:7]
	v_mov_b32_e32 v68, s40
	s_add_i32 s40, s7, s34
	;; [unrolled: 3-line block ×3, first 2 shown]
	v_mov_b32_e32 v74, s40
	ds_read_b64 v[66:67], v66
	ds_read_b64 v[68:69], v68
	;; [unrolled: 1-line block ×4, first 2 shown]
	v_fma_f64 v[6:7], -v[62:63], v[72:73], v[6:7]
	s_add_i32 s40, s7, s36
	s_waitcnt lgkmcnt(0)
	v_fma_f64 v[6:7], -v[64:65], v[66:67], v[6:7]
	v_mov_b32_e32 v66, s40
	ds_read_b64 v[66:67], v66
	s_add_i32 s40, s7, s37
	v_fma_f64 v[6:7], -v[60:61], v[68:69], v[6:7]
	v_mov_b32_e32 v68, s40
	s_add_i32 s40, s7, s38
	v_fma_f64 v[6:7], -v[56:57], v[70:71], v[6:7]
	v_mov_b32_e32 v70, s40
	s_add_i32 s40, s7, s39
	v_mov_b32_e32 v72, s40
	s_lshl_b32 s40, s0, 9
	v_fma_f64 v[6:7], -v[52:53], v[74:75], v[6:7]
	s_add_i32 s0, s7, s40
	ds_read_b64 v[68:69], v68
	ds_read_b64 v[70:71], v70
	ds_read_b64 v[72:73], v72
	s_waitcnt lgkmcnt(0)
	v_fma_f64 v[6:7], -v[46:47], v[66:67], v[6:7]
	v_mov_b32_e32 v66, s0
	s_add_i32 s0, s3, 0xffffc518
	v_mov_b32_e32 v74, s0
	ds_read_b64 v[66:67], v66
	ds_read_b64 v[74:75], v74
	v_fma_f64 v[6:7], -v[40:41], v[68:69], v[6:7]
	v_fma_f64 v[6:7], -v[36:37], v[70:71], v[6:7]
	;; [unrolled: 1-line block ×3, first 2 shown]
	s_mov_b32 s7, s1
	s_sub_i32 s0, s2, 30
	s_waitcnt lgkmcnt(0)
	v_fma_f64 v[6:7], -v[20:21], v[66:67], v[6:7]
	v_lshl_add_u64 v[66:67], s[6:7], 3, v[4:5]
	s_lshl_b32 s7, s0, 3
	v_mul_f64 v[6:7], v[74:75], v[6:7]
	s_add_i32 s41, s7, s10
	flat_store_dwordx2 v[66:67], v[6:7]
	v_mov_b32_e32 v66, s41
	s_add_i32 s41, s7, s11
	v_mov_b32_e32 v68, s41
	s_add_i32 s41, s7, s12
	v_mov_b32_e32 v70, s41
	ds_read_b64 v[66:67], v66
	ds_read_b64 v[68:69], v68
	;; [unrolled: 1-line block ×3, first 2 shown]
	s_add_i32 s41, s7, s13
	v_mov_b32_e32 v72, s41
	s_add_i32 s41, s7, s14
	ds_read_b64 v[72:73], v72
	s_waitcnt lgkmcnt(0)
	v_fma_f64 v[2:3], -v[8:9], v[66:67], v[2:3]
	v_mov_b32_e32 v66, s41
	s_add_i32 s41, s7, s15
	v_fma_f64 v[2:3], -v[10:11], v[68:69], v[2:3]
	v_mov_b32_e32 v68, s41
	s_add_i32 s41, s7, s16
	;; [unrolled: 3-line block ×3, first 2 shown]
	v_mov_b32_e32 v74, s41
	ds_read_b64 v[66:67], v66
	ds_read_b64 v[68:69], v68
	ds_read_b64 v[70:71], v70
	ds_read_b64 v[74:75], v74
	v_fma_f64 v[2:3], -v[14:15], v[72:73], v[2:3]
	s_add_i32 s41, s7, s18
	s_waitcnt lgkmcnt(0)
	v_fma_f64 v[2:3], -v[16:17], v[66:67], v[2:3]
	v_mov_b32_e32 v66, s41
	s_add_i32 s41, s7, s19
	v_fma_f64 v[2:3], -v[18:19], v[68:69], v[2:3]
	v_mov_b32_e32 v68, s41
	s_add_i32 s41, s7, s20
	v_fma_f64 v[2:3], -v[22:23], v[70:71], v[2:3]
	v_mov_b32_e32 v70, s41
	ds_read_b64 v[66:67], v66
	ds_read_b64 v[68:69], v68
	ds_read_b64 v[70:71], v70
	s_add_i32 s41, s7, s21
	v_fma_f64 v[2:3], -v[24:25], v[74:75], v[2:3]
	v_mov_b32_e32 v72, s41
	s_add_i32 s41, s7, s23
	ds_read_b64 v[72:73], v72
	s_waitcnt lgkmcnt(0)
	v_fma_f64 v[2:3], -v[26:27], v[66:67], v[2:3]
	v_mov_b32_e32 v66, s41
	s_add_i32 s41, s7, s24
	v_fma_f64 v[2:3], -v[30:31], v[68:69], v[2:3]
	v_mov_b32_e32 v68, s41
	s_add_i32 s41, s7, s25
	;; [unrolled: 3-line block ×3, first 2 shown]
	v_mov_b32_e32 v74, s41
	ds_read_b64 v[66:67], v66
	ds_read_b64 v[68:69], v68
	;; [unrolled: 1-line block ×4, first 2 shown]
	v_fma_f64 v[2:3], -v[34:35], v[72:73], v[2:3]
	s_add_i32 s41, s7, s27
	s_waitcnt lgkmcnt(0)
	v_fma_f64 v[2:3], -v[38:39], v[66:67], v[2:3]
	v_mov_b32_e32 v66, s41
	s_add_i32 s41, s7, s28
	v_fma_f64 v[2:3], -v[42:43], v[68:69], v[2:3]
	v_mov_b32_e32 v68, s41
	s_add_i32 s41, s7, s29
	v_fma_f64 v[2:3], -v[44:45], v[70:71], v[2:3]
	v_mov_b32_e32 v70, s41
	ds_read_b64 v[66:67], v66
	ds_read_b64 v[68:69], v68
	;; [unrolled: 1-line block ×3, first 2 shown]
	s_add_i32 s41, s7, s30
	v_fma_f64 v[2:3], -v[48:49], v[74:75], v[2:3]
	v_mov_b32_e32 v72, s41
	s_add_i32 s41, s7, s31
	ds_read_b64 v[72:73], v72
	s_waitcnt lgkmcnt(0)
	v_fma_f64 v[2:3], -v[50:51], v[66:67], v[2:3]
	v_mov_b32_e32 v66, s41
	s_add_i32 s41, s7, s33
	v_fma_f64 v[2:3], -v[54:55], v[68:69], v[2:3]
	v_mov_b32_e32 v68, s41
	s_add_i32 s41, s7, s34
	;; [unrolled: 3-line block ×3, first 2 shown]
	v_mov_b32_e32 v74, s41
	ds_read_b64 v[66:67], v66
	ds_read_b64 v[68:69], v68
	;; [unrolled: 1-line block ×4, first 2 shown]
	v_fma_f64 v[2:3], -v[62:63], v[72:73], v[2:3]
	s_add_i32 s41, s7, s36
	s_waitcnt lgkmcnt(0)
	v_fma_f64 v[2:3], -v[64:65], v[66:67], v[2:3]
	v_mov_b32_e32 v66, s41
	s_add_i32 s41, s7, s37
	v_fma_f64 v[2:3], -v[60:61], v[68:69], v[2:3]
	v_mov_b32_e32 v68, s41
	ds_read_b64 v[66:67], v66
	ds_read_b64 v[68:69], v68
	s_add_i32 s41, s7, s38
	v_fma_f64 v[2:3], -v[56:57], v[70:71], v[2:3]
	v_mov_b32_e32 v70, s41
	s_add_i32 s41, s7, s39
	v_fma_f64 v[2:3], -v[52:53], v[74:75], v[2:3]
	v_mov_b32_e32 v72, s41
	s_lshl_b32 s42, s6, 9
	ds_read_b64 v[70:71], v70
	ds_read_b64 v[72:73], v72
	s_waitcnt lgkmcnt(0)
	v_fma_f64 v[2:3], -v[46:47], v[66:67], v[2:3]
	s_add_i32 s6, s7, s42
	v_fma_f64 v[2:3], -v[40:41], v[68:69], v[2:3]
	s_add_i32 s41, s7, s40
	v_mov_b32_e32 v68, s6
	s_add_i32 s6, s3, 0xffffc310
	v_mov_b32_e32 v66, s41
	v_mov_b32_e32 v74, s6
	ds_read_b64 v[66:67], v66
	ds_read_b64 v[68:69], v68
	;; [unrolled: 1-line block ×3, first 2 shown]
	v_fma_f64 v[2:3], -v[36:37], v[70:71], v[2:3]
	v_fma_f64 v[2:3], -v[28:29], v[72:73], v[2:3]
	s_waitcnt lgkmcnt(0)
	v_fma_f64 v[2:3], -v[20:21], v[66:67], v[2:3]
	s_sub_i32 s6, s2, 31
	v_fma_f64 v[2:3], -v[6:7], v[68:69], v[2:3]
	s_lshl_b32 s7, s6, 3
	v_mul_f64 v[2:3], v[74:75], v[2:3]
	v_lshl_add_u64 v[66:67], s[0:1], 3, v[4:5]
	s_add_i32 s10, s7, s10
	flat_store_dwordx2 v[66:67], v[2:3]
	v_mov_b32_e32 v66, s10
	s_add_i32 s10, s7, s11
	v_mov_b32_e32 v68, s10
	s_add_i32 s10, s7, s12
	v_mov_b32_e32 v70, s10
	ds_read_b64 v[66:67], v66
	ds_read_b64 v[68:69], v68
	;; [unrolled: 1-line block ×3, first 2 shown]
	s_add_i32 s10, s7, s13
	v_mov_b32_e32 v72, s10
	s_add_i32 s10, s7, s14
	ds_read_b64 v[72:73], v72
	s_waitcnt lgkmcnt(0)
	v_fma_f64 v[0:1], -v[8:9], v[66:67], v[0:1]
	v_mov_b32_e32 v8, s10
	s_add_i32 s10, s7, s15
	v_fma_f64 v[0:1], -v[10:11], v[68:69], v[0:1]
	v_mov_b32_e32 v10, s10
	s_add_i32 s10, s7, s16
	v_fma_f64 v[0:1], -v[12:13], v[70:71], v[0:1]
	v_mov_b32_e32 v12, s10
	s_add_i32 s10, s7, s17
	v_mov_b32_e32 v66, s10
	ds_read_b64 v[8:9], v8
	ds_read_b64 v[10:11], v10
	ds_read_b64 v[12:13], v12
	ds_read_b64 v[66:67], v66
	v_fma_f64 v[0:1], -v[14:15], v[72:73], v[0:1]
	s_add_i32 s10, s7, s18
	s_waitcnt lgkmcnt(0)
	v_fma_f64 v[0:1], -v[16:17], v[8:9], v[0:1]
	v_mov_b32_e32 v8, s10
	s_add_i32 s10, s7, s19
	v_fma_f64 v[0:1], -v[18:19], v[10:11], v[0:1]
	v_mov_b32_e32 v10, s10
	s_add_i32 s10, s7, s20
	v_fma_f64 v[0:1], -v[22:23], v[12:13], v[0:1]
	v_mov_b32_e32 v12, s10
	ds_read_b64 v[8:9], v8
	ds_read_b64 v[10:11], v10
	ds_read_b64 v[12:13], v12
	s_add_i32 s10, s7, s21
	v_fma_f64 v[0:1], -v[24:25], v[66:67], v[0:1]
	v_mov_b32_e32 v14, s10
	s_add_i32 s10, s7, s23
	ds_read_b64 v[14:15], v14
	s_waitcnt lgkmcnt(0)
	v_fma_f64 v[0:1], -v[26:27], v[8:9], v[0:1]
	v_mov_b32_e32 v8, s10
	s_add_i32 s10, s7, s24
	v_fma_f64 v[0:1], -v[30:31], v[10:11], v[0:1]
	v_mov_b32_e32 v10, s10
	s_add_i32 s10, s7, s25
	v_fma_f64 v[0:1], -v[32:33], v[12:13], v[0:1]
	v_mov_b32_e32 v12, s10
	s_add_i32 s10, s7, s26
	v_mov_b32_e32 v16, s10
	ds_read_b64 v[8:9], v8
	ds_read_b64 v[10:11], v10
	ds_read_b64 v[12:13], v12
	ds_read_b64 v[16:17], v16
	v_fma_f64 v[0:1], -v[34:35], v[14:15], v[0:1]
	s_add_i32 s10, s7, s27
	s_waitcnt lgkmcnt(0)
	v_fma_f64 v[0:1], -v[38:39], v[8:9], v[0:1]
	v_mov_b32_e32 v8, s10
	s_add_i32 s10, s7, s28
	v_fma_f64 v[0:1], -v[42:43], v[10:11], v[0:1]
	v_mov_b32_e32 v10, s10
	s_add_i32 s10, s7, s29
	v_fma_f64 v[0:1], -v[44:45], v[12:13], v[0:1]
	v_mov_b32_e32 v12, s10
	ds_read_b64 v[8:9], v8
	ds_read_b64 v[10:11], v10
	ds_read_b64 v[12:13], v12
	s_add_i32 s10, s7, s30
	v_fma_f64 v[0:1], -v[48:49], v[16:17], v[0:1]
	v_mov_b32_e32 v14, s10
	s_add_i32 s10, s7, s31
	ds_read_b64 v[14:15], v14
	s_waitcnt lgkmcnt(0)
	v_fma_f64 v[0:1], -v[50:51], v[8:9], v[0:1]
	v_mov_b32_e32 v8, s10
	s_add_i32 s10, s7, s33
	v_fma_f64 v[0:1], -v[54:55], v[10:11], v[0:1]
	v_mov_b32_e32 v10, s10
	s_add_i32 s10, s7, s34
	v_fma_f64 v[0:1], -v[58:59], v[12:13], v[0:1]
	v_mov_b32_e32 v12, s10
	s_add_i32 s10, s7, s35
	v_mov_b32_e32 v16, s10
	ds_read_b64 v[8:9], v8
	ds_read_b64 v[10:11], v10
	ds_read_b64 v[12:13], v12
	ds_read_b64 v[16:17], v16
	v_fma_f64 v[0:1], -v[62:63], v[14:15], v[0:1]
	s_add_i32 s10, s7, s36
	s_waitcnt lgkmcnt(0)
	v_fma_f64 v[0:1], -v[64:65], v[8:9], v[0:1]
	v_mov_b32_e32 v8, s10
	s_add_i32 s10, s7, s37
	v_fma_f64 v[0:1], -v[60:61], v[10:11], v[0:1]
	v_mov_b32_e32 v10, s10
	s_add_i32 s10, s7, s38
	v_fma_f64 v[0:1], -v[56:57], v[12:13], v[0:1]
	v_mov_b32_e32 v12, s10
	ds_read_b64 v[8:9], v8
	ds_read_b64 v[10:11], v10
	ds_read_b64 v[12:13], v12
	s_add_i32 s10, s7, s39
	v_fma_f64 v[0:1], -v[52:53], v[16:17], v[0:1]
	v_mov_b32_e32 v14, s10
	ds_read_b64 v[14:15], v14
	s_waitcnt lgkmcnt(0)
	v_fma_f64 v[0:1], -v[46:47], v[8:9], v[0:1]
	s_lshl_b32 s0, s0, 9
	v_fma_f64 v[0:1], -v[40:41], v[10:11], v[0:1]
	s_add_i32 s10, s7, s40
	s_add_i32 s0, s7, s0
	v_fma_f64 v[0:1], -v[36:37], v[12:13], v[0:1]
	v_mov_b32_e32 v8, s10
	s_add_i32 s10, s7, s42
	v_mov_b32_e32 v12, s0
	s_add_i32 s0, s3, 0xffffc108
	v_mov_b32_e32 v10, s10
	v_mov_b32_e32 v16, s0
	ds_read_b64 v[8:9], v8
	ds_read_b64 v[10:11], v10
	ds_read_b64 v[12:13], v12
	ds_read_b64 v[16:17], v16
	v_fma_f64 v[0:1], -v[28:29], v[14:15], v[0:1]
	s_waitcnt lgkmcnt(0)
	v_fma_f64 v[0:1], -v[20:21], v[8:9], v[0:1]
	v_fma_f64 v[0:1], -v[6:7], v[10:11], v[0:1]
	;; [unrolled: 1-line block ×3, first 2 shown]
	s_mov_b32 s7, s1
	s_mov_b32 s41, 31
	v_mul_f64 v[0:1], v[16:17], v[0:1]
	v_lshl_add_u64 v[2:3], s[6:7], 3, v[4:5]
	s_cmp_gt_i32 s2, 62
	flat_store_dwordx2 v[2:3], v[0:1]
	s_cbranch_scc0 .LBB108_44
.LBB108_41:                             ; =>This Loop Header: Depth=1
                                        ;     Child Loop BB108_43 Depth 2
	s_mov_b32 s2, s41
	s_mov_b32 s3, s1
	v_lshl_add_u64 v[10:11], s[2:3], 3, v[4:5]
	s_ashr_i32 s3, s41, 31
	v_lshl_add_u64 v[6:7], s[2:3], 3, v[4:5]
	v_add_co_u32_e32 v0, vcc, -8, v6
	s_cmp_le_i32 s8, s41
	s_nop 0
	v_addc_co_u32_e32 v1, vcc, -1, v7, vcc
	v_add_co_u32_e32 v14, vcc, 0xffffffe8, v6
	flat_load_dwordx2 v[8:9], v[10:11]
	flat_load_dwordx2 v[12:13], v[0:1]
	v_addc_co_u32_e32 v15, vcc, -1, v7, vcc
	v_add_co_u32_e32 v16, vcc, 0xffffffd8, v6
	s_waitcnt vmcnt(0) lgkmcnt(0)
	v_mul_f64 v[8:9], s[4:5], v[8:9]
	v_addc_co_u32_e32 v17, vcc, -1, v7, vcc
	flat_load_dwordx4 v[0:3], v[14:15]
	flat_load_dwordx4 v[18:21], v[16:17]
	v_add_co_u32_e32 v14, vcc, 0xffffffc8, v6
	v_mul_f64 v[66:67], s[4:5], v[12:13]
	s_nop 0
	v_addc_co_u32_e32 v15, vcc, -1, v7, vcc
	v_add_co_u32_e32 v16, vcc, 0xffffffb8, v6
	s_waitcnt vmcnt(0) lgkmcnt(0)
	v_mul_f64 v[12:13], s[4:5], v[2:3]
	v_addc_co_u32_e32 v17, vcc, -1, v7, vcc
	flat_load_dwordx4 v[24:27], v[14:15]
	flat_load_dwordx4 v[28:31], v[16:17]
	v_add_co_u32_e32 v14, vcc, 0xffffffa8, v6
	v_mul_f64 v[18:19], s[4:5], v[18:19]
	s_nop 0
	v_addc_co_u32_e32 v15, vcc, -1, v7, vcc
	v_add_co_u32_e32 v16, vcc, 0xffffff98, v6
	s_waitcnt vmcnt(0) lgkmcnt(0)
	v_mul_f64 v[22:23], s[4:5], v[26:27]
	v_addc_co_u32_e32 v17, vcc, -1, v7, vcc
	flat_load_dwordx4 v[34:37], v[14:15]
	flat_load_dwordx4 v[40:43], v[16:17]
	v_add_co_u32_e32 v14, vcc, 0xffffff88, v6
	v_mul_f64 v[24:25], s[4:5], v[24:25]
	s_nop 0
	v_addc_co_u32_e32 v15, vcc, -1, v7, vcc
	v_add_co_u32_e32 v16, vcc, 0xffffff78, v6
	v_mul_f64 v[26:27], s[4:5], v[30:31]
	s_nop 0
	v_addc_co_u32_e32 v17, vcc, -1, v7, vcc
	flat_load_dwordx4 v[46:49], v[14:15]
	flat_load_dwordx4 v[52:55], v[16:17]
	v_add_co_u32_e32 v14, vcc, 0xffffff68, v6
	v_mul_f64 v[30:31], s[4:5], v[28:29]
	s_nop 0
	v_addc_co_u32_e32 v15, vcc, -1, v7, vcc
	v_add_co_u32_e32 v16, vcc, 0xffffff58, v6
	s_waitcnt vmcnt(0) lgkmcnt(0)
	v_mul_f64 v[32:33], s[4:5], v[36:37]
	v_addc_co_u32_e32 v17, vcc, -1, v7, vcc
	flat_load_dwordx4 v[56:59], v[14:15]
	flat_load_dwordx4 v[68:71], v[16:17]
	v_add_co_u32_e32 v14, vcc, 0xffffff48, v6
	v_mul_f64 v[34:35], s[4:5], v[34:35]
	s_nop 0
	v_addc_co_u32_e32 v15, vcc, -1, v7, vcc
	v_add_co_u32_e32 v16, vcc, 0xffffff38, v6
	v_mul_f64 v[38:39], s[4:5], v[42:43]
	s_nop 0
	v_addc_co_u32_e32 v17, vcc, -1, v7, vcc
	flat_load_dwordx4 v[72:75], v[14:15]
	flat_load_dwordx4 v[76:79], v[16:17]
	v_add_co_u32_e32 v14, vcc, 0xffffff28, v6
	v_mul_f64 v[42:43], s[4:5], v[40:41]
	s_nop 0
	v_addc_co_u32_e32 v15, vcc, -1, v7, vcc
	v_add_co_u32_e32 v16, vcc, 0xffffff18, v6
	v_mul_f64 v[44:45], s[4:5], v[48:49]
	s_nop 0
	v_addc_co_u32_e32 v17, vcc, -1, v7, vcc
	v_add_co_u32_e32 v6, vcc, 0xffffff08, v6
	flat_load_dwordx4 v[80:83], v[14:15]
	flat_load_dwordx4 v[84:87], v[16:17]
	v_addc_co_u32_e32 v7, vcc, -1, v7, vcc
	flat_load_dwordx4 v[88:91], v[6:7]
	v_mul_f64 v[14:15], s[4:5], v[0:1]
	v_mul_f64 v[16:17], s[4:5], v[20:21]
	;; [unrolled: 1-line block ×5, first 2 shown]
	s_waitcnt vmcnt(0) lgkmcnt(0)
	v_mul_f64 v[58:59], s[4:5], v[58:59]
	v_mul_f64 v[62:63], s[4:5], v[56:57]
	;; [unrolled: 1-line block ×14, first 2 shown]
	s_cbranch_scc1 .LBB108_40
; %bb.42:                               ;   in Loop: Header=BB108_41 Depth=1
	s_lshl_b32 s0, s2, 3
	s_add_i32 s3, s9, s0
	s_mov_b32 s0, s8
.LBB108_43:                             ;   Parent Loop BB108_41 Depth=1
                                        ; =>  This Inner Loop Header: Depth=2
	v_lshl_add_u64 v[68:69], s[0:1], 3, v[4:5]
	flat_load_dwordx2 v[132:133], v[68:69]
	v_mov_b32_e32 v128, s3
	ds_read2_b64 v[68:71], v128 offset0:30 offset1:31
	ds_read2_b64 v[72:75], v128 offset0:28 offset1:29
	ds_read2_b64 v[76:79], v128 offset0:26 offset1:27
	ds_read2_b64 v[80:83], v128 offset0:24 offset1:25
	ds_read2_b64 v[84:87], v128 offset0:22 offset1:23
	ds_read2_b64 v[88:91], v128 offset0:20 offset1:21
	ds_read2_b64 v[92:95], v128 offset0:18 offset1:19
	ds_read2_b64 v[96:99], v128 offset0:16 offset1:17
	ds_read2_b64 v[100:103], v128 offset0:14 offset1:15
	ds_read2_b64 v[104:107], v128 offset0:12 offset1:13
	ds_read2_b64 v[108:111], v128 offset0:10 offset1:11
	ds_read2_b64 v[112:115], v128 offset0:8 offset1:9
	ds_read2_b64 v[116:119], v128 offset0:6 offset1:7
	ds_read2_b64 v[120:123], v128 offset0:4 offset1:5
	ds_read2_b64 v[124:127], v128 offset0:2 offset1:3
	ds_read2_b64 v[128:131], v128 offset1:1
	s_add_i32 s0, s0, -1
	s_addk_i32 s3, 0xfe00
	s_cmp_gt_i32 s0, s2
	s_waitcnt vmcnt(0) lgkmcnt(0)
	v_fma_f64 v[8:9], -v[132:133], v[70:71], v[8:9]
	v_fma_f64 v[66:67], -v[132:133], v[68:69], v[66:67]
	;; [unrolled: 1-line block ×32, first 2 shown]
	s_cbranch_scc1 .LBB108_43
	s_branch .LBB108_40
.LBB108_44:
	s_sub_i32 s0, s2, 32
.LBB108_45:
	s_cmp_gt_i32 s0, -1
	s_cbranch_scc0 .LBB108_70
; %bb.46:
	s_cmp_lt_u32 s0, 3
	s_cbranch_scc1 .LBB108_52
; %bb.47:
	s_lshl_b32 s1, s22, 9
	s_lshl_b32 s2, s0, 3
	s_add_i32 s1, s1, s2
	s_add_i32 s6, s1, 0xfffffde8
	s_mov_b32 s3, 0
.LBB108_48:                             ; =>This Loop Header: Depth=1
                                        ;     Child Loop BB108_49 Depth 2
	s_mov_b32 s1, s3
	v_lshl_add_u64 v[2:3], s[0:1], 3, v[4:5]
	v_add_co_u32_e32 v0, vcc, -8, v2
	s_cmp_le_i32 s8, s0
	s_nop 0
	v_addc_co_u32_e32 v1, vcc, -1, v3, vcc
	flat_load_dwordx4 v[6:9], v[0:1]
	v_add_co_u32_e32 v0, vcc, 0xffffffe8, v2
	s_mov_b32 s1, s6
	s_nop 0
	v_addc_co_u32_e32 v1, vcc, -1, v3, vcc
	flat_load_dwordx4 v[12:15], v[0:1]
	s_mov_b32 s2, s8
	s_waitcnt vmcnt(0) lgkmcnt(0)
	v_mul_f64 v[10:11], s[4:5], v[8:9]
	v_mul_f64 v[8:9], s[4:5], v[6:7]
	;; [unrolled: 1-line block ×4, first 2 shown]
	s_cbranch_scc1 .LBB108_50
.LBB108_49:                             ;   Parent Loop BB108_48 Depth=1
                                        ; =>  This Inner Loop Header: Depth=2
	v_lshl_add_u64 v[12:13], s[2:3], 3, v[4:5]
	flat_load_dwordx2 v[20:21], v[12:13]
	v_mov_b32_e32 v16, s1
	ds_read2_b64 v[12:15], v16 offset0:2 offset1:3
	ds_read2_b64 v[16:19], v16 offset1:1
	s_add_i32 s2, s2, -1
	s_addk_i32 s1, 0xfe00
	s_cmp_gt_i32 s2, s0
	s_waitcnt vmcnt(0) lgkmcnt(0)
	v_fma_f64 v[10:11], -v[20:21], v[14:15], v[10:11]
	v_fma_f64 v[8:9], -v[20:21], v[12:13], v[8:9]
	;; [unrolled: 1-line block ×4, first 2 shown]
	s_cbranch_scc1 .LBB108_49
.LBB108_50:                             ;   in Loop: Header=BB108_48 Depth=1
	s_mul_i32 s1, s0, 0x208
	v_mov_b32_e32 v12, s1
	ds_read_b64 v[12:13], v12
	s_add_i32 s2, s0, -1
	s_lshl_b32 s1, s0, 9
	s_lshl_b32 s7, s2, 3
	s_add_i32 s9, s7, s1
	s_waitcnt lgkmcnt(0)
	v_mul_f64 v[10:11], v[12:13], v[10:11]
	flat_store_dwordx2 v[2:3], v[10:11]
	v_mov_b32_e32 v2, s9
	s_lshl_b32 s9, s2, 9
	s_add_i32 s7, s7, s9
	v_mov_b32_e32 v12, s7
	ds_read_b64 v[2:3], v2
	ds_read_b64 v[12:13], v12
	s_sub_i32 s6, s6, 32
	s_waitcnt lgkmcnt(0)
	v_fma_f64 v[2:3], -v[10:11], v[2:3], v[8:9]
	v_lshl_add_u64 v[8:9], s[2:3], 3, v[4:5]
	s_add_i32 s2, s0, -2
	s_lshl_b32 s7, s2, 3
	v_mul_f64 v[2:3], v[12:13], v[2:3]
	s_add_i32 s10, s7, s1
	flat_store_dwordx2 v[8:9], v[2:3]
	v_mov_b32_e32 v8, s10
	s_add_i32 s10, s7, s9
	v_mov_b32_e32 v12, s10
	s_lshl_b32 s10, s2, 9
	s_add_i32 s7, s7, s10
	v_mov_b32_e32 v14, s7
	ds_read_b64 v[8:9], v8
	ds_read_b64 v[12:13], v12
	;; [unrolled: 1-line block ×3, first 2 shown]
	s_waitcnt lgkmcnt(0)
	v_fma_f64 v[6:7], -v[10:11], v[8:9], v[6:7]
	v_lshl_add_u64 v[8:9], s[2:3], 3, v[4:5]
	s_add_i32 s2, s0, -3
	v_fma_f64 v[6:7], -v[2:3], v[12:13], v[6:7]
	s_lshl_b32 s7, s2, 3
	v_mul_f64 v[6:7], v[14:15], v[6:7]
	s_add_i32 s1, s7, s1
	flat_store_dwordx2 v[8:9], v[6:7]
	v_mov_b32_e32 v8, s1
	s_add_i32 s1, s7, s9
	v_mov_b32_e32 v12, s1
	s_add_i32 s1, s7, s10
	v_mov_b32_e32 v14, s1
	s_lshl_b32 s1, s2, 9
	s_add_i32 s1, s7, s1
	v_mov_b32_e32 v16, s1
	ds_read_b64 v[8:9], v8
	ds_read_b64 v[12:13], v12
	;; [unrolled: 1-line block ×4, first 2 shown]
	s_add_i32 s7, s0, -4
	s_waitcnt lgkmcnt(0)
	v_fma_f64 v[0:1], -v[10:11], v[8:9], v[0:1]
	v_fma_f64 v[0:1], -v[2:3], v[12:13], v[0:1]
	;; [unrolled: 1-line block ×3, first 2 shown]
	v_mul_f64 v[0:1], v[16:17], v[0:1]
	v_lshl_add_u64 v[2:3], s[2:3], 3, v[4:5]
	s_cmp_gt_i32 s0, 6
	flat_store_dwordx2 v[2:3], v[0:1]
	s_cbranch_scc0 .LBB108_53
; %bb.51:                               ;   in Loop: Header=BB108_48 Depth=1
	s_mov_b32 s0, s7
	s_branch .LBB108_48
.LBB108_52:
	s_mov_b32 s7, s0
.LBB108_53:
	s_cmp_lt_i32 s7, 0
	s_cbranch_scc1 .LBB108_70
; %bb.54:
	s_and_b32 s0, s7, 3
	s_cmp_eq_u32 s0, 3
	s_mov_b32 s0, s7
	s_cbranch_scc1 .LBB108_59
; %bb.55:
	s_add_i32 s0, s7, 1
	s_and_b32 s6, s0, 3
	s_lshl_b32 s0, s22, 9
	s_lshl_b32 s1, s7, 3
	s_add_i32 s0, s0, s1
	s_add_i32 s9, s0, 0xfffffe00
	s_mov_b32 s3, 0
	s_mov_b32 s0, s7
	s_mov_b32 s10, 0
	s_branch .LBB108_57
.LBB108_56:                             ;   in Loop: Header=BB108_57 Depth=1
	s_mul_i32 s1, s0, 0x208
	v_mov_b32_e32 v6, s1
	ds_read_b64 v[6:7], v6
	s_add_i32 s0, s0, -1
	s_add_i32 s10, s10, 1
	s_add_i32 s9, s9, -8
	s_cmp_lg_u32 s10, s6
	s_waitcnt lgkmcnt(0)
	v_mul_f64 v[2:3], v[6:7], v[2:3]
	flat_store_dwordx2 v[0:1], v[2:3]
	s_cbranch_scc0 .LBB108_59
.LBB108_57:                             ; =>This Loop Header: Depth=1
                                        ;     Child Loop BB108_58 Depth 2
	s_mov_b32 s1, s3
	v_lshl_add_u64 v[0:1], s[0:1], 3, v[4:5]
	flat_load_dwordx2 v[2:3], v[0:1]
	s_cmp_le_i32 s8, s0
	s_mov_b32 s1, s9
	s_mov_b32 s2, s8
	s_waitcnt vmcnt(0) lgkmcnt(0)
	v_mul_f64 v[2:3], s[4:5], v[2:3]
	s_cbranch_scc1 .LBB108_56
.LBB108_58:                             ;   Parent Loop BB108_57 Depth=1
                                        ; =>  This Inner Loop Header: Depth=2
	v_lshl_add_u64 v[6:7], s[2:3], 3, v[4:5]
	flat_load_dwordx2 v[6:7], v[6:7]
	v_mov_b32_e32 v8, s1
	ds_read_b64 v[8:9], v8
	s_add_i32 s2, s2, -1
	s_addk_i32 s1, 0xfe00
	s_cmp_gt_i32 s2, s0
	s_waitcnt vmcnt(0) lgkmcnt(0)
	v_fma_f64 v[2:3], -v[6:7], v[8:9], v[2:3]
	s_cbranch_scc1 .LBB108_58
	s_branch .LBB108_56
.LBB108_59:
	s_cmp_lt_u32 s7, 3
	s_cbranch_scc1 .LBB108_70
; %bb.60:
	s_lshl_b32 s1, s22, 9
	s_lshl_b32 s2, s0, 3
	s_add_i32 s1, s1, s2
	s_add_i32 s9, s1, 0xfffffe00
	;; [unrolled: 1-line block ×5, first 2 shown]
	s_mov_b32 s3, 0
	s_branch .LBB108_62
.LBB108_61:                             ;   in Loop: Header=BB108_62 Depth=1
	s_addk_i32 s1, 0xfdf8
	v_mov_b32_e32 v6, s1
	ds_read_b64 v[6:7], v6
	s_add_i32 s1, s0, -4
	s_sub_i32 s9, s9, 32
	s_sub_i32 s10, s10, 32
	;; [unrolled: 1-line block ×4, first 2 shown]
	s_waitcnt lgkmcnt(0)
	v_mul_f64 v[2:3], v[6:7], v[2:3]
	s_cmp_lt_i32 s0, 4
	s_mov_b32 s0, s1
	flat_store_dwordx2 v[0:1], v[2:3]
	s_cbranch_scc1 .LBB108_70
.LBB108_62:                             ; =>This Loop Header: Depth=1
                                        ;     Child Loop BB108_63 Depth 2
                                        ;     Child Loop BB108_65 Depth 2
	;; [unrolled: 1-line block ×4, first 2 shown]
	s_mov_b32 s1, s3
	v_lshl_add_u64 v[2:3], s[0:1], 3, v[4:5]
	flat_load_dwordx2 v[0:1], v[2:3]
	s_cmp_le_i32 s8, s0
	s_mov_b32 s1, s9
	s_mov_b32 s2, s8
	s_waitcnt vmcnt(0) lgkmcnt(0)
	v_mul_f64 v[6:7], s[4:5], v[0:1]
	s_cbranch_scc1 .LBB108_64
.LBB108_63:                             ;   Parent Loop BB108_62 Depth=1
                                        ; =>  This Inner Loop Header: Depth=2
	v_lshl_add_u64 v[0:1], s[2:3], 3, v[4:5]
	flat_load_dwordx2 v[0:1], v[0:1]
	v_mov_b32_e32 v8, s1
	ds_read_b64 v[8:9], v8
	s_add_i32 s2, s2, -1
	s_addk_i32 s1, 0xfe00
	s_cmp_gt_i32 s2, s0
	s_waitcnt vmcnt(0) lgkmcnt(0)
	v_fma_f64 v[6:7], -v[0:1], v[8:9], v[6:7]
	s_cbranch_scc1 .LBB108_63
.LBB108_64:                             ;   in Loop: Header=BB108_62 Depth=1
	s_add_i32 s2, s0, -1
	v_lshl_add_u64 v[0:1], s[2:3], 3, v[4:5]
	flat_load_dwordx2 v[8:9], v[0:1]
	s_mul_i32 s1, s0, 0x208
	v_mov_b32_e32 v10, s1
	ds_read_b64 v[10:11], v10
	s_mov_b32 s6, s10
	s_cmp_le_i32 s22, s0
	s_mov_b32 s2, s22
	s_waitcnt lgkmcnt(0)
	v_mul_f64 v[6:7], v[10:11], v[6:7]
	flat_store_dwordx2 v[2:3], v[6:7]
	s_waitcnt vmcnt(0)
	v_mul_f64 v[6:7], s[4:5], v[8:9]
	s_cbranch_scc1 .LBB108_66
.LBB108_65:                             ;   Parent Loop BB108_62 Depth=1
                                        ; =>  This Inner Loop Header: Depth=2
	s_add_i32 s2, s2, -1
	v_lshl_add_u64 v[2:3], s[2:3], 3, v[4:5]
	flat_load_dwordx2 v[2:3], v[2:3]
	v_mov_b32_e32 v8, s6
	ds_read_b64 v[8:9], v8
	s_addk_i32 s6, 0xfe00
	s_cmp_gt_i32 s2, s0
	s_waitcnt vmcnt(0) lgkmcnt(0)
	v_fma_f64 v[6:7], -v[2:3], v[8:9], v[6:7]
	s_cbranch_scc1 .LBB108_65
.LBB108_66:                             ;   in Loop: Header=BB108_62 Depth=1
	s_add_i32 s6, s0, -2
	s_mov_b32 s7, s3
	v_lshl_add_u64 v[2:3], s[6:7], 3, v[4:5]
	flat_load_dwordx2 v[8:9], v[2:3]
	s_addk_i32 s1, 0xfdf8
	v_mov_b32_e32 v10, s1
	ds_read_b64 v[10:11], v10
	s_mov_b32 s7, s11
	s_cmp_le_i32 s8, s6
	s_mov_b32 s2, s8
	s_waitcnt lgkmcnt(0)
	v_mul_f64 v[6:7], v[10:11], v[6:7]
	flat_store_dwordx2 v[0:1], v[6:7]
	s_waitcnt vmcnt(0)
	v_mul_f64 v[6:7], s[4:5], v[8:9]
	s_cbranch_scc1 .LBB108_68
.LBB108_67:                             ;   Parent Loop BB108_62 Depth=1
                                        ; =>  This Inner Loop Header: Depth=2
	v_lshl_add_u64 v[0:1], s[2:3], 3, v[4:5]
	flat_load_dwordx2 v[0:1], v[0:1]
	v_mov_b32_e32 v8, s7
	ds_read_b64 v[8:9], v8
	s_add_i32 s2, s2, -1
	s_addk_i32 s7, 0xfe00
	s_cmp_gt_i32 s2, s6
	s_waitcnt vmcnt(0) lgkmcnt(0)
	v_fma_f64 v[6:7], -v[0:1], v[8:9], v[6:7]
	s_cbranch_scc1 .LBB108_67
.LBB108_68:                             ;   in Loop: Header=BB108_62 Depth=1
	s_add_i32 s6, s0, -3
	s_mov_b32 s7, s3
	v_lshl_add_u64 v[0:1], s[6:7], 3, v[4:5]
	flat_load_dwordx2 v[8:9], v[0:1]
	s_addk_i32 s1, 0xfdf8
	v_mov_b32_e32 v10, s1
	ds_read_b64 v[10:11], v10
	s_mov_b32 s7, s12
	s_cmp_le_i32 s8, s6
	s_mov_b32 s2, s8
	s_waitcnt lgkmcnt(0)
	v_mul_f64 v[6:7], v[10:11], v[6:7]
	flat_store_dwordx2 v[2:3], v[6:7]
	s_waitcnt vmcnt(0)
	v_mul_f64 v[2:3], s[4:5], v[8:9]
	s_cbranch_scc1 .LBB108_61
.LBB108_69:                             ;   Parent Loop BB108_62 Depth=1
                                        ; =>  This Inner Loop Header: Depth=2
	v_lshl_add_u64 v[6:7], s[2:3], 3, v[4:5]
	flat_load_dwordx2 v[6:7], v[6:7]
	v_mov_b32_e32 v8, s7
	ds_read_b64 v[8:9], v8
	s_add_i32 s2, s2, -1
	s_addk_i32 s7, 0xfe00
	s_cmp_gt_i32 s2, s6
	s_waitcnt vmcnt(0) lgkmcnt(0)
	v_fma_f64 v[2:3], -v[6:7], v[8:9], v[2:3]
	s_cbranch_scc1 .LBB108_69
	s_branch .LBB108_61
.LBB108_70:
	s_endpgm
	.section	.rodata,"a",@progbits
	.p2align	6, 0x0
	.amdhsa_kernel _ZL30rocblas_trsm_small_left_deviceILi64ELi32ELb0EddPKPKdPKPdEv13rocblas_fill_18rocblas_operation_17rocblas_diagonal_iiT3_T4_lilT5_lili
		.amdhsa_group_segment_fixed_size 32768
		.amdhsa_private_segment_fixed_size 0
		.amdhsa_kernarg_size 360
		.amdhsa_user_sgpr_count 2
		.amdhsa_user_sgpr_dispatch_ptr 0
		.amdhsa_user_sgpr_queue_ptr 0
		.amdhsa_user_sgpr_kernarg_segment_ptr 1
		.amdhsa_user_sgpr_dispatch_id 0
		.amdhsa_user_sgpr_kernarg_preload_length 0
		.amdhsa_user_sgpr_kernarg_preload_offset 0
		.amdhsa_user_sgpr_private_segment_size 0
		.amdhsa_uses_dynamic_stack 0
		.amdhsa_enable_private_segment 0
		.amdhsa_system_sgpr_workgroup_id_x 1
		.amdhsa_system_sgpr_workgroup_id_y 0
		.amdhsa_system_sgpr_workgroup_id_z 1
		.amdhsa_system_sgpr_workgroup_info 0
		.amdhsa_system_vgpr_workitem_id 0
		.amdhsa_next_free_vgpr 204
		.amdhsa_next_free_sgpr 96
		.amdhsa_accum_offset 204
		.amdhsa_reserve_vcc 1
		.amdhsa_float_round_mode_32 0
		.amdhsa_float_round_mode_16_64 0
		.amdhsa_float_denorm_mode_32 3
		.amdhsa_float_denorm_mode_16_64 3
		.amdhsa_dx10_clamp 1
		.amdhsa_ieee_mode 1
		.amdhsa_fp16_overflow 0
		.amdhsa_tg_split 0
		.amdhsa_exception_fp_ieee_invalid_op 0
		.amdhsa_exception_fp_denorm_src 0
		.amdhsa_exception_fp_ieee_div_zero 0
		.amdhsa_exception_fp_ieee_overflow 0
		.amdhsa_exception_fp_ieee_underflow 0
		.amdhsa_exception_fp_ieee_inexact 0
		.amdhsa_exception_int_div_zero 0
	.end_amdhsa_kernel
	.section	.text._ZL30rocblas_trsm_small_left_deviceILi64ELi32ELb0EddPKPKdPKPdEv13rocblas_fill_18rocblas_operation_17rocblas_diagonal_iiT3_T4_lilT5_lili,"axG",@progbits,_ZL30rocblas_trsm_small_left_deviceILi64ELi32ELb0EddPKPKdPKPdEv13rocblas_fill_18rocblas_operation_17rocblas_diagonal_iiT3_T4_lilT5_lili,comdat
.Lfunc_end108:
	.size	_ZL30rocblas_trsm_small_left_deviceILi64ELi32ELb0EddPKPKdPKPdEv13rocblas_fill_18rocblas_operation_17rocblas_diagonal_iiT3_T4_lilT5_lili, .Lfunc_end108-_ZL30rocblas_trsm_small_left_deviceILi64ELi32ELb0EddPKPKdPKPdEv13rocblas_fill_18rocblas_operation_17rocblas_diagonal_iiT3_T4_lilT5_lili
                                        ; -- End function
	.set _ZL30rocblas_trsm_small_left_deviceILi64ELi32ELb0EddPKPKdPKPdEv13rocblas_fill_18rocblas_operation_17rocblas_diagonal_iiT3_T4_lilT5_lili.num_vgpr, 204
	.set _ZL30rocblas_trsm_small_left_deviceILi64ELi32ELb0EddPKPKdPKPdEv13rocblas_fill_18rocblas_operation_17rocblas_diagonal_iiT3_T4_lilT5_lili.num_agpr, 0
	.set _ZL30rocblas_trsm_small_left_deviceILi64ELi32ELb0EddPKPKdPKPdEv13rocblas_fill_18rocblas_operation_17rocblas_diagonal_iiT3_T4_lilT5_lili.numbered_sgpr, 43
	.set _ZL30rocblas_trsm_small_left_deviceILi64ELi32ELb0EddPKPKdPKPdEv13rocblas_fill_18rocblas_operation_17rocblas_diagonal_iiT3_T4_lilT5_lili.num_named_barrier, 0
	.set _ZL30rocblas_trsm_small_left_deviceILi64ELi32ELb0EddPKPKdPKPdEv13rocblas_fill_18rocblas_operation_17rocblas_diagonal_iiT3_T4_lilT5_lili.private_seg_size, 0
	.set _ZL30rocblas_trsm_small_left_deviceILi64ELi32ELb0EddPKPKdPKPdEv13rocblas_fill_18rocblas_operation_17rocblas_diagonal_iiT3_T4_lilT5_lili.uses_vcc, 1
	.set _ZL30rocblas_trsm_small_left_deviceILi64ELi32ELb0EddPKPKdPKPdEv13rocblas_fill_18rocblas_operation_17rocblas_diagonal_iiT3_T4_lilT5_lili.uses_flat_scratch, 0
	.set _ZL30rocblas_trsm_small_left_deviceILi64ELi32ELb0EddPKPKdPKPdEv13rocblas_fill_18rocblas_operation_17rocblas_diagonal_iiT3_T4_lilT5_lili.has_dyn_sized_stack, 0
	.set _ZL30rocblas_trsm_small_left_deviceILi64ELi32ELb0EddPKPKdPKPdEv13rocblas_fill_18rocblas_operation_17rocblas_diagonal_iiT3_T4_lilT5_lili.has_recursion, 0
	.set _ZL30rocblas_trsm_small_left_deviceILi64ELi32ELb0EddPKPKdPKPdEv13rocblas_fill_18rocblas_operation_17rocblas_diagonal_iiT3_T4_lilT5_lili.has_indirect_call, 0
	.section	.AMDGPU.csdata,"",@progbits
; Kernel info:
; codeLenInByte = 26908
; TotalNumSgprs: 49
; NumVgprs: 204
; NumAgprs: 0
; TotalNumVgprs: 204
; ScratchSize: 0
; MemoryBound: 1
; FloatMode: 240
; IeeeMode: 1
; LDSByteSize: 32768 bytes/workgroup (compile time only)
; SGPRBlocks: 12
; VGPRBlocks: 25
; NumSGPRsForWavesPerEU: 102
; NumVGPRsForWavesPerEU: 204
; AccumOffset: 204
; Occupancy: 2
; WaveLimiterHint : 1
; COMPUTE_PGM_RSRC2:SCRATCH_EN: 0
; COMPUTE_PGM_RSRC2:USER_SGPR: 2
; COMPUTE_PGM_RSRC2:TRAP_HANDLER: 0
; COMPUTE_PGM_RSRC2:TGID_X_EN: 1
; COMPUTE_PGM_RSRC2:TGID_Y_EN: 0
; COMPUTE_PGM_RSRC2:TGID_Z_EN: 1
; COMPUTE_PGM_RSRC2:TIDIG_COMP_CNT: 0
; COMPUTE_PGM_RSRC3_GFX90A:ACCUM_OFFSET: 50
; COMPUTE_PGM_RSRC3_GFX90A:TG_SPLIT: 0
	.section	.text._ZL38rocblas_trsm_small_left_device_sharedBILi64ELi32ELb1EddPKPKdPKPdEv13rocblas_fill_18rocblas_operation_17rocblas_diagonal_iiT3_T4_lilT5_lili,"axG",@progbits,_ZL38rocblas_trsm_small_left_device_sharedBILi64ELi32ELb1EddPKPKdPKPdEv13rocblas_fill_18rocblas_operation_17rocblas_diagonal_iiT3_T4_lilT5_lili,comdat
	.globl	_ZL38rocblas_trsm_small_left_device_sharedBILi64ELi32ELb1EddPKPKdPKPdEv13rocblas_fill_18rocblas_operation_17rocblas_diagonal_iiT3_T4_lilT5_lili ; -- Begin function _ZL38rocblas_trsm_small_left_device_sharedBILi64ELi32ELb1EddPKPKdPKPdEv13rocblas_fill_18rocblas_operation_17rocblas_diagonal_iiT3_T4_lilT5_lili
	.p2align	8
	.type	_ZL38rocblas_trsm_small_left_device_sharedBILi64ELi32ELb1EddPKPKdPKPdEv13rocblas_fill_18rocblas_operation_17rocblas_diagonal_iiT3_T4_lilT5_lili,@function
_ZL38rocblas_trsm_small_left_device_sharedBILi64ELi32ELb1EddPKPKdPKPdEv13rocblas_fill_18rocblas_operation_17rocblas_diagonal_iiT3_T4_lilT5_lili: ; @_ZL38rocblas_trsm_small_left_device_sharedBILi64ELi32ELb1EddPKPKdPKPdEv13rocblas_fill_18rocblas_operation_17rocblas_diagonal_iiT3_T4_lilT5_lili
; %bb.0:
	s_load_dwordx2 s[18:19], s[0:1], 0x28
	s_load_dwordx4 s[12:15], s[0:1], 0x40
	s_load_dwordx4 s[4:7], s[0:1], 0x4
	;; [unrolled: 1-line block ×3, first 2 shown]
	s_mov_b32 s16, s3
	s_mov_b32 s17, 0
	s_lshl_b64 s[20:21], s[16:17], 3
	s_waitcnt lgkmcnt(0)
	s_add_u32 s12, s12, s20
	s_addc_u32 s13, s13, s21
	s_load_dwordx2 s[12:13], s[12:13], 0x0
	s_min_i32 s22, s6, 64
	v_cmp_gt_i32_e32 vcc, s22, v0
	v_lshlrev_b32_e32 v2, 3, v0
	s_and_saveexec_b64 s[16:17], vcc
	s_cbranch_execz .LBB109_6
; %bb.1:
	s_load_dword s24, s[0:1], 0x30
	v_mov_b32_e32 v3, 0
	v_mov_b32_e32 v1, v2
	s_mov_b32 s3, s22
	s_waitcnt lgkmcnt(0)
	s_ashr_i32 s25, s24, 31
	s_add_u32 s10, s10, s20
	s_addc_u32 s11, s11, s21
	s_load_dwordx2 s[10:11], s[10:11], 0x0
	s_lshl_b64 s[18:19], s[18:19], 3
	s_waitcnt lgkmcnt(0)
	s_add_u32 s18, s10, s18
	s_addc_u32 s19, s11, s19
	s_lshl_b64 s[10:11], s[24:25], 3
	v_lshl_add_u64 v[4:5], s[18:19], 0, v[2:3]
.LBB109_2:                              ; =>This Inner Loop Header: Depth=1
	flat_load_dwordx2 v[6:7], v[4:5]
	s_add_i32 s3, s3, -1
	v_lshl_add_u64 v[4:5], v[4:5], 0, s[10:11]
	s_cmp_eq_u32 s3, 0
	s_waitcnt vmcnt(0) lgkmcnt(0)
	ds_write_b64 v1, v[6:7]
	v_add_u32_e32 v1, 0x200, v1
	s_cbranch_scc0 .LBB109_2
; %bb.3:
	v_lshlrev_b32_e32 v1, 9, v0
	s_cmpk_lg_i32 s5, 0x84
	v_mov_b64_e32 v[4:5], 1.0
	v_add_u32_e32 v1, v2, v1
	s_cbranch_scc0 .LBB109_5
; %bb.4:
	ds_read_b64 v[4:5], v1
	s_waitcnt lgkmcnt(0)
	v_div_scale_f64 v[6:7], s[10:11], v[4:5], v[4:5], 1.0
	v_rcp_f64_e32 v[8:9], v[6:7]
	v_div_scale_f64 v[10:11], vcc, 1.0, v[4:5], 1.0
	v_fma_f64 v[12:13], -v[6:7], v[8:9], 1.0
	v_fmac_f64_e32 v[8:9], v[8:9], v[12:13]
	v_fma_f64 v[12:13], -v[6:7], v[8:9], 1.0
	v_fmac_f64_e32 v[8:9], v[8:9], v[12:13]
	v_mul_f64 v[12:13], v[10:11], v[8:9]
	v_fma_f64 v[6:7], -v[6:7], v[12:13], v[10:11]
	v_div_fmas_f64 v[6:7], v[6:7], v[8:9], v[12:13]
	v_div_fixup_f64 v[4:5], v[6:7], v[4:5], 1.0
.LBB109_5:
	ds_write_b64 v1, v[4:5]
.LBB109_6:
	s_or_b64 exec, exec, s[16:17]
	s_load_dword s3, s[0:1], 0x68
	s_load_dword s16, s[0:1], 0x50
	s_lshl_b64 s[0:1], s[14:15], 3
	s_waitcnt lgkmcnt(0)
	s_add_u32 s5, s12, s0
	s_addc_u32 s10, s13, s1
	s_lshl_b32 s0, s2, 6
	s_add_i32 s3, s3, -1
	s_sub_i32 s1, s7, s0
	s_cmp_ge_u32 s2, s3
	s_cselect_b32 s7, s1, 64
	s_mul_hi_i32 s1, s16, s0
	s_mul_i32 s0, s16, s0
	s_lshl_b64 s[0:1], s[0:1], 3
	s_add_u32 s2, s5, s0
	s_addc_u32 s3, s10, s1
	s_cmp_gt_i32 s6, 0
	v_cmp_gt_i32_e64 s[0:1], s7, v0
	s_cselect_b64 s[10:11], -1, 0
	s_and_b64 s[14:15], s[0:1], s[10:11]
	s_and_saveexec_b64 s[12:13], s[14:15]
	s_cbranch_execz .LBB109_9
; %bb.7:
	v_mad_i64_i32 v[4:5], s[14:15], s16, v0, 0
	v_mov_b32_e32 v1, 0x8000
	v_lshl_add_u64 v[4:5], v[4:5], 3, s[2:3]
	v_lshl_or_b32 v1, v0, 3, v1
	s_mov_b32 s5, s22
.LBB109_8:                              ; =>This Inner Loop Header: Depth=1
	flat_load_dwordx2 v[6:7], v[4:5]
	s_add_i32 s5, s5, -1
	v_lshl_add_u64 v[4:5], v[4:5], 0, 8
	s_cmp_lg_u32 s5, 0
	s_waitcnt vmcnt(0) lgkmcnt(0)
	v_mul_f64 v[6:7], s[8:9], v[6:7]
	ds_write_b64 v1, v[6:7]
	v_add_u32_e32 v1, 0x200, v1
	s_cbranch_scc1 .LBB109_8
.LBB109_9:
	s_or_b64 exec, exec, s[12:13]
	v_mov_b32_e32 v1, 0x8000
	s_cmpk_eq_i32 s4, 0x6f
	v_lshl_or_b32 v1, v0, 3, v1
	s_mov_b64 s[4:5], -1
	s_waitcnt lgkmcnt(0)
	; wave barrier
	s_cbranch_scc1 .LBB109_43
; %bb.10:
	s_add_i32 s4, s22, -1
	s_cmp_lt_i32 s6, 32
	s_mov_b32 s5, s4
	s_cbranch_scc1 .LBB109_17
; %bb.11:
	v_lshl_or_b32 v3, s22, 9, v2
	s_lshl_b32 s5, s22, 3
	v_add_u32_e32 v3, 0x7e00, v3
	s_addk_i32 s5, 0xc1f8
	s_mov_b32 s8, s4
	s_branch .LBB109_13
.LBB109_12:                             ;   in Loop: Header=BB109_13 Depth=1
	s_mul_i32 s8, s7, 0x208
	v_mov_b32_e32 v69, s8
	s_add_i32 s8, s7, -1
	s_lshl_b32 s9, s8, 9
	s_lshl_b32 s8, s8, 3
	s_add_i32 s8, s9, s8
	ds_read_b64 v[74:75], v69
	v_mov_b32_e32 v69, s8
	ds_read2_b64 v[70:73], v69 offset1:1
	s_add_i32 s12, s7, -2
	s_lshl_b32 s13, s12, 9
	s_lshl_b32 s8, s7, 3
	;; [unrolled: 1-line block ×3, first 2 shown]
	s_waitcnt lgkmcnt(1)
	v_mul_f64 v[10:11], v[74:75], v[10:11]
	s_add_i32 s14, s13, s8
	s_add_i32 s12, s13, s12
	ds_write_b64 v68, v[10:11]
	s_waitcnt lgkmcnt(1)
	v_fma_f64 v[14:15], -v[10:11], v[72:73], v[14:15]
	v_mov_b32_e32 v68, s14
	v_mov_b32_e32 v72, s12
	ds_read_b64 v[68:69], v68
	ds_read2_b64 v[72:75], v72 offset1:1
	v_mul_f64 v[14:15], v[70:71], v[14:15]
	v_add_u32_e32 v70, s9, v1
	s_add_i32 s9, s7, -3
	s_lshl_b32 s12, s9, 9
	s_add_i32 s14, s12, s8
	s_add_i32 s14, s14, -8
	s_waitcnt lgkmcnt(1)
	v_fma_f64 v[12:13], -v[10:11], v[68:69], v[12:13]
	v_mov_b32_e32 v68, s14
	ds_write_b64 v70, v[14:15]
	ds_read2_b64 v[68:71], v68 offset1:1
	s_lshl_b32 s9, s9, 3
	s_waitcnt lgkmcnt(2)
	v_fma_f64 v[12:13], -v[14:15], v[74:75], v[12:13]
	s_add_i32 s9, s12, s9
	v_mul_f64 v[12:13], v[72:73], v[12:13]
	v_mov_b32_e32 v72, s9
	ds_read2_b64 v[72:75], v72 offset1:1
	s_add_i32 s9, s7, -4
	v_add_u32_e32 v76, s13, v1
	s_lshl_b32 s13, s9, 9
	s_waitcnt lgkmcnt(1)
	v_fma_f64 v[16:17], -v[10:11], v[70:71], v[16:17]
	s_add_i32 s14, s13, s8
	v_fma_f64 v[16:17], -v[14:15], v[68:69], v[16:17]
	v_mov_b32_e32 v68, s14
	s_add_i32 s14, s14, -16
	ds_write_b64 v76, v[12:13]
	v_mov_b32_e32 v69, s14
	s_waitcnt lgkmcnt(1)
	v_fma_f64 v[16:17], -v[12:13], v[74:75], v[16:17]
	ds_read_b64 v[74:75], v68
	ds_read2_b64 v[68:71], v69 offset1:1
	s_lshl_b32 s9, s9, 3
	s_add_i32 s9, s13, s9
	v_mul_f64 v[16:17], v[72:73], v[16:17]
	s_waitcnt lgkmcnt(1)
	v_fma_f64 v[18:19], -v[10:11], v[74:75], v[18:19]
	s_waitcnt lgkmcnt(0)
	v_fma_f64 v[18:19], -v[14:15], v[70:71], v[18:19]
	v_fma_f64 v[18:19], -v[12:13], v[68:69], v[18:19]
	v_mov_b32_e32 v68, s9
	ds_read2_b64 v[68:71], v68 offset1:1
	s_add_i32 s9, s7, -5
	v_add_u32_e32 v72, s12, v1
	s_lshl_b32 s12, s9, 9
	s_add_i32 s14, s12, s8
	s_add_i32 s15, s14, -8
	ds_write_b64 v72, v[16:17]
	v_mov_b32_e32 v72, s15
	ds_read2_b64 v[72:75], v72 offset1:1
	s_waitcnt lgkmcnt(2)
	v_fma_f64 v[18:19], -v[16:17], v[70:71], v[18:19]
	v_mul_f64 v[18:19], v[68:69], v[18:19]
	v_add_u32_e32 v68, s13, v1
	s_sub_i32 s13, s14, 24
	ds_write_b64 v68, v[18:19]
	v_mov_b32_e32 v68, s13
	ds_read2_b64 v[68:71], v68 offset1:1
	s_lshl_b32 s9, s9, 3
	s_add_i32 s9, s12, s9
	s_waitcnt lgkmcnt(2)
	v_fma_f64 v[20:21], -v[10:11], v[74:75], v[20:21]
	v_mov_b32_e32 v76, s9
	v_fma_f64 v[20:21], -v[14:15], v[72:73], v[20:21]
	ds_read2_b64 v[76:79], v76 offset1:1
	s_waitcnt lgkmcnt(1)
	v_fma_f64 v[20:21], -v[12:13], v[70:71], v[20:21]
	s_add_i32 s9, s7, -6
	v_fma_f64 v[20:21], -v[16:17], v[68:69], v[20:21]
	v_add_u32_e32 v68, s12, v1
	s_lshl_b32 s12, s9, 9
	s_add_i32 s13, s12, s8
	v_mov_b32_e32 v69, s13
	ds_read_b64 v[72:73], v69
	s_waitcnt lgkmcnt(1)
	v_fma_f64 v[20:21], -v[18:19], v[78:79], v[20:21]
	s_lshl_b32 s9, s9, 3
	v_mul_f64 v[20:21], v[76:77], v[20:21]
	s_add_i32 s14, s13, -16
	s_add_i32 s9, s12, s9
	ds_write_b64 v68, v[20:21]
	v_mov_b32_e32 v68, s14
	v_mov_b32_e32 v76, s9
	s_sub_i32 s13, s13, 32
	ds_read2_b64 v[76:79], v76 offset1:1
	ds_read2_b64 v[68:71], v68 offset1:1
	s_waitcnt lgkmcnt(3)
	v_fma_f64 v[22:23], -v[10:11], v[72:73], v[22:23]
	v_mov_b32_e32 v72, s13
	ds_read2_b64 v[72:75], v72 offset1:1
	s_add_i32 s9, s7, -7
	s_waitcnt lgkmcnt(1)
	v_fma_f64 v[22:23], -v[14:15], v[70:71], v[22:23]
	v_fma_f64 v[22:23], -v[12:13], v[68:69], v[22:23]
	s_waitcnt lgkmcnt(0)
	v_fma_f64 v[22:23], -v[16:17], v[74:75], v[22:23]
	v_fma_f64 v[22:23], -v[18:19], v[72:73], v[22:23]
	v_add_u32_e32 v72, s12, v1
	s_lshl_b32 s12, s9, 9
	s_add_i32 s13, s12, s8
	s_add_i32 s14, s13, -8
	v_mov_b32_e32 v68, s14
	ds_read2_b64 v[68:71], v68 offset1:1
	v_fma_f64 v[22:23], -v[20:21], v[78:79], v[22:23]
	v_mul_f64 v[22:23], v[76:77], v[22:23]
	s_sub_i32 s14, s13, 24
	ds_write_b64 v72, v[22:23]
	v_mov_b32_e32 v72, s14
	ds_read2_b64 v[72:75], v72 offset1:1
	s_waitcnt lgkmcnt(2)
	v_fma_f64 v[26:27], -v[10:11], v[70:71], v[26:27]
	s_sub_i32 s13, s13, 40
	v_fma_f64 v[26:27], -v[14:15], v[68:69], v[26:27]
	v_mov_b32_e32 v68, s13
	ds_read2_b64 v[68:71], v68 offset1:1
	s_lshl_b32 s9, s9, 3
	s_add_i32 s9, s12, s9
	v_mov_b32_e32 v76, s9
	ds_read2_b64 v[76:79], v76 offset1:1
	s_waitcnt lgkmcnt(2)
	v_fma_f64 v[26:27], -v[12:13], v[74:75], v[26:27]
	v_fma_f64 v[26:27], -v[16:17], v[72:73], v[26:27]
	s_waitcnt lgkmcnt(1)
	v_fma_f64 v[26:27], -v[18:19], v[70:71], v[26:27]
	s_add_i32 s9, s7, -8
	v_fma_f64 v[26:27], -v[20:21], v[68:69], v[26:27]
	v_add_u32_e32 v68, s12, v1
	s_lshl_b32 s12, s9, 9
	s_add_i32 s13, s12, s8
	s_waitcnt lgkmcnt(0)
	v_fma_f64 v[26:27], -v[22:23], v[78:79], v[26:27]
	v_mov_b32_e32 v69, s13
	v_mul_f64 v[26:27], v[76:77], v[26:27]
	ds_read_b64 v[72:73], v69
	s_add_i32 s14, s13, -16
	ds_write_b64 v68, v[26:27]
	v_mov_b32_e32 v68, s14
	s_sub_i32 s14, s13, 32
	s_sub_i32 s13, s13, 48
	v_mov_b32_e32 v76, s13
	ds_read2_b64 v[76:79], v76 offset1:1
	ds_read2_b64 v[68:71], v68 offset1:1
	s_waitcnt lgkmcnt(3)
	v_fma_f64 v[28:29], -v[10:11], v[72:73], v[28:29]
	v_mov_b32_e32 v72, s14
	ds_read2_b64 v[72:75], v72 offset1:1
	s_lshl_b32 s9, s9, 3
	s_waitcnt lgkmcnt(1)
	v_fma_f64 v[28:29], -v[14:15], v[70:71], v[28:29]
	s_add_i32 s9, s12, s9
	v_fma_f64 v[28:29], -v[12:13], v[68:69], v[28:29]
	v_mov_b32_e32 v68, s9
	ds_read2_b64 v[68:71], v68 offset1:1
	s_add_i32 s9, s7, -9
	s_waitcnt lgkmcnt(1)
	v_fma_f64 v[28:29], -v[16:17], v[74:75], v[28:29]
	s_lshl_b32 s13, s9, 9
	v_fma_f64 v[28:29], -v[18:19], v[72:73], v[28:29]
	s_add_i32 s14, s13, s8
	v_fma_f64 v[28:29], -v[20:21], v[78:79], v[28:29]
	s_add_i32 s15, s14, -8
	v_fma_f64 v[28:29], -v[22:23], v[76:77], v[28:29]
	v_mov_b32_e32 v72, s15
	ds_read2_b64 v[72:75], v72 offset1:1
	s_waitcnt lgkmcnt(1)
	v_fma_f64 v[28:29], -v[26:27], v[70:71], v[28:29]
	v_mul_f64 v[28:29], v[68:69], v[28:29]
	v_add_u32_e32 v68, s12, v1
	s_sub_i32 s12, s14, 24
	ds_write_b64 v68, v[28:29]
	v_mov_b32_e32 v68, s12
	ds_read2_b64 v[68:71], v68 offset1:1
	s_waitcnt lgkmcnt(2)
	v_fma_f64 v[30:31], -v[10:11], v[74:75], v[30:31]
	s_sub_i32 s12, s14, 40
	v_fma_f64 v[30:31], -v[14:15], v[72:73], v[30:31]
	v_mov_b32_e32 v72, s12
	ds_read2_b64 v[72:75], v72 offset1:1
	s_waitcnt lgkmcnt(1)
	v_fma_f64 v[30:31], -v[12:13], v[70:71], v[30:31]
	s_sub_i32 s12, s14, 56
	v_fma_f64 v[30:31], -v[16:17], v[68:69], v[30:31]
	v_mov_b32_e32 v68, s12
	ds_read2_b64 v[68:71], v68 offset1:1
	s_lshl_b32 s9, s9, 3
	s_add_i32 s9, s13, s9
	v_mov_b32_e32 v76, s9
	s_add_i32 s9, s7, -10
	s_waitcnt lgkmcnt(1)
	v_fma_f64 v[30:31], -v[18:19], v[74:75], v[30:31]
	s_lshl_b32 s12, s9, 9
	v_fma_f64 v[30:31], -v[20:21], v[72:73], v[30:31]
	s_add_i32 s14, s12, s8
	ds_read2_b64 v[76:79], v76 offset1:1
	s_waitcnt lgkmcnt(1)
	v_fma_f64 v[30:31], -v[22:23], v[70:71], v[30:31]
	s_add_i32 s15, s14, -16
	v_fma_f64 v[30:31], -v[26:27], v[68:69], v[30:31]
	v_mov_b32_e32 v68, s14
	v_mov_b32_e32 v69, s15
	ds_read_b64 v[72:73], v68
	ds_read2_b64 v[68:71], v69 offset1:1
	v_add_u32_e32 v74, s13, v1
	s_sub_i32 s13, s14, 32
	s_waitcnt lgkmcnt(2)
	v_fma_f64 v[30:31], -v[28:29], v[78:79], v[30:31]
	s_waitcnt lgkmcnt(1)
	v_fma_f64 v[34:35], -v[10:11], v[72:73], v[34:35]
	;; [unrolled: 2-line block ×3, first 2 shown]
	v_mov_b32_e32 v70, s13
	ds_read2_b64 v[70:73], v70 offset1:1
	s_sub_i32 s13, s14, 48
	v_mul_f64 v[30:31], v[76:77], v[30:31]
	v_fma_f64 v[34:35], -v[12:13], v[68:69], v[34:35]
	v_mov_b32_e32 v68, s13
	ds_write_b64 v74, v[30:31]
	ds_read2_b64 v[74:77], v68 offset1:1
	s_sub_i32 s13, s14, 64
	s_waitcnt lgkmcnt(2)
	v_fma_f64 v[34:35], -v[16:17], v[72:73], v[34:35]
	v_mov_b32_e32 v68, s13
	v_fma_f64 v[34:35], -v[18:19], v[70:71], v[34:35]
	ds_read2_b64 v[68:71], v68 offset1:1
	s_lshl_b32 s9, s9, 3
	s_add_i32 s9, s12, s9
	v_mov_b32_e32 v72, s9
	s_add_i32 s9, s7, -11
	s_waitcnt lgkmcnt(1)
	v_fma_f64 v[34:35], -v[20:21], v[76:77], v[34:35]
	s_lshl_b32 s13, s9, 9
	v_fma_f64 v[34:35], -v[22:23], v[74:75], v[34:35]
	s_add_i32 s14, s13, s8
	ds_read2_b64 v[78:81], v72 offset1:1
	s_waitcnt lgkmcnt(1)
	v_fma_f64 v[34:35], -v[26:27], v[70:71], v[34:35]
	s_add_i32 s15, s14, -8
	v_fma_f64 v[34:35], -v[28:29], v[68:69], v[34:35]
	v_mov_b32_e32 v68, s15
	ds_read2_b64 v[68:71], v68 offset1:1
	s_sub_i32 s15, s14, 24
	v_mov_b32_e32 v72, s15
	ds_read2_b64 v[72:75], v72 offset1:1
	v_add_u32_e32 v76, s12, v1
	s_waitcnt lgkmcnt(1)
	v_fma_f64 v[36:37], -v[10:11], v[70:71], v[36:37]
	s_sub_i32 s12, s14, 40
	v_fma_f64 v[36:37], -v[14:15], v[68:69], v[36:37]
	v_mov_b32_e32 v68, s12
	ds_read2_b64 v[68:71], v68 offset1:1
	s_waitcnt lgkmcnt(1)
	v_fma_f64 v[36:37], -v[12:13], v[74:75], v[36:37]
	s_sub_i32 s12, s14, 56
	v_fma_f64 v[36:37], -v[16:17], v[72:73], v[36:37]
	v_mov_b32_e32 v72, s12
	ds_read2_b64 v[72:75], v72 offset1:1
	s_waitcnt lgkmcnt(1)
	v_fma_f64 v[36:37], -v[18:19], v[70:71], v[36:37]
	s_add_i32 s12, s14, 0xffffffb8
	v_fma_f64 v[36:37], -v[20:21], v[68:69], v[36:37]
	v_mov_b32_e32 v68, s12
	v_fma_f64 v[34:35], -v[30:31], v[80:81], v[34:35]
	ds_read2_b64 v[68:71], v68 offset1:1
	s_lshl_b32 s9, s9, 3
	v_mul_f64 v[34:35], v[78:79], v[34:35]
	s_add_i32 s9, s13, s9
	ds_write_b64 v76, v[34:35]
	v_mov_b32_e32 v76, s9
	s_add_i32 s9, s7, -12
	s_waitcnt lgkmcnt(2)
	v_fma_f64 v[36:37], -v[22:23], v[74:75], v[36:37]
	s_lshl_b32 s12, s9, 9
	v_fma_f64 v[36:37], -v[26:27], v[72:73], v[36:37]
	s_add_i32 s14, s12, s8
	ds_read2_b64 v[76:79], v76 offset1:1
	s_waitcnt lgkmcnt(2)
	v_fma_f64 v[36:37], -v[28:29], v[70:71], v[36:37]
	s_add_i32 s15, s14, -16
	v_fma_f64 v[36:37], -v[30:31], v[68:69], v[36:37]
	v_mov_b32_e32 v68, s14
	v_mov_b32_e32 v69, s15
	ds_read_b64 v[72:73], v68
	ds_read2_b64 v[68:71], v69 offset1:1
	v_add_u32_e32 v74, s13, v1
	s_sub_i32 s13, s14, 32
	s_waitcnt lgkmcnt(2)
	v_fma_f64 v[36:37], -v[34:35], v[78:79], v[36:37]
	s_waitcnt lgkmcnt(1)
	v_fma_f64 v[40:41], -v[10:11], v[72:73], v[40:41]
	;; [unrolled: 2-line block ×3, first 2 shown]
	v_mov_b32_e32 v70, s13
	ds_read2_b64 v[70:73], v70 offset1:1
	s_sub_i32 s13, s14, 48
	v_mul_f64 v[36:37], v[76:77], v[36:37]
	v_fma_f64 v[40:41], -v[12:13], v[68:69], v[40:41]
	v_mov_b32_e32 v68, s13
	ds_write_b64 v74, v[36:37]
	ds_read2_b64 v[74:77], v68 offset1:1
	s_sub_i32 s13, s14, 64
	s_waitcnt lgkmcnt(2)
	v_fma_f64 v[40:41], -v[16:17], v[72:73], v[40:41]
	v_mov_b32_e32 v68, s13
	v_fma_f64 v[40:41], -v[18:19], v[70:71], v[40:41]
	ds_read2_b64 v[68:71], v68 offset1:1
	s_add_i32 s13, s14, 0xffffffb0
	s_waitcnt lgkmcnt(1)
	v_fma_f64 v[40:41], -v[20:21], v[76:77], v[40:41]
	v_mov_b32_e32 v72, s13
	v_fma_f64 v[40:41], -v[22:23], v[74:75], v[40:41]
	s_lshl_b32 s9, s9, 3
	ds_read2_b64 v[78:81], v72 offset1:1
	s_waitcnt lgkmcnt(1)
	v_fma_f64 v[40:41], -v[26:27], v[70:71], v[40:41]
	s_add_i32 s9, s12, s9
	v_fma_f64 v[40:41], -v[28:29], v[68:69], v[40:41]
	v_mov_b32_e32 v68, s9
	ds_read2_b64 v[68:71], v68 offset1:1
	s_add_i32 s9, s7, -13
	s_lshl_b32 s13, s9, 9
	s_add_i32 s14, s13, s8
	s_waitcnt lgkmcnt(1)
	v_fma_f64 v[40:41], -v[30:31], v[80:81], v[40:41]
	s_add_i32 s15, s14, -8
	v_fma_f64 v[40:41], -v[34:35], v[78:79], v[40:41]
	v_mov_b32_e32 v72, s15
	ds_read2_b64 v[72:75], v72 offset1:1
	s_waitcnt lgkmcnt(1)
	v_fma_f64 v[40:41], -v[36:37], v[70:71], v[40:41]
	v_mul_f64 v[40:41], v[68:69], v[40:41]
	v_add_u32_e32 v68, s12, v1
	s_sub_i32 s12, s14, 24
	ds_write_b64 v68, v[40:41]
	v_mov_b32_e32 v68, s12
	ds_read2_b64 v[68:71], v68 offset1:1
	s_sub_i32 s12, s14, 40
	s_waitcnt lgkmcnt(2)
	v_fma_f64 v[42:43], -v[10:11], v[74:75], v[42:43]
	v_mov_b32_e32 v76, s12
	v_fma_f64 v[42:43], -v[14:15], v[72:73], v[42:43]
	ds_read2_b64 v[76:79], v76 offset1:1
	s_waitcnt lgkmcnt(1)
	v_fma_f64 v[42:43], -v[12:13], v[70:71], v[42:43]
	s_sub_i32 s12, s14, 56
	v_fma_f64 v[42:43], -v[16:17], v[68:69], v[42:43]
	v_mov_b32_e32 v68, s12
	ds_read2_b64 v[68:71], v68 offset1:1
	s_waitcnt lgkmcnt(1)
	v_fma_f64 v[42:43], -v[18:19], v[78:79], v[42:43]
	s_add_i32 s12, s14, 0xffffffb8
	v_fma_f64 v[42:43], -v[20:21], v[76:77], v[42:43]
	v_mov_b32_e32 v72, s12
	ds_read2_b64 v[72:75], v72 offset1:1
	s_waitcnt lgkmcnt(1)
	v_fma_f64 v[42:43], -v[22:23], v[70:71], v[42:43]
	s_add_i32 s12, s14, 0xffffffa8
	v_fma_f64 v[42:43], -v[26:27], v[68:69], v[42:43]
	v_mov_b32_e32 v68, s12
	ds_read2_b64 v[68:71], v68 offset1:1
	s_lshl_b32 s9, s9, 3
	s_add_i32 s9, s13, s9
	v_mov_b32_e32 v76, s9
	ds_read2_b64 v[76:79], v76 offset1:1
	s_waitcnt lgkmcnt(2)
	v_fma_f64 v[42:43], -v[28:29], v[74:75], v[42:43]
	v_fma_f64 v[42:43], -v[30:31], v[72:73], v[42:43]
	s_add_i32 s9, s7, -14
	s_waitcnt lgkmcnt(1)
	v_fma_f64 v[42:43], -v[34:35], v[70:71], v[42:43]
	s_lshl_b32 s12, s9, 9
	v_fma_f64 v[42:43], -v[36:37], v[68:69], v[42:43]
	v_add_u32_e32 v68, s13, v1
	s_add_i32 s13, s12, s8
	v_mov_b32_e32 v69, s13
	s_waitcnt lgkmcnt(0)
	v_fma_f64 v[42:43], -v[40:41], v[78:79], v[42:43]
	ds_read_b64 v[72:73], v69
	v_mul_f64 v[42:43], v[76:77], v[42:43]
	s_add_i32 s14, s13, -16
	ds_write_b64 v68, v[42:43]
	v_mov_b32_e32 v68, s14
	ds_read2_b64 v[68:71], v68 offset1:1
	s_sub_i32 s14, s13, 32
	s_waitcnt lgkmcnt(2)
	v_fma_f64 v[46:47], -v[10:11], v[72:73], v[46:47]
	v_mov_b32_e32 v72, s14
	ds_read2_b64 v[72:75], v72 offset1:1
	s_sub_i32 s14, s13, 48
	v_mov_b32_e32 v76, s14
	ds_read2_b64 v[76:79], v76 offset1:1
	s_waitcnt lgkmcnt(2)
	v_fma_f64 v[46:47], -v[14:15], v[70:71], v[46:47]
	s_sub_i32 s14, s13, 64
	v_fma_f64 v[46:47], -v[12:13], v[68:69], v[46:47]
	v_mov_b32_e32 v68, s14
	ds_read2_b64 v[68:71], v68 offset1:1
	s_waitcnt lgkmcnt(2)
	v_fma_f64 v[46:47], -v[16:17], v[74:75], v[46:47]
	v_fma_f64 v[46:47], -v[18:19], v[72:73], v[46:47]
	s_add_i32 s14, s13, 0xffffffb0
	s_waitcnt lgkmcnt(1)
	v_fma_f64 v[46:47], -v[20:21], v[78:79], v[46:47]
	v_mov_b32_e32 v72, s14
	v_fma_f64 v[46:47], -v[22:23], v[76:77], v[46:47]
	ds_read2_b64 v[72:75], v72 offset1:1
	s_waitcnt lgkmcnt(1)
	v_fma_f64 v[46:47], -v[26:27], v[70:71], v[46:47]
	s_addk_i32 s13, 0xffa0
	v_fma_f64 v[46:47], -v[28:29], v[68:69], v[46:47]
	v_mov_b32_e32 v68, s13
	ds_read2_b64 v[68:71], v68 offset1:1
	s_lshl_b32 s9, s9, 3
	s_add_i32 s9, s12, s9
	v_mov_b32_e32 v76, s9
	s_waitcnt lgkmcnt(1)
	v_fma_f64 v[46:47], -v[30:31], v[74:75], v[46:47]
	s_add_i32 s9, s7, -15
	v_fma_f64 v[46:47], -v[34:35], v[72:73], v[46:47]
	v_add_u32_e32 v72, s12, v1
	s_lshl_b32 s12, s9, 9
	ds_read2_b64 v[76:79], v76 offset1:1
	s_add_i32 s13, s12, s8
	s_waitcnt lgkmcnt(1)
	v_fma_f64 v[46:47], -v[36:37], v[70:71], v[46:47]
	s_add_i32 s14, s13, -8
	v_fma_f64 v[46:47], -v[40:41], v[68:69], v[46:47]
	v_mov_b32_e32 v68, s14
	ds_read2_b64 v[68:71], v68 offset1:1
	s_waitcnt lgkmcnt(1)
	v_fma_f64 v[46:47], -v[42:43], v[78:79], v[46:47]
	v_mul_f64 v[46:47], v[76:77], v[46:47]
	s_sub_i32 s14, s13, 24
	ds_write_b64 v72, v[46:47]
	v_mov_b32_e32 v72, s14
	ds_read2_b64 v[72:75], v72 offset1:1
	s_waitcnt lgkmcnt(2)
	v_fma_f64 v[48:49], -v[10:11], v[70:71], v[48:49]
	s_sub_i32 s14, s13, 40
	v_fma_f64 v[48:49], -v[14:15], v[68:69], v[48:49]
	v_mov_b32_e32 v68, s14
	ds_read2_b64 v[68:71], v68 offset1:1
	s_sub_i32 s14, s13, 56
	s_waitcnt lgkmcnt(1)
	v_fma_f64 v[48:49], -v[12:13], v[74:75], v[48:49]
	v_mov_b32_e32 v76, s14
	v_fma_f64 v[48:49], -v[16:17], v[72:73], v[48:49]
	ds_read2_b64 v[76:79], v76 offset1:1
	s_waitcnt lgkmcnt(1)
	v_fma_f64 v[48:49], -v[18:19], v[70:71], v[48:49]
	s_add_i32 s14, s13, 0xffffffb8
	v_fma_f64 v[48:49], -v[20:21], v[68:69], v[48:49]
	v_mov_b32_e32 v68, s14
	ds_read2_b64 v[68:71], v68 offset1:1
	s_waitcnt lgkmcnt(1)
	v_fma_f64 v[48:49], -v[22:23], v[78:79], v[48:49]
	s_add_i32 s14, s13, 0xffffffa8
	v_fma_f64 v[48:49], -v[26:27], v[76:77], v[48:49]
	v_mov_b32_e32 v72, s14
	ds_read2_b64 v[72:75], v72 offset1:1
	s_waitcnt lgkmcnt(1)
	v_fma_f64 v[48:49], -v[28:29], v[70:71], v[48:49]
	s_addk_i32 s13, 0xff98
	v_fma_f64 v[48:49], -v[30:31], v[68:69], v[48:49]
	v_mov_b32_e32 v68, s13
	ds_read2_b64 v[68:71], v68 offset1:1
	s_lshl_b32 s9, s9, 3
	s_add_i32 s9, s12, s9
	v_mov_b32_e32 v76, s9
	s_waitcnt lgkmcnt(1)
	v_fma_f64 v[48:49], -v[34:35], v[74:75], v[48:49]
	ds_read2_b64 v[76:79], v76 offset1:1
	v_fma_f64 v[48:49], -v[36:37], v[72:73], v[48:49]
	s_waitcnt lgkmcnt(1)
	v_fma_f64 v[48:49], -v[40:41], v[70:71], v[48:49]
	s_add_i32 s9, s7, -16
	v_fma_f64 v[48:49], -v[42:43], v[68:69], v[48:49]
	v_add_u32_e32 v68, s12, v1
	s_lshl_b32 s12, s9, 9
	s_add_i32 s13, s12, s8
	v_mov_b32_e32 v69, s13
	s_waitcnt lgkmcnt(0)
	v_fma_f64 v[48:49], -v[46:47], v[78:79], v[48:49]
	ds_read_b64 v[72:73], v69
	v_mul_f64 v[48:49], v[76:77], v[48:49]
	s_add_i32 s14, s13, -16
	ds_write_b64 v68, v[48:49]
	v_mov_b32_e32 v68, s14
	ds_read2_b64 v[68:71], v68 offset1:1
	s_sub_i32 s14, s13, 32
	s_waitcnt lgkmcnt(2)
	v_fma_f64 v[52:53], -v[10:11], v[72:73], v[52:53]
	v_mov_b32_e32 v72, s14
	ds_read2_b64 v[72:75], v72 offset1:1
	s_sub_i32 s14, s13, 48
	v_mov_b32_e32 v76, s14
	ds_read2_b64 v[76:79], v76 offset1:1
	s_waitcnt lgkmcnt(2)
	v_fma_f64 v[52:53], -v[14:15], v[70:71], v[52:53]
	s_sub_i32 s14, s13, 64
	v_fma_f64 v[52:53], -v[12:13], v[68:69], v[52:53]
	v_mov_b32_e32 v68, s14
	ds_read2_b64 v[68:71], v68 offset1:1
	s_waitcnt lgkmcnt(2)
	v_fma_f64 v[52:53], -v[16:17], v[74:75], v[52:53]
	v_fma_f64 v[52:53], -v[18:19], v[72:73], v[52:53]
	s_waitcnt lgkmcnt(1)
	v_fma_f64 v[52:53], -v[20:21], v[78:79], v[52:53]
	s_add_i32 s14, s13, 0xffffffb0
	v_fma_f64 v[52:53], -v[22:23], v[76:77], v[52:53]
	v_mov_b32_e32 v72, s14
	ds_read2_b64 v[72:75], v72 offset1:1
	s_waitcnt lgkmcnt(1)
	v_fma_f64 v[52:53], -v[26:27], v[70:71], v[52:53]
	s_add_i32 s14, s13, 0xffffffa0
	v_fma_f64 v[52:53], -v[28:29], v[68:69], v[52:53]
	v_mov_b32_e32 v68, s14
	ds_read2_b64 v[68:71], v68 offset1:1
	s_addk_i32 s13, 0xff90
	s_waitcnt lgkmcnt(1)
	v_fma_f64 v[52:53], -v[30:31], v[74:75], v[52:53]
	v_mov_b32_e32 v76, s13
	v_fma_f64 v[52:53], -v[34:35], v[72:73], v[52:53]
	s_lshl_b32 s9, s9, 3
	ds_read2_b64 v[76:79], v76 offset1:1
	s_waitcnt lgkmcnt(1)
	v_fma_f64 v[52:53], -v[36:37], v[70:71], v[52:53]
	s_add_i32 s9, s12, s9
	v_fma_f64 v[52:53], -v[40:41], v[68:69], v[52:53]
	v_mov_b32_e32 v68, s9
	ds_read2_b64 v[68:71], v68 offset1:1
	s_sub_i32 s9, s7, 17
	s_lshl_b32 s13, s9, 9
	s_add_i32 s14, s13, s8
	s_waitcnt lgkmcnt(1)
	v_fma_f64 v[52:53], -v[42:43], v[78:79], v[52:53]
	s_add_i32 s15, s14, -8
	v_fma_f64 v[52:53], -v[46:47], v[76:77], v[52:53]
	v_mov_b32_e32 v72, s15
	ds_read2_b64 v[72:75], v72 offset1:1
	s_waitcnt lgkmcnt(1)
	v_fma_f64 v[52:53], -v[48:49], v[70:71], v[52:53]
	v_mul_f64 v[52:53], v[68:69], v[52:53]
	v_add_u32_e32 v68, s12, v1
	s_sub_i32 s12, s14, 24
	ds_write_b64 v68, v[52:53]
	v_mov_b32_e32 v68, s12
	ds_read2_b64 v[68:71], v68 offset1:1
	s_waitcnt lgkmcnt(2)
	v_fma_f64 v[56:57], -v[10:11], v[74:75], v[56:57]
	s_sub_i32 s12, s14, 40
	v_fma_f64 v[56:57], -v[14:15], v[72:73], v[56:57]
	v_mov_b32_e32 v72, s12
	ds_read2_b64 v[72:75], v72 offset1:1
	s_waitcnt lgkmcnt(1)
	v_fma_f64 v[56:57], -v[12:13], v[70:71], v[56:57]
	s_sub_i32 s12, s14, 56
	v_fma_f64 v[56:57], -v[16:17], v[68:69], v[56:57]
	v_mov_b32_e32 v68, s12
	ds_read2_b64 v[68:71], v68 offset1:1
	s_add_i32 s12, s14, 0xffffffb8
	s_waitcnt lgkmcnt(1)
	v_fma_f64 v[56:57], -v[18:19], v[74:75], v[56:57]
	v_mov_b32_e32 v76, s12
	v_fma_f64 v[56:57], -v[20:21], v[72:73], v[56:57]
	ds_read2_b64 v[76:79], v76 offset1:1
	s_waitcnt lgkmcnt(1)
	v_fma_f64 v[56:57], -v[22:23], v[70:71], v[56:57]
	s_add_i32 s12, s14, 0xffffffa8
	v_fma_f64 v[56:57], -v[26:27], v[68:69], v[56:57]
	v_mov_b32_e32 v68, s12
	ds_read2_b64 v[68:71], v68 offset1:1
	s_waitcnt lgkmcnt(1)
	v_fma_f64 v[56:57], -v[28:29], v[78:79], v[56:57]
	s_add_i32 s12, s14, 0xffffff98
	v_fma_f64 v[56:57], -v[30:31], v[76:77], v[56:57]
	v_mov_b32_e32 v72, s12
	;; [unrolled: 6-line block ×3, first 2 shown]
	ds_read2_b64 v[68:71], v68 offset1:1
	s_lshl_b32 s9, s9, 3
	s_add_i32 s9, s13, s9
	v_mov_b32_e32 v76, s9
	s_sub_i32 s9, s7, 18
	s_waitcnt lgkmcnt(1)
	v_fma_f64 v[56:57], -v[40:41], v[74:75], v[56:57]
	s_lshl_b32 s12, s9, 9
	v_fma_f64 v[56:57], -v[42:43], v[72:73], v[56:57]
	s_add_i32 s14, s12, s8
	ds_read2_b64 v[76:79], v76 offset1:1
	s_waitcnt lgkmcnt(1)
	v_fma_f64 v[56:57], -v[46:47], v[70:71], v[56:57]
	s_add_i32 s15, s14, -16
	v_fma_f64 v[56:57], -v[48:49], v[68:69], v[56:57]
	v_mov_b32_e32 v68, s14
	v_mov_b32_e32 v69, s15
	ds_read_b64 v[72:73], v68
	ds_read2_b64 v[68:71], v69 offset1:1
	v_add_u32_e32 v74, s13, v1
	s_sub_i32 s13, s14, 32
	s_waitcnt lgkmcnt(2)
	v_fma_f64 v[56:57], -v[52:53], v[78:79], v[56:57]
	s_waitcnt lgkmcnt(1)
	v_fma_f64 v[58:59], -v[10:11], v[72:73], v[58:59]
	;; [unrolled: 2-line block ×3, first 2 shown]
	v_mov_b32_e32 v70, s13
	ds_read2_b64 v[70:73], v70 offset1:1
	s_sub_i32 s13, s14, 48
	v_mul_f64 v[56:57], v[76:77], v[56:57]
	v_fma_f64 v[58:59], -v[12:13], v[68:69], v[58:59]
	v_mov_b32_e32 v68, s13
	ds_write_b64 v74, v[56:57]
	ds_read2_b64 v[74:77], v68 offset1:1
	s_sub_i32 s13, s14, 64
	s_waitcnt lgkmcnt(2)
	v_fma_f64 v[58:59], -v[16:17], v[72:73], v[58:59]
	v_mov_b32_e32 v68, s13
	v_fma_f64 v[58:59], -v[18:19], v[70:71], v[58:59]
	ds_read2_b64 v[68:71], v68 offset1:1
	s_add_i32 s13, s14, 0xffffffb0
	s_waitcnt lgkmcnt(1)
	v_fma_f64 v[58:59], -v[20:21], v[76:77], v[58:59]
	v_mov_b32_e32 v72, s13
	v_fma_f64 v[58:59], -v[22:23], v[74:75], v[58:59]
	ds_read2_b64 v[78:81], v72 offset1:1
	s_waitcnt lgkmcnt(1)
	v_fma_f64 v[58:59], -v[26:27], v[70:71], v[58:59]
	s_add_i32 s13, s14, 0xffffffa0
	v_fma_f64 v[58:59], -v[28:29], v[68:69], v[58:59]
	v_mov_b32_e32 v68, s13
	ds_read2_b64 v[68:71], v68 offset1:1
	s_waitcnt lgkmcnt(1)
	v_fma_f64 v[58:59], -v[30:31], v[80:81], v[58:59]
	s_add_i32 s13, s14, 0xffffff90
	v_fma_f64 v[58:59], -v[34:35], v[78:79], v[58:59]
	v_mov_b32_e32 v72, s13
	;; [unrolled: 6-line block ×3, first 2 shown]
	ds_read2_b64 v[68:71], v68 offset1:1
	s_lshl_b32 s9, s9, 3
	s_add_i32 s9, s12, s9
	v_mov_b32_e32 v76, s9
	s_sub_i32 s9, s7, 19
	s_waitcnt lgkmcnt(1)
	v_fma_f64 v[58:59], -v[42:43], v[74:75], v[58:59]
	s_lshl_b32 s13, s9, 9
	v_fma_f64 v[58:59], -v[46:47], v[72:73], v[58:59]
	s_add_i32 s14, s13, s8
	ds_read2_b64 v[76:79], v76 offset1:1
	s_waitcnt lgkmcnt(1)
	v_fma_f64 v[58:59], -v[48:49], v[70:71], v[58:59]
	s_add_i32 s15, s14, -8
	v_fma_f64 v[58:59], -v[52:53], v[68:69], v[58:59]
	v_mov_b32_e32 v68, s15
	ds_read2_b64 v[68:71], v68 offset1:1
	s_sub_i32 s15, s14, 24
	s_waitcnt lgkmcnt(1)
	v_fma_f64 v[58:59], -v[56:57], v[78:79], v[58:59]
	v_mov_b32_e32 v72, s15
	v_mul_f64 v[58:59], v[76:77], v[58:59]
	ds_read2_b64 v[72:75], v72 offset1:1
	v_add_u32_e32 v76, s12, v1
	s_waitcnt lgkmcnt(1)
	v_fma_f64 v[64:65], -v[10:11], v[70:71], v[64:65]
	s_sub_i32 s12, s14, 40
	v_fma_f64 v[64:65], -v[14:15], v[68:69], v[64:65]
	v_mov_b32_e32 v68, s12
	ds_read2_b64 v[68:71], v68 offset1:1
	s_waitcnt lgkmcnt(1)
	v_fma_f64 v[64:65], -v[12:13], v[74:75], v[64:65]
	s_sub_i32 s12, s14, 56
	v_fma_f64 v[64:65], -v[16:17], v[72:73], v[64:65]
	v_mov_b32_e32 v72, s12
	ds_read2_b64 v[72:75], v72 offset1:1
	s_waitcnt lgkmcnt(1)
	v_fma_f64 v[64:65], -v[18:19], v[70:71], v[64:65]
	s_add_i32 s12, s14, 0xffffffb8
	v_fma_f64 v[64:65], -v[20:21], v[68:69], v[64:65]
	v_mov_b32_e32 v68, s12
	ds_read2_b64 v[68:71], v68 offset1:1
	s_add_i32 s12, s14, 0xffffffa8
	s_waitcnt lgkmcnt(1)
	v_fma_f64 v[64:65], -v[22:23], v[74:75], v[64:65]
	ds_write_b64 v76, v[58:59]
	v_mov_b32_e32 v76, s12
	v_fma_f64 v[64:65], -v[26:27], v[72:73], v[64:65]
	ds_read2_b64 v[76:79], v76 offset1:1
	s_waitcnt lgkmcnt(2)
	v_fma_f64 v[64:65], -v[28:29], v[70:71], v[64:65]
	s_add_i32 s12, s14, 0xffffff98
	v_fma_f64 v[64:65], -v[30:31], v[68:69], v[64:65]
	v_mov_b32_e32 v68, s12
	ds_read2_b64 v[68:71], v68 offset1:1
	s_waitcnt lgkmcnt(1)
	v_fma_f64 v[64:65], -v[34:35], v[78:79], v[64:65]
	s_add_i32 s12, s14, 0xffffff88
	v_fma_f64 v[64:65], -v[36:37], v[76:77], v[64:65]
	v_mov_b32_e32 v72, s12
	;; [unrolled: 6-line block ×3, first 2 shown]
	ds_read2_b64 v[68:71], v68 offset1:1
	s_lshl_b32 s9, s9, 3
	s_add_i32 s9, s13, s9
	v_mov_b32_e32 v76, s9
	s_sub_i32 s9, s7, 20
	s_waitcnt lgkmcnt(1)
	v_fma_f64 v[64:65], -v[46:47], v[74:75], v[64:65]
	s_lshl_b32 s12, s9, 9
	v_fma_f64 v[64:65], -v[48:49], v[72:73], v[64:65]
	s_add_i32 s14, s12, s8
	ds_read2_b64 v[76:79], v76 offset1:1
	s_waitcnt lgkmcnt(1)
	v_fma_f64 v[64:65], -v[52:53], v[70:71], v[64:65]
	s_add_i32 s15, s14, -16
	v_fma_f64 v[64:65], -v[56:57], v[68:69], v[64:65]
	v_mov_b32_e32 v68, s14
	v_mov_b32_e32 v69, s15
	ds_read_b64 v[72:73], v68
	ds_read2_b64 v[68:71], v69 offset1:1
	v_add_u32_e32 v74, s13, v1
	s_sub_i32 s13, s14, 32
	s_waitcnt lgkmcnt(2)
	v_fma_f64 v[64:65], -v[58:59], v[78:79], v[64:65]
	s_waitcnt lgkmcnt(1)
	v_fma_f64 v[66:67], -v[10:11], v[72:73], v[66:67]
	;; [unrolled: 2-line block ×3, first 2 shown]
	v_mov_b32_e32 v70, s13
	ds_read2_b64 v[70:73], v70 offset1:1
	v_mul_f64 v[64:65], v[76:77], v[64:65]
	s_sub_i32 s13, s14, 48
	ds_write_b64 v74, v[64:65]
	v_fma_f64 v[74:75], -v[12:13], v[68:69], v[66:67]
	v_mov_b32_e32 v66, s13
	ds_read2_b64 v[66:69], v66 offset1:1
	s_waitcnt lgkmcnt(2)
	v_fma_f64 v[72:73], -v[16:17], v[72:73], v[74:75]
	s_sub_i32 s13, s14, 64
	v_fma_f64 v[78:79], -v[18:19], v[70:71], v[72:73]
	v_mov_b32_e32 v70, s13
	ds_read2_b64 v[70:73], v70 offset1:1
	s_add_i32 s13, s14, 0xffffffb0
	v_mov_b32_e32 v74, s13
	ds_read2_b64 v[74:77], v74 offset1:1
	s_waitcnt lgkmcnt(2)
	v_fma_f64 v[68:69], -v[20:21], v[68:69], v[78:79]
	v_fma_f64 v[66:67], -v[22:23], v[66:67], v[68:69]
	s_waitcnt lgkmcnt(1)
	v_fma_f64 v[66:67], -v[26:27], v[72:73], v[66:67]
	v_fma_f64 v[66:67], -v[28:29], v[70:71], v[66:67]
	s_add_i32 s13, s14, 0xffffffa0
	s_waitcnt lgkmcnt(0)
	v_fma_f64 v[70:71], -v[30:31], v[76:77], v[66:67]
	v_mov_b32_e32 v66, s13
	ds_read2_b64 v[66:69], v66 offset1:1
	s_add_i32 s13, s14, 0xffffff90
	v_fma_f64 v[74:75], -v[34:35], v[74:75], v[70:71]
	v_mov_b32_e32 v70, s13
	ds_read2_b64 v[70:73], v70 offset1:1
	s_waitcnt lgkmcnt(1)
	v_fma_f64 v[68:69], -v[36:37], v[68:69], v[74:75]
	s_add_i32 s13, s14, 0xffffff80
	v_fma_f64 v[78:79], -v[40:41], v[66:67], v[68:69]
	v_mov_b32_e32 v66, s13
	ds_read2_b64 v[66:69], v66 offset1:1
	s_add_i32 s13, s14, 0xffffff70
	v_mov_b32_e32 v74, s13
	ds_read2_b64 v[74:77], v74 offset1:1
	s_waitcnt lgkmcnt(2)
	v_fma_f64 v[72:73], -v[42:43], v[72:73], v[78:79]
	v_fma_f64 v[70:71], -v[46:47], v[70:71], v[72:73]
	s_waitcnt lgkmcnt(1)
	v_fma_f64 v[68:69], -v[48:49], v[68:69], v[70:71]
	v_fma_f64 v[66:67], -v[52:53], v[66:67], v[68:69]
	s_lshl_b32 s9, s9, 3
	s_waitcnt lgkmcnt(0)
	v_fma_f64 v[66:67], -v[56:57], v[76:77], v[66:67]
	s_add_i32 s9, s12, s9
	v_fma_f64 v[74:75], -v[58:59], v[74:75], v[66:67]
	v_mov_b32_e32 v66, s9
	ds_read2_b64 v[66:69], v66 offset1:1
	s_sub_i32 s9, s7, 21
	s_lshl_b32 s13, s9, 9
	s_add_i32 s14, s13, s8
	s_add_i32 s15, s14, -8
	v_mov_b32_e32 v70, s15
	ds_read2_b64 v[70:73], v70 offset1:1
	s_waitcnt lgkmcnt(1)
	v_fma_f64 v[68:69], -v[64:65], v[68:69], v[74:75]
	v_mul_f64 v[66:67], v[66:67], v[68:69]
	v_add_u32_e32 v68, s12, v1
	s_sub_i32 s12, s14, 24
	ds_write_b64 v68, v[66:67]
	v_mov_b32_e32 v68, s12
	ds_read2_b64 v[74:77], v68 offset1:1
	s_sub_i32 s12, s14, 40
	v_mov_b32_e32 v68, s12
	ds_read2_b64 v[78:81], v68 offset1:1
	s_sub_i32 s12, s14, 56
	s_waitcnt lgkmcnt(3)
	v_fma_f64 v[62:63], -v[10:11], v[72:73], v[62:63]
	v_mov_b32_e32 v68, s12
	v_fma_f64 v[62:63], -v[14:15], v[70:71], v[62:63]
	ds_read2_b64 v[68:71], v68 offset1:1
	s_waitcnt lgkmcnt(2)
	v_fma_f64 v[62:63], -v[12:13], v[76:77], v[62:63]
	v_fma_f64 v[62:63], -v[16:17], v[74:75], v[62:63]
	s_waitcnt lgkmcnt(1)
	v_fma_f64 v[62:63], -v[18:19], v[80:81], v[62:63]
	s_add_i32 s12, s14, 0xffffffb8
	v_fma_f64 v[62:63], -v[20:21], v[78:79], v[62:63]
	v_mov_b32_e32 v72, s12
	ds_read2_b64 v[72:75], v72 offset1:1
	s_waitcnt lgkmcnt(1)
	v_fma_f64 v[62:63], -v[22:23], v[70:71], v[62:63]
	s_add_i32 s12, s14, 0xffffffa8
	v_fma_f64 v[62:63], -v[26:27], v[68:69], v[62:63]
	v_mov_b32_e32 v68, s12
	ds_read2_b64 v[68:71], v68 offset1:1
	s_add_i32 s12, s14, 0xffffff98
	s_waitcnt lgkmcnt(1)
	v_fma_f64 v[62:63], -v[28:29], v[74:75], v[62:63]
	v_mov_b32_e32 v76, s12
	v_fma_f64 v[62:63], -v[30:31], v[72:73], v[62:63]
	ds_read2_b64 v[76:79], v76 offset1:1
	s_waitcnt lgkmcnt(1)
	v_fma_f64 v[62:63], -v[34:35], v[70:71], v[62:63]
	s_add_i32 s12, s14, 0xffffff88
	v_fma_f64 v[62:63], -v[36:37], v[68:69], v[62:63]
	v_mov_b32_e32 v68, s12
	ds_read2_b64 v[68:71], v68 offset1:1
	s_waitcnt lgkmcnt(1)
	v_fma_f64 v[62:63], -v[40:41], v[78:79], v[62:63]
	s_add_i32 s12, s14, 0xffffff78
	v_fma_f64 v[62:63], -v[42:43], v[76:77], v[62:63]
	v_mov_b32_e32 v72, s12
	;; [unrolled: 6-line block ×3, first 2 shown]
	ds_read2_b64 v[68:71], v68 offset1:1
	s_lshl_b32 s9, s9, 3
	s_add_i32 s9, s13, s9
	v_mov_b32_e32 v76, s9
	ds_read2_b64 v[76:79], v76 offset1:1
	s_waitcnt lgkmcnt(2)
	v_fma_f64 v[62:63], -v[52:53], v[74:75], v[62:63]
	v_fma_f64 v[62:63], -v[56:57], v[72:73], v[62:63]
	s_sub_i32 s9, s7, 22
	s_waitcnt lgkmcnt(1)
	v_fma_f64 v[62:63], -v[58:59], v[70:71], v[62:63]
	s_lshl_b32 s12, s9, 9
	v_fma_f64 v[62:63], -v[64:65], v[68:69], v[62:63]
	v_add_u32_e32 v68, s13, v1
	s_add_i32 s13, s12, s8
	v_mov_b32_e32 v69, s13
	s_waitcnt lgkmcnt(0)
	v_fma_f64 v[62:63], -v[66:67], v[78:79], v[62:63]
	ds_read_b64 v[72:73], v69
	v_mul_f64 v[62:63], v[76:77], v[62:63]
	s_add_i32 s14, s13, -16
	ds_write_b64 v68, v[62:63]
	v_mov_b32_e32 v68, s14
	ds_read2_b64 v[68:71], v68 offset1:1
	s_sub_i32 s14, s13, 32
	s_waitcnt lgkmcnt(2)
	v_fma_f64 v[60:61], -v[10:11], v[72:73], v[60:61]
	v_mov_b32_e32 v72, s14
	ds_read2_b64 v[72:75], v72 offset1:1
	s_sub_i32 s14, s13, 48
	v_mov_b32_e32 v76, s14
	ds_read2_b64 v[76:79], v76 offset1:1
	s_waitcnt lgkmcnt(2)
	v_fma_f64 v[60:61], -v[14:15], v[70:71], v[60:61]
	s_sub_i32 s14, s13, 64
	v_fma_f64 v[60:61], -v[12:13], v[68:69], v[60:61]
	v_mov_b32_e32 v68, s14
	ds_read2_b64 v[68:71], v68 offset1:1
	s_waitcnt lgkmcnt(2)
	v_fma_f64 v[60:61], -v[16:17], v[74:75], v[60:61]
	v_fma_f64 v[60:61], -v[18:19], v[72:73], v[60:61]
	s_waitcnt lgkmcnt(1)
	v_fma_f64 v[60:61], -v[20:21], v[78:79], v[60:61]
	s_add_i32 s14, s13, 0xffffffb0
	v_fma_f64 v[60:61], -v[22:23], v[76:77], v[60:61]
	v_mov_b32_e32 v72, s14
	ds_read2_b64 v[72:75], v72 offset1:1
	s_waitcnt lgkmcnt(1)
	v_fma_f64 v[60:61], -v[26:27], v[70:71], v[60:61]
	s_add_i32 s14, s13, 0xffffffa0
	v_fma_f64 v[60:61], -v[28:29], v[68:69], v[60:61]
	v_mov_b32_e32 v68, s14
	ds_read2_b64 v[68:71], v68 offset1:1
	s_add_i32 s14, s13, 0xffffff90
	s_waitcnt lgkmcnt(1)
	v_fma_f64 v[60:61], -v[30:31], v[74:75], v[60:61]
	v_mov_b32_e32 v76, s14
	v_fma_f64 v[60:61], -v[34:35], v[72:73], v[60:61]
	ds_read2_b64 v[76:79], v76 offset1:1
	s_waitcnt lgkmcnt(1)
	v_fma_f64 v[60:61], -v[36:37], v[70:71], v[60:61]
	s_add_i32 s14, s13, 0xffffff80
	v_fma_f64 v[60:61], -v[40:41], v[68:69], v[60:61]
	v_mov_b32_e32 v68, s14
	ds_read2_b64 v[68:71], v68 offset1:1
	s_add_i32 s14, s13, 0xffffff70
	s_waitcnt lgkmcnt(1)
	v_fma_f64 v[60:61], -v[42:43], v[78:79], v[60:61]
	v_mov_b32_e32 v72, s14
	v_fma_f64 v[60:61], -v[46:47], v[76:77], v[60:61]
	ds_read2_b64 v[72:75], v72 offset1:1
	s_waitcnt lgkmcnt(1)
	v_fma_f64 v[60:61], -v[48:49], v[70:71], v[60:61]
	s_addk_i32 s13, 0xff60
	v_fma_f64 v[60:61], -v[52:53], v[68:69], v[60:61]
	v_mov_b32_e32 v68, s13
	ds_read2_b64 v[68:71], v68 offset1:1
	s_lshl_b32 s9, s9, 3
	s_add_i32 s9, s12, s9
	v_mov_b32_e32 v76, s9
	s_waitcnt lgkmcnt(1)
	v_fma_f64 v[60:61], -v[56:57], v[74:75], v[60:61]
	s_sub_i32 s9, s7, 23
	v_fma_f64 v[60:61], -v[58:59], v[72:73], v[60:61]
	v_add_u32_e32 v72, s12, v1
	s_lshl_b32 s12, s9, 9
	ds_read2_b64 v[76:79], v76 offset1:1
	s_add_i32 s13, s12, s8
	s_waitcnt lgkmcnt(1)
	v_fma_f64 v[60:61], -v[64:65], v[70:71], v[60:61]
	s_add_i32 s14, s13, -8
	v_fma_f64 v[60:61], -v[66:67], v[68:69], v[60:61]
	v_mov_b32_e32 v68, s14
	ds_read2_b64 v[68:71], v68 offset1:1
	s_waitcnt lgkmcnt(1)
	v_fma_f64 v[60:61], -v[62:63], v[78:79], v[60:61]
	v_mul_f64 v[60:61], v[76:77], v[60:61]
	s_sub_i32 s14, s13, 24
	ds_write_b64 v72, v[60:61]
	v_mov_b32_e32 v72, s14
	ds_read2_b64 v[72:75], v72 offset1:1
	s_waitcnt lgkmcnt(2)
	v_fma_f64 v[54:55], -v[10:11], v[70:71], v[54:55]
	s_sub_i32 s14, s13, 40
	v_fma_f64 v[54:55], -v[14:15], v[68:69], v[54:55]
	v_mov_b32_e32 v68, s14
	ds_read2_b64 v[68:71], v68 offset1:1
	s_sub_i32 s14, s13, 56
	s_waitcnt lgkmcnt(1)
	v_fma_f64 v[54:55], -v[12:13], v[74:75], v[54:55]
	v_mov_b32_e32 v76, s14
	v_fma_f64 v[54:55], -v[16:17], v[72:73], v[54:55]
	ds_read2_b64 v[76:79], v76 offset1:1
	s_waitcnt lgkmcnt(1)
	v_fma_f64 v[54:55], -v[18:19], v[70:71], v[54:55]
	s_add_i32 s14, s13, 0xffffffb8
	v_fma_f64 v[54:55], -v[20:21], v[68:69], v[54:55]
	v_mov_b32_e32 v68, s14
	ds_read2_b64 v[68:71], v68 offset1:1
	s_waitcnt lgkmcnt(1)
	v_fma_f64 v[54:55], -v[22:23], v[78:79], v[54:55]
	s_add_i32 s14, s13, 0xffffffa8
	v_fma_f64 v[54:55], -v[26:27], v[76:77], v[54:55]
	v_mov_b32_e32 v72, s14
	;; [unrolled: 6-line block ×3, first 2 shown]
	ds_read2_b64 v[68:71], v68 offset1:1
	s_add_i32 s14, s13, 0xffffff88
	s_waitcnt lgkmcnt(1)
	v_fma_f64 v[54:55], -v[34:35], v[74:75], v[54:55]
	v_mov_b32_e32 v76, s14
	v_fma_f64 v[54:55], -v[36:37], v[72:73], v[54:55]
	ds_read2_b64 v[76:79], v76 offset1:1
	s_waitcnt lgkmcnt(1)
	v_fma_f64 v[54:55], -v[40:41], v[70:71], v[54:55]
	s_add_i32 s14, s13, 0xffffff78
	v_fma_f64 v[54:55], -v[42:43], v[68:69], v[54:55]
	v_mov_b32_e32 v68, s14
	ds_read2_b64 v[68:71], v68 offset1:1
	s_waitcnt lgkmcnt(1)
	v_fma_f64 v[54:55], -v[46:47], v[78:79], v[54:55]
	s_add_i32 s14, s13, 0xffffff68
	v_fma_f64 v[54:55], -v[48:49], v[76:77], v[54:55]
	v_mov_b32_e32 v72, s14
	ds_read2_b64 v[72:75], v72 offset1:1
	s_waitcnt lgkmcnt(1)
	v_fma_f64 v[54:55], -v[52:53], v[70:71], v[54:55]
	s_addk_i32 s13, 0xff58
	v_fma_f64 v[54:55], -v[56:57], v[68:69], v[54:55]
	v_mov_b32_e32 v68, s13
	ds_read2_b64 v[68:71], v68 offset1:1
	s_lshl_b32 s9, s9, 3
	s_add_i32 s9, s12, s9
	v_mov_b32_e32 v76, s9
	s_waitcnt lgkmcnt(1)
	v_fma_f64 v[54:55], -v[58:59], v[74:75], v[54:55]
	ds_read2_b64 v[76:79], v76 offset1:1
	v_fma_f64 v[54:55], -v[64:65], v[72:73], v[54:55]
	s_waitcnt lgkmcnt(1)
	v_fma_f64 v[54:55], -v[66:67], v[70:71], v[54:55]
	s_sub_i32 s9, s7, 24
	v_fma_f64 v[54:55], -v[62:63], v[68:69], v[54:55]
	v_add_u32_e32 v68, s12, v1
	s_lshl_b32 s12, s9, 9
	s_add_i32 s13, s12, s8
	v_mov_b32_e32 v69, s13
	s_waitcnt lgkmcnt(0)
	v_fma_f64 v[54:55], -v[60:61], v[78:79], v[54:55]
	ds_read_b64 v[72:73], v69
	v_mul_f64 v[54:55], v[76:77], v[54:55]
	s_add_i32 s14, s13, -16
	ds_write_b64 v68, v[54:55]
	v_mov_b32_e32 v68, s14
	ds_read2_b64 v[68:71], v68 offset1:1
	s_sub_i32 s14, s13, 32
	s_waitcnt lgkmcnt(2)
	v_fma_f64 v[50:51], -v[10:11], v[72:73], v[50:51]
	v_mov_b32_e32 v72, s14
	ds_read2_b64 v[72:75], v72 offset1:1
	s_sub_i32 s14, s13, 48
	v_mov_b32_e32 v76, s14
	ds_read2_b64 v[76:79], v76 offset1:1
	s_waitcnt lgkmcnt(2)
	v_fma_f64 v[50:51], -v[14:15], v[70:71], v[50:51]
	s_sub_i32 s14, s13, 64
	v_fma_f64 v[50:51], -v[12:13], v[68:69], v[50:51]
	v_mov_b32_e32 v68, s14
	ds_read2_b64 v[68:71], v68 offset1:1
	s_waitcnt lgkmcnt(2)
	v_fma_f64 v[50:51], -v[16:17], v[74:75], v[50:51]
	v_fma_f64 v[50:51], -v[18:19], v[72:73], v[50:51]
	s_waitcnt lgkmcnt(1)
	v_fma_f64 v[50:51], -v[20:21], v[78:79], v[50:51]
	s_add_i32 s14, s13, 0xffffffb0
	v_fma_f64 v[50:51], -v[22:23], v[76:77], v[50:51]
	v_mov_b32_e32 v72, s14
	ds_read2_b64 v[72:75], v72 offset1:1
	s_waitcnt lgkmcnt(1)
	v_fma_f64 v[50:51], -v[26:27], v[70:71], v[50:51]
	s_add_i32 s14, s13, 0xffffffa0
	v_fma_f64 v[50:51], -v[28:29], v[68:69], v[50:51]
	v_mov_b32_e32 v68, s14
	ds_read2_b64 v[68:71], v68 offset1:1
	s_add_i32 s14, s13, 0xffffff90
	s_waitcnt lgkmcnt(1)
	v_fma_f64 v[50:51], -v[30:31], v[74:75], v[50:51]
	v_mov_b32_e32 v76, s14
	v_fma_f64 v[50:51], -v[34:35], v[72:73], v[50:51]
	ds_read2_b64 v[76:79], v76 offset1:1
	s_waitcnt lgkmcnt(1)
	v_fma_f64 v[50:51], -v[36:37], v[70:71], v[50:51]
	s_add_i32 s14, s13, 0xffffff80
	v_fma_f64 v[50:51], -v[40:41], v[68:69], v[50:51]
	v_mov_b32_e32 v68, s14
	ds_read2_b64 v[68:71], v68 offset1:1
	s_waitcnt lgkmcnt(1)
	v_fma_f64 v[50:51], -v[42:43], v[78:79], v[50:51]
	s_add_i32 s14, s13, 0xffffff70
	v_fma_f64 v[50:51], -v[46:47], v[76:77], v[50:51]
	v_mov_b32_e32 v72, s14
	;; [unrolled: 6-line block ×3, first 2 shown]
	ds_read2_b64 v[68:71], v68 offset1:1
	s_addk_i32 s13, 0xff50
	s_waitcnt lgkmcnt(1)
	v_fma_f64 v[50:51], -v[56:57], v[74:75], v[50:51]
	v_mov_b32_e32 v76, s13
	v_fma_f64 v[50:51], -v[58:59], v[72:73], v[50:51]
	s_lshl_b32 s9, s9, 3
	ds_read2_b64 v[76:79], v76 offset1:1
	s_waitcnt lgkmcnt(1)
	v_fma_f64 v[50:51], -v[64:65], v[70:71], v[50:51]
	s_add_i32 s9, s12, s9
	v_fma_f64 v[50:51], -v[66:67], v[68:69], v[50:51]
	v_mov_b32_e32 v68, s9
	ds_read2_b64 v[68:71], v68 offset1:1
	s_sub_i32 s9, s7, 25
	s_lshl_b32 s13, s9, 9
	s_add_i32 s14, s13, s8
	s_waitcnt lgkmcnt(1)
	v_fma_f64 v[50:51], -v[62:63], v[78:79], v[50:51]
	s_add_i32 s15, s14, -8
	v_fma_f64 v[50:51], -v[60:61], v[76:77], v[50:51]
	v_mov_b32_e32 v72, s15
	ds_read2_b64 v[72:75], v72 offset1:1
	s_waitcnt lgkmcnt(1)
	v_fma_f64 v[50:51], -v[54:55], v[70:71], v[50:51]
	v_mul_f64 v[50:51], v[68:69], v[50:51]
	v_add_u32_e32 v68, s12, v1
	s_sub_i32 s12, s14, 24
	ds_write_b64 v68, v[50:51]
	v_mov_b32_e32 v68, s12
	ds_read2_b64 v[68:71], v68 offset1:1
	s_waitcnt lgkmcnt(2)
	v_fma_f64 v[44:45], -v[10:11], v[74:75], v[44:45]
	s_sub_i32 s12, s14, 40
	v_fma_f64 v[44:45], -v[14:15], v[72:73], v[44:45]
	v_mov_b32_e32 v72, s12
	ds_read2_b64 v[72:75], v72 offset1:1
	s_waitcnt lgkmcnt(1)
	v_fma_f64 v[44:45], -v[12:13], v[70:71], v[44:45]
	s_sub_i32 s12, s14, 56
	v_fma_f64 v[44:45], -v[16:17], v[68:69], v[44:45]
	v_mov_b32_e32 v68, s12
	ds_read2_b64 v[68:71], v68 offset1:1
	s_add_i32 s12, s14, 0xffffffb8
	s_waitcnt lgkmcnt(1)
	v_fma_f64 v[44:45], -v[18:19], v[74:75], v[44:45]
	v_mov_b32_e32 v76, s12
	v_fma_f64 v[44:45], -v[20:21], v[72:73], v[44:45]
	ds_read2_b64 v[76:79], v76 offset1:1
	s_waitcnt lgkmcnt(1)
	v_fma_f64 v[44:45], -v[22:23], v[70:71], v[44:45]
	s_add_i32 s12, s14, 0xffffffa8
	v_fma_f64 v[44:45], -v[26:27], v[68:69], v[44:45]
	v_mov_b32_e32 v68, s12
	ds_read2_b64 v[68:71], v68 offset1:1
	s_waitcnt lgkmcnt(1)
	v_fma_f64 v[44:45], -v[28:29], v[78:79], v[44:45]
	s_add_i32 s12, s14, 0xffffff98
	v_fma_f64 v[44:45], -v[30:31], v[76:77], v[44:45]
	v_mov_b32_e32 v72, s12
	;; [unrolled: 6-line block ×3, first 2 shown]
	ds_read2_b64 v[68:71], v68 offset1:1
	s_add_i32 s12, s14, 0xffffff78
	s_waitcnt lgkmcnt(1)
	v_fma_f64 v[44:45], -v[40:41], v[74:75], v[44:45]
	v_mov_b32_e32 v76, s12
	v_fma_f64 v[44:45], -v[42:43], v[72:73], v[44:45]
	ds_read2_b64 v[76:79], v76 offset1:1
	s_waitcnt lgkmcnt(1)
	v_fma_f64 v[44:45], -v[46:47], v[70:71], v[44:45]
	s_add_i32 s12, s14, 0xffffff68
	v_fma_f64 v[44:45], -v[48:49], v[68:69], v[44:45]
	v_mov_b32_e32 v68, s12
	ds_read2_b64 v[68:71], v68 offset1:1
	s_waitcnt lgkmcnt(1)
	v_fma_f64 v[44:45], -v[52:53], v[78:79], v[44:45]
	s_add_i32 s12, s14, 0xffffff58
	v_fma_f64 v[44:45], -v[56:57], v[76:77], v[44:45]
	v_mov_b32_e32 v72, s12
	;; [unrolled: 6-line block ×3, first 2 shown]
	ds_read2_b64 v[68:71], v68 offset1:1
	s_lshl_b32 s9, s9, 3
	s_add_i32 s9, s13, s9
	v_mov_b32_e32 v76, s9
	s_sub_i32 s9, s7, 26
	s_waitcnt lgkmcnt(1)
	v_fma_f64 v[44:45], -v[66:67], v[74:75], v[44:45]
	s_lshl_b32 s12, s9, 9
	v_fma_f64 v[44:45], -v[62:63], v[72:73], v[44:45]
	s_add_i32 s14, s12, s8
	ds_read2_b64 v[76:79], v76 offset1:1
	s_waitcnt lgkmcnt(1)
	v_fma_f64 v[44:45], -v[60:61], v[70:71], v[44:45]
	s_add_i32 s15, s14, -16
	v_fma_f64 v[44:45], -v[54:55], v[68:69], v[44:45]
	v_mov_b32_e32 v68, s14
	v_mov_b32_e32 v69, s15
	ds_read_b64 v[72:73], v68
	ds_read2_b64 v[68:71], v69 offset1:1
	v_add_u32_e32 v74, s13, v1
	s_sub_i32 s13, s14, 32
	s_waitcnt lgkmcnt(2)
	v_fma_f64 v[44:45], -v[50:51], v[78:79], v[44:45]
	s_waitcnt lgkmcnt(1)
	v_fma_f64 v[38:39], -v[10:11], v[72:73], v[38:39]
	;; [unrolled: 2-line block ×3, first 2 shown]
	v_mov_b32_e32 v70, s13
	ds_read2_b64 v[70:73], v70 offset1:1
	s_sub_i32 s13, s14, 48
	v_mul_f64 v[44:45], v[76:77], v[44:45]
	v_fma_f64 v[38:39], -v[12:13], v[68:69], v[38:39]
	v_mov_b32_e32 v68, s13
	ds_write_b64 v74, v[44:45]
	ds_read2_b64 v[74:77], v68 offset1:1
	s_sub_i32 s13, s14, 64
	s_waitcnt lgkmcnt(2)
	v_fma_f64 v[38:39], -v[16:17], v[72:73], v[38:39]
	v_mov_b32_e32 v68, s13
	v_fma_f64 v[38:39], -v[18:19], v[70:71], v[38:39]
	ds_read2_b64 v[68:71], v68 offset1:1
	s_add_i32 s13, s14, 0xffffffb0
	s_waitcnt lgkmcnt(1)
	v_fma_f64 v[38:39], -v[20:21], v[76:77], v[38:39]
	v_mov_b32_e32 v72, s13
	v_fma_f64 v[38:39], -v[22:23], v[74:75], v[38:39]
	ds_read2_b64 v[78:81], v72 offset1:1
	s_waitcnt lgkmcnt(1)
	v_fma_f64 v[38:39], -v[26:27], v[70:71], v[38:39]
	s_add_i32 s13, s14, 0xffffffa0
	v_fma_f64 v[38:39], -v[28:29], v[68:69], v[38:39]
	v_mov_b32_e32 v68, s13
	ds_read2_b64 v[68:71], v68 offset1:1
	s_waitcnt lgkmcnt(1)
	v_fma_f64 v[38:39], -v[30:31], v[80:81], v[38:39]
	s_add_i32 s13, s14, 0xffffff90
	v_fma_f64 v[38:39], -v[34:35], v[78:79], v[38:39]
	v_mov_b32_e32 v72, s13
	;; [unrolled: 6-line block ×3, first 2 shown]
	ds_read2_b64 v[68:71], v68 offset1:1
	s_add_i32 s13, s14, 0xffffff70
	s_waitcnt lgkmcnt(1)
	v_fma_f64 v[38:39], -v[42:43], v[74:75], v[38:39]
	v_mov_b32_e32 v76, s13
	v_fma_f64 v[38:39], -v[46:47], v[72:73], v[38:39]
	ds_read2_b64 v[76:79], v76 offset1:1
	s_waitcnt lgkmcnt(1)
	v_fma_f64 v[38:39], -v[48:49], v[70:71], v[38:39]
	s_add_i32 s13, s14, 0xffffff60
	v_fma_f64 v[38:39], -v[52:53], v[68:69], v[38:39]
	v_mov_b32_e32 v68, s13
	ds_read2_b64 v[68:71], v68 offset1:1
	s_waitcnt lgkmcnt(1)
	v_fma_f64 v[38:39], -v[56:57], v[78:79], v[38:39]
	s_add_i32 s13, s14, 0xffffff50
	v_fma_f64 v[38:39], -v[58:59], v[76:77], v[38:39]
	v_mov_b32_e32 v72, s13
	;; [unrolled: 6-line block ×3, first 2 shown]
	ds_read2_b64 v[68:71], v68 offset1:1
	s_lshl_b32 s9, s9, 3
	s_add_i32 s9, s12, s9
	v_mov_b32_e32 v76, s9
	s_sub_i32 s9, s7, 27
	s_waitcnt lgkmcnt(1)
	v_fma_f64 v[38:39], -v[62:63], v[74:75], v[38:39]
	s_lshl_b32 s13, s9, 9
	v_fma_f64 v[38:39], -v[60:61], v[72:73], v[38:39]
	s_add_i32 s14, s13, s8
	ds_read2_b64 v[76:79], v76 offset1:1
	s_waitcnt lgkmcnt(1)
	v_fma_f64 v[38:39], -v[54:55], v[70:71], v[38:39]
	s_add_i32 s15, s14, -8
	v_fma_f64 v[38:39], -v[50:51], v[68:69], v[38:39]
	v_mov_b32_e32 v68, s15
	ds_read2_b64 v[68:71], v68 offset1:1
	s_sub_i32 s15, s14, 24
	s_waitcnt lgkmcnt(1)
	v_fma_f64 v[38:39], -v[44:45], v[78:79], v[38:39]
	v_mov_b32_e32 v72, s15
	v_mul_f64 v[38:39], v[76:77], v[38:39]
	ds_read2_b64 v[72:75], v72 offset1:1
	v_add_u32_e32 v76, s12, v1
	s_waitcnt lgkmcnt(1)
	v_fma_f64 v[32:33], -v[10:11], v[70:71], v[32:33]
	s_sub_i32 s12, s14, 40
	v_fma_f64 v[32:33], -v[14:15], v[68:69], v[32:33]
	v_mov_b32_e32 v68, s12
	ds_read2_b64 v[68:71], v68 offset1:1
	s_waitcnt lgkmcnt(1)
	v_fma_f64 v[32:33], -v[12:13], v[74:75], v[32:33]
	s_sub_i32 s12, s14, 56
	v_fma_f64 v[32:33], -v[16:17], v[72:73], v[32:33]
	v_mov_b32_e32 v72, s12
	ds_read2_b64 v[72:75], v72 offset1:1
	s_waitcnt lgkmcnt(1)
	v_fma_f64 v[32:33], -v[18:19], v[70:71], v[32:33]
	s_add_i32 s12, s14, 0xffffffb8
	v_fma_f64 v[32:33], -v[20:21], v[68:69], v[32:33]
	v_mov_b32_e32 v68, s12
	ds_read2_b64 v[68:71], v68 offset1:1
	s_add_i32 s12, s14, 0xffffffa8
	s_waitcnt lgkmcnt(1)
	v_fma_f64 v[32:33], -v[22:23], v[74:75], v[32:33]
	ds_write_b64 v76, v[38:39]
	v_mov_b32_e32 v76, s12
	v_fma_f64 v[32:33], -v[26:27], v[72:73], v[32:33]
	ds_read2_b64 v[76:79], v76 offset1:1
	s_waitcnt lgkmcnt(2)
	v_fma_f64 v[32:33], -v[28:29], v[70:71], v[32:33]
	s_add_i32 s12, s14, 0xffffff98
	v_fma_f64 v[32:33], -v[30:31], v[68:69], v[32:33]
	v_mov_b32_e32 v68, s12
	ds_read2_b64 v[68:71], v68 offset1:1
	s_waitcnt lgkmcnt(1)
	v_fma_f64 v[32:33], -v[34:35], v[78:79], v[32:33]
	s_add_i32 s12, s14, 0xffffff88
	v_fma_f64 v[32:33], -v[36:37], v[76:77], v[32:33]
	v_mov_b32_e32 v72, s12
	;; [unrolled: 6-line block ×3, first 2 shown]
	ds_read2_b64 v[68:71], v68 offset1:1
	s_add_i32 s12, s14, 0xffffff68
	s_waitcnt lgkmcnt(1)
	v_fma_f64 v[32:33], -v[46:47], v[74:75], v[32:33]
	v_mov_b32_e32 v76, s12
	v_fma_f64 v[32:33], -v[48:49], v[72:73], v[32:33]
	ds_read2_b64 v[76:79], v76 offset1:1
	s_waitcnt lgkmcnt(1)
	v_fma_f64 v[32:33], -v[52:53], v[70:71], v[32:33]
	s_add_i32 s12, s14, 0xffffff58
	v_fma_f64 v[32:33], -v[56:57], v[68:69], v[32:33]
	v_mov_b32_e32 v68, s12
	ds_read2_b64 v[68:71], v68 offset1:1
	s_waitcnt lgkmcnt(1)
	v_fma_f64 v[32:33], -v[58:59], v[78:79], v[32:33]
	s_add_i32 s12, s14, 0xffffff48
	v_fma_f64 v[32:33], -v[64:65], v[76:77], v[32:33]
	v_mov_b32_e32 v72, s12
	;; [unrolled: 6-line block ×3, first 2 shown]
	ds_read2_b64 v[68:71], v68 offset1:1
	s_lshl_b32 s9, s9, 3
	s_add_i32 s9, s13, s9
	v_mov_b32_e32 v76, s9
	s_sub_i32 s9, s7, 28
	s_waitcnt lgkmcnt(1)
	v_fma_f64 v[32:33], -v[60:61], v[74:75], v[32:33]
	s_lshl_b32 s12, s9, 9
	v_fma_f64 v[32:33], -v[54:55], v[72:73], v[32:33]
	s_add_i32 s14, s12, s8
	ds_read2_b64 v[76:79], v76 offset1:1
	s_waitcnt lgkmcnt(1)
	v_fma_f64 v[32:33], -v[50:51], v[70:71], v[32:33]
	s_add_i32 s15, s14, -16
	v_fma_f64 v[32:33], -v[44:45], v[68:69], v[32:33]
	v_mov_b32_e32 v68, s14
	v_mov_b32_e32 v69, s15
	ds_read_b64 v[72:73], v68
	ds_read2_b64 v[68:71], v69 offset1:1
	v_add_u32_e32 v74, s13, v1
	s_sub_i32 s13, s14, 32
	s_waitcnt lgkmcnt(2)
	v_fma_f64 v[32:33], -v[38:39], v[78:79], v[32:33]
	s_waitcnt lgkmcnt(1)
	v_fma_f64 v[24:25], -v[10:11], v[72:73], v[24:25]
	;; [unrolled: 2-line block ×3, first 2 shown]
	v_mov_b32_e32 v70, s13
	ds_read2_b64 v[70:73], v70 offset1:1
	s_sub_i32 s13, s14, 48
	v_mul_f64 v[32:33], v[76:77], v[32:33]
	v_fma_f64 v[24:25], -v[12:13], v[68:69], v[24:25]
	v_mov_b32_e32 v68, s13
	ds_write_b64 v74, v[32:33]
	ds_read2_b64 v[74:77], v68 offset1:1
	s_sub_i32 s13, s14, 64
	s_waitcnt lgkmcnt(2)
	v_fma_f64 v[24:25], -v[16:17], v[72:73], v[24:25]
	v_mov_b32_e32 v68, s13
	v_fma_f64 v[24:25], -v[18:19], v[70:71], v[24:25]
	ds_read2_b64 v[68:71], v68 offset1:1
	s_add_i32 s13, s14, 0xffffffb0
	s_waitcnt lgkmcnt(1)
	v_fma_f64 v[24:25], -v[20:21], v[76:77], v[24:25]
	v_mov_b32_e32 v72, s13
	v_fma_f64 v[24:25], -v[22:23], v[74:75], v[24:25]
	ds_read2_b64 v[78:81], v72 offset1:1
	s_waitcnt lgkmcnt(1)
	v_fma_f64 v[24:25], -v[26:27], v[70:71], v[24:25]
	s_add_i32 s13, s14, 0xffffffa0
	v_fma_f64 v[24:25], -v[28:29], v[68:69], v[24:25]
	v_mov_b32_e32 v68, s13
	ds_read2_b64 v[68:71], v68 offset1:1
	s_waitcnt lgkmcnt(1)
	v_fma_f64 v[24:25], -v[30:31], v[80:81], v[24:25]
	s_add_i32 s13, s14, 0xffffff90
	v_fma_f64 v[24:25], -v[34:35], v[78:79], v[24:25]
	v_mov_b32_e32 v72, s13
	;; [unrolled: 6-line block ×3, first 2 shown]
	ds_read2_b64 v[68:71], v68 offset1:1
	s_add_i32 s13, s14, 0xffffff70
	s_waitcnt lgkmcnt(1)
	v_fma_f64 v[24:25], -v[42:43], v[74:75], v[24:25]
	v_mov_b32_e32 v76, s13
	v_fma_f64 v[24:25], -v[46:47], v[72:73], v[24:25]
	ds_read2_b64 v[76:79], v76 offset1:1
	s_waitcnt lgkmcnt(1)
	v_fma_f64 v[24:25], -v[48:49], v[70:71], v[24:25]
	s_add_i32 s13, s14, 0xffffff60
	v_fma_f64 v[24:25], -v[52:53], v[68:69], v[24:25]
	v_mov_b32_e32 v68, s13
	ds_read2_b64 v[68:71], v68 offset1:1
	s_waitcnt lgkmcnt(1)
	v_fma_f64 v[24:25], -v[56:57], v[78:79], v[24:25]
	s_add_i32 s13, s14, 0xffffff50
	v_fma_f64 v[24:25], -v[58:59], v[76:77], v[24:25]
	v_mov_b32_e32 v72, s13
	;; [unrolled: 6-line block ×3, first 2 shown]
	ds_read2_b64 v[68:71], v68 offset1:1
	s_add_i32 s13, s14, 0xffffff30
	s_waitcnt lgkmcnt(1)
	v_fma_f64 v[24:25], -v[62:63], v[74:75], v[24:25]
	v_mov_b32_e32 v76, s13
	v_fma_f64 v[24:25], -v[60:61], v[72:73], v[24:25]
	s_lshl_b32 s9, s9, 3
	ds_read2_b64 v[76:79], v76 offset1:1
	s_waitcnt lgkmcnt(1)
	v_fma_f64 v[24:25], -v[54:55], v[70:71], v[24:25]
	s_add_i32 s9, s12, s9
	v_fma_f64 v[24:25], -v[50:51], v[68:69], v[24:25]
	v_mov_b32_e32 v68, s9
	ds_read2_b64 v[68:71], v68 offset1:1
	s_sub_i32 s9, s7, 29
	s_lshl_b32 s13, s9, 9
	s_add_i32 s14, s13, s8
	s_waitcnt lgkmcnt(1)
	v_fma_f64 v[24:25], -v[44:45], v[78:79], v[24:25]
	s_add_i32 s15, s14, -8
	v_fma_f64 v[24:25], -v[38:39], v[76:77], v[24:25]
	v_mov_b32_e32 v72, s15
	ds_read2_b64 v[72:75], v72 offset1:1
	s_waitcnt lgkmcnt(1)
	v_fma_f64 v[24:25], -v[32:33], v[70:71], v[24:25]
	v_mul_f64 v[24:25], v[68:69], v[24:25]
	v_add_u32_e32 v68, s12, v1
	s_sub_i32 s12, s14, 24
	ds_write_b64 v68, v[24:25]
	v_mov_b32_e32 v68, s12
	ds_read2_b64 v[68:71], v68 offset1:1
	s_sub_i32 s12, s14, 40
	s_waitcnt lgkmcnt(2)
	v_fma_f64 v[8:9], -v[10:11], v[74:75], v[8:9]
	v_mov_b32_e32 v76, s12
	v_fma_f64 v[8:9], -v[14:15], v[72:73], v[8:9]
	ds_read2_b64 v[76:79], v76 offset1:1
	s_waitcnt lgkmcnt(1)
	v_fma_f64 v[8:9], -v[12:13], v[70:71], v[8:9]
	s_sub_i32 s12, s14, 56
	v_fma_f64 v[8:9], -v[16:17], v[68:69], v[8:9]
	v_mov_b32_e32 v68, s12
	ds_read2_b64 v[68:71], v68 offset1:1
	s_waitcnt lgkmcnt(1)
	v_fma_f64 v[8:9], -v[18:19], v[78:79], v[8:9]
	s_add_i32 s12, s14, 0xffffffb8
	v_fma_f64 v[8:9], -v[20:21], v[76:77], v[8:9]
	v_mov_b32_e32 v72, s12
	ds_read2_b64 v[72:75], v72 offset1:1
	s_waitcnt lgkmcnt(1)
	v_fma_f64 v[8:9], -v[22:23], v[70:71], v[8:9]
	s_add_i32 s12, s14, 0xffffffa8
	v_fma_f64 v[8:9], -v[26:27], v[68:69], v[8:9]
	v_mov_b32_e32 v68, s12
	ds_read2_b64 v[68:71], v68 offset1:1
	s_add_i32 s12, s14, 0xffffff98
	s_waitcnt lgkmcnt(1)
	v_fma_f64 v[8:9], -v[28:29], v[74:75], v[8:9]
	v_mov_b32_e32 v76, s12
	v_fma_f64 v[8:9], -v[30:31], v[72:73], v[8:9]
	ds_read2_b64 v[76:79], v76 offset1:1
	s_waitcnt lgkmcnt(1)
	v_fma_f64 v[8:9], -v[34:35], v[70:71], v[8:9]
	s_add_i32 s12, s14, 0xffffff88
	v_fma_f64 v[8:9], -v[36:37], v[68:69], v[8:9]
	v_mov_b32_e32 v68, s12
	ds_read2_b64 v[68:71], v68 offset1:1
	s_waitcnt lgkmcnt(1)
	v_fma_f64 v[8:9], -v[40:41], v[78:79], v[8:9]
	s_add_i32 s12, s14, 0xffffff78
	v_fma_f64 v[8:9], -v[42:43], v[76:77], v[8:9]
	v_mov_b32_e32 v72, s12
	;; [unrolled: 6-line block ×3, first 2 shown]
	ds_read2_b64 v[68:71], v68 offset1:1
	s_add_i32 s12, s14, 0xffffff58
	s_waitcnt lgkmcnt(1)
	v_fma_f64 v[8:9], -v[52:53], v[74:75], v[8:9]
	v_mov_b32_e32 v76, s12
	v_fma_f64 v[8:9], -v[56:57], v[72:73], v[8:9]
	ds_read2_b64 v[76:79], v76 offset1:1
	s_waitcnt lgkmcnt(1)
	v_fma_f64 v[8:9], -v[58:59], v[70:71], v[8:9]
	s_add_i32 s12, s14, 0xffffff48
	v_fma_f64 v[8:9], -v[64:65], v[68:69], v[8:9]
	v_mov_b32_e32 v68, s12
	ds_read2_b64 v[68:71], v68 offset1:1
	s_waitcnt lgkmcnt(1)
	v_fma_f64 v[8:9], -v[66:67], v[78:79], v[8:9]
	s_add_i32 s12, s14, 0xffffff38
	v_fma_f64 v[8:9], -v[62:63], v[76:77], v[8:9]
	v_mov_b32_e32 v72, s12
	;; [unrolled: 6-line block ×3, first 2 shown]
	ds_read2_b64 v[68:71], v68 offset1:1
	s_lshl_b32 s9, s9, 3
	s_add_i32 s9, s13, s9
	v_mov_b32_e32 v76, s9
	ds_read2_b64 v[76:79], v76 offset1:1
	s_waitcnt lgkmcnt(2)
	v_fma_f64 v[8:9], -v[50:51], v[74:75], v[8:9]
	v_fma_f64 v[8:9], -v[44:45], v[72:73], v[8:9]
	s_sub_i32 s9, s7, 30
	s_waitcnt lgkmcnt(1)
	v_fma_f64 v[8:9], -v[38:39], v[70:71], v[8:9]
	s_lshl_b32 s12, s9, 9
	v_fma_f64 v[8:9], -v[32:33], v[68:69], v[8:9]
	v_add_u32_e32 v68, s13, v1
	s_add_i32 s13, s12, s8
	v_mov_b32_e32 v69, s13
	s_waitcnt lgkmcnt(0)
	v_fma_f64 v[8:9], -v[24:25], v[78:79], v[8:9]
	ds_read_b64 v[72:73], v69
	v_mul_f64 v[8:9], v[76:77], v[8:9]
	s_add_i32 s14, s13, -16
	ds_write_b64 v68, v[8:9]
	v_mov_b32_e32 v68, s14
	ds_read2_b64 v[68:71], v68 offset1:1
	s_sub_i32 s14, s13, 32
	s_waitcnt lgkmcnt(2)
	v_fma_f64 v[6:7], -v[10:11], v[72:73], v[6:7]
	v_mov_b32_e32 v72, s14
	ds_read2_b64 v[72:75], v72 offset1:1
	s_sub_i32 s14, s13, 48
	v_mov_b32_e32 v76, s14
	ds_read2_b64 v[76:79], v76 offset1:1
	s_waitcnt lgkmcnt(2)
	v_fma_f64 v[6:7], -v[14:15], v[70:71], v[6:7]
	s_sub_i32 s14, s13, 64
	v_fma_f64 v[6:7], -v[12:13], v[68:69], v[6:7]
	v_mov_b32_e32 v68, s14
	ds_read2_b64 v[68:71], v68 offset1:1
	s_waitcnt lgkmcnt(2)
	v_fma_f64 v[6:7], -v[16:17], v[74:75], v[6:7]
	v_fma_f64 v[6:7], -v[18:19], v[72:73], v[6:7]
	s_waitcnt lgkmcnt(1)
	v_fma_f64 v[6:7], -v[20:21], v[78:79], v[6:7]
	s_add_i32 s14, s13, 0xffffffb0
	v_fma_f64 v[6:7], -v[22:23], v[76:77], v[6:7]
	v_mov_b32_e32 v72, s14
	ds_read2_b64 v[72:75], v72 offset1:1
	s_waitcnt lgkmcnt(1)
	v_fma_f64 v[6:7], -v[26:27], v[70:71], v[6:7]
	s_add_i32 s14, s13, 0xffffffa0
	v_fma_f64 v[6:7], -v[28:29], v[68:69], v[6:7]
	v_mov_b32_e32 v68, s14
	ds_read2_b64 v[68:71], v68 offset1:1
	s_add_i32 s14, s13, 0xffffff90
	s_waitcnt lgkmcnt(1)
	v_fma_f64 v[6:7], -v[30:31], v[74:75], v[6:7]
	v_mov_b32_e32 v76, s14
	v_fma_f64 v[6:7], -v[34:35], v[72:73], v[6:7]
	ds_read2_b64 v[76:79], v76 offset1:1
	s_waitcnt lgkmcnt(1)
	v_fma_f64 v[6:7], -v[36:37], v[70:71], v[6:7]
	s_add_i32 s14, s13, 0xffffff80
	v_fma_f64 v[6:7], -v[40:41], v[68:69], v[6:7]
	v_mov_b32_e32 v68, s14
	ds_read2_b64 v[68:71], v68 offset1:1
	s_waitcnt lgkmcnt(1)
	v_fma_f64 v[6:7], -v[42:43], v[78:79], v[6:7]
	s_add_i32 s14, s13, 0xffffff70
	v_fma_f64 v[6:7], -v[46:47], v[76:77], v[6:7]
	v_mov_b32_e32 v72, s14
	;; [unrolled: 6-line block ×3, first 2 shown]
	ds_read2_b64 v[68:71], v68 offset1:1
	s_add_i32 s14, s13, 0xffffff50
	s_waitcnt lgkmcnt(1)
	v_fma_f64 v[6:7], -v[56:57], v[74:75], v[6:7]
	v_mov_b32_e32 v76, s14
	v_fma_f64 v[6:7], -v[58:59], v[72:73], v[6:7]
	ds_read2_b64 v[76:79], v76 offset1:1
	s_waitcnt lgkmcnt(1)
	v_fma_f64 v[6:7], -v[64:65], v[70:71], v[6:7]
	s_add_i32 s14, s13, 0xffffff40
	v_fma_f64 v[6:7], -v[66:67], v[68:69], v[6:7]
	v_mov_b32_e32 v68, s14
	ds_read2_b64 v[68:71], v68 offset1:1
	s_waitcnt lgkmcnt(1)
	v_fma_f64 v[6:7], -v[62:63], v[78:79], v[6:7]
	s_add_i32 s14, s13, 0xffffff30
	v_fma_f64 v[6:7], -v[60:61], v[76:77], v[6:7]
	v_mov_b32_e32 v72, s14
	ds_read2_b64 v[72:75], v72 offset1:1
	s_waitcnt lgkmcnt(1)
	v_fma_f64 v[6:7], -v[54:55], v[70:71], v[6:7]
	s_addk_i32 s13, 0xff20
	v_fma_f64 v[6:7], -v[50:51], v[68:69], v[6:7]
	v_mov_b32_e32 v68, s13
	s_lshl_b32 s9, s9, 3
	ds_read2_b64 v[68:71], v68 offset1:1
	s_add_i32 s9, s12, s9
	v_mov_b32_e32 v76, s9
	ds_read2_b64 v[76:79], v76 offset1:1
	s_waitcnt lgkmcnt(2)
	v_fma_f64 v[6:7], -v[44:45], v[74:75], v[6:7]
	v_fma_f64 v[6:7], -v[38:39], v[72:73], v[6:7]
	s_waitcnt lgkmcnt(1)
	v_fma_f64 v[6:7], -v[32:33], v[70:71], v[6:7]
	v_fma_f64 v[6:7], -v[24:25], v[68:69], v[6:7]
	s_waitcnt lgkmcnt(0)
	v_fma_f64 v[6:7], -v[8:9], v[78:79], v[6:7]
	s_sub_i32 s9, s7, 31
	v_mul_f64 v[76:77], v[76:77], v[6:7]
	v_add_u32_e32 v6, s12, v1
	s_lshl_b32 s12, s9, 9
	s_add_i32 s13, s12, s8
	s_add_i32 s8, s13, -8
	ds_write_b64 v6, v[76:77]
	v_mov_b32_e32 v6, s8
	ds_read2_b64 v[68:71], v6 offset1:1
	s_sub_i32 s14, s13, 24
	v_mov_b32_e32 v6, s14
	ds_read2_b64 v[72:75], v6 offset1:1
	s_sub_i32 s14, s13, 40
	s_waitcnt lgkmcnt(1)
	v_fma_f64 v[4:5], -v[10:11], v[70:71], v[4:5]
	v_fma_f64 v[10:11], -v[14:15], v[68:69], v[4:5]
	v_mov_b32_e32 v4, s14
	ds_read2_b64 v[4:7], v4 offset1:1
	s_sub_i32 s14, s13, 56
	v_mov_b32_e32 v14, s14
	ds_read2_b64 v[68:71], v14 offset1:1
	s_waitcnt lgkmcnt(2)
	v_fma_f64 v[10:11], -v[12:13], v[74:75], v[10:11]
	v_fma_f64 v[10:11], -v[16:17], v[72:73], v[10:11]
	s_waitcnt lgkmcnt(1)
	v_fma_f64 v[6:7], -v[18:19], v[6:7], v[10:11]
	v_fma_f64 v[4:5], -v[20:21], v[4:5], v[6:7]
	s_add_i32 s14, s13, 0xffffffb8
	s_waitcnt lgkmcnt(0)
	v_fma_f64 v[10:11], -v[22:23], v[70:71], v[4:5]
	v_mov_b32_e32 v4, s14
	ds_read2_b64 v[4:7], v4 offset1:1
	s_add_i32 s14, s13, 0xffffffa8
	v_fma_f64 v[14:15], -v[26:27], v[68:69], v[10:11]
	v_mov_b32_e32 v10, s14
	ds_read2_b64 v[10:13], v10 offset1:1
	s_waitcnt lgkmcnt(1)
	v_fma_f64 v[6:7], -v[28:29], v[6:7], v[14:15]
	s_add_i32 s14, s13, 0xffffff98
	v_fma_f64 v[18:19], -v[30:31], v[4:5], v[6:7]
	v_mov_b32_e32 v4, s14
	ds_read2_b64 v[4:7], v4 offset1:1
	s_add_i32 s14, s13, 0xffffff88
	v_mov_b32_e32 v14, s14
	ds_read2_b64 v[14:17], v14 offset1:1
	s_waitcnt lgkmcnt(2)
	v_fma_f64 v[12:13], -v[34:35], v[12:13], v[18:19]
	v_fma_f64 v[10:11], -v[36:37], v[10:11], v[12:13]
	s_waitcnt lgkmcnt(1)
	v_fma_f64 v[6:7], -v[40:41], v[6:7], v[10:11]
	v_fma_f64 v[4:5], -v[42:43], v[4:5], v[6:7]
	s_add_i32 s14, s13, 0xffffff78
	s_waitcnt lgkmcnt(0)
	v_fma_f64 v[10:11], -v[46:47], v[16:17], v[4:5]
	v_mov_b32_e32 v4, s14
	ds_read2_b64 v[4:7], v4 offset1:1
	s_add_i32 s14, s13, 0xffffff68
	v_fma_f64 v[14:15], -v[48:49], v[14:15], v[10:11]
	v_mov_b32_e32 v10, s14
	ds_read2_b64 v[10:13], v10 offset1:1
	s_waitcnt lgkmcnt(1)
	v_fma_f64 v[6:7], -v[52:53], v[6:7], v[14:15]
	s_add_i32 s14, s13, 0xffffff58
	v_fma_f64 v[18:19], -v[56:57], v[4:5], v[6:7]
	v_mov_b32_e32 v4, s14
	ds_read2_b64 v[4:7], v4 offset1:1
	s_add_i32 s14, s13, 0xffffff48
	v_mov_b32_e32 v14, s14
	ds_read2_b64 v[14:17], v14 offset1:1
	s_waitcnt lgkmcnt(2)
	v_fma_f64 v[12:13], -v[58:59], v[12:13], v[18:19]
	v_fma_f64 v[10:11], -v[64:65], v[10:11], v[12:13]
	s_waitcnt lgkmcnt(1)
	v_fma_f64 v[6:7], -v[66:67], v[6:7], v[10:11]
	v_fma_f64 v[4:5], -v[62:63], v[4:5], v[6:7]
	s_add_i32 s14, s13, 0xffffff38
	s_waitcnt lgkmcnt(0)
	v_fma_f64 v[10:11], -v[60:61], v[16:17], v[4:5]
	v_mov_b32_e32 v4, s14
	ds_read2_b64 v[4:7], v4 offset1:1
	s_add_i32 s14, s13, 0xffffff28
	v_fma_f64 v[14:15], -v[54:55], v[14:15], v[10:11]
	v_mov_b32_e32 v10, s14
	ds_read2_b64 v[10:13], v10 offset1:1
	s_waitcnt lgkmcnt(1)
	v_fma_f64 v[6:7], -v[50:51], v[6:7], v[14:15]
	s_addk_i32 s13, 0xff18
	v_fma_f64 v[18:19], -v[44:45], v[4:5], v[6:7]
	v_mov_b32_e32 v4, s13
	s_lshl_b32 s9, s9, 3
	ds_read2_b64 v[4:7], v4 offset1:1
	s_add_i32 s9, s12, s9
	v_mov_b32_e32 v14, s9
	ds_read2_b64 v[14:17], v14 offset1:1
	s_waitcnt lgkmcnt(2)
	v_fma_f64 v[12:13], -v[38:39], v[12:13], v[18:19]
	v_fma_f64 v[10:11], -v[32:33], v[10:11], v[12:13]
	s_waitcnt lgkmcnt(1)
	v_fma_f64 v[6:7], -v[24:25], v[6:7], v[10:11]
	v_fma_f64 v[4:5], -v[8:9], v[4:5], v[6:7]
	s_waitcnt lgkmcnt(0)
	v_fma_f64 v[4:5], -v[76:77], v[16:17], v[4:5]
	s_mov_b32 s8, 31
	v_mul_f64 v[4:5], v[14:15], v[4:5]
	v_add_u32_e32 v6, s12, v1
	s_cmp_gt_i32 s7, 62
	ds_write_b64 v6, v[4:5]
	s_cbranch_scc0 .LBB109_16
.LBB109_13:                             ; =>This Loop Header: Depth=1
                                        ;     Child Loop BB109_15 Depth 2
	s_mov_b32 s7, s8
	s_lshl_b32 s8, s8, 9
	v_add_u32_e32 v68, s8, v1
	v_add_u32_e32 v4, 0xfffffe00, v68
	v_add_u32_e32 v5, 0xfffffc00, v68
	v_add_u32_e32 v6, 0xfffffa00, v68
	ds_read_b64 v[10:11], v68
	ds_read_b64 v[14:15], v4
	ds_read_b64 v[12:13], v5
	ds_read_b64 v[16:17], v6
	v_add_u32_e32 v4, 0xfffff800, v68
	v_add_u32_e32 v5, 0xfffff600, v68
	v_add_u32_e32 v6, 0xfffff400, v68
	v_add_u32_e32 v7, 0xfffff200, v68
	ds_read_b64 v[18:19], v4
	ds_read_b64 v[20:21], v5
	ds_read_b64 v[22:23], v6
	ds_read_b64 v[26:27], v7
	;; [unrolled: 8-line block ×8, first 2 shown]
	s_cmp_le_i32 s4, s7
	s_cbranch_scc1 .LBB109_12
; %bb.14:                               ;   in Loop: Header=BB109_13 Depth=1
	s_add_i32 s8, s5, s8
	v_mov_b32_e32 v69, v3
	s_mov_b32 s9, s4
.LBB109_15:                             ;   Parent Loop BB109_13 Depth=1
                                        ; =>  This Inner Loop Header: Depth=2
	v_mov_b32_e32 v130, s8
	ds_read_b64 v[134:135], v69
	ds_read2st64_b64 v[70:73], v130 offset0:30 offset1:31
	ds_read2st64_b64 v[74:77], v130 offset0:28 offset1:29
	;; [unrolled: 1-line block ×15, first 2 shown]
	ds_read2st64_b64 v[130:133], v130 offset1:1
	s_add_i32 s9, s9, -1
	s_add_i32 s8, s8, -8
	v_add_u32_e32 v69, 0xfffffe00, v69
	s_cmp_gt_i32 s9, s7
	s_waitcnt lgkmcnt(14)
	v_fma_f64 v[10:11], -v[134:135], v[72:73], v[10:11]
	v_fma_f64 v[14:15], -v[134:135], v[70:71], v[14:15]
	v_fma_f64 v[12:13], -v[134:135], v[76:77], v[12:13]
	v_fma_f64 v[16:17], -v[134:135], v[74:75], v[16:17]
	s_waitcnt lgkmcnt(13)
	v_fma_f64 v[18:19], -v[134:135], v[80:81], v[18:19]
	v_fma_f64 v[20:21], -v[134:135], v[78:79], v[20:21]
	s_waitcnt lgkmcnt(12)
	v_fma_f64 v[22:23], -v[134:135], v[84:85], v[22:23]
	v_fma_f64 v[26:27], -v[134:135], v[82:83], v[26:27]
	;; [unrolled: 3-line block ×14, first 2 shown]
	s_cbranch_scc1 .LBB109_15
	s_branch .LBB109_12
.LBB109_16:
	s_sub_i32 s5, s7, 32
.LBB109_17:
	s_cmp_gt_i32 s5, -1
	s_cbranch_scc0 .LBB109_42
; %bb.18:
	s_cmp_lt_u32 s5, 3
	s_cbranch_scc1 .LBB109_24
; %bb.19:
	s_lshl_b32 s7, s5, 9
	s_lshl_b32 s8, s22, 3
	v_lshl_or_b32 v3, s22, 9, v2
	s_add_i32 s7, s7, s8
	v_add_u32_e32 v3, 0x7e00, v3
	s_addk_i32 s7, 0xf9f8
.LBB109_20:                             ; =>This Loop Header: Depth=1
                                        ;     Child Loop BB109_21 Depth 2
	v_lshl_add_u32 v12, s5, 9, v1
	v_add_u32_e32 v4, 0xfffffe00, v12
	v_add_u32_e32 v5, 0xfffffc00, v12
	;; [unrolled: 1-line block ×3, first 2 shown]
	ds_read_b64 v[10:11], v12
	ds_read_b64 v[8:9], v4
	;; [unrolled: 1-line block ×4, first 2 shown]
	s_cmp_le_i32 s4, s5
	s_mov_b32 s8, s7
	v_mov_b32_e32 v13, v3
	s_mov_b32 s9, s4
	s_cbranch_scc1 .LBB109_22
.LBB109_21:                             ;   Parent Loop BB109_20 Depth=1
                                        ; =>  This Inner Loop Header: Depth=2
	v_mov_b32_e32 v18, s8
	ds_read_b64 v[22:23], v13
	ds_read2st64_b64 v[14:17], v18 offset0:2 offset1:3
	ds_read2st64_b64 v[18:21], v18 offset1:1
	s_add_i32 s9, s9, -1
	s_add_i32 s8, s8, -8
	v_add_u32_e32 v13, 0xfffffe00, v13
	s_cmp_gt_i32 s9, s5
	s_waitcnt lgkmcnt(1)
	v_fma_f64 v[10:11], -v[22:23], v[16:17], v[10:11]
	v_fma_f64 v[8:9], -v[22:23], v[14:15], v[8:9]
	s_waitcnt lgkmcnt(0)
	v_fma_f64 v[6:7], -v[22:23], v[20:21], v[6:7]
	v_fma_f64 v[4:5], -v[22:23], v[18:19], v[4:5]
	s_cbranch_scc1 .LBB109_21
.LBB109_22:                             ;   in Loop: Header=BB109_20 Depth=1
	s_mul_i32 s8, s5, 0x208
	v_mov_b32_e32 v13, s8
	s_add_i32 s8, s5, -1
	s_lshl_b32 s9, s8, 9
	s_lshl_b32 s8, s8, 3
	s_add_i32 s8, s9, s8
	ds_read_b64 v[18:19], v13
	v_mov_b32_e32 v13, s8
	ds_read2_b64 v[14:17], v13 offset1:1
	s_add_i32 s8, s5, -2
	s_lshl_b32 s12, s8, 9
	s_lshl_b32 s13, s5, 3
	;; [unrolled: 1-line block ×3, first 2 shown]
	s_waitcnt lgkmcnt(1)
	v_mul_f64 v[18:19], v[18:19], v[10:11]
	s_add_i32 s14, s12, s13
	s_add_i32 s8, s12, s8
	ds_write_b64 v12, v[18:19]
	s_waitcnt lgkmcnt(1)
	v_fma_f64 v[12:13], -v[18:19], v[16:17], v[8:9]
	v_mov_b32_e32 v8, s14
	v_mov_b32_e32 v9, s8
	ds_read_b64 v[16:17], v8
	ds_read2_b64 v[8:11], v9 offset1:1
	s_add_i32 s8, s5, -3
	v_mul_f64 v[14:15], v[14:15], v[12:13]
	v_add_u32_e32 v12, s9, v1
	s_lshl_b32 s9, s8, 9
	s_waitcnt lgkmcnt(1)
	v_fma_f64 v[6:7], -v[18:19], v[16:17], v[6:7]
	s_add_i32 s13, s9, s13
	s_waitcnt lgkmcnt(0)
	v_fma_f64 v[6:7], -v[14:15], v[10:11], v[6:7]
	s_add_i32 s13, s13, -8
	v_mul_f64 v[16:17], v[8:9], v[6:7]
	v_mov_b32_e32 v6, s13
	s_lshl_b32 s8, s8, 3
	ds_read2_b64 v[6:9], v6 offset1:1
	s_add_i32 s8, s9, s8
	v_mov_b32_e32 v10, s8
	ds_write_b64 v12, v[14:15]
	ds_read2_b64 v[10:13], v10 offset1:1
	s_waitcnt lgkmcnt(2)
	v_fma_f64 v[4:5], -v[18:19], v[8:9], v[4:5]
	v_fma_f64 v[4:5], -v[14:15], v[6:7], v[4:5]
	s_add_i32 s8, s5, -4
	s_addk_i32 s7, 0xf800
	s_waitcnt lgkmcnt(0)
	v_fma_f64 v[4:5], -v[16:17], v[12:13], v[4:5]
	v_add_u32_e32 v20, s12, v1
	v_mul_f64 v[4:5], v[10:11], v[4:5]
	v_add_u32_e32 v6, s9, v1
	s_cmp_gt_i32 s5, 6
	ds_write_b64 v20, v[16:17]
	ds_write_b64 v6, v[4:5]
	s_cbranch_scc0 .LBB109_25
; %bb.23:                               ;   in Loop: Header=BB109_20 Depth=1
	s_mov_b32 s5, s8
	s_branch .LBB109_20
.LBB109_24:
	s_mov_b32 s8, s5
.LBB109_25:
	s_cmp_lt_i32 s8, 0
	s_cbranch_scc1 .LBB109_42
; %bb.26:
	s_and_b32 s5, s8, 3
	s_cmp_eq_u32 s5, 3
	s_mov_b32 s5, s8
	s_cbranch_scc1 .LBB109_31
; %bb.27:
	s_add_i32 s5, s8, 1
	s_and_b32 s7, s5, 3
	s_lshl_b32 s5, s8, 9
	s_lshl_b32 s9, s22, 3
	s_add_i32 s5, s5, s9
	v_lshl_or_b32 v3, s22, 9, v2
	s_add_i32 s9, s5, -8
	v_add_u32_e32 v3, 0x7e00, v3
	s_mov_b32 s12, 0
	s_mov_b32 s5, s8
	s_branch .LBB109_29
.LBB109_28:                             ;   in Loop: Header=BB109_29 Depth=1
	s_mul_i32 s13, s5, 0x208
	v_mov_b32_e32 v7, s13
	ds_read_b64 v[8:9], v7
	s_add_i32 s5, s5, -1
	s_add_i32 s12, s12, 1
	s_addk_i32 s9, 0xfe00
	s_cmp_lg_u32 s12, s7
	s_waitcnt lgkmcnt(0)
	v_mul_f64 v[4:5], v[8:9], v[4:5]
	ds_write_b64 v6, v[4:5]
	s_cbranch_scc0 .LBB109_31
.LBB109_29:                             ; =>This Loop Header: Depth=1
                                        ;     Child Loop BB109_30 Depth 2
	s_lshl_b32 s13, s5, 9
	v_add_u32_e32 v6, s13, v1
	ds_read_b64 v[4:5], v6
	s_cmp_le_i32 s4, s5
	v_mov_b32_e32 v7, v3
	s_mov_b32 s13, s9
	s_mov_b32 s14, s4
	s_cbranch_scc1 .LBB109_28
.LBB109_30:                             ;   Parent Loop BB109_29 Depth=1
                                        ; =>  This Inner Loop Header: Depth=2
	v_mov_b32_e32 v10, s13
	ds_read_b64 v[8:9], v7
	ds_read_b64 v[10:11], v10
	s_add_i32 s14, s14, -1
	s_add_i32 s13, s13, -8
	v_add_u32_e32 v7, 0xfffffe00, v7
	s_cmp_gt_i32 s14, s5
	s_waitcnt lgkmcnt(0)
	v_fma_f64 v[4:5], -v[8:9], v[10:11], v[4:5]
	s_cbranch_scc1 .LBB109_30
	s_branch .LBB109_28
.LBB109_31:
	s_cmp_lt_u32 s8, 3
	s_cbranch_scc1 .LBB109_42
; %bb.32:
	s_lshl_b32 s7, s5, 9
	s_lshl_b32 s8, s22, 3
	s_add_i32 s12, s7, s8
	v_lshl_or_b32 v2, s22, 9, v2
	s_add_i32 s7, s12, -8
	v_add_u32_e32 v6, 0x7e00, v2
	s_add_i32 s8, s12, 0xfffffdf8
	s_add_i32 s9, s12, 0xfffffbf8
	s_addk_i32 s12, 0xf9f8
	s_branch .LBB109_34
.LBB109_33:                             ;   in Loop: Header=BB109_34 Depth=1
	s_addk_i32 s13, 0xfdf8
	v_mov_b32_e32 v2, s13
	ds_read_b64 v[2:3], v2
	s_add_i32 s13, s5, -4
	s_addk_i32 s7, 0xf800
	s_addk_i32 s8, 0xf800
	;; [unrolled: 1-line block ×4, first 2 shown]
	s_waitcnt lgkmcnt(0)
	v_mul_f64 v[2:3], v[2:3], v[4:5]
	s_cmp_lt_i32 s5, 4
	s_mov_b32 s5, s13
	ds_write_b64 v7, v[2:3]
	s_cbranch_scc1 .LBB109_42
.LBB109_34:                             ; =>This Loop Header: Depth=1
                                        ;     Child Loop BB109_35 Depth 2
                                        ;     Child Loop BB109_37 Depth 2
	;; [unrolled: 1-line block ×4, first 2 shown]
	s_lshl_b32 s14, s5, 9
	v_add_u32_e32 v8, s14, v1
	ds_read_b64 v[2:3], v8
	s_cmp_le_i32 s4, s5
	v_mov_b32_e32 v4, v6
	s_mov_b32 s13, s7
	s_mov_b32 s15, s4
	s_cbranch_scc1 .LBB109_36
.LBB109_35:                             ;   Parent Loop BB109_34 Depth=1
                                        ; =>  This Inner Loop Header: Depth=2
	v_mov_b32_e32 v5, s13
	ds_read_b64 v[10:11], v4
	ds_read_b64 v[12:13], v5
	s_add_i32 s15, s15, -1
	s_add_i32 s13, s13, -8
	v_add_u32_e32 v4, 0xfffffe00, v4
	s_cmp_gt_i32 s15, s5
	s_waitcnt lgkmcnt(0)
	v_fma_f64 v[2:3], -v[10:11], v[12:13], v[2:3]
	s_cbranch_scc1 .LBB109_35
.LBB109_36:                             ;   in Loop: Header=BB109_34 Depth=1
	s_mul_i32 s13, s5, 0x208
	v_mov_b32_e32 v4, s13
	ds_read_b64 v[10:11], v4
	s_addk_i32 s14, 0xfe00
	v_add_u32_e32 v7, s14, v1
	ds_read_b64 v[4:5], v7
	s_cmp_le_i32 s22, s5
	s_waitcnt lgkmcnt(1)
	v_mul_f64 v[2:3], v[10:11], v[2:3]
	ds_write_b64 v8, v[2:3]
	v_mov_b32_e32 v2, v6
	s_mov_b32 s14, s8
	s_mov_b32 s15, s22
	s_cbranch_scc1 .LBB109_38
.LBB109_37:                             ;   Parent Loop BB109_34 Depth=1
                                        ; =>  This Inner Loop Header: Depth=2
	v_mov_b32_e32 v3, s14
	ds_read_b64 v[8:9], v2
	ds_read_b64 v[10:11], v3
	s_add_i32 s15, s15, -1
	s_add_i32 s14, s14, -8
	v_add_u32_e32 v2, 0xfffffe00, v2
	s_cmp_gt_i32 s15, s5
	s_waitcnt lgkmcnt(0)
	v_fma_f64 v[4:5], -v[8:9], v[10:11], v[4:5]
	s_cbranch_scc1 .LBB109_37
.LBB109_38:                             ;   in Loop: Header=BB109_34 Depth=1
	s_addk_i32 s13, 0xfdf8
	v_mov_b32_e32 v2, s13
	s_add_i32 s14, s5, -2
	ds_read_b64 v[10:11], v2
	s_lshl_b32 s15, s14, 9
	v_add_u32_e32 v8, s15, v1
	ds_read_b64 v[2:3], v8
	s_cmp_le_i32 s4, s14
	s_waitcnt lgkmcnt(1)
	v_mul_f64 v[4:5], v[10:11], v[4:5]
	ds_write_b64 v7, v[4:5]
	v_mov_b32_e32 v4, v6
	s_mov_b32 s15, s9
	s_mov_b32 s17, s4
	s_cbranch_scc1 .LBB109_40
.LBB109_39:                             ;   Parent Loop BB109_34 Depth=1
                                        ; =>  This Inner Loop Header: Depth=2
	v_mov_b32_e32 v5, s15
	ds_read_b64 v[10:11], v4
	ds_read_b64 v[12:13], v5
	s_add_i32 s17, s17, -1
	s_add_i32 s15, s15, -8
	v_add_u32_e32 v4, 0xfffffe00, v4
	s_cmp_gt_i32 s17, s14
	s_waitcnt lgkmcnt(0)
	v_fma_f64 v[2:3], -v[10:11], v[12:13], v[2:3]
	s_cbranch_scc1 .LBB109_39
.LBB109_40:                             ;   in Loop: Header=BB109_34 Depth=1
	s_addk_i32 s13, 0xfdf8
	v_mov_b32_e32 v4, s13
	s_add_i32 s14, s5, -3
	ds_read_b64 v[10:11], v4
	s_lshl_b32 s15, s14, 9
	v_add_u32_e32 v7, s15, v1
	ds_read_b64 v[4:5], v7
	s_cmp_le_i32 s4, s14
	s_waitcnt lgkmcnt(1)
	v_mul_f64 v[2:3], v[10:11], v[2:3]
	ds_write_b64 v8, v[2:3]
	v_mov_b32_e32 v2, v6
	s_mov_b32 s15, s12
	s_mov_b32 s17, s4
	s_cbranch_scc1 .LBB109_33
.LBB109_41:                             ;   Parent Loop BB109_34 Depth=1
                                        ; =>  This Inner Loop Header: Depth=2
	v_mov_b32_e32 v3, s15
	ds_read_b64 v[8:9], v2
	ds_read_b64 v[10:11], v3
	s_add_i32 s17, s17, -1
	s_add_i32 s15, s15, -8
	v_add_u32_e32 v2, 0xfffffe00, v2
	s_cmp_gt_i32 s17, s14
	s_waitcnt lgkmcnt(0)
	v_fma_f64 v[4:5], -v[8:9], v[10:11], v[4:5]
	s_cbranch_scc1 .LBB109_41
	s_branch .LBB109_33
.LBB109_42:
	s_mov_b64 s[4:5], 0
.LBB109_43:
	s_and_b64 vcc, exec, s[4:5]
	s_cbranch_vccz .LBB109_63
; %bb.44:
	s_cmp_lt_i32 s6, 32
	s_mov_b32 s6, 0
	s_cbranch_scc1 .LBB109_50
; %bb.45:
	v_mov_b32_e32 v2, 0x8000
	v_lshl_or_b32 v102, v0, 3, v2
	s_mov_b32 s4, 0
	s_mov_b32 s5, 0
.LBB109_46:                             ; =>This Loop Header: Depth=1
                                        ;     Child Loop BB109_47 Depth 2
	s_lshl_b32 s6, s5, 9
	v_add_u32_e32 v70, s6, v1
	ds_read2st64_b64 v[66:69], v70 offset1:1
	ds_read2st64_b64 v[62:65], v70 offset0:2 offset1:3
	ds_read2st64_b64 v[54:57], v70 offset0:4 offset1:5
	;; [unrolled: 1-line block ×15, first 2 shown]
	s_cmp_eq_u32 s5, 0
	v_mov_b32_e32 v58, v102
	s_mov_b32 s7, s4
	s_mov_b32 s8, s5
	s_cbranch_scc1 .LBB109_48
.LBB109_47:                             ;   Parent Loop BB109_46 Depth=1
                                        ; =>  This Inner Loop Header: Depth=2
	v_mov_b32_e32 v59, s7
	ds_read_b64 v[60:61], v58
	ds_read_b128 v[72:75], v59
	ds_read_b128 v[76:79], v59 offset:16
	ds_read_b128 v[80:83], v59 offset:32
	;; [unrolled: 1-line block ×15, first 2 shown]
	s_add_i32 s8, s8, -1
	s_addk_i32 s7, 0x200
	v_add_u32_e32 v58, 0x200, v58
	s_cmp_lg_u32 s8, 0
	s_waitcnt lgkmcnt(14)
	v_fma_f64 v[66:67], -v[60:61], v[72:73], v[66:67]
	v_fma_f64 v[68:69], -v[60:61], v[74:75], v[68:69]
	;; [unrolled: 1-line block ×4, first 2 shown]
	s_waitcnt lgkmcnt(13)
	v_fma_f64 v[54:55], -v[60:61], v[80:81], v[54:55]
	v_fma_f64 v[56:57], -v[60:61], v[82:83], v[56:57]
	s_waitcnt lgkmcnt(12)
	v_fma_f64 v[50:51], -v[60:61], v[84:85], v[50:51]
	v_fma_f64 v[52:53], -v[60:61], v[86:87], v[52:53]
	s_waitcnt lgkmcnt(11)
	v_fma_f64 v[46:47], -v[60:61], v[88:89], v[46:47]
	v_fma_f64 v[48:49], -v[60:61], v[90:91], v[48:49]
	s_waitcnt lgkmcnt(10)
	v_fma_f64 v[42:43], -v[60:61], v[92:93], v[42:43]
	v_fma_f64 v[44:45], -v[60:61], v[94:95], v[44:45]
	s_waitcnt lgkmcnt(9)
	v_fma_f64 v[38:39], -v[60:61], v[96:97], v[38:39]
	v_fma_f64 v[40:41], -v[60:61], v[98:99], v[40:41]
	s_waitcnt lgkmcnt(8)
	v_fma_f64 v[34:35], -v[60:61], v[104:105], v[34:35]
	v_fma_f64 v[36:37], -v[60:61], v[106:107], v[36:37]
	s_waitcnt lgkmcnt(7)
	v_fma_f64 v[30:31], -v[60:61], v[108:109], v[30:31]
	v_fma_f64 v[32:33], -v[60:61], v[110:111], v[32:33]
	s_waitcnt lgkmcnt(6)
	v_fma_f64 v[26:27], -v[60:61], v[112:113], v[26:27]
	v_fma_f64 v[28:29], -v[60:61], v[114:115], v[28:29]
	s_waitcnt lgkmcnt(5)
	v_fma_f64 v[22:23], -v[60:61], v[116:117], v[22:23]
	v_fma_f64 v[24:25], -v[60:61], v[118:119], v[24:25]
	s_waitcnt lgkmcnt(4)
	v_fma_f64 v[18:19], -v[60:61], v[120:121], v[18:19]
	v_fma_f64 v[20:21], -v[60:61], v[122:123], v[20:21]
	s_waitcnt lgkmcnt(3)
	v_fma_f64 v[14:15], -v[60:61], v[124:125], v[14:15]
	v_fma_f64 v[16:17], -v[60:61], v[126:127], v[16:17]
	s_waitcnt lgkmcnt(2)
	v_fma_f64 v[10:11], -v[60:61], v[128:129], v[10:11]
	v_fma_f64 v[12:13], -v[60:61], v[130:131], v[12:13]
	s_waitcnt lgkmcnt(1)
	v_fma_f64 v[6:7], -v[60:61], v[132:133], v[6:7]
	v_fma_f64 v[8:9], -v[60:61], v[134:135], v[8:9]
	s_waitcnt lgkmcnt(0)
	v_fma_f64 v[2:3], -v[60:61], v[136:137], v[2:3]
	v_fma_f64 v[4:5], -v[60:61], v[138:139], v[4:5]
	s_cbranch_scc1 .LBB109_47
.LBB109_48:                             ;   in Loop: Header=BB109_46 Depth=1
	s_lshl_b32 s7, s5, 3
	s_add_i32 s8, s7, s6
	v_mov_b32_e32 v103, s8
	ds_read_b128 v[72:75], v103
	ds_read_b128 v[76:79], v103 offset:16
	ds_read_b128 v[58:61], v103 offset:32
	ds_read2_b64 v[84:87], v103 offset0:65 offset1:66
	s_or_b32 s9, s6, 0x200
	s_waitcnt lgkmcnt(3)
	v_mul_f64 v[82:83], v[72:73], v[66:67]
	ds_write_b64 v70, v[82:83]
	v_fma_f64 v[66:67], -v[82:83], v[74:75], v[68:69]
	ds_read_b128 v[68:71], v103 offset:1040
	s_waitcnt lgkmcnt(2)
	v_mul_f64 v[84:85], v[84:85], v[66:67]
	v_add_u32_e32 v66, s9, v1
	s_add_i32 s9, s7, s9
	v_fma_f64 v[62:63], -v[82:83], v[76:77], v[62:63]
	v_mov_b32_e32 v104, s9
	v_fma_f64 v[62:63], -v[84:85], v[86:87], v[62:63]
	s_or_b32 s12, s6, 0x400
	ds_read2_b64 v[88:91], v104 offset0:3 offset1:4
	s_waitcnt lgkmcnt(1)
	v_mul_f64 v[86:87], v[68:69], v[62:63]
	v_add_u32_e32 v62, s12, v1
	ds_write_b64 v66, v[84:85]
	ds_write_b64 v62, v[86:87]
	v_fma_f64 v[72:73], -v[82:83], v[78:79], v[64:65]
	ds_read2_b64 v[62:65], v103 offset0:195 offset1:196
	ds_read2_b64 v[66:69], v104 offset0:5 offset1:6
	s_waitcnt lgkmcnt(4)
	v_fma_f64 v[72:73], -v[84:85], v[88:89], v[72:73]
	v_fma_f64 v[74:75], -v[86:87], v[70:71], v[72:73]
	s_or_b32 s9, s6, 0x600
	s_add_i32 s12, s7, s12
	s_waitcnt lgkmcnt(1)
	v_mul_f64 v[62:63], v[62:63], v[74:75]
	v_add_u32_e32 v74, s9, v1
	ds_write_b64 v74, v[62:63]
	v_mov_b32_e32 v105, s12
	ds_read_b128 v[70:73], v103 offset:2080
	ds_read_b128 v[78:81], v105 offset:32
	;; [unrolled: 1-line block ×3, first 2 shown]
	v_fma_f64 v[54:55], -v[82:83], v[58:59], v[54:55]
	v_fma_f64 v[54:55], -v[84:85], v[90:91], v[54:55]
	s_or_b32 s12, s6, 0x800
	s_waitcnt lgkmcnt(1)
	v_fma_f64 v[54:55], -v[86:87], v[78:79], v[54:55]
	v_fma_f64 v[54:55], -v[62:63], v[64:65], v[54:55]
	s_add_i32 s9, s7, s9
	v_mul_f64 v[58:59], v[70:71], v[54:55]
	v_add_u32_e32 v54, s12, v1
	ds_write_b64 v54, v[58:59]
	v_fma_f64 v[54:55], -v[82:83], v[60:61], v[56:57]
	v_mov_b32_e32 v108, s9
	ds_read_b64 v[88:89], v104 offset:248
	v_fma_f64 v[54:55], -v[84:85], v[66:67], v[54:55]
	ds_read2_b64 v[64:67], v108 offset0:5 offset1:6
	s_add_i32 s9, s8, 0xa28
	v_fma_f64 v[60:61], -v[86:87], v[80:81], v[54:55]
	v_mov_b32_e32 v54, s9
	ds_read2_b64 v[78:81], v54 offset1:1
	ds_read_b128 v[54:57], v105 offset:240
	s_waitcnt lgkmcnt(2)
	v_fma_f64 v[60:61], -v[62:63], v[64:65], v[60:61]
	s_add_i32 s9, s7, s12
	v_fma_f64 v[60:61], -v[58:59], v[72:73], v[60:61]
	s_or_b32 s12, s6, 0xa00
	s_waitcnt lgkmcnt(1)
	v_mul_f64 v[60:61], v[78:79], v[60:61]
	v_add_u32_e32 v70, s12, v1
	ds_write_b64 v70, v[60:61]
	ds_read_b128 v[70:73], v103 offset:64
	ds_read_b128 v[90:93], v105 offset:48
	v_mov_b32_e32 v110, s9
	v_fma_f64 v[50:51], -v[82:83], v[74:75], v[50:51]
	ds_read_b128 v[98:101], v110 offset:48
	v_fma_f64 v[50:51], -v[84:85], v[68:69], v[50:51]
	s_waitcnt lgkmcnt(1)
	v_fma_f64 v[50:51], -v[86:87], v[90:91], v[50:51]
	ds_read_b64 v[64:65], v108 offset:248
	ds_read_b128 v[94:97], v105 offset:64
	v_fma_f64 v[50:51], -v[62:63], v[66:67], v[50:51]
	ds_read_b128 v[114:117], v110 offset:64
	ds_read_b128 v[66:69], v103 offset:3120
	s_waitcnt lgkmcnt(4)
	v_fma_f64 v[50:51], -v[58:59], v[98:99], v[50:51]
	v_fma_f64 v[50:51], -v[60:61], v[80:81], v[50:51]
	ds_read_b128 v[78:81], v103 offset:4160
	ds_read2_b64 v[118:121], v104 offset0:7 offset1:8
	s_add_i32 s9, s7, s12
	s_or_b32 s12, s6, 0xc00
	s_waitcnt lgkmcnt(2)
	v_mul_f64 v[66:67], v[66:67], v[50:51]
	v_add_u32_e32 v50, s12, v1
	ds_write_b64 v50, v[66:67]
	v_fma_f64 v[50:51], -v[82:83], v[76:77], v[52:53]
	ds_read2_b64 v[74:77], v104 offset0:9 offset1:10
	ds_read2_b64 v[122:125], v108 offset0:7 offset1:8
	s_waitcnt lgkmcnt(3)
	v_fma_f64 v[50:51], -v[84:85], v[118:119], v[50:51]
	v_mov_b32_e32 v107, s9
	v_fma_f64 v[50:51], -v[86:87], v[92:93], v[50:51]
	ds_read2_b64 v[90:93], v107 offset0:7 offset1:8
	ds_read2_b64 v[126:129], v108 offset0:9 offset1:10
	s_waitcnt lgkmcnt(2)
	v_fma_f64 v[50:51], -v[62:63], v[122:123], v[50:51]
	v_fma_f64 v[98:99], -v[58:59], v[100:101], v[50:51]
	s_add_i32 s9, s8, 0xe38
	s_waitcnt lgkmcnt(1)
	v_fma_f64 v[90:91], -v[60:61], v[90:91], v[98:99]
	v_mov_b32_e32 v98, s9
	s_add_i32 s9, s7, s12
	v_mov_b32_e32 v112, s9
	v_fma_f64 v[46:47], -v[82:83], v[70:71], v[46:47]
	ds_read2_b64 v[98:101], v98 offset1:1
	ds_read_b128 v[134:137], v103 offset:80
	ds_read_b128 v[130:133], v112 offset:64
	v_fma_f64 v[46:47], -v[84:85], v[120:121], v[46:47]
	v_fma_f64 v[46:47], -v[86:87], v[94:95], v[46:47]
	v_fma_f64 v[46:47], -v[62:63], v[124:125], v[46:47]
	v_fma_f64 v[46:47], -v[58:59], v[114:115], v[46:47]
	v_fma_f64 v[68:69], -v[66:67], v[68:69], v[90:91]
	v_fma_f64 v[46:47], -v[60:61], v[92:93], v[46:47]
	s_waitcnt lgkmcnt(2)
	v_mul_f64 v[68:69], v[98:99], v[68:69]
	s_waitcnt lgkmcnt(0)
	v_fma_f64 v[46:47], -v[66:67], v[130:131], v[46:47]
	v_fma_f64 v[46:47], -v[68:69], v[100:101], v[46:47]
	s_or_b32 s12, s6, 0x1000
	v_mul_f64 v[70:71], v[78:79], v[46:47]
	v_add_u32_e32 v46, s12, v1
	ds_write_b64 v46, v[70:71]
	v_fma_f64 v[46:47], -v[82:83], v[72:73], v[48:49]
	v_fma_f64 v[46:47], -v[84:85], v[74:75], v[46:47]
	ds_read2_b64 v[72:75], v107 offset0:9 offset1:10
	s_or_b32 s9, s6, 0xe00
	v_add_u32_e32 v90, s9, v1
	s_add_i32 s9, s7, s9
	v_fma_f64 v[46:47], -v[86:87], v[96:97], v[46:47]
	v_fma_f64 v[46:47], -v[62:63], v[126:127], v[46:47]
	v_mov_b32_e32 v106, s9
	v_fma_f64 v[46:47], -v[58:59], v[116:117], v[46:47]
	ds_read2_b64 v[94:97], v106 offset0:9 offset1:10
	s_waitcnt lgkmcnt(1)
	v_fma_f64 v[46:47], -v[60:61], v[72:73], v[46:47]
	s_add_i32 s9, s8, 0x1248
	ds_write_b64 v90, v[68:69]
	v_fma_f64 v[72:73], -v[66:67], v[132:133], v[46:47]
	v_mov_b32_e32 v46, s9
	ds_read_b128 v[50:53], v110 offset:240
	ds_read2_b64 v[90:93], v107 offset0:11 offset1:12
	ds_read2_b64 v[98:101], v46 offset1:1
	ds_read_b128 v[46:49], v112 offset:240
	s_waitcnt lgkmcnt(5)
	v_fma_f64 v[72:73], -v[68:69], v[94:95], v[72:73]
	s_add_i32 s9, s7, s12
	v_fma_f64 v[72:73], -v[70:71], v[80:81], v[72:73]
	s_or_b32 s12, s6, 0x1200
	s_waitcnt lgkmcnt(1)
	v_mul_f64 v[72:73], v[98:99], v[72:73]
	v_add_u32_e32 v78, s12, v1
	ds_write_b64 v78, v[72:73]
	ds_read_b128 v[78:81], v105 offset:80
	v_fma_f64 v[42:43], -v[82:83], v[134:135], v[42:43]
	v_fma_f64 v[42:43], -v[84:85], v[76:77], v[42:43]
	ds_read_b128 v[114:117], v110 offset:80
	ds_read_b128 v[118:121], v105 offset:96
	;; [unrolled: 1-line block ×3, first 2 shown]
	s_waitcnt lgkmcnt(3)
	v_fma_f64 v[42:43], -v[86:87], v[78:79], v[42:43]
	ds_read_b128 v[76:79], v112 offset:80
	v_fma_f64 v[42:43], -v[62:63], v[128:129], v[42:43]
	s_waitcnt lgkmcnt(3)
	v_fma_f64 v[42:43], -v[58:59], v[114:115], v[42:43]
	v_mov_b32_e32 v115, s9
	v_fma_f64 v[42:43], -v[60:61], v[74:75], v[42:43]
	ds_read_b128 v[126:129], v115 offset:80
	ds_read_b128 v[130:133], v112 offset:96
	s_waitcnt lgkmcnt(2)
	v_fma_f64 v[42:43], -v[66:67], v[76:77], v[42:43]
	v_fma_f64 v[42:43], -v[68:69], v[96:97], v[42:43]
	ds_read_b128 v[74:77], v103 offset:5200
	ds_read_b128 v[94:97], v115 offset:96
	s_waitcnt lgkmcnt(3)
	v_fma_f64 v[42:43], -v[70:71], v[126:127], v[42:43]
	s_add_i32 s9, s7, s12
	v_fma_f64 v[42:43], -v[72:73], v[100:101], v[42:43]
	s_or_b32 s12, s6, 0x1400
	ds_read2_b64 v[138:141], v104 offset0:11 offset1:12
	s_waitcnt lgkmcnt(2)
	v_mul_f64 v[74:75], v[74:75], v[42:43]
	v_add_u32_e32 v42, s12, v1
	ds_write_b64 v42, v[74:75]
	ds_read_b128 v[98:101], v103 offset:6240
	v_fma_f64 v[42:43], -v[82:83], v[136:137], v[44:45]
	ds_read2_b64 v[134:137], v108 offset0:11 offset1:12
	ds_read2_b64 v[142:145], v104 offset0:13 offset1:14
	s_waitcnt lgkmcnt(4)
	v_fma_f64 v[42:43], -v[84:85], v[138:139], v[42:43]
	v_fma_f64 v[42:43], -v[86:87], v[80:81], v[42:43]
	ds_read2_b64 v[150:153], v106 offset0:11 offset1:12
	s_waitcnt lgkmcnt(2)
	v_fma_f64 v[42:43], -v[62:63], v[134:135], v[42:43]
	v_fma_f64 v[42:43], -v[58:59], v[116:117], v[42:43]
	;; [unrolled: 1-line block ×4, first 2 shown]
	ds_read2_b64 v[78:81], v106 offset0:13 offset1:14
	s_waitcnt lgkmcnt(1)
	v_fma_f64 v[42:43], -v[68:69], v[150:151], v[42:43]
	v_mov_b32_e32 v109, s9
	s_add_i32 s9, s8, 0x1658
	v_fma_f64 v[90:91], -v[70:71], v[128:129], v[42:43]
	v_mov_b32_e32 v42, s9
	ds_read2_b64 v[146:149], v108 offset0:13 offset1:14
	ds_read2_b64 v[126:129], v109 offset0:11 offset1:12
	ds_read2_b64 v[154:157], v42 offset1:1
	ds_read_b128 v[42:45], v115 offset:240
	ds_read_b128 v[158:161], v103 offset:96
	;; [unrolled: 1-line block ×3, first 2 shown]
	s_add_i32 s9, s7, s12
	s_waitcnt lgkmcnt(4)
	v_fma_f64 v[90:91], -v[72:73], v[126:127], v[90:91]
	v_fma_f64 v[76:77], -v[74:75], v[76:77], v[90:91]
	s_waitcnt lgkmcnt(1)
	v_fma_f64 v[38:39], -v[82:83], v[158:159], v[38:39]
	v_fma_f64 v[38:39], -v[84:85], v[140:141], v[38:39]
	;; [unrolled: 1-line block ×11, first 2 shown]
	ds_read2_b64 v[126:129], v107 offset0:13 offset1:14
	s_or_b32 s12, s6, 0x1600
	v_fma_f64 v[40:41], -v[84:85], v[142:143], v[40:41]
	v_mul_f64 v[76:77], v[154:155], v[76:77]
	v_add_u32_e32 v90, s12, v1
	v_mov_b32_e32 v113, s9
	v_fma_f64 v[40:41], -v[86:87], v[120:121], v[40:41]
	ds_write_b64 v90, v[76:77]
	ds_read_b128 v[90:93], v113 offset:96
	v_fma_f64 v[40:41], -v[62:63], v[146:147], v[40:41]
	v_fma_f64 v[40:41], -v[58:59], v[124:125], v[40:41]
	ds_read2_b64 v[120:123], v107 offset0:15 offset1:16
	s_waitcnt lgkmcnt(3)
	v_fma_f64 v[40:41], -v[60:61], v[126:127], v[40:41]
	ds_read2_b64 v[124:127], v109 offset0:13 offset1:14
	v_fma_f64 v[40:41], -v[66:67], v[132:133], v[40:41]
	s_waitcnt lgkmcnt(2)
	v_fma_f64 v[38:39], -v[74:75], v[90:91], v[38:39]
	v_fma_f64 v[40:41], -v[68:69], v[78:79], v[40:41]
	s_add_i32 s9, s7, s12
	v_fma_f64 v[38:39], -v[76:77], v[156:157], v[38:39]
	s_or_b32 s12, s6, 0x1800
	v_fma_f64 v[40:41], -v[70:71], v[96:97], v[40:41]
	v_mul_f64 v[38:39], v[98:99], v[38:39]
	v_add_u32_e32 v90, s12, v1
	ds_read2_b64 v[94:97], v109 offset0:15 offset1:16
	s_waitcnt lgkmcnt(1)
	v_fma_f64 v[40:41], -v[72:73], v[124:125], v[40:41]
	v_mov_b32_e32 v111, s9
	ds_read_b128 v[116:119], v113 offset:112
	ds_write_b64 v90, v[38:39]
	v_fma_f64 v[40:41], -v[74:75], v[92:93], v[40:41]
	ds_read2_b64 v[90:93], v111 offset0:13 offset1:14
	s_add_i32 s9, s8, 0x1a68
	v_mov_b32_e32 v78, s9
	ds_read2_b64 v[130:133], v78 offset1:1
	ds_read2_b64 v[134:137], v111 offset0:15 offset1:16
	s_add_i32 s9, s7, s12
	s_waitcnt lgkmcnt(2)
	v_fma_f64 v[40:41], -v[76:77], v[90:91], v[40:41]
	v_fma_f64 v[40:41], -v[38:39], v[100:101], v[40:41]
	s_or_b32 s12, s6, 0x1a00
	ds_read_b128 v[98:101], v105 offset:112
	s_waitcnt lgkmcnt(2)
	v_mul_f64 v[40:41], v[130:131], v[40:41]
	v_add_u32_e32 v78, s12, v1
	ds_write_b64 v78, v[40:41]
	v_fma_f64 v[34:35], -v[82:83], v[162:163], v[34:35]
	v_fma_f64 v[34:35], -v[84:85], v[144:145], v[34:35]
	ds_read_b128 v[138:141], v110 offset:112
	ds_read_b128 v[142:145], v105 offset:128
	s_waitcnt lgkmcnt(3)
	v_fma_f64 v[34:35], -v[86:87], v[98:99], v[34:35]
	v_fma_f64 v[34:35], -v[62:63], v[148:149], v[34:35]
	ds_read_b128 v[146:149], v112 offset:112
	ds_read_b128 v[150:153], v110 offset:128
	s_waitcnt lgkmcnt(3)
	;; [unrolled: 5-line block ×3, first 2 shown]
	v_fma_f64 v[34:35], -v[66:67], v[146:147], v[34:35]
	v_fma_f64 v[34:35], -v[68:69], v[80:81], v[34:35]
	v_mov_b32_e32 v244, s9
	ds_read_b128 v[158:161], v115 offset:128
	ds_read_b128 v[78:81], v244 offset:112
	s_waitcnt lgkmcnt(3)
	v_fma_f64 v[34:35], -v[70:71], v[128:129], v[34:35]
	v_fma_f64 v[34:35], -v[72:73], v[126:127], v[34:35]
	;; [unrolled: 1-line block ×4, first 2 shown]
	ds_read_b128 v[90:93], v103 offset:7280
	ds_read_b128 v[124:127], v244 offset:128
	s_waitcnt lgkmcnt(2)
	v_fma_f64 v[34:35], -v[38:39], v[78:79], v[34:35]
	s_add_i32 s9, s7, s12
	v_fma_f64 v[34:35], -v[40:41], v[132:133], v[34:35]
	s_or_b32 s12, s6, 0x1c00
	ds_read2_b64 v[170:173], v104 offset0:15 offset1:16
	s_waitcnt lgkmcnt(2)
	v_mul_f64 v[78:79], v[90:91], v[34:35]
	v_add_u32_e32 v34, s12, v1
	ds_write_b64 v34, v[78:79]
	ds_read_b128 v[166:169], v103 offset:8320
	v_fma_f64 v[34:35], -v[82:83], v[164:165], v[36:37]
	ds_read2_b64 v[162:165], v108 offset0:15 offset1:16
	ds_read2_b64 v[174:177], v104 offset0:17 offset1:18
	s_waitcnt lgkmcnt(4)
	v_fma_f64 v[34:35], -v[84:85], v[170:171], v[34:35]
	v_fma_f64 v[34:35], -v[86:87], v[100:101], v[34:35]
	ds_read2_b64 v[178:181], v106 offset0:15 offset1:16
	s_waitcnt lgkmcnt(2)
	v_fma_f64 v[34:35], -v[62:63], v[162:163], v[34:35]
	v_fma_f64 v[34:35], -v[58:59], v[140:141], v[34:35]
	;; [unrolled: 1-line block ×4, first 2 shown]
	ds_read2_b64 v[138:141], v106 offset0:17 offset1:18
	s_waitcnt lgkmcnt(1)
	v_fma_f64 v[34:35], -v[68:69], v[178:179], v[34:35]
	v_fma_f64 v[34:35], -v[70:71], v[130:131], v[34:35]
	;; [unrolled: 1-line block ×3, first 2 shown]
	v_mov_b32_e32 v114, s9
	ds_read2_b64 v[98:101], v108 offset0:17 offset1:18
	v_fma_f64 v[34:35], -v[74:75], v[118:119], v[34:35]
	ds_read2_b64 v[116:119], v114 offset0:15 offset1:16
	v_fma_f64 v[34:35], -v[76:77], v[134:135], v[34:35]
	v_fma_f64 v[80:81], -v[38:39], v[80:81], v[34:35]
	s_add_i32 s9, s8, 0x1e78
	v_mov_b32_e32 v34, s9
	s_waitcnt lgkmcnt(0)
	v_fma_f64 v[80:81], -v[40:41], v[116:117], v[80:81]
	ds_read2_b64 v[128:131], v34 offset1:1
	ds_read_b128 v[34:37], v244 offset:240
	v_fma_f64 v[80:81], -v[78:79], v[92:93], v[80:81]
	ds_read_b128 v[90:93], v103 offset:128
	ds_read_b128 v[132:135], v103 offset:144
	s_add_i32 s9, s7, s12
	s_or_b32 s12, s6, 0x1e00
	s_waitcnt lgkmcnt(3)
	v_mul_f64 v[80:81], v[128:129], v[80:81]
	s_waitcnt lgkmcnt(1)
	v_fma_f64 v[30:31], -v[82:83], v[90:91], v[30:31]
	v_fma_f64 v[30:31], -v[84:85], v[172:173], v[30:31]
	;; [unrolled: 1-line block ×6, first 2 shown]
	ds_read_b128 v[120:123], v113 offset:128
	v_fma_f64 v[30:31], -v[66:67], v[154:155], v[30:31]
	v_fma_f64 v[30:31], -v[68:69], v[180:181], v[30:31]
	v_add_u32_e32 v94, s12, v1
	v_fma_f64 v[30:31], -v[70:71], v[158:159], v[30:31]
	v_mov_b32_e32 v117, s9
	v_fma_f64 v[32:33], -v[82:83], v[92:93], v[32:33]
	ds_write_b64 v94, v[80:81]
	v_fma_f64 v[30:31], -v[72:73], v[96:97], v[30:31]
	ds_read_b128 v[94:97], v113 offset:144
	ds_read_b128 v[146:149], v117 offset:128
	v_fma_f64 v[32:33], -v[84:85], v[174:175], v[32:33]
	v_fma_f64 v[32:33], -v[86:87], v[144:145], v[32:33]
	ds_read2_b64 v[142:145], v109 offset0:17 offset1:18
	s_waitcnt lgkmcnt(4)
	v_fma_f64 v[30:31], -v[74:75], v[120:121], v[30:31]
	v_fma_f64 v[30:31], -v[76:77], v[136:137], v[30:31]
	;; [unrolled: 1-line block ×4, first 2 shown]
	s_waitcnt lgkmcnt(1)
	v_fma_f64 v[30:31], -v[78:79], v[146:147], v[30:31]
	s_add_i32 s9, s7, s12
	v_fma_f64 v[30:31], -v[80:81], v[130:131], v[30:31]
	s_or_b32 s12, s6, 0x2000
	v_mul_f64 v[30:31], v[166:167], v[30:31]
	v_add_u32_e32 v90, s12, v1
	ds_write_b64 v90, v[30:31]
	ds_read2_b64 v[90:93], v107 offset0:17 offset1:18
	ds_read2_b64 v[128:131], v107 offset0:19 offset1:20
	v_fma_f64 v[32:33], -v[62:63], v[98:99], v[32:33]
	v_fma_f64 v[32:33], -v[58:59], v[152:153], v[32:33]
	ds_read_b128 v[118:121], v117 offset:144
	s_waitcnt lgkmcnt(2)
	v_fma_f64 v[32:33], -v[60:61], v[90:91], v[32:33]
	v_fma_f64 v[32:33], -v[66:67], v[156:157], v[32:33]
	;; [unrolled: 1-line block ×4, first 2 shown]
	ds_read2_b64 v[136:139], v111 offset0:17 offset1:18
	ds_read2_b64 v[150:153], v109 offset0:19 offset1:20
	v_fma_f64 v[32:33], -v[72:73], v[142:143], v[32:33]
	v_fma_f64 v[32:33], -v[74:75], v[122:123], v[32:33]
	ds_read2_b64 v[122:125], v114 offset0:17 offset1:18
	ds_read2_b64 v[154:157], v111 offset0:19 offset1:20
	s_waitcnt lgkmcnt(3)
	v_fma_f64 v[32:33], -v[76:77], v[136:137], v[32:33]
	v_fma_f64 v[32:33], -v[38:39], v[126:127], v[32:33]
	v_mov_b32_e32 v116, s9
	s_waitcnt lgkmcnt(1)
	v_fma_f64 v[32:33], -v[40:41], v[122:123], v[32:33]
	ds_read2_b64 v[158:161], v114 offset0:19 offset1:20
	v_fma_f64 v[32:33], -v[78:79], v[148:149], v[32:33]
	ds_read2_b64 v[146:149], v116 offset0:17 offset1:18
	s_add_i32 s9, s8, 0x2288
	v_mov_b32_e32 v90, s9
	ds_read2_b64 v[162:165], v90 offset1:1
	ds_read2_b64 v[170:173], v116 offset0:19 offset1:20
	s_add_i32 s9, s7, s12
	s_waitcnt lgkmcnt(2)
	v_fma_f64 v[32:33], -v[80:81], v[146:147], v[32:33]
	v_fma_f64 v[32:33], -v[30:31], v[168:169], v[32:33]
	s_or_b32 s12, s6, 0x2200
	ds_read_b128 v[166:169], v105 offset:144
	s_waitcnt lgkmcnt(2)
	v_mul_f64 v[32:33], v[162:163], v[32:33]
	v_add_u32_e32 v90, s12, v1
	ds_write_b64 v90, v[32:33]
	v_fma_f64 v[26:27], -v[82:83], v[132:133], v[26:27]
	v_fma_f64 v[26:27], -v[84:85], v[176:177], v[26:27]
	ds_read_b128 v[174:177], v110 offset:144
	ds_read_b128 v[178:181], v105 offset:160
	s_waitcnt lgkmcnt(3)
	v_fma_f64 v[26:27], -v[86:87], v[166:167], v[26:27]
	v_fma_f64 v[26:27], -v[62:63], v[100:101], v[26:27]
	ds_read_b128 v[98:101], v112 offset:144
	ds_read_b128 v[182:185], v110 offset:160
	s_waitcnt lgkmcnt(3)
	v_fma_f64 v[26:27], -v[58:59], v[174:175], v[26:27]
	v_fma_f64 v[26:27], -v[60:61], v[92:93], v[26:27]
	ds_read_b128 v[90:93], v115 offset:144
	ds_read_b128 v[186:189], v112 offset:160
	s_waitcnt lgkmcnt(3)
	v_fma_f64 v[26:27], -v[66:67], v[98:99], v[26:27]
	v_fma_f64 v[26:27], -v[68:69], v[140:141], v[26:27]
	ds_read_b128 v[140:143], v115 offset:160
	ds_read_b128 v[190:193], v244 offset:144
	s_waitcnt lgkmcnt(3)
	v_fma_f64 v[26:27], -v[70:71], v[90:91], v[26:27]
	v_fma_f64 v[26:27], -v[72:73], v[144:145], v[26:27]
	;; [unrolled: 1-line block ×4, first 2 shown]
	s_waitcnt lgkmcnt(0)
	v_fma_f64 v[26:27], -v[38:39], v[190:191], v[26:27]
	v_mov_b32_e32 v245, s9
	ds_read_b128 v[136:139], v244 offset:160
	v_fma_f64 v[26:27], -v[40:41], v[124:125], v[26:27]
	ds_read_b128 v[122:125], v245 offset:144
	v_fma_f64 v[26:27], -v[78:79], v[118:119], v[26:27]
	ds_read_b128 v[144:147], v103 offset:9360
	ds_read_b128 v[194:197], v245 offset:160
	v_fma_f64 v[26:27], -v[80:81], v[148:149], v[26:27]
	s_add_i32 s9, s7, s12
	s_waitcnt lgkmcnt(2)
	v_fma_f64 v[26:27], -v[30:31], v[122:123], v[26:27]
	v_fma_f64 v[26:27], -v[32:33], v[164:165], v[26:27]
	s_or_b32 s12, s6, 0x2400
	ds_read2_b64 v[198:201], v104 offset0:19 offset1:20
	s_waitcnt lgkmcnt(2)
	v_mul_f64 v[90:91], v[144:145], v[26:27]
	v_add_u32_e32 v26, s12, v1
	ds_write_b64 v26, v[90:91]
	ds_read_b128 v[162:165], v103 offset:10400
	v_fma_f64 v[26:27], -v[82:83], v[134:135], v[28:29]
	ds_read2_b64 v[132:135], v108 offset0:19 offset1:20
	ds_read2_b64 v[202:205], v104 offset0:21 offset1:22
	s_waitcnt lgkmcnt(4)
	v_fma_f64 v[26:27], -v[84:85], v[198:199], v[26:27]
	v_fma_f64 v[26:27], -v[86:87], v[168:169], v[26:27]
	ds_read2_b64 v[206:209], v106 offset0:19 offset1:20
	s_waitcnt lgkmcnt(2)
	v_fma_f64 v[26:27], -v[62:63], v[132:133], v[26:27]
	v_fma_f64 v[26:27], -v[58:59], v[176:177], v[26:27]
	;; [unrolled: 1-line block ×4, first 2 shown]
	ds_read2_b64 v[98:101], v106 offset0:21 offset1:22
	s_waitcnt lgkmcnt(1)
	v_fma_f64 v[26:27], -v[68:69], v[206:207], v[26:27]
	v_fma_f64 v[26:27], -v[70:71], v[92:93], v[26:27]
	v_fma_f64 v[26:27], -v[72:73], v[150:151], v[26:27]
	v_fma_f64 v[26:27], -v[74:75], v[96:97], v[26:27]
	v_fma_f64 v[26:27], -v[76:77], v[154:155], v[26:27]
	v_fma_f64 v[26:27], -v[38:39], v[192:193], v[26:27]
	v_fma_f64 v[26:27], -v[40:41], v[158:159], v[26:27]
	v_fma_f64 v[26:27], -v[78:79], v[120:121], v[26:27]
	v_fma_f64 v[26:27], -v[80:81], v[170:171], v[26:27]
	v_mov_b32_e32 v248, s9
	s_add_i32 s9, s8, 0x2698
	v_fma_f64 v[96:97], -v[30:31], v[124:125], v[26:27]
	v_mov_b32_e32 v26, s9
	ds_read2_b64 v[166:169], v108 offset0:21 offset1:22
	ds_read2_b64 v[92:95], v248 offset0:19 offset1:20
	ds_read2_b64 v[118:121], v26 offset1:1
	ds_read_b128 v[26:29], v245 offset:240
	ds_read_b128 v[122:125], v103 offset:160
	;; [unrolled: 1-line block ×4, first 2 shown]
	s_add_i32 s9, s7, s12
	v_mov_b32_e32 v249, s9
	s_waitcnt lgkmcnt(2)
	v_fma_f64 v[22:23], -v[82:83], v[122:123], v[22:23]
	v_fma_f64 v[22:23], -v[84:85], v[200:201], v[22:23]
	;; [unrolled: 1-line block ×6, first 2 shown]
	ds_read_b128 v[130:133], v113 offset:160
	v_fma_f64 v[22:23], -v[66:67], v[186:187], v[22:23]
	v_fma_f64 v[22:23], -v[68:69], v[208:209], v[22:23]
	;; [unrolled: 1-line block ×4, first 2 shown]
	s_waitcnt lgkmcnt(0)
	v_fma_f64 v[22:23], -v[74:75], v[130:131], v[22:23]
	v_fma_f64 v[22:23], -v[76:77], v[156:157], v[22:23]
	;; [unrolled: 1-line block ×4, first 2 shown]
	ds_read_b128 v[134:137], v117 offset:176
	ds_read_b128 v[152:155], v249 offset:160
	v_fma_f64 v[22:23], -v[78:79], v[148:149], v[22:23]
	v_fma_f64 v[22:23], -v[80:81], v[172:173], v[22:23]
	;; [unrolled: 1-line block ×6, first 2 shown]
	v_mul_f64 v[92:93], v[118:119], v[92:93]
	s_or_b32 s12, s6, 0x2600
	s_waitcnt lgkmcnt(0)
	v_fma_f64 v[22:23], -v[90:91], v[152:153], v[22:23]
	v_add_u32_e32 v96, s12, v1
	s_add_i32 s9, s7, s12
	v_fma_f64 v[22:23], -v[92:93], v[120:121], v[22:23]
	s_or_b32 s12, s6, 0x2800
	v_mul_f64 v[94:95], v[162:163], v[22:23]
	v_add_u32_e32 v22, s12, v1
	ds_write_b64 v22, v[94:95]
	v_fma_f64 v[22:23], -v[82:83], v[124:125], v[24:25]
	ds_write_b64 v96, v[92:93]
	v_fma_f64 v[96:97], -v[84:85], v[202:203], v[22:23]
	ds_read2_b64 v[22:25], v107 offset0:21 offset1:22
	ds_read2_b64 v[118:121], v107 offset0:23 offset1:24
	v_fma_f64 v[96:97], -v[86:87], v[180:181], v[96:97]
	v_fma_f64 v[96:97], -v[62:63], v[166:167], v[96:97]
	ds_read_b128 v[144:147], v113 offset:176
	ds_read2_b64 v[122:125], v109 offset0:21 offset1:22
	v_fma_f64 v[96:97], -v[58:59], v[184:185], v[96:97]
	s_waitcnt lgkmcnt(3)
	v_fma_f64 v[22:23], -v[60:61], v[22:23], v[96:97]
	v_fma_f64 v[22:23], -v[66:67], v[188:189], v[22:23]
	;; [unrolled: 1-line block ×3, first 2 shown]
	ds_read_b128 v[156:159], v249 offset:176
	v_fma_f64 v[22:23], -v[70:71], v[142:143], v[22:23]
	ds_read2_b64 v[96:99], v111 offset0:21 offset1:22
	ds_read2_b64 v[140:143], v109 offset0:23 offset1:24
	s_waitcnt lgkmcnt(3)
	v_fma_f64 v[22:23], -v[72:73], v[122:123], v[22:23]
	v_fma_f64 v[22:23], -v[74:75], v[132:133], v[22:23]
	ds_read2_b64 v[130:133], v114 offset0:21 offset1:22
	ds_read2_b64 v[160:163], v111 offset0:23 offset1:24
	s_waitcnt lgkmcnt(3)
	v_fma_f64 v[22:23], -v[76:77], v[96:97], v[22:23]
	;; [unrolled: 5-line block ×4, first 2 shown]
	v_fma_f64 v[22:23], -v[30:31], v[196:197], v[22:23]
	v_mov_b32_e32 v250, s9
	s_waitcnt lgkmcnt(1)
	v_fma_f64 v[22:23], -v[32:33], v[148:149], v[22:23]
	ds_read2_b64 v[182:185], v248 offset0:23 offset1:24
	v_fma_f64 v[22:23], -v[90:91], v[154:155], v[22:23]
	ds_read2_b64 v[152:155], v250 offset0:21 offset1:22
	s_addk_i32 s8, 0x2aa8
	v_mov_b32_e32 v96, s8
	ds_read2_b64 v[186:189], v96 offset1:1
	ds_read2_b64 v[190:193], v250 offset0:23 offset1:24
	s_or_b32 s9, s6, 0x2a00
	s_waitcnt lgkmcnt(2)
	v_fma_f64 v[22:23], -v[92:93], v[152:153], v[22:23]
	v_fma_f64 v[22:23], -v[94:95], v[164:165], v[22:23]
	ds_read_b128 v[164:167], v105 offset:176
	s_waitcnt lgkmcnt(2)
	v_mul_f64 v[96:97], v[186:187], v[22:23]
	v_add_u32_e32 v22, s9, v1
	ds_write_b64 v22, v[96:97]
	v_fma_f64 v[18:19], -v[82:83], v[126:127], v[18:19]
	ds_read_b128 v[194:197], v110 offset:176
	ds_read_b128 v[198:201], v105 offset:192
	v_fma_f64 v[18:19], -v[84:85], v[204:205], v[18:19]
	s_waitcnt lgkmcnt(3)
	v_fma_f64 v[18:19], -v[86:87], v[164:165], v[18:19]
	v_fma_f64 v[18:19], -v[62:63], v[168:169], v[18:19]
	ds_read_b128 v[168:171], v112 offset:176
	ds_read_b128 v[202:205], v110 offset:192
	s_waitcnt lgkmcnt(3)
	v_fma_f64 v[18:19], -v[58:59], v[194:195], v[18:19]
	v_fma_f64 v[18:19], -v[60:61], v[24:25], v[18:19]
	ds_read_b128 v[22:25], v115 offset:176
	ds_read_b128 v[206:209], v112 offset:192
	;; [unrolled: 5-line block ×3, first 2 shown]
	s_waitcnt lgkmcnt(3)
	v_fma_f64 v[18:19], -v[70:71], v[22:23], v[18:19]
	v_fma_f64 v[18:19], -v[72:73], v[124:125], v[18:19]
	;; [unrolled: 1-line block ×4, first 2 shown]
	ds_read_b128 v[122:125], v244 offset:192
	ds_read_b128 v[98:101], v245 offset:176
	s_waitcnt lgkmcnt(2)
	v_fma_f64 v[18:19], -v[38:39], v[214:215], v[18:19]
	v_fma_f64 v[18:19], -v[40:41], v[132:133], v[18:19]
	;; [unrolled: 1-line block ×3, first 2 shown]
	s_add_i32 s8, s7, s12
	v_fma_f64 v[18:19], -v[80:81], v[172:173], v[18:19]
	s_waitcnt lgkmcnt(0)
	v_fma_f64 v[18:19], -v[30:31], v[98:99], v[18:19]
	v_mov_b32_e32 v246, s8
	ds_read_b128 v[130:133], v245 offset:192
	v_fma_f64 v[18:19], -v[32:33], v[150:151], v[18:19]
	ds_read_b128 v[148:151], v246 offset:176
	v_fma_f64 v[18:19], -v[90:91], v[156:157], v[18:19]
	v_fma_f64 v[18:19], -v[92:93], v[154:155], v[18:19]
	ds_read_b128 v[152:155], v103 offset:11440
	ds_read_b128 v[218:221], v246 offset:192
	s_or_b32 s6, s6, 0x2c00
	s_waitcnt lgkmcnt(2)
	v_fma_f64 v[18:19], -v[94:95], v[148:149], v[18:19]
	v_fma_f64 v[18:19], -v[96:97], v[188:189], v[18:19]
	ds_read2_b64 v[186:189], v104 offset0:23 offset1:24
	s_waitcnt lgkmcnt(2)
	v_mul_f64 v[98:99], v[152:153], v[18:19]
	v_add_u32_e32 v18, s6, v1
	ds_write_b64 v18, v[98:99]
	v_fma_f64 v[18:19], -v[82:83], v[128:129], v[20:21]
	ds_read2_b64 v[20:23], v108 offset0:23 offset1:24
	ds_read2_b64 v[126:129], v104 offset0:25 offset1:26
	s_waitcnt lgkmcnt(3)
	v_fma_f64 v[18:19], -v[84:85], v[186:187], v[18:19]
	v_fma_f64 v[18:19], -v[86:87], v[166:167], v[18:19]
	ds_read2_b64 v[222:225], v106 offset0:23 offset1:24
	s_waitcnt lgkmcnt(2)
	v_fma_f64 v[18:19], -v[62:63], v[20:21], v[18:19]
	v_fma_f64 v[18:19], -v[58:59], v[196:197], v[18:19]
	;; [unrolled: 1-line block ×4, first 2 shown]
	ds_read2_b64 v[168:171], v106 offset0:25 offset1:26
	s_waitcnt lgkmcnt(1)
	v_fma_f64 v[18:19], -v[68:69], v[222:223], v[18:19]
	v_fma_f64 v[18:19], -v[70:71], v[24:25], v[18:19]
	;; [unrolled: 1-line block ×10, first 2 shown]
	s_add_i32 s8, s7, s9
	v_fma_f64 v[18:19], -v[32:33], v[182:183], v[18:19]
	v_mov_b32_e32 v251, s8
	v_fma_f64 v[18:19], -v[90:91], v[158:159], v[18:19]
	ds_read2_b64 v[134:137], v251 offset0:23 offset1:24
	v_fma_f64 v[18:19], -v[92:93], v[190:191], v[18:19]
	v_fma_f64 v[24:25], -v[94:95], v[150:151], v[18:19]
	ds_read_b128 v[148:151], v103 offset:192
	ds_read_b128 v[172:175], v117 offset:192
	s_waitcnt lgkmcnt(2)
	v_fma_f64 v[24:25], -v[96:97], v[134:135], v[24:25]
	v_fma_f64 v[24:25], -v[98:99], v[154:155], v[24:25]
	ds_read_b128 v[152:155], v103 offset:208
	s_waitcnt lgkmcnt(2)
	v_fma_f64 v[14:15], -v[82:83], v[148:149], v[14:15]
	v_fma_f64 v[14:15], -v[84:85], v[188:189], v[14:15]
	;; [unrolled: 1-line block ×6, first 2 shown]
	ds_read_b128 v[118:121], v113 offset:192
	ds_read_b128 v[156:159], v113 offset:208
	v_fma_f64 v[14:15], -v[66:67], v[206:207], v[14:15]
	v_fma_f64 v[14:15], -v[68:69], v[224:225], v[14:15]
	;; [unrolled: 1-line block ×4, first 2 shown]
	s_waitcnt lgkmcnt(1)
	v_fma_f64 v[14:15], -v[74:75], v[118:119], v[14:15]
	v_fma_f64 v[14:15], -v[76:77], v[162:163], v[14:15]
	v_fma_f64 v[14:15], -v[38:39], v[122:123], v[14:15]
	v_fma_f64 v[14:15], -v[40:41], v[176:177], v[14:15]
	ds_read_b128 v[176:179], v249 offset:192
	s_or_b32 s8, s5, 23
	ds_read_b128 v[160:163], v117 offset:208
	v_fma_f64 v[14:15], -v[78:79], v[172:173], v[14:15]
	s_mul_i32 s9, s8, 0x208
	s_add_i32 s6, s7, s6
	v_fma_f64 v[14:15], -v[80:81], v[180:181], v[14:15]
	v_mov_b32_e32 v100, s9
	v_mov_b32_e32 v247, s6
	v_fma_f64 v[14:15], -v[30:31], v[130:131], v[14:15]
	ds_read_b128 v[18:21], v246 offset:240
	ds_read_b128 v[144:147], v247 offset:192
	ds_read2_b64 v[138:141], v100 offset1:1
	v_fma_f64 v[14:15], -v[32:33], v[184:185], v[14:15]
	s_waitcnt lgkmcnt(4)
	v_fma_f64 v[14:15], -v[90:91], v[176:177], v[14:15]
	s_lshl_b32 s6, s8, 9
	v_fma_f64 v[14:15], -v[92:93], v[192:193], v[14:15]
	s_or_b32 s8, s5, 24
	v_fma_f64 v[14:15], -v[94:95], v[218:219], v[14:15]
	s_mul_i32 s9, s8, 0x208
	ds_read2_b64 v[164:167], v108 offset0:25 offset1:26
	v_fma_f64 v[14:15], -v[96:97], v[136:137], v[14:15]
	v_mov_b32_e32 v22, s9
	ds_read_b128 v[134:137], v22
	s_waitcnt lgkmcnt(2)
	v_mul_f64 v[100:101], v[138:139], v[24:25]
	v_fma_f64 v[14:15], -v[98:99], v[144:145], v[14:15]
	v_fma_f64 v[14:15], -v[100:101], v[140:141], v[14:15]
	;; [unrolled: 1-line block ×3, first 2 shown]
	ds_read2_b64 v[138:141], v107 offset0:25 offset1:26
	ds_read2_b64 v[142:145], v107 offset0:27 offset1:28
	v_fma_f64 v[16:17], -v[84:85], v[126:127], v[16:17]
	v_fma_f64 v[16:17], -v[86:87], v[200:201], v[16:17]
	ds_read2_b64 v[148:151], v109 offset0:25 offset1:26
	s_waitcnt lgkmcnt(4)
	v_fma_f64 v[16:17], -v[62:63], v[164:165], v[16:17]
	v_fma_f64 v[16:17], -v[58:59], v[204:205], v[16:17]
	s_lshl_b32 s8, s8, 9
	s_waitcnt lgkmcnt(2)
	v_fma_f64 v[16:17], -v[60:61], v[138:139], v[16:17]
	v_add_u32_e32 v24, s6, v1
	v_mul_f64 v[14:15], v[134:135], v[14:15]
	v_add_u32_e32 v118, s8, v1
	v_fma_f64 v[16:17], -v[66:67], v[208:209], v[16:17]
	ds_write_b64 v24, v[100:101]
	ds_write_b64 v118, v[14:15]
	v_fma_f64 v[16:17], -v[68:69], v[168:169], v[16:17]
	ds_read_b128 v[180:183], v249 offset:208
	ds_read_b128 v[22:25], v247 offset:240
	v_fma_f64 v[16:17], -v[70:71], v[212:213], v[16:17]
	ds_read2_b64 v[184:187], v111 offset0:25 offset1:26
	ds_read2_b64 v[188:191], v109 offset0:27 offset1:28
	s_waitcnt lgkmcnt(6)
	v_fma_f64 v[16:17], -v[72:73], v[148:149], v[16:17]
	v_fma_f64 v[16:17], -v[74:75], v[120:121], v[16:17]
	ds_read2_b64 v[118:121], v114 offset0:25 offset1:26
	ds_read2_b64 v[192:195], v111 offset0:27 offset1:28
	s_waitcnt lgkmcnt(3)
	v_fma_f64 v[16:17], -v[76:77], v[184:185], v[16:17]
	;; [unrolled: 5-line block ×5, first 2 shown]
	s_add_i32 s6, s7, s6
	v_fma_f64 v[16:17], -v[90:91], v[178:179], v[16:17]
	ds_read2_b64 v[176:179], v250 offset0:27 offset1:28
	ds_read2_b64 v[208:211], v251 offset0:25 offset1:26
	v_mov_b32_e32 v252, s6
	s_or_b32 s6, s5, 25
	s_mul_i32 s9, s6, 0x208
	s_waitcnt lgkmcnt(3)
	v_fma_f64 v[16:17], -v[92:93], v[130:131], v[16:17]
	ds_read2_b64 v[212:215], v252 offset0:25 offset1:26
	ds_read2_b64 v[216:219], v251 offset0:27 offset1:28
	v_mov_b32_e32 v118, s9
	v_fma_f64 v[16:17], -v[94:95], v[220:221], v[16:17]
	ds_read2_b64 v[220:223], v118 offset1:1
	ds_read_b128 v[224:227], v105 offset:208
	s_waitcnt lgkmcnt(4)
	v_fma_f64 v[16:17], -v[96:97], v[208:209], v[16:17]
	v_fma_f64 v[16:17], -v[98:99], v[146:147], v[16:17]
	s_waitcnt lgkmcnt(3)
	v_fma_f64 v[16:17], -v[100:101], v[212:213], v[16:17]
	v_fma_f64 v[16:17], -v[14:15], v[136:137], v[16:17]
	s_lshl_b32 s6, s6, 9
	s_add_i32 s8, s7, s8
	s_waitcnt lgkmcnt(1)
	v_mul_f64 v[16:17], v[220:221], v[16:17]
	v_add_u32_e32 v118, s6, v1
	v_mov_b32_e32 v253, s8
	ds_write_b64 v118, v[16:17]
	v_fma_f64 v[10:11], -v[82:83], v[152:153], v[10:11]
	ds_read2_b64 v[146:149], v252 offset0:27 offset1:28
	ds_read_b128 v[134:137], v253 offset:208
	v_fma_f64 v[10:11], -v[84:85], v[128:129], v[10:11]
	ds_read_b128 v[126:129], v110 offset:208
	ds_read_b128 v[228:231], v105 offset:224
	s_waitcnt lgkmcnt(5)
	v_fma_f64 v[10:11], -v[86:87], v[224:225], v[10:11]
	v_fma_f64 v[10:11], -v[62:63], v[166:167], v[10:11]
	ds_read_b128 v[164:167], v112 offset:208
	ds_read_b128 v[232:235], v110 offset:224
	s_waitcnt lgkmcnt(3)
	v_fma_f64 v[10:11], -v[58:59], v[126:127], v[10:11]
	;; [unrolled: 5-line block ×4, first 2 shown]
	v_fma_f64 v[10:11], -v[72:73], v[150:151], v[10:11]
	v_fma_f64 v[10:11], -v[74:75], v[156:157], v[10:11]
	v_fma_f64 v[10:11], -v[76:77], v[186:187], v[10:11]
	ds_read_b128 v[150:153], v244 offset:224
	ds_read_b128 v[184:187], v245 offset:208
	s_waitcnt lgkmcnt(2)
	v_fma_f64 v[10:11], -v[38:39], v[240:241], v[10:11]
	v_fma_f64 v[10:11], -v[40:41], v[120:121], v[10:11]
	v_fma_f64 v[10:11], -v[78:79], v[160:161], v[10:11]
	v_fma_f64 v[10:11], -v[80:81], v[124:125], v[10:11]
	ds_read_b128 v[118:121], v245 offset:224
	ds_read_b128 v[122:125], v246 offset:208
	s_waitcnt lgkmcnt(2)
	v_fma_f64 v[10:11], -v[30:31], v[184:185], v[10:11]
	;; [unrolled: 7-line block ×3, first 2 shown]
	v_fma_f64 v[10:11], -v[96:97], v[210:211], v[10:11]
	s_or_b32 s8, s5, 26
	s_waitcnt lgkmcnt(1)
	v_fma_f64 v[10:11], -v[98:99], v[130:131], v[10:11]
	v_fma_f64 v[10:11], -v[100:101], v[214:215], v[10:11]
	;; [unrolled: 1-line block ×3, first 2 shown]
	s_mul_i32 s9, s8, 0x208
	ds_read_b128 v[208:211], v247 offset:224
	v_fma_f64 v[122:123], -v[16:17], v[222:223], v[10:11]
	v_mov_b32_e32 v10, s9
	ds_read2_b64 v[212:215], v104 offset0:27 offset1:28
	ds_read_b128 v[220:223], v10
	v_fma_f64 v[126:127], -v[82:83], v[154:155], v[12:13]
	ds_read2_b64 v[10:13], v108 offset0:27 offset1:28
	ds_read2_b64 v[154:157], v104 offset0:29 offset1:30
	;; [unrolled: 1-line block ×3, first 2 shown]
	s_waitcnt lgkmcnt(4)
	v_fma_f64 v[104:105], -v[84:85], v[212:213], v[126:127]
	v_fma_f64 v[104:105], -v[86:87], v[226:227], v[104:105]
	ds_read2_b64 v[224:227], v108 offset0:29 offset1:30
	s_waitcnt lgkmcnt(3)
	v_fma_f64 v[10:11], -v[62:63], v[10:11], v[104:105]
	v_fma_f64 v[10:11], -v[58:59], v[128:129], v[10:11]
	;; [unrolled: 1-line block ×4, first 2 shown]
	s_waitcnt lgkmcnt(1)
	v_fma_f64 v[10:11], -v[68:69], v[244:245], v[10:11]
	v_fma_f64 v[10:11], -v[70:71], v[140:141], v[10:11]
	;; [unrolled: 1-line block ×17, first 2 shown]
	ds_read2_b64 v[126:129], v106 offset0:29 offset1:30
	v_fma_f64 v[10:11], -v[14:15], v[136:137], v[10:11]
	ds_read_b128 v[134:137], v103 offset:224
	s_add_i32 s6, s7, s6
	v_mov_b32_e32 v212, s6
	s_lshl_b32 s6, s8, 9
	s_or_b32 s8, s5, 27
	ds_read2_b64 v[138:141], v212 offset0:27 offset1:28
	ds_read_b128 v[180:183], v249 offset:224
	v_mul_f64 v[104:105], v[220:221], v[122:123]
	v_add_u32_e32 v108, s6, v1
	s_mul_i32 s9, s8, 0x208
	ds_write_b64 v108, v[104:105]
	v_mov_b32_e32 v108, s9
	s_waitcnt lgkmcnt(3)
	v_fma_f64 v[6:7], -v[82:83], v[134:135], v[6:7]
	ds_read2_b64 v[122:125], v108 offset1:1
	v_fma_f64 v[6:7], -v[84:85], v[214:215], v[6:7]
	v_fma_f64 v[6:7], -v[86:87], v[228:229], v[6:7]
	;; [unrolled: 1-line block ×3, first 2 shown]
	s_waitcnt lgkmcnt(3)
	v_fma_f64 v[10:11], -v[16:17], v[138:139], v[10:11]
	s_add_i32 s6, s7, s6
	v_fma_f64 v[6:7], -v[58:59], v[232:233], v[6:7]
	v_fma_f64 v[10:11], -v[104:105], v[222:223], v[10:11]
	;; [unrolled: 1-line block ×3, first 2 shown]
	ds_read_b128 v[142:145], v113 offset:240
	v_mov_b32_e32 v108, s6
	s_lshl_b32 s6, s8, 9
	s_waitcnt lgkmcnt(1)
	v_mul_f64 v[188:189], v[122:123], v[10:11]
	v_add_u32_e32 v10, s6, v1
	ds_read_b128 v[130:133], v108 offset:224
	ds_write_b64 v10, v[188:189]
	ds_read_b128 v[10:13], v113 offset:224
	v_fma_f64 v[6:7], -v[66:67], v[236:237], v[6:7]
	v_fma_f64 v[6:7], -v[68:69], v[246:247], v[6:7]
	;; [unrolled: 1-line block ×4, first 2 shown]
	ds_read_b128 v[162:165], v117 offset:224
	ds_read_b128 v[166:169], v117 offset:240
	s_waitcnt lgkmcnt(2)
	v_fma_f64 v[6:7], -v[74:75], v[10:11], v[6:7]
	v_fma_f64 v[6:7], -v[76:77], v[194:195], v[6:7]
	;; [unrolled: 1-line block ×4, first 2 shown]
	s_waitcnt lgkmcnt(1)
	v_fma_f64 v[6:7], -v[78:79], v[162:163], v[6:7]
	v_fma_f64 v[6:7], -v[80:81], v[202:203], v[6:7]
	;; [unrolled: 1-line block ×5, first 2 shown]
	ds_read_b128 v[184:187], v249 offset:240
	v_fma_f64 v[6:7], -v[92:93], v[178:179], v[6:7]
	ds_read_b128 v[176:179], v253 offset:224
	v_fma_f64 v[6:7], -v[94:95], v[172:173], v[6:7]
	v_fma_f64 v[6:7], -v[96:97], v[218:219], v[6:7]
	;; [unrolled: 1-line block ×3, first 2 shown]
	s_or_b32 s8, s5, 28
	v_fma_f64 v[6:7], -v[100:101], v[148:149], v[6:7]
	s_mul_i32 s9, s8, 0x208
	s_waitcnt lgkmcnt(0)
	v_fma_f64 v[6:7], -v[14:15], v[176:177], v[6:7]
	v_mov_b32_e32 v10, s9
	ds_read_b128 v[158:161], v103 offset:240
	v_fma_f64 v[6:7], -v[16:17], v[140:141], v[6:7]
	ds_read_b128 v[138:141], v10
	v_fma_f64 v[6:7], -v[104:105], v[130:131], v[6:7]
	v_fma_f64 v[6:7], -v[188:189], v[124:125], v[6:7]
	s_lshl_b32 s8, s8, 9
	ds_read_b128 v[122:125], v108 offset:240
	s_waitcnt lgkmcnt(1)
	v_mul_f64 v[190:191], v[138:139], v[6:7]
	v_add_u32_e32 v6, s8, v1
	ds_write_b64 v6, v[190:191]
	v_fma_f64 v[6:7], -v[82:83], v[136:137], v[8:9]
	v_fma_f64 v[10:11], -v[84:85], v[154:155], v[6:7]
	ds_read2_b64 v[6:9], v107 offset0:29 offset1:30
	ds_read_b64 v[154:155], v107 offset:248
	v_fma_f64 v[10:11], -v[86:87], v[230:231], v[10:11]
	v_fma_f64 v[10:11], -v[62:63], v[224:225], v[10:11]
	;; [unrolled: 1-line block ×3, first 2 shown]
	ds_read2_b64 v[134:137], v109 offset0:29 offset1:30
	s_waitcnt lgkmcnt(2)
	v_fma_f64 v[6:7], -v[60:61], v[6:7], v[10:11]
	v_fma_f64 v[6:7], -v[66:67], v[238:239], v[6:7]
	;; [unrolled: 1-line block ×3, first 2 shown]
	ds_read_b128 v[146:149], v253 offset:240
	v_fma_f64 v[6:7], -v[70:71], v[170:171], v[6:7]
	ds_read2_b64 v[170:173], v111 offset0:29 offset1:30
	ds_read_b64 v[126:127], v109 offset:248
	s_waitcnt lgkmcnt(3)
	v_fma_f64 v[6:7], -v[72:73], v[134:135], v[6:7]
	v_fma_f64 v[2:3], -v[82:83], v[158:159], v[2:3]
	v_fma_f64 v[6:7], -v[74:75], v[12:13], v[6:7]
	ds_read2_b64 v[10:13], v114 offset0:29 offset1:30
	ds_read_b64 v[134:135], v111 offset:248
	v_fma_f64 v[2:3], -v[84:85], v[156:157], v[2:3]
	v_fma_f64 v[2:3], -v[86:87], v[54:55], v[2:3]
	s_waitcnt lgkmcnt(3)
	v_fma_f64 v[6:7], -v[76:77], v[170:171], v[6:7]
	ds_read2_b64 v[108:111], v116 offset0:29 offset1:30
	ds_read_b64 v[170:171], v114 offset:248
	v_fma_f64 v[2:3], -v[62:63], v[226:227], v[2:3]
	v_fma_f64 v[6:7], -v[38:39], v[152:153], v[6:7]
	v_fma_f64 v[2:3], -v[58:59], v[50:51], v[2:3]
	s_waitcnt lgkmcnt(3)
	v_fma_f64 v[6:7], -v[40:41], v[10:11], v[6:7]
	ds_read2_b64 v[112:115], v248 offset0:29 offset1:30
	ds_read_b64 v[10:11], v116 offset:248
	v_fma_f64 v[2:3], -v[60:61], v[8:9], v[2:3]
	;; [unrolled: 7-line block ×5, first 2 shown]
	v_fma_f64 v[6:7], -v[94:95], v[174:175], v[6:7]
	ds_read_b64 v[120:121], v252 offset:248
	ds_read2_b64 v[174:177], v212 offset0:29 offset1:30
	v_fma_f64 v[2:3], -v[38:39], v[34:35], v[2:3]
	s_waitcnt lgkmcnt(5)
	v_fma_f64 v[6:7], -v[96:97], v[150:151], v[6:7]
	v_fma_f64 v[2:3], -v[40:41], v[12:13], v[2:3]
	s_add_i32 s6, s7, s6
	v_fma_f64 v[6:7], -v[98:99], v[210:211], v[6:7]
	v_fma_f64 v[2:3], -v[78:79], v[166:167], v[2:3]
	s_waitcnt lgkmcnt(3)
	v_fma_f64 v[6:7], -v[100:101], v[162:163], v[6:7]
	v_mov_b32_e32 v103, s6
	s_or_b32 s6, s5, 29
	v_fma_f64 v[2:3], -v[80:81], v[110:111], v[2:3]
	v_fma_f64 v[6:7], -v[14:15], v[178:179], v[6:7]
	s_mul_i32 s9, s6, 0x208
	v_fma_f64 v[2:3], -v[30:31], v[26:27], v[2:3]
	ds_read2_b64 v[178:181], v103 offset0:29 offset1:30
	ds_read_b64 v[150:151], v212 offset:248
	s_waitcnt lgkmcnt(2)
	v_fma_f64 v[6:7], -v[16:17], v[174:175], v[6:7]
	ds_read_b64 v[162:163], v103 offset:248
	v_mov_b32_e32 v103, s9
	v_fma_f64 v[2:3], -v[32:33], v[114:115], v[2:3]
	v_fma_f64 v[6:7], -v[104:105], v[132:133], v[6:7]
	ds_read2_b64 v[130:133], v103 offset1:1
	v_fma_f64 v[2:3], -v[90:91], v[184:185], v[2:3]
	v_fma_f64 v[2:3], -v[92:93], v[118:119], v[2:3]
	;; [unrolled: 1-line block ×3, first 2 shown]
	s_waitcnt lgkmcnt(3)
	v_fma_f64 v[6:7], -v[188:189], v[178:179], v[6:7]
	s_add_i32 s8, s7, s8
	v_fma_f64 v[2:3], -v[96:97], v[152:153], v[2:3]
	v_fma_f64 v[6:7], -v[190:191], v[140:141], v[6:7]
	v_mov_b32_e32 v103, s8
	s_lshl_b32 s6, s6, 9
	v_fma_f64 v[2:3], -v[98:99], v[22:23], v[2:3]
	s_or_b32 s8, s5, 30
	ds_read_b128 v[138:141], v103 offset:240
	s_waitcnt lgkmcnt(1)
	v_mul_f64 v[130:131], v[130:131], v[6:7]
	v_add_u32_e32 v6, s6, v1
	v_fma_f64 v[2:3], -v[100:101], v[164:165], v[2:3]
	s_mul_i32 s9, s8, 0x208
	ds_write_b64 v6, v[130:131]
	v_fma_f64 v[2:3], -v[14:15], v[146:147], v[2:3]
	v_mov_b32_e32 v6, s9
	v_fma_f64 v[2:3], -v[16:17], v[176:177], v[2:3]
	ds_read_b128 v[6:9], v6
	v_fma_f64 v[2:3], -v[104:105], v[122:123], v[2:3]
	v_fma_f64 v[2:3], -v[188:189], v[180:181], v[2:3]
	s_waitcnt lgkmcnt(2)
	v_fma_f64 v[2:3], -v[190:191], v[138:139], v[2:3]
	s_add_i32 s6, s7, s6
	v_fma_f64 v[2:3], -v[130:131], v[132:133], v[2:3]
	v_mov_b32_e32 v12, s6
	v_fma_f64 v[4:5], -v[82:83], v[160:161], v[4:5]
	ds_read_b64 v[12:13], v12 offset:248
	s_waitcnt lgkmcnt(1)
	v_mul_f64 v[2:3], v[6:7], v[2:3]
	v_lshl_add_u32 v6, s8, 9, v1
	v_fma_f64 v[4:5], -v[84:85], v[88:89], v[4:5]
	ds_write_b64 v6, v[2:3]
	v_fma_f64 v[4:5], -v[86:87], v[56:57], v[4:5]
	ds_read_b64 v[6:7], v106 offset:248
	v_fma_f64 v[4:5], -v[62:63], v[64:65], v[4:5]
	v_fma_f64 v[4:5], -v[58:59], v[52:53], v[4:5]
	;; [unrolled: 1-line block ×4, first 2 shown]
	s_waitcnt lgkmcnt(0)
	v_fma_f64 v[4:5], -v[68:69], v[6:7], v[4:5]
	v_fma_f64 v[4:5], -v[70:71], v[44:45], v[4:5]
	;; [unrolled: 1-line block ×17, first 2 shown]
	s_or_b32 s6, s5, 31
	v_fma_f64 v[4:5], -v[14:15], v[148:149], v[4:5]
	s_mul_i32 s7, s6, 0x208
	v_fma_f64 v[4:5], -v[16:17], v[150:151], v[4:5]
	v_mov_b32_e32 v6, s7
	v_fma_f64 v[4:5], -v[104:105], v[124:125], v[4:5]
	ds_read_b64 v[6:7], v6
	v_fma_f64 v[4:5], -v[188:189], v[162:163], v[4:5]
	v_fma_f64 v[4:5], -v[190:191], v[140:141], v[4:5]
	;; [unrolled: 1-line block ×4, first 2 shown]
	v_lshl_add_u32 v4, s6, 9, v1
	s_add_i32 s6, s5, 32
	s_add_i32 s5, s5, 63
	s_addk_i32 s4, 0x100
	s_waitcnt lgkmcnt(0)
	v_mul_f64 v[2:3], v[6:7], v[2:3]
	s_cmp_lt_i32 s5, s22
	ds_write_b64 v4, v[2:3]
	s_cbranch_scc0 .LBB109_50
; %bb.49:                               ;   in Loop: Header=BB109_46 Depth=1
	s_mov_b32 s5, s6
	s_branch .LBB109_46
.LBB109_50:
	s_cmp_lt_i32 s6, s22
	s_cbranch_scc0 .LBB109_63
; %bb.51:
	s_add_i32 s4, s6, 3
	s_cmp_ge_i32 s4, s22
	s_cbranch_scc1 .LBB109_57
; %bb.52:
	v_mov_b32_e32 v2, 0x8000
	s_lshl_b32 s4, s6, 3
	v_lshl_or_b32 v10, v0, 3, v2
.LBB109_53:                             ; =>This Loop Header: Depth=1
                                        ;     Child Loop BB109_54 Depth 2
	s_lshl_b32 s5, s6, 9
	v_add_u32_e32 v11, s5, v1
	ds_read2st64_b64 v[6:9], v11 offset1:1
	ds_read2st64_b64 v[2:5], v11 offset0:2 offset1:3
	s_cmp_eq_u32 s6, 0
	v_mov_b32_e32 v12, v10
	s_mov_b32 s7, s4
	s_mov_b32 s8, s6
	s_cbranch_scc1 .LBB109_55
.LBB109_54:                             ;   Parent Loop BB109_53 Depth=1
                                        ; =>  This Inner Loop Header: Depth=2
	v_mov_b32_e32 v13, s7
	ds_read_b64 v[22:23], v12
	ds_read2_b64 v[14:17], v13 offset1:1
	ds_read2_b64 v[18:21], v13 offset0:2 offset1:3
	s_add_i32 s8, s8, -1
	s_addk_i32 s7, 0x200
	v_add_u32_e32 v12, 0x200, v12
	s_cmp_lg_u32 s8, 0
	s_waitcnt lgkmcnt(1)
	v_fma_f64 v[6:7], -v[22:23], v[14:15], v[6:7]
	v_fma_f64 v[8:9], -v[22:23], v[16:17], v[8:9]
	s_waitcnt lgkmcnt(0)
	v_fma_f64 v[2:3], -v[22:23], v[18:19], v[2:3]
	v_fma_f64 v[4:5], -v[22:23], v[20:21], v[4:5]
	s_cbranch_scc1 .LBB109_54
.LBB109_55:                             ;   in Loop: Header=BB109_53 Depth=1
	s_lshl_b32 s7, s6, 3
	s_add_i32 s8, s7, s5
	v_mov_b32_e32 v28, s8
	ds_read2_b64 v[12:15], v28 offset1:1
	ds_read2_b64 v[16:19], v28 offset0:65 offset1:66
	ds_read2_b64 v[20:23], v28 offset0:2 offset1:3
	;; [unrolled: 1-line block ×3, first 2 shown]
	s_addk_i32 s5, 0x200
	s_add_i32 s4, s4, 32
	s_waitcnt lgkmcnt(3)
	v_mul_f64 v[6:7], v[12:13], v[6:7]
	v_fma_f64 v[8:9], -v[6:7], v[14:15], v[8:9]
	s_waitcnt lgkmcnt(2)
	v_mul_f64 v[8:9], v[16:17], v[8:9]
	v_add_u32_e32 v12, s5, v1
	s_add_i32 s5, s7, s5
	ds_write_b64 v12, v[8:9]
	v_mov_b32_e32 v12, s5
	ds_read_b64 v[12:13], v12 offset:24
	ds_read_b64 v[14:15], v28 offset:1560
	s_waitcnt lgkmcnt(4)
	v_fma_f64 v[2:3], -v[6:7], v[20:21], v[2:3]
	v_fma_f64 v[2:3], -v[8:9], v[18:19], v[2:3]
	;; [unrolled: 1-line block ×3, first 2 shown]
	s_waitcnt lgkmcnt(3)
	v_mul_f64 v[2:3], v[24:25], v[2:3]
	s_waitcnt lgkmcnt(1)
	v_fma_f64 v[4:5], -v[8:9], v[12:13], v[4:5]
	ds_write2st64_b64 v11, v[6:7], v[2:3] offset1:2
	v_fma_f64 v[2:3], -v[2:3], v[26:27], v[4:5]
	s_add_i32 s5, s6, 4
	s_add_i32 s6, s6, 7
	s_waitcnt lgkmcnt(1)
	v_mul_f64 v[2:3], v[14:15], v[2:3]
	s_cmp_lt_i32 s6, s22
	ds_write_b64 v11, v[2:3] offset:1536
	s_cbranch_scc0 .LBB109_58
; %bb.56:                               ;   in Loop: Header=BB109_53 Depth=1
	s_mov_b32 s6, s5
	s_branch .LBB109_53
.LBB109_57:
	s_mov_b32 s5, s6
.LBB109_58:
	s_cmp_ge_i32 s5, s22
	s_cbranch_scc1 .LBB109_63
; %bb.59:
	v_mov_b32_e32 v2, 0x8000
	s_lshl_b32 s4, s5, 3
	v_lshl_or_b32 v4, v0, 3, v2
	s_branch .LBB109_61
.LBB109_60:                             ;   in Loop: Header=BB109_61 Depth=1
	s_lshl_b32 s7, s5, 3
	s_add_i32 s6, s7, s6
	v_mov_b32_e32 v6, s6
	ds_read_b64 v[6:7], v6
	s_add_i32 s5, s5, 1
	s_add_i32 s4, s4, 8
	s_cmp_ge_i32 s5, s22
	s_waitcnt lgkmcnt(0)
	v_mul_f64 v[2:3], v[6:7], v[2:3]
	ds_write_b64 v5, v[2:3]
	s_cbranch_scc1 .LBB109_63
.LBB109_61:                             ; =>This Loop Header: Depth=1
                                        ;     Child Loop BB109_62 Depth 2
	s_lshl_b32 s6, s5, 9
	v_add_u32_e32 v5, s6, v1
	ds_read_b64 v[2:3], v5
	s_cmp_eq_u32 s5, 0
	v_mov_b32_e32 v6, v4
	s_mov_b32 s7, s4
	s_mov_b32 s8, s5
	s_cbranch_scc1 .LBB109_60
.LBB109_62:                             ;   Parent Loop BB109_61 Depth=1
                                        ; =>  This Inner Loop Header: Depth=2
	v_mov_b32_e32 v7, s7
	ds_read_b64 v[8:9], v6
	ds_read_b64 v[10:11], v7
	s_add_i32 s8, s8, -1
	s_addk_i32 s7, 0x200
	v_add_u32_e32 v6, 0x200, v6
	s_cmp_lg_u32 s8, 0
	s_waitcnt lgkmcnt(0)
	v_fma_f64 v[2:3], -v[8:9], v[10:11], v[2:3]
	s_cbranch_scc1 .LBB109_62
	s_branch .LBB109_60
.LBB109_63:
	s_waitcnt lgkmcnt(0)
	; wave barrier
	s_and_saveexec_b64 s[4:5], s[0:1]
	s_cbranch_execz .LBB109_67
; %bb.64:
	s_andn2_b64 vcc, exec, s[10:11]
	s_cbranch_vccnz .LBB109_67
; %bb.65:
	v_mad_i64_i32 v[2:3], s[0:1], s16, v0, 0
	v_mov_b32_e32 v1, 0x8000
	v_lshl_add_u64 v[2:3], v[2:3], 3, s[2:3]
	v_lshl_or_b32 v0, v0, 3, v1
.LBB109_66:                             ; =>This Inner Loop Header: Depth=1
	ds_read_b64 v[4:5], v0
	s_add_i32 s22, s22, -1
	v_add_u32_e32 v0, 0x200, v0
	s_cmp_lg_u32 s22, 0
	s_waitcnt lgkmcnt(0)
	flat_store_dwordx2 v[2:3], v[4:5]
	v_lshl_add_u64 v[2:3], v[2:3], 0, 8
	s_cbranch_scc1 .LBB109_66
.LBB109_67:
	s_endpgm
	.section	.rodata,"a",@progbits
	.p2align	6, 0x0
	.amdhsa_kernel _ZL38rocblas_trsm_small_left_device_sharedBILi64ELi32ELb1EddPKPKdPKPdEv13rocblas_fill_18rocblas_operation_17rocblas_diagonal_iiT3_T4_lilT5_lili
		.amdhsa_group_segment_fixed_size 65536
		.amdhsa_private_segment_fixed_size 0
		.amdhsa_kernarg_size 360
		.amdhsa_user_sgpr_count 2
		.amdhsa_user_sgpr_dispatch_ptr 0
		.amdhsa_user_sgpr_queue_ptr 0
		.amdhsa_user_sgpr_kernarg_segment_ptr 1
		.amdhsa_user_sgpr_dispatch_id 0
		.amdhsa_user_sgpr_kernarg_preload_length 0
		.amdhsa_user_sgpr_kernarg_preload_offset 0
		.amdhsa_user_sgpr_private_segment_size 0
		.amdhsa_uses_dynamic_stack 0
		.amdhsa_enable_private_segment 0
		.amdhsa_system_sgpr_workgroup_id_x 1
		.amdhsa_system_sgpr_workgroup_id_y 0
		.amdhsa_system_sgpr_workgroup_id_z 1
		.amdhsa_system_sgpr_workgroup_info 0
		.amdhsa_system_vgpr_workitem_id 0
		.amdhsa_next_free_vgpr 257
		.amdhsa_next_free_sgpr 96
		.amdhsa_accum_offset 256
		.amdhsa_reserve_vcc 1
		.amdhsa_float_round_mode_32 0
		.amdhsa_float_round_mode_16_64 0
		.amdhsa_float_denorm_mode_32 3
		.amdhsa_float_denorm_mode_16_64 3
		.amdhsa_dx10_clamp 1
		.amdhsa_ieee_mode 1
		.amdhsa_fp16_overflow 0
		.amdhsa_tg_split 0
		.amdhsa_exception_fp_ieee_invalid_op 0
		.amdhsa_exception_fp_denorm_src 0
		.amdhsa_exception_fp_ieee_div_zero 0
		.amdhsa_exception_fp_ieee_overflow 0
		.amdhsa_exception_fp_ieee_underflow 0
		.amdhsa_exception_fp_ieee_inexact 0
		.amdhsa_exception_int_div_zero 0
	.end_amdhsa_kernel
	.section	.text._ZL38rocblas_trsm_small_left_device_sharedBILi64ELi32ELb1EddPKPKdPKPdEv13rocblas_fill_18rocblas_operation_17rocblas_diagonal_iiT3_T4_lilT5_lili,"axG",@progbits,_ZL38rocblas_trsm_small_left_device_sharedBILi64ELi32ELb1EddPKPKdPKPdEv13rocblas_fill_18rocblas_operation_17rocblas_diagonal_iiT3_T4_lilT5_lili,comdat
.Lfunc_end109:
	.size	_ZL38rocblas_trsm_small_left_device_sharedBILi64ELi32ELb1EddPKPKdPKPdEv13rocblas_fill_18rocblas_operation_17rocblas_diagonal_iiT3_T4_lilT5_lili, .Lfunc_end109-_ZL38rocblas_trsm_small_left_device_sharedBILi64ELi32ELb1EddPKPKdPKPdEv13rocblas_fill_18rocblas_operation_17rocblas_diagonal_iiT3_T4_lilT5_lili
                                        ; -- End function
	.set _ZL38rocblas_trsm_small_left_device_sharedBILi64ELi32ELb1EddPKPKdPKPdEv13rocblas_fill_18rocblas_operation_17rocblas_diagonal_iiT3_T4_lilT5_lili.num_vgpr, 254
	.set _ZL38rocblas_trsm_small_left_device_sharedBILi64ELi32ELb1EddPKPKdPKPdEv13rocblas_fill_18rocblas_operation_17rocblas_diagonal_iiT3_T4_lilT5_lili.num_agpr, 0
	.set _ZL38rocblas_trsm_small_left_device_sharedBILi64ELi32ELb1EddPKPKdPKPdEv13rocblas_fill_18rocblas_operation_17rocblas_diagonal_iiT3_T4_lilT5_lili.numbered_sgpr, 26
	.set _ZL38rocblas_trsm_small_left_device_sharedBILi64ELi32ELb1EddPKPKdPKPdEv13rocblas_fill_18rocblas_operation_17rocblas_diagonal_iiT3_T4_lilT5_lili.num_named_barrier, 0
	.set _ZL38rocblas_trsm_small_left_device_sharedBILi64ELi32ELb1EddPKPKdPKPdEv13rocblas_fill_18rocblas_operation_17rocblas_diagonal_iiT3_T4_lilT5_lili.private_seg_size, 0
	.set _ZL38rocblas_trsm_small_left_device_sharedBILi64ELi32ELb1EddPKPKdPKPdEv13rocblas_fill_18rocblas_operation_17rocblas_diagonal_iiT3_T4_lilT5_lili.uses_vcc, 1
	.set _ZL38rocblas_trsm_small_left_device_sharedBILi64ELi32ELb1EddPKPKdPKPdEv13rocblas_fill_18rocblas_operation_17rocblas_diagonal_iiT3_T4_lilT5_lili.uses_flat_scratch, 0
	.set _ZL38rocblas_trsm_small_left_device_sharedBILi64ELi32ELb1EddPKPKdPKPdEv13rocblas_fill_18rocblas_operation_17rocblas_diagonal_iiT3_T4_lilT5_lili.has_dyn_sized_stack, 0
	.set _ZL38rocblas_trsm_small_left_device_sharedBILi64ELi32ELb1EddPKPKdPKPdEv13rocblas_fill_18rocblas_operation_17rocblas_diagonal_iiT3_T4_lilT5_lili.has_recursion, 0
	.set _ZL38rocblas_trsm_small_left_device_sharedBILi64ELi32ELb1EddPKPKdPKPdEv13rocblas_fill_18rocblas_operation_17rocblas_diagonal_iiT3_T4_lilT5_lili.has_indirect_call, 0
	.section	.AMDGPU.csdata,"",@progbits
; Kernel info:
; codeLenInByte = 23396
; TotalNumSgprs: 32
; NumVgprs: 254
; NumAgprs: 0
; TotalNumVgprs: 254
; ScratchSize: 0
; MemoryBound: 0
; FloatMode: 240
; IeeeMode: 1
; LDSByteSize: 65536 bytes/workgroup (compile time only)
; SGPRBlocks: 12
; VGPRBlocks: 32
; NumSGPRsForWavesPerEU: 102
; NumVGPRsForWavesPerEU: 257
; AccumOffset: 256
; Occupancy: 1
; WaveLimiterHint : 0
; COMPUTE_PGM_RSRC2:SCRATCH_EN: 0
; COMPUTE_PGM_RSRC2:USER_SGPR: 2
; COMPUTE_PGM_RSRC2:TRAP_HANDLER: 0
; COMPUTE_PGM_RSRC2:TGID_X_EN: 1
; COMPUTE_PGM_RSRC2:TGID_Y_EN: 0
; COMPUTE_PGM_RSRC2:TGID_Z_EN: 1
; COMPUTE_PGM_RSRC2:TIDIG_COMP_CNT: 0
; COMPUTE_PGM_RSRC3_GFX90A:ACCUM_OFFSET: 63
; COMPUTE_PGM_RSRC3_GFX90A:TG_SPLIT: 0
	.section	.text._ZL30rocblas_trsm_small_left_deviceILi64ELi32ELb1EddPKPKdPKPdEv13rocblas_fill_18rocblas_operation_17rocblas_diagonal_iiT3_T4_lilT5_lili,"axG",@progbits,_ZL30rocblas_trsm_small_left_deviceILi64ELi32ELb1EddPKPKdPKPdEv13rocblas_fill_18rocblas_operation_17rocblas_diagonal_iiT3_T4_lilT5_lili,comdat
	.globl	_ZL30rocblas_trsm_small_left_deviceILi64ELi32ELb1EddPKPKdPKPdEv13rocblas_fill_18rocblas_operation_17rocblas_diagonal_iiT3_T4_lilT5_lili ; -- Begin function _ZL30rocblas_trsm_small_left_deviceILi64ELi32ELb1EddPKPKdPKPdEv13rocblas_fill_18rocblas_operation_17rocblas_diagonal_iiT3_T4_lilT5_lili
	.p2align	8
	.type	_ZL30rocblas_trsm_small_left_deviceILi64ELi32ELb1EddPKPKdPKPdEv13rocblas_fill_18rocblas_operation_17rocblas_diagonal_iiT3_T4_lilT5_lili,@function
_ZL30rocblas_trsm_small_left_deviceILi64ELi32ELb1EddPKPKdPKPdEv13rocblas_fill_18rocblas_operation_17rocblas_diagonal_iiT3_T4_lilT5_lili: ; @_ZL30rocblas_trsm_small_left_deviceILi64ELi32ELb1EddPKPKdPKPdEv13rocblas_fill_18rocblas_operation_17rocblas_diagonal_iiT3_T4_lilT5_lili
; %bb.0:
	s_load_dwordx2 s[18:19], s[0:1], 0x28
	s_load_dwordx4 s[12:15], s[0:1], 0x40
	s_load_dwordx4 s[8:11], s[0:1], 0x4
	;; [unrolled: 1-line block ×3, first 2 shown]
	s_mov_b32 s16, s3
	s_mov_b32 s17, 0
	s_lshl_b64 s[20:21], s[16:17], 3
	s_waitcnt lgkmcnt(0)
	s_add_u32 s12, s12, s20
	s_addc_u32 s13, s13, s21
	s_load_dwordx2 s[12:13], s[12:13], 0x0
	s_min_i32 s22, s10, 64
	v_cmp_gt_i32_e32 vcc, s22, v0
	s_and_saveexec_b64 s[16:17], vcc
	s_cbranch_execz .LBB110_6
; %bb.1:
	s_load_dword s24, s[0:1], 0x30
	v_lshlrev_b32_e32 v2, 3, v0
	v_mov_b32_e32 v3, 0
	v_mov_b32_e32 v1, v2
	s_mov_b32 s3, s22
	s_waitcnt lgkmcnt(0)
	s_ashr_i32 s25, s24, 31
	s_add_u32 s6, s6, s20
	s_addc_u32 s7, s7, s21
	s_load_dwordx2 s[6:7], s[6:7], 0x0
	s_lshl_b64 s[18:19], s[18:19], 3
	s_waitcnt lgkmcnt(0)
	s_add_u32 s18, s6, s18
	s_addc_u32 s19, s7, s19
	s_lshl_b64 s[6:7], s[24:25], 3
	v_lshl_add_u64 v[4:5], s[18:19], 0, v[2:3]
.LBB110_2:                              ; =>This Inner Loop Header: Depth=1
	flat_load_dwordx2 v[6:7], v[4:5]
	s_add_i32 s3, s3, -1
	v_lshl_add_u64 v[4:5], v[4:5], 0, s[6:7]
	s_cmp_eq_u32 s3, 0
	s_waitcnt vmcnt(0) lgkmcnt(0)
	ds_write_b64 v1, v[6:7]
	v_add_u32_e32 v1, 0x200, v1
	s_cbranch_scc0 .LBB110_2
; %bb.3:
	v_lshlrev_b32_e32 v1, 9, v0
	s_cmpk_lg_i32 s9, 0x84
	v_mov_b64_e32 v[4:5], 1.0
	v_add_u32_e32 v1, v2, v1
	s_cbranch_scc0 .LBB110_5
; %bb.4:
	ds_read_b64 v[2:3], v1
	s_waitcnt lgkmcnt(0)
	v_div_scale_f64 v[4:5], s[6:7], v[2:3], v[2:3], 1.0
	v_rcp_f64_e32 v[6:7], v[4:5]
	v_div_scale_f64 v[8:9], vcc, 1.0, v[2:3], 1.0
	v_fma_f64 v[10:11], -v[4:5], v[6:7], 1.0
	v_fmac_f64_e32 v[6:7], v[6:7], v[10:11]
	v_fma_f64 v[10:11], -v[4:5], v[6:7], 1.0
	v_fmac_f64_e32 v[6:7], v[6:7], v[10:11]
	v_mul_f64 v[10:11], v[8:9], v[6:7]
	v_fma_f64 v[4:5], -v[4:5], v[10:11], v[8:9]
	v_div_fmas_f64 v[4:5], v[4:5], v[6:7], v[10:11]
	v_div_fixup_f64 v[4:5], v[4:5], v[2:3], 1.0
.LBB110_5:
	ds_write_b64 v1, v[4:5]
.LBB110_6:
	s_or_b64 exec, exec, s[16:17]
	s_load_dword s3, s[0:1], 0x68
	s_waitcnt lgkmcnt(0)
	; wave barrier
	s_add_i32 s6, s3, -1
	s_lshl_b32 s3, s2, 6
	s_sub_i32 s7, s11, s3
	s_cmp_ge_u32 s2, s6
	s_cselect_b32 s2, s7, 64
	v_cmp_gt_i32_e32 vcc, s2, v0
	s_and_saveexec_b64 s[6:7], vcc
	s_cbranch_execz .LBB110_61
; %bb.7:
	s_load_dword s2, s[0:1], 0x50
	s_lshl_b64 s[0:1], s[14:15], 3
	s_add_u32 s0, s12, s0
	v_add_u32_e32 v0, s3, v0
	s_addc_u32 s1, s13, s1
	s_waitcnt lgkmcnt(0)
	v_mad_i64_i32 v[0:1], s[2:3], s2, v0, 0
	v_lshl_add_u64 v[0:1], v[0:1], 3, s[0:1]
	s_cmpk_eq_i32 s8, 0x6f
	s_mov_b64 s[0:1], -1
	s_cbranch_scc1 .LBB110_41
; %bb.8:
	s_add_i32 s8, s22, -1
	s_cmp_lt_i32 s10, 32
	s_mov_b32 s0, s8
	s_cbranch_scc1 .LBB110_15
; %bb.9:
	s_lshl_b32 s6, s22, 3
	s_addk_i32 s6, 0xc1f8
	s_mov_b32 s1, 0
	s_mov_b32 s3, s8
	s_branch .LBB110_11
.LBB110_10:                             ;   in Loop: Header=BB110_11 Depth=1
	s_mul_i32 s0, s2, 0x208
	v_mov_b32_e32 v68, s0
	ds_read_b64 v[68:69], v68
	s_add_i32 s0, s2, -1
	s_lshl_b32 s3, s0, 9
	s_lshl_b32 s7, s0, 3
	s_add_i32 s3, s3, s7
	s_waitcnt lgkmcnt(0)
	v_mul_f64 v[6:7], v[68:69], v[6:7]
	flat_store_dwordx2 v[10:11], v[6:7]
	v_mov_b32_e32 v10, s3
	ds_read2_b64 v[68:71], v10 offset1:1
	v_lshl_add_u64 v[10:11], s[0:1], 3, v[0:1]
	s_add_i32 s0, s2, -2
	s_lshl_b32 s7, s0, 9
	s_lshl_b32 s3, s2, 3
	s_waitcnt lgkmcnt(0)
	v_fma_f64 v[12:13], -v[6:7], v[70:71], v[12:13]
	v_mul_f64 v[12:13], v[68:69], v[12:13]
	s_add_i32 s9, s7, s3
	flat_store_dwordx2 v[10:11], v[12:13]
	v_mov_b32_e32 v10, s9
	s_lshl_b32 s9, s0, 3
	s_add_i32 s7, s7, s9
	v_mov_b32_e32 v68, s7
	ds_read_b64 v[10:11], v10
	ds_read2_b64 v[68:71], v68 offset1:1
	s_waitcnt lgkmcnt(0)
	v_fma_f64 v[10:11], -v[6:7], v[10:11], v[66:67]
	v_lshl_add_u64 v[66:67], s[0:1], 3, v[0:1]
	s_add_i32 s0, s2, -3
	s_lshl_b32 s7, s0, 9
	v_fma_f64 v[10:11], -v[12:13], v[70:71], v[10:11]
	s_add_i32 s9, s7, s3
	v_mul_f64 v[10:11], v[68:69], v[10:11]
	s_add_i32 s9, s9, -8
	flat_store_dwordx2 v[66:67], v[10:11]
	v_mov_b32_e32 v66, s9
	s_lshl_b32 s9, s0, 3
	ds_read2_b64 v[66:69], v66 offset1:1
	s_add_i32 s7, s7, s9
	v_mov_b32_e32 v70, s7
	ds_read2_b64 v[70:73], v70 offset1:1
	s_waitcnt lgkmcnt(0)
	v_fma_f64 v[14:15], -v[6:7], v[68:69], v[14:15]
	v_fma_f64 v[14:15], -v[12:13], v[66:67], v[14:15]
	v_lshl_add_u64 v[66:67], s[0:1], 3, v[0:1]
	s_add_i32 s0, s2, -4
	v_fma_f64 v[14:15], -v[10:11], v[72:73], v[14:15]
	s_lshl_b32 s7, s0, 9
	v_mul_f64 v[14:15], v[70:71], v[14:15]
	s_add_i32 s9, s7, s3
	flat_store_dwordx2 v[66:67], v[14:15]
	v_mov_b32_e32 v66, s9
	s_add_i32 s9, s9, -16
	v_mov_b32_e32 v67, s9
	ds_read_b64 v[74:75], v66
	ds_read2_b64 v[66:69], v67 offset1:1
	s_lshl_b32 s9, s0, 3
	s_add_i32 s7, s7, s9
	v_mov_b32_e32 v70, s7
	ds_read2_b64 v[70:73], v70 offset1:1
	s_waitcnt lgkmcnt(0)
	v_fma_f64 v[16:17], -v[6:7], v[74:75], v[16:17]
	v_fma_f64 v[16:17], -v[12:13], v[68:69], v[16:17]
	;; [unrolled: 1-line block ×3, first 2 shown]
	v_lshl_add_u64 v[66:67], s[0:1], 3, v[0:1]
	s_add_i32 s0, s2, -5
	s_lshl_b32 s7, s0, 9
	v_fma_f64 v[16:17], -v[14:15], v[72:73], v[16:17]
	s_add_i32 s9, s7, s3
	v_mul_f64 v[16:17], v[70:71], v[16:17]
	s_add_i32 s11, s9, -8
	s_sub_i32 s9, s9, 24
	flat_store_dwordx2 v[66:67], v[16:17]
	v_mov_b32_e32 v66, s11
	v_mov_b32_e32 v70, s9
	ds_read2_b64 v[66:69], v66 offset1:1
	ds_read2_b64 v[70:73], v70 offset1:1
	s_lshl_b32 s9, s0, 3
	s_add_i32 s7, s7, s9
	v_mov_b32_e32 v74, s7
	ds_read2_b64 v[74:77], v74 offset1:1
	s_waitcnt lgkmcnt(0)
	v_fma_f64 v[18:19], -v[6:7], v[68:69], v[18:19]
	v_fma_f64 v[18:19], -v[12:13], v[66:67], v[18:19]
	;; [unrolled: 1-line block ×4, first 2 shown]
	v_lshl_add_u64 v[66:67], s[0:1], 3, v[0:1]
	s_add_i32 s0, s2, -6
	v_fma_f64 v[18:19], -v[16:17], v[76:77], v[18:19]
	s_lshl_b32 s7, s0, 9
	v_mul_f64 v[18:19], v[74:75], v[18:19]
	s_add_i32 s9, s7, s3
	flat_store_dwordx2 v[66:67], v[18:19]
	v_mov_b32_e32 v66, s9
	ds_read_b64 v[70:71], v66
	s_add_i32 s11, s9, -16
	v_mov_b32_e32 v66, s11
	ds_read2_b64 v[66:69], v66 offset1:1
	s_sub_i32 s9, s9, 32
	s_waitcnt lgkmcnt(0)
	v_fma_f64 v[20:21], -v[6:7], v[70:71], v[20:21]
	v_mov_b32_e32 v70, s9
	s_lshl_b32 s9, s0, 3
	ds_read2_b64 v[70:73], v70 offset1:1
	s_add_i32 s7, s7, s9
	v_mov_b32_e32 v74, s7
	ds_read2_b64 v[74:77], v74 offset1:1
	v_fma_f64 v[20:21], -v[12:13], v[68:69], v[20:21]
	v_fma_f64 v[20:21], -v[10:11], v[66:67], v[20:21]
	s_waitcnt lgkmcnt(0)
	v_fma_f64 v[20:21], -v[14:15], v[72:73], v[20:21]
	v_lshl_add_u64 v[66:67], s[0:1], 3, v[0:1]
	s_add_i32 s0, s2, -7
	v_fma_f64 v[20:21], -v[16:17], v[70:71], v[20:21]
	s_lshl_b32 s7, s0, 9
	v_fma_f64 v[20:21], -v[18:19], v[76:77], v[20:21]
	s_add_i32 s9, s7, s3
	v_mul_f64 v[20:21], v[74:75], v[20:21]
	s_add_i32 s11, s9, -8
	flat_store_dwordx2 v[66:67], v[20:21]
	v_mov_b32_e32 v66, s11
	ds_read2_b64 v[66:69], v66 offset1:1
	s_sub_i32 s11, s9, 24
	v_mov_b32_e32 v70, s11
	ds_read2_b64 v[70:73], v70 offset1:1
	s_sub_i32 s9, s9, 40
	s_waitcnt lgkmcnt(0)
	v_fma_f64 v[24:25], -v[6:7], v[68:69], v[24:25]
	v_fma_f64 v[24:25], -v[12:13], v[66:67], v[24:25]
	v_mov_b32_e32 v66, s9
	ds_read2_b64 v[66:69], v66 offset1:1
	s_lshl_b32 s9, s0, 3
	s_add_i32 s7, s7, s9
	v_mov_b32_e32 v74, s7
	ds_read2_b64 v[74:77], v74 offset1:1
	v_fma_f64 v[24:25], -v[10:11], v[72:73], v[24:25]
	v_fma_f64 v[24:25], -v[14:15], v[70:71], v[24:25]
	s_waitcnt lgkmcnt(0)
	v_fma_f64 v[24:25], -v[16:17], v[68:69], v[24:25]
	v_fma_f64 v[24:25], -v[18:19], v[66:67], v[24:25]
	v_lshl_add_u64 v[66:67], s[0:1], 3, v[0:1]
	s_add_i32 s0, s2, -8
	s_lshl_b32 s7, s0, 9
	v_fma_f64 v[24:25], -v[20:21], v[76:77], v[24:25]
	s_add_i32 s9, s7, s3
	v_mul_f64 v[24:25], v[74:75], v[24:25]
	s_add_i32 s11, s9, -16
	flat_store_dwordx2 v[66:67], v[24:25]
	v_mov_b32_e32 v66, s9
	v_mov_b32_e32 v67, s11
	ds_read_b64 v[70:71], v66
	ds_read2_b64 v[66:69], v67 offset1:1
	s_sub_i32 s11, s9, 32
	s_sub_i32 s9, s9, 48
	s_waitcnt lgkmcnt(0)
	v_fma_f64 v[26:27], -v[6:7], v[70:71], v[26:27]
	v_fma_f64 v[26:27], -v[12:13], v[68:69], v[26:27]
	;; [unrolled: 1-line block ×3, first 2 shown]
	v_mov_b32_e32 v66, s11
	v_mov_b32_e32 v70, s9
	ds_read2_b64 v[66:69], v66 offset1:1
	ds_read2_b64 v[70:73], v70 offset1:1
	s_lshl_b32 s9, s0, 3
	s_add_i32 s7, s7, s9
	v_mov_b32_e32 v74, s7
	ds_read2_b64 v[74:77], v74 offset1:1
	s_waitcnt lgkmcnt(0)
	v_fma_f64 v[26:27], -v[14:15], v[68:69], v[26:27]
	v_fma_f64 v[26:27], -v[16:17], v[66:67], v[26:27]
	;; [unrolled: 1-line block ×3, first 2 shown]
	v_lshl_add_u64 v[66:67], s[0:1], 3, v[0:1]
	s_add_i32 s0, s2, -9
	v_fma_f64 v[26:27], -v[20:21], v[70:71], v[26:27]
	s_lshl_b32 s7, s0, 9
	v_fma_f64 v[26:27], -v[24:25], v[76:77], v[26:27]
	s_add_i32 s9, s7, s3
	v_mul_f64 v[26:27], v[74:75], v[26:27]
	s_add_i32 s11, s9, -8
	flat_store_dwordx2 v[66:67], v[26:27]
	v_mov_b32_e32 v66, s11
	ds_read2_b64 v[66:69], v66 offset1:1
	s_sub_i32 s11, s9, 24
	v_mov_b32_e32 v70, s11
	ds_read2_b64 v[70:73], v70 offset1:1
	s_sub_i32 s11, s9, 40
	s_waitcnt lgkmcnt(0)
	v_fma_f64 v[28:29], -v[6:7], v[68:69], v[28:29]
	v_fma_f64 v[28:29], -v[12:13], v[66:67], v[28:29]
	s_sub_i32 s9, s9, 56
	v_fma_f64 v[28:29], -v[10:11], v[72:73], v[28:29]
	v_fma_f64 v[28:29], -v[14:15], v[70:71], v[28:29]
	v_mov_b32_e32 v66, s11
	v_mov_b32_e32 v70, s9
	ds_read2_b64 v[66:69], v66 offset1:1
	ds_read2_b64 v[70:73], v70 offset1:1
	s_lshl_b32 s9, s0, 3
	s_add_i32 s7, s7, s9
	v_mov_b32_e32 v74, s7
	ds_read2_b64 v[74:77], v74 offset1:1
	s_waitcnt lgkmcnt(0)
	v_fma_f64 v[28:29], -v[16:17], v[68:69], v[28:29]
	v_fma_f64 v[28:29], -v[18:19], v[66:67], v[28:29]
	;; [unrolled: 1-line block ×3, first 2 shown]
	v_lshl_add_u64 v[66:67], s[0:1], 3, v[0:1]
	s_add_i32 s0, s2, -10
	v_fma_f64 v[28:29], -v[24:25], v[70:71], v[28:29]
	s_lshl_b32 s7, s0, 9
	v_fma_f64 v[28:29], -v[26:27], v[76:77], v[28:29]
	s_add_i32 s9, s7, s3
	v_mul_f64 v[28:29], v[74:75], v[28:29]
	s_add_i32 s11, s9, -16
	flat_store_dwordx2 v[66:67], v[28:29]
	v_mov_b32_e32 v66, s9
	v_mov_b32_e32 v67, s11
	ds_read_b64 v[70:71], v66
	ds_read2_b64 v[66:69], v67 offset1:1
	s_sub_i32 s11, s9, 32
	s_waitcnt lgkmcnt(0)
	v_fma_f64 v[32:33], -v[6:7], v[70:71], v[32:33]
	v_fma_f64 v[32:33], -v[12:13], v[68:69], v[32:33]
	v_mov_b32_e32 v68, s11
	ds_read2_b64 v[68:71], v68 offset1:1
	s_sub_i32 s11, s9, 48
	v_fma_f64 v[32:33], -v[10:11], v[66:67], v[32:33]
	v_mov_b32_e32 v66, s11
	ds_read2_b64 v[72:75], v66 offset1:1
	s_sub_i32 s9, s9, 64
	s_waitcnt lgkmcnt(0)
	v_fma_f64 v[32:33], -v[14:15], v[70:71], v[32:33]
	v_mov_b32_e32 v66, s9
	v_fma_f64 v[32:33], -v[16:17], v[68:69], v[32:33]
	ds_read2_b64 v[66:69], v66 offset1:1
	s_lshl_b32 s9, s0, 3
	s_add_i32 s7, s7, s9
	v_mov_b32_e32 v70, s7
	ds_read2_b64 v[76:79], v70 offset1:1
	v_fma_f64 v[32:33], -v[18:19], v[74:75], v[32:33]
	v_fma_f64 v[32:33], -v[20:21], v[72:73], v[32:33]
	s_waitcnt lgkmcnt(0)
	v_fma_f64 v[32:33], -v[24:25], v[68:69], v[32:33]
	v_fma_f64 v[32:33], -v[26:27], v[66:67], v[32:33]
	v_lshl_add_u64 v[66:67], s[0:1], 3, v[0:1]
	s_add_i32 s0, s2, -11
	s_lshl_b32 s7, s0, 9
	v_fma_f64 v[32:33], -v[28:29], v[78:79], v[32:33]
	s_add_i32 s9, s7, s3
	v_mul_f64 v[32:33], v[76:77], v[32:33]
	s_add_i32 s11, s9, -8
	flat_store_dwordx2 v[66:67], v[32:33]
	v_mov_b32_e32 v66, s11
	ds_read2_b64 v[66:69], v66 offset1:1
	s_sub_i32 s11, s9, 24
	v_mov_b32_e32 v70, s11
	ds_read2_b64 v[70:73], v70 offset1:1
	s_sub_i32 s11, s9, 40
	s_waitcnt lgkmcnt(0)
	v_fma_f64 v[34:35], -v[6:7], v[68:69], v[34:35]
	v_fma_f64 v[34:35], -v[12:13], v[66:67], v[34:35]
	v_mov_b32_e32 v66, s11
	ds_read2_b64 v[66:69], v66 offset1:1
	v_fma_f64 v[34:35], -v[10:11], v[72:73], v[34:35]
	s_sub_i32 s11, s9, 56
	v_fma_f64 v[34:35], -v[14:15], v[70:71], v[34:35]
	v_mov_b32_e32 v70, s11
	ds_read2_b64 v[70:73], v70 offset1:1
	s_waitcnt lgkmcnt(0)
	v_fma_f64 v[34:35], -v[16:17], v[68:69], v[34:35]
	s_addk_i32 s9, 0xffb8
	v_fma_f64 v[34:35], -v[18:19], v[66:67], v[34:35]
	v_mov_b32_e32 v66, s9
	s_lshl_b32 s9, s0, 3
	ds_read2_b64 v[66:69], v66 offset1:1
	s_add_i32 s7, s7, s9
	v_mov_b32_e32 v74, s7
	ds_read2_b64 v[74:77], v74 offset1:1
	v_fma_f64 v[34:35], -v[20:21], v[72:73], v[34:35]
	v_fma_f64 v[34:35], -v[24:25], v[70:71], v[34:35]
	s_waitcnt lgkmcnt(0)
	v_fma_f64 v[34:35], -v[26:27], v[68:69], v[34:35]
	v_fma_f64 v[34:35], -v[28:29], v[66:67], v[34:35]
	v_lshl_add_u64 v[66:67], s[0:1], 3, v[0:1]
	s_add_i32 s0, s2, -12
	v_fma_f64 v[34:35], -v[32:33], v[76:77], v[34:35]
	s_lshl_b32 s7, s0, 9
	v_mul_f64 v[34:35], v[74:75], v[34:35]
	s_add_i32 s9, s7, s3
	flat_store_dwordx2 v[66:67], v[34:35]
	v_mov_b32_e32 v66, s9
	ds_read_b64 v[70:71], v66
	s_add_i32 s11, s9, -16
	v_mov_b32_e32 v66, s11
	ds_read2_b64 v[66:69], v66 offset1:1
	s_sub_i32 s11, s9, 32
	s_waitcnt lgkmcnt(0)
	v_fma_f64 v[38:39], -v[6:7], v[70:71], v[38:39]
	v_mov_b32_e32 v70, s11
	ds_read2_b64 v[70:73], v70 offset1:1
	s_sub_i32 s11, s9, 48
	v_mov_b32_e32 v74, s11
	ds_read2_b64 v[74:77], v74 offset1:1
	v_fma_f64 v[38:39], -v[12:13], v[68:69], v[38:39]
	v_fma_f64 v[38:39], -v[10:11], v[66:67], v[38:39]
	s_waitcnt lgkmcnt(0)
	v_fma_f64 v[38:39], -v[14:15], v[72:73], v[38:39]
	s_sub_i32 s11, s9, 64
	s_addk_i32 s9, 0xffb0
	v_fma_f64 v[38:39], -v[16:17], v[70:71], v[38:39]
	v_mov_b32_e32 v66, s11
	v_mov_b32_e32 v70, s9
	ds_read2_b64 v[66:69], v66 offset1:1
	ds_read2_b64 v[70:73], v70 offset1:1
	s_lshl_b32 s9, s0, 3
	v_fma_f64 v[38:39], -v[18:19], v[76:77], v[38:39]
	s_add_i32 s7, s7, s9
	v_fma_f64 v[38:39], -v[20:21], v[74:75], v[38:39]
	v_mov_b32_e32 v74, s7
	ds_read2_b64 v[74:77], v74 offset1:1
	s_waitcnt lgkmcnt(0)
	v_fma_f64 v[38:39], -v[24:25], v[68:69], v[38:39]
	v_fma_f64 v[38:39], -v[26:27], v[66:67], v[38:39]
	;; [unrolled: 1-line block ×3, first 2 shown]
	v_lshl_add_u64 v[66:67], s[0:1], 3, v[0:1]
	s_add_i32 s0, s2, -13
	v_fma_f64 v[38:39], -v[32:33], v[70:71], v[38:39]
	s_lshl_b32 s7, s0, 9
	v_fma_f64 v[38:39], -v[34:35], v[76:77], v[38:39]
	s_add_i32 s9, s7, s3
	v_mul_f64 v[38:39], v[74:75], v[38:39]
	s_add_i32 s11, s9, -8
	flat_store_dwordx2 v[66:67], v[38:39]
	v_mov_b32_e32 v66, s11
	ds_read2_b64 v[66:69], v66 offset1:1
	s_sub_i32 s11, s9, 24
	v_mov_b32_e32 v70, s11
	ds_read2_b64 v[70:73], v70 offset1:1
	s_sub_i32 s11, s9, 40
	s_waitcnt lgkmcnt(0)
	v_fma_f64 v[40:41], -v[6:7], v[68:69], v[40:41]
	v_fma_f64 v[40:41], -v[12:13], v[66:67], v[40:41]
	v_mov_b32_e32 v66, s11
	ds_read2_b64 v[66:69], v66 offset1:1
	s_sub_i32 s11, s9, 56
	v_mov_b32_e32 v74, s11
	ds_read2_b64 v[74:77], v74 offset1:1
	v_fma_f64 v[40:41], -v[10:11], v[72:73], v[40:41]
	v_fma_f64 v[40:41], -v[14:15], v[70:71], v[40:41]
	s_waitcnt lgkmcnt(0)
	v_fma_f64 v[40:41], -v[16:17], v[68:69], v[40:41]
	s_add_i32 s11, s9, 0xffffffb8
	s_addk_i32 s9, 0xffa8
	v_fma_f64 v[40:41], -v[18:19], v[66:67], v[40:41]
	v_mov_b32_e32 v66, s11
	v_mov_b32_e32 v70, s9
	ds_read2_b64 v[66:69], v66 offset1:1
	ds_read2_b64 v[70:73], v70 offset1:1
	s_lshl_b32 s9, s0, 3
	v_fma_f64 v[40:41], -v[20:21], v[76:77], v[40:41]
	s_add_i32 s7, s7, s9
	v_fma_f64 v[40:41], -v[24:25], v[74:75], v[40:41]
	v_mov_b32_e32 v74, s7
	ds_read2_b64 v[74:77], v74 offset1:1
	s_waitcnt lgkmcnt(0)
	v_fma_f64 v[40:41], -v[26:27], v[68:69], v[40:41]
	v_fma_f64 v[40:41], -v[28:29], v[66:67], v[40:41]
	;; [unrolled: 1-line block ×4, first 2 shown]
	v_lshl_add_u64 v[66:67], s[0:1], 3, v[0:1]
	s_add_i32 s0, s2, -14
	v_fma_f64 v[40:41], -v[38:39], v[76:77], v[40:41]
	s_lshl_b32 s7, s0, 9
	v_mul_f64 v[40:41], v[74:75], v[40:41]
	s_add_i32 s9, s7, s3
	flat_store_dwordx2 v[66:67], v[40:41]
	v_mov_b32_e32 v66, s9
	ds_read_b64 v[70:71], v66
	s_add_i32 s11, s9, -16
	v_mov_b32_e32 v66, s11
	ds_read2_b64 v[66:69], v66 offset1:1
	s_sub_i32 s11, s9, 32
	s_waitcnt lgkmcnt(0)
	v_fma_f64 v[44:45], -v[6:7], v[70:71], v[44:45]
	v_mov_b32_e32 v70, s11
	ds_read2_b64 v[70:73], v70 offset1:1
	s_sub_i32 s11, s9, 48
	v_mov_b32_e32 v74, s11
	ds_read2_b64 v[74:77], v74 offset1:1
	v_fma_f64 v[44:45], -v[12:13], v[68:69], v[44:45]
	s_sub_i32 s11, s9, 64
	v_fma_f64 v[44:45], -v[10:11], v[66:67], v[44:45]
	v_mov_b32_e32 v66, s11
	ds_read2_b64 v[66:69], v66 offset1:1
	s_waitcnt lgkmcnt(0)
	v_fma_f64 v[44:45], -v[14:15], v[72:73], v[44:45]
	v_fma_f64 v[44:45], -v[16:17], v[70:71], v[44:45]
	;; [unrolled: 1-line block ×3, first 2 shown]
	s_add_i32 s11, s9, 0xffffffb0
	v_fma_f64 v[44:45], -v[20:21], v[74:75], v[44:45]
	v_mov_b32_e32 v70, s11
	ds_read2_b64 v[70:73], v70 offset1:1
	v_fma_f64 v[44:45], -v[24:25], v[68:69], v[44:45]
	s_addk_i32 s9, 0xffa0
	v_fma_f64 v[44:45], -v[26:27], v[66:67], v[44:45]
	v_mov_b32_e32 v66, s9
	ds_read2_b64 v[66:69], v66 offset1:1
	s_lshl_b32 s9, s0, 3
	s_add_i32 s7, s7, s9
	v_mov_b32_e32 v74, s7
	ds_read2_b64 v[74:77], v74 offset1:1
	s_waitcnt lgkmcnt(0)
	v_fma_f64 v[44:45], -v[28:29], v[72:73], v[44:45]
	v_fma_f64 v[44:45], -v[32:33], v[70:71], v[44:45]
	;; [unrolled: 1-line block ×4, first 2 shown]
	v_lshl_add_u64 v[66:67], s[0:1], 3, v[0:1]
	s_add_i32 s0, s2, -15
	s_lshl_b32 s7, s0, 9
	v_fma_f64 v[44:45], -v[40:41], v[76:77], v[44:45]
	s_add_i32 s9, s7, s3
	v_mul_f64 v[44:45], v[74:75], v[44:45]
	s_add_i32 s11, s9, -8
	flat_store_dwordx2 v[66:67], v[44:45]
	v_mov_b32_e32 v66, s11
	ds_read2_b64 v[66:69], v66 offset1:1
	s_sub_i32 s11, s9, 24
	v_mov_b32_e32 v70, s11
	ds_read2_b64 v[70:73], v70 offset1:1
	s_sub_i32 s11, s9, 40
	s_waitcnt lgkmcnt(0)
	v_fma_f64 v[46:47], -v[6:7], v[68:69], v[46:47]
	v_fma_f64 v[46:47], -v[12:13], v[66:67], v[46:47]
	v_mov_b32_e32 v66, s11
	ds_read2_b64 v[66:69], v66 offset1:1
	s_sub_i32 s11, s9, 56
	v_fma_f64 v[46:47], -v[10:11], v[72:73], v[46:47]
	v_mov_b32_e32 v74, s11
	v_fma_f64 v[46:47], -v[14:15], v[70:71], v[46:47]
	ds_read2_b64 v[74:77], v74 offset1:1
	s_waitcnt lgkmcnt(0)
	v_fma_f64 v[46:47], -v[16:17], v[68:69], v[46:47]
	s_add_i32 s11, s9, 0xffffffb8
	v_fma_f64 v[46:47], -v[18:19], v[66:67], v[46:47]
	v_mov_b32_e32 v66, s11
	ds_read2_b64 v[66:69], v66 offset1:1
	v_fma_f64 v[46:47], -v[20:21], v[76:77], v[46:47]
	s_add_i32 s11, s9, 0xffffffa8
	v_fma_f64 v[46:47], -v[24:25], v[74:75], v[46:47]
	v_mov_b32_e32 v70, s11
	ds_read2_b64 v[70:73], v70 offset1:1
	s_waitcnt lgkmcnt(0)
	v_fma_f64 v[46:47], -v[26:27], v[68:69], v[46:47]
	s_addk_i32 s9, 0xff98
	v_fma_f64 v[46:47], -v[28:29], v[66:67], v[46:47]
	v_mov_b32_e32 v66, s9
	ds_read2_b64 v[66:69], v66 offset1:1
	s_lshl_b32 s9, s0, 3
	s_add_i32 s7, s7, s9
	v_mov_b32_e32 v74, s7
	ds_read2_b64 v[74:77], v74 offset1:1
	v_fma_f64 v[46:47], -v[32:33], v[72:73], v[46:47]
	v_fma_f64 v[46:47], -v[34:35], v[70:71], v[46:47]
	s_waitcnt lgkmcnt(0)
	v_fma_f64 v[46:47], -v[38:39], v[68:69], v[46:47]
	v_fma_f64 v[46:47], -v[40:41], v[66:67], v[46:47]
	v_lshl_add_u64 v[66:67], s[0:1], 3, v[0:1]
	s_add_i32 s0, s2, -16
	s_lshl_b32 s7, s0, 9
	v_fma_f64 v[46:47], -v[44:45], v[76:77], v[46:47]
	s_add_i32 s9, s7, s3
	v_mul_f64 v[46:47], v[74:75], v[46:47]
	s_add_i32 s11, s9, -16
	flat_store_dwordx2 v[66:67], v[46:47]
	v_mov_b32_e32 v66, s9
	v_mov_b32_e32 v67, s11
	ds_read_b64 v[70:71], v66
	ds_read2_b64 v[66:69], v67 offset1:1
	s_sub_i32 s11, s9, 32
	s_waitcnt lgkmcnt(0)
	v_fma_f64 v[50:51], -v[6:7], v[70:71], v[50:51]
	v_fma_f64 v[50:51], -v[12:13], v[68:69], v[50:51]
	v_mov_b32_e32 v68, s11
	ds_read2_b64 v[68:71], v68 offset1:1
	s_sub_i32 s11, s9, 48
	v_fma_f64 v[50:51], -v[10:11], v[66:67], v[50:51]
	v_mov_b32_e32 v66, s11
	ds_read2_b64 v[72:75], v66 offset1:1
	s_sub_i32 s11, s9, 64
	s_waitcnt lgkmcnt(0)
	v_fma_f64 v[50:51], -v[14:15], v[70:71], v[50:51]
	v_mov_b32_e32 v66, s11
	v_fma_f64 v[50:51], -v[16:17], v[68:69], v[50:51]
	ds_read2_b64 v[66:69], v66 offset1:1
	s_add_i32 s11, s9, 0xffffffb0
	v_mov_b32_e32 v70, s11
	v_fma_f64 v[50:51], -v[18:19], v[74:75], v[50:51]
	ds_read2_b64 v[76:79], v70 offset1:1
	v_fma_f64 v[50:51], -v[20:21], v[72:73], v[50:51]
	s_waitcnt lgkmcnt(0)
	v_fma_f64 v[50:51], -v[24:25], v[68:69], v[50:51]
	s_add_i32 s11, s9, 0xffffffa0
	s_addk_i32 s9, 0xff90
	v_fma_f64 v[50:51], -v[26:27], v[66:67], v[50:51]
	v_mov_b32_e32 v66, s11
	v_mov_b32_e32 v70, s9
	ds_read2_b64 v[66:69], v66 offset1:1
	ds_read2_b64 v[70:73], v70 offset1:1
	s_lshl_b32 s9, s0, 3
	s_add_i32 s7, s7, s9
	v_fma_f64 v[50:51], -v[28:29], v[78:79], v[50:51]
	v_mov_b32_e32 v74, s7
	v_fma_f64 v[50:51], -v[32:33], v[76:77], v[50:51]
	ds_read2_b64 v[74:77], v74 offset1:1
	s_waitcnt lgkmcnt(0)
	v_fma_f64 v[50:51], -v[34:35], v[68:69], v[50:51]
	v_fma_f64 v[50:51], -v[38:39], v[66:67], v[50:51]
	;; [unrolled: 1-line block ×3, first 2 shown]
	v_lshl_add_u64 v[66:67], s[0:1], 3, v[0:1]
	s_sub_i32 s0, s2, 17
	v_fma_f64 v[50:51], -v[44:45], v[70:71], v[50:51]
	s_lshl_b32 s7, s0, 9
	v_fma_f64 v[50:51], -v[46:47], v[76:77], v[50:51]
	s_add_i32 s9, s7, s3
	v_mul_f64 v[50:51], v[74:75], v[50:51]
	s_add_i32 s11, s9, -8
	flat_store_dwordx2 v[66:67], v[50:51]
	v_mov_b32_e32 v66, s11
	ds_read2_b64 v[66:69], v66 offset1:1
	s_sub_i32 s11, s9, 24
	v_mov_b32_e32 v70, s11
	ds_read2_b64 v[70:73], v70 offset1:1
	s_sub_i32 s11, s9, 40
	s_waitcnt lgkmcnt(0)
	v_fma_f64 v[54:55], -v[6:7], v[68:69], v[54:55]
	v_fma_f64 v[54:55], -v[12:13], v[66:67], v[54:55]
	v_mov_b32_e32 v66, s11
	ds_read2_b64 v[66:69], v66 offset1:1
	v_fma_f64 v[54:55], -v[10:11], v[72:73], v[54:55]
	s_sub_i32 s11, s9, 56
	v_fma_f64 v[54:55], -v[14:15], v[70:71], v[54:55]
	v_mov_b32_e32 v70, s11
	ds_read2_b64 v[70:73], v70 offset1:1
	s_waitcnt lgkmcnt(0)
	v_fma_f64 v[54:55], -v[16:17], v[68:69], v[54:55]
	s_add_i32 s11, s9, 0xffffffb8
	v_fma_f64 v[54:55], -v[18:19], v[66:67], v[54:55]
	v_mov_b32_e32 v66, s11
	ds_read2_b64 v[66:69], v66 offset1:1
	s_add_i32 s11, s9, 0xffffffa8
	v_mov_b32_e32 v74, s11
	ds_read2_b64 v[74:77], v74 offset1:1
	v_fma_f64 v[54:55], -v[20:21], v[72:73], v[54:55]
	v_fma_f64 v[54:55], -v[24:25], v[70:71], v[54:55]
	s_waitcnt lgkmcnt(0)
	v_fma_f64 v[54:55], -v[26:27], v[68:69], v[54:55]
	s_add_i32 s11, s9, 0xffffff98
	s_addk_i32 s9, 0xff88
	v_fma_f64 v[54:55], -v[28:29], v[66:67], v[54:55]
	v_mov_b32_e32 v66, s11
	v_mov_b32_e32 v70, s9
	ds_read2_b64 v[66:69], v66 offset1:1
	ds_read2_b64 v[70:73], v70 offset1:1
	s_lshl_b32 s9, s0, 3
	v_fma_f64 v[54:55], -v[32:33], v[76:77], v[54:55]
	s_add_i32 s7, s7, s9
	v_fma_f64 v[54:55], -v[34:35], v[74:75], v[54:55]
	v_mov_b32_e32 v74, s7
	ds_read2_b64 v[74:77], v74 offset1:1
	s_waitcnt lgkmcnt(0)
	v_fma_f64 v[54:55], -v[38:39], v[68:69], v[54:55]
	v_fma_f64 v[54:55], -v[40:41], v[66:67], v[54:55]
	;; [unrolled: 1-line block ×3, first 2 shown]
	v_lshl_add_u64 v[66:67], s[0:1], 3, v[0:1]
	s_sub_i32 s0, s2, 18
	v_fma_f64 v[54:55], -v[46:47], v[70:71], v[54:55]
	s_lshl_b32 s7, s0, 9
	v_fma_f64 v[54:55], -v[50:51], v[76:77], v[54:55]
	s_add_i32 s9, s7, s3
	v_mul_f64 v[54:55], v[74:75], v[54:55]
	s_add_i32 s11, s9, -16
	flat_store_dwordx2 v[66:67], v[54:55]
	v_mov_b32_e32 v66, s9
	v_mov_b32_e32 v67, s11
	ds_read_b64 v[70:71], v66
	ds_read2_b64 v[66:69], v67 offset1:1
	s_sub_i32 s11, s9, 32
	s_waitcnt lgkmcnt(0)
	v_fma_f64 v[56:57], -v[6:7], v[70:71], v[56:57]
	v_fma_f64 v[56:57], -v[12:13], v[68:69], v[56:57]
	v_mov_b32_e32 v68, s11
	ds_read2_b64 v[68:71], v68 offset1:1
	s_sub_i32 s11, s9, 48
	v_fma_f64 v[56:57], -v[10:11], v[66:67], v[56:57]
	v_mov_b32_e32 v66, s11
	ds_read2_b64 v[72:75], v66 offset1:1
	s_sub_i32 s11, s9, 64
	s_waitcnt lgkmcnt(0)
	v_fma_f64 v[56:57], -v[14:15], v[70:71], v[56:57]
	v_mov_b32_e32 v66, s11
	v_fma_f64 v[56:57], -v[16:17], v[68:69], v[56:57]
	ds_read2_b64 v[66:69], v66 offset1:1
	s_add_i32 s11, s9, 0xffffffb0
	v_fma_f64 v[56:57], -v[18:19], v[74:75], v[56:57]
	v_mov_b32_e32 v70, s11
	v_fma_f64 v[56:57], -v[20:21], v[72:73], v[56:57]
	ds_read2_b64 v[76:79], v70 offset1:1
	s_waitcnt lgkmcnt(0)
	v_fma_f64 v[56:57], -v[24:25], v[68:69], v[56:57]
	s_add_i32 s11, s9, 0xffffffa0
	v_fma_f64 v[56:57], -v[26:27], v[66:67], v[56:57]
	v_mov_b32_e32 v66, s11
	ds_read2_b64 v[66:69], v66 offset1:1
	v_fma_f64 v[56:57], -v[28:29], v[78:79], v[56:57]
	s_add_i32 s11, s9, 0xffffff90
	v_fma_f64 v[56:57], -v[32:33], v[76:77], v[56:57]
	v_mov_b32_e32 v70, s11
	ds_read2_b64 v[70:73], v70 offset1:1
	s_waitcnt lgkmcnt(0)
	v_fma_f64 v[56:57], -v[34:35], v[68:69], v[56:57]
	s_addk_i32 s9, 0xff80
	v_fma_f64 v[56:57], -v[38:39], v[66:67], v[56:57]
	v_mov_b32_e32 v66, s9
	ds_read2_b64 v[66:69], v66 offset1:1
	s_lshl_b32 s9, s0, 3
	s_add_i32 s7, s7, s9
	v_mov_b32_e32 v74, s7
	ds_read2_b64 v[74:77], v74 offset1:1
	v_fma_f64 v[56:57], -v[40:41], v[72:73], v[56:57]
	v_fma_f64 v[56:57], -v[44:45], v[70:71], v[56:57]
	s_waitcnt lgkmcnt(0)
	v_fma_f64 v[56:57], -v[46:47], v[68:69], v[56:57]
	v_fma_f64 v[56:57], -v[50:51], v[66:67], v[56:57]
	v_lshl_add_u64 v[66:67], s[0:1], 3, v[0:1]
	s_sub_i32 s0, s2, 19
	s_lshl_b32 s7, s0, 9
	v_fma_f64 v[56:57], -v[54:55], v[76:77], v[56:57]
	s_add_i32 s9, s7, s3
	v_mul_f64 v[56:57], v[74:75], v[56:57]
	s_add_i32 s11, s9, -8
	flat_store_dwordx2 v[66:67], v[56:57]
	v_mov_b32_e32 v66, s11
	ds_read2_b64 v[66:69], v66 offset1:1
	s_sub_i32 s11, s9, 24
	v_mov_b32_e32 v70, s11
	ds_read2_b64 v[70:73], v70 offset1:1
	s_sub_i32 s11, s9, 40
	s_waitcnt lgkmcnt(0)
	v_fma_f64 v[60:61], -v[6:7], v[68:69], v[60:61]
	v_fma_f64 v[60:61], -v[12:13], v[66:67], v[60:61]
	v_mov_b32_e32 v66, s11
	ds_read2_b64 v[66:69], v66 offset1:1
	v_fma_f64 v[60:61], -v[10:11], v[72:73], v[60:61]
	s_sub_i32 s11, s9, 56
	v_fma_f64 v[60:61], -v[14:15], v[70:71], v[60:61]
	v_mov_b32_e32 v70, s11
	ds_read2_b64 v[70:73], v70 offset1:1
	s_waitcnt lgkmcnt(0)
	v_fma_f64 v[60:61], -v[16:17], v[68:69], v[60:61]
	s_add_i32 s11, s9, 0xffffffb8
	v_fma_f64 v[60:61], -v[18:19], v[66:67], v[60:61]
	v_mov_b32_e32 v66, s11
	ds_read2_b64 v[66:69], v66 offset1:1
	s_add_i32 s11, s9, 0xffffffa8
	v_fma_f64 v[60:61], -v[20:21], v[72:73], v[60:61]
	v_mov_b32_e32 v74, s11
	v_fma_f64 v[60:61], -v[24:25], v[70:71], v[60:61]
	ds_read2_b64 v[74:77], v74 offset1:1
	s_waitcnt lgkmcnt(0)
	v_fma_f64 v[60:61], -v[26:27], v[68:69], v[60:61]
	s_add_i32 s11, s9, 0xffffff98
	v_fma_f64 v[60:61], -v[28:29], v[66:67], v[60:61]
	v_mov_b32_e32 v66, s11
	ds_read2_b64 v[66:69], v66 offset1:1
	v_fma_f64 v[60:61], -v[32:33], v[76:77], v[60:61]
	s_add_i32 s11, s9, 0xffffff88
	v_fma_f64 v[60:61], -v[34:35], v[74:75], v[60:61]
	v_mov_b32_e32 v70, s11
	ds_read2_b64 v[70:73], v70 offset1:1
	s_waitcnt lgkmcnt(0)
	v_fma_f64 v[60:61], -v[38:39], v[68:69], v[60:61]
	s_addk_i32 s9, 0xff78
	v_fma_f64 v[60:61], -v[40:41], v[66:67], v[60:61]
	v_mov_b32_e32 v66, s9
	s_lshl_b32 s9, s0, 3
	ds_read2_b64 v[66:69], v66 offset1:1
	s_add_i32 s7, s7, s9
	v_mov_b32_e32 v74, s7
	ds_read2_b64 v[74:77], v74 offset1:1
	v_fma_f64 v[60:61], -v[44:45], v[72:73], v[60:61]
	v_fma_f64 v[60:61], -v[46:47], v[70:71], v[60:61]
	s_waitcnt lgkmcnt(0)
	v_fma_f64 v[60:61], -v[50:51], v[68:69], v[60:61]
	v_fma_f64 v[60:61], -v[54:55], v[66:67], v[60:61]
	v_lshl_add_u64 v[66:67], s[0:1], 3, v[0:1]
	s_sub_i32 s0, s2, 20
	v_fma_f64 v[60:61], -v[56:57], v[76:77], v[60:61]
	s_lshl_b32 s7, s0, 9
	v_mul_f64 v[60:61], v[74:75], v[60:61]
	s_add_i32 s9, s7, s3
	flat_store_dwordx2 v[66:67], v[60:61]
	v_mov_b32_e32 v66, s9
	ds_read_b64 v[70:71], v66
	s_add_i32 s11, s9, -16
	v_mov_b32_e32 v66, s11
	ds_read2_b64 v[66:69], v66 offset1:1
	s_sub_i32 s11, s9, 32
	s_waitcnt lgkmcnt(0)
	v_fma_f64 v[64:65], -v[6:7], v[70:71], v[64:65]
	v_mov_b32_e32 v70, s11
	ds_read2_b64 v[70:73], v70 offset1:1
	s_sub_i32 s11, s9, 48
	v_mov_b32_e32 v74, s11
	ds_read2_b64 v[74:77], v74 offset1:1
	v_fma_f64 v[64:65], -v[12:13], v[68:69], v[64:65]
	v_fma_f64 v[64:65], -v[10:11], v[66:67], v[64:65]
	s_waitcnt lgkmcnt(0)
	v_fma_f64 v[64:65], -v[14:15], v[72:73], v[64:65]
	v_fma_f64 v[64:65], -v[16:17], v[70:71], v[64:65]
	s_sub_i32 s11, s9, 64
	v_fma_f64 v[68:69], -v[18:19], v[76:77], v[64:65]
	v_mov_b32_e32 v64, s11
	ds_read2_b64 v[64:67], v64 offset1:1
	s_add_i32 s11, s9, 0xffffffb0
	v_fma_f64 v[72:73], -v[20:21], v[74:75], v[68:69]
	v_mov_b32_e32 v68, s11
	ds_read2_b64 v[68:71], v68 offset1:1
	s_waitcnt lgkmcnt(0)
	v_fma_f64 v[66:67], -v[24:25], v[66:67], v[72:73]
	s_add_i32 s11, s9, 0xffffffa0
	v_fma_f64 v[76:77], -v[26:27], v[64:65], v[66:67]
	v_mov_b32_e32 v64, s11
	ds_read2_b64 v[64:67], v64 offset1:1
	s_add_i32 s11, s9, 0xffffff90
	v_mov_b32_e32 v72, s11
	ds_read2_b64 v[72:75], v72 offset1:1
	v_fma_f64 v[70:71], -v[28:29], v[70:71], v[76:77]
	v_fma_f64 v[68:69], -v[32:33], v[68:69], v[70:71]
	s_waitcnt lgkmcnt(0)
	v_fma_f64 v[66:67], -v[34:35], v[66:67], v[68:69]
	v_fma_f64 v[64:65], -v[38:39], v[64:65], v[66:67]
	;; [unrolled: 1-line block ×3, first 2 shown]
	s_add_i32 s11, s9, 0xffffff80
	s_addk_i32 s9, 0xff70
	v_fma_f64 v[76:77], -v[44:45], v[72:73], v[64:65]
	v_mov_b32_e32 v64, s11
	v_mov_b32_e32 v68, s9
	ds_read2_b64 v[64:67], v64 offset1:1
	ds_read2_b64 v[68:71], v68 offset1:1
	s_lshl_b32 s9, s0, 3
	s_add_i32 s7, s7, s9
	v_mov_b32_e32 v72, s7
	ds_read2_b64 v[72:75], v72 offset1:1
	s_waitcnt lgkmcnt(0)
	v_fma_f64 v[66:67], -v[46:47], v[66:67], v[76:77]
	v_fma_f64 v[64:65], -v[50:51], v[64:65], v[66:67]
	;; [unrolled: 1-line block ×3, first 2 shown]
	v_lshl_add_u64 v[66:67], s[0:1], 3, v[0:1]
	s_sub_i32 s0, s2, 21
	v_fma_f64 v[64:65], -v[56:57], v[68:69], v[64:65]
	s_lshl_b32 s7, s0, 9
	v_fma_f64 v[64:65], -v[60:61], v[74:75], v[64:65]
	s_add_i32 s9, s7, s3
	v_mul_f64 v[64:65], v[72:73], v[64:65]
	s_add_i32 s11, s9, -8
	flat_store_dwordx2 v[66:67], v[64:65]
	v_mov_b32_e32 v66, s11
	ds_read2_b64 v[66:69], v66 offset1:1
	s_sub_i32 s11, s9, 24
	v_mov_b32_e32 v70, s11
	ds_read2_b64 v[70:73], v70 offset1:1
	s_sub_i32 s11, s9, 40
	s_waitcnt lgkmcnt(0)
	v_fma_f64 v[62:63], -v[6:7], v[68:69], v[62:63]
	v_fma_f64 v[62:63], -v[12:13], v[66:67], v[62:63]
	v_mov_b32_e32 v66, s11
	ds_read2_b64 v[66:69], v66 offset1:1
	s_sub_i32 s11, s9, 56
	v_fma_f64 v[62:63], -v[10:11], v[72:73], v[62:63]
	v_mov_b32_e32 v74, s11
	v_fma_f64 v[62:63], -v[14:15], v[70:71], v[62:63]
	ds_read2_b64 v[74:77], v74 offset1:1
	s_waitcnt lgkmcnt(0)
	v_fma_f64 v[62:63], -v[16:17], v[68:69], v[62:63]
	s_add_i32 s11, s9, 0xffffffb8
	v_fma_f64 v[62:63], -v[18:19], v[66:67], v[62:63]
	v_mov_b32_e32 v66, s11
	ds_read2_b64 v[66:69], v66 offset1:1
	v_fma_f64 v[62:63], -v[20:21], v[76:77], v[62:63]
	s_add_i32 s11, s9, 0xffffffa8
	v_fma_f64 v[62:63], -v[24:25], v[74:75], v[62:63]
	v_mov_b32_e32 v70, s11
	ds_read2_b64 v[70:73], v70 offset1:1
	s_waitcnt lgkmcnt(0)
	v_fma_f64 v[62:63], -v[26:27], v[68:69], v[62:63]
	s_add_i32 s11, s9, 0xffffff98
	v_fma_f64 v[62:63], -v[28:29], v[66:67], v[62:63]
	v_mov_b32_e32 v66, s11
	ds_read2_b64 v[66:69], v66 offset1:1
	s_add_i32 s11, s9, 0xffffff88
	v_mov_b32_e32 v74, s11
	ds_read2_b64 v[74:77], v74 offset1:1
	v_fma_f64 v[62:63], -v[32:33], v[72:73], v[62:63]
	v_fma_f64 v[62:63], -v[34:35], v[70:71], v[62:63]
	s_waitcnt lgkmcnt(0)
	v_fma_f64 v[62:63], -v[38:39], v[68:69], v[62:63]
	s_add_i32 s11, s9, 0xffffff78
	s_addk_i32 s9, 0xff68
	v_fma_f64 v[62:63], -v[40:41], v[66:67], v[62:63]
	v_mov_b32_e32 v66, s11
	v_mov_b32_e32 v70, s9
	ds_read2_b64 v[66:69], v66 offset1:1
	ds_read2_b64 v[70:73], v70 offset1:1
	s_lshl_b32 s9, s0, 3
	v_fma_f64 v[62:63], -v[44:45], v[76:77], v[62:63]
	s_add_i32 s7, s7, s9
	v_fma_f64 v[62:63], -v[46:47], v[74:75], v[62:63]
	v_mov_b32_e32 v74, s7
	ds_read2_b64 v[74:77], v74 offset1:1
	s_waitcnt lgkmcnt(0)
	v_fma_f64 v[62:63], -v[50:51], v[68:69], v[62:63]
	v_fma_f64 v[62:63], -v[54:55], v[66:67], v[62:63]
	;; [unrolled: 1-line block ×4, first 2 shown]
	v_lshl_add_u64 v[66:67], s[0:1], 3, v[0:1]
	s_sub_i32 s0, s2, 22
	v_fma_f64 v[62:63], -v[64:65], v[76:77], v[62:63]
	s_lshl_b32 s7, s0, 9
	v_mul_f64 v[62:63], v[74:75], v[62:63]
	s_add_i32 s9, s7, s3
	flat_store_dwordx2 v[66:67], v[62:63]
	v_mov_b32_e32 v66, s9
	ds_read_b64 v[70:71], v66
	s_add_i32 s11, s9, -16
	v_mov_b32_e32 v66, s11
	ds_read2_b64 v[66:69], v66 offset1:1
	s_sub_i32 s11, s9, 32
	s_waitcnt lgkmcnt(0)
	v_fma_f64 v[58:59], -v[6:7], v[70:71], v[58:59]
	v_mov_b32_e32 v70, s11
	ds_read2_b64 v[70:73], v70 offset1:1
	s_sub_i32 s11, s9, 48
	v_mov_b32_e32 v74, s11
	ds_read2_b64 v[74:77], v74 offset1:1
	v_fma_f64 v[58:59], -v[12:13], v[68:69], v[58:59]
	s_sub_i32 s11, s9, 64
	v_fma_f64 v[58:59], -v[10:11], v[66:67], v[58:59]
	v_mov_b32_e32 v66, s11
	ds_read2_b64 v[66:69], v66 offset1:1
	s_waitcnt lgkmcnt(0)
	v_fma_f64 v[58:59], -v[14:15], v[72:73], v[58:59]
	v_fma_f64 v[58:59], -v[16:17], v[70:71], v[58:59]
	;; [unrolled: 1-line block ×3, first 2 shown]
	s_add_i32 s11, s9, 0xffffffb0
	v_fma_f64 v[58:59], -v[20:21], v[74:75], v[58:59]
	v_mov_b32_e32 v70, s11
	ds_read2_b64 v[70:73], v70 offset1:1
	v_fma_f64 v[58:59], -v[24:25], v[68:69], v[58:59]
	s_add_i32 s11, s9, 0xffffffa0
	v_fma_f64 v[58:59], -v[26:27], v[66:67], v[58:59]
	v_mov_b32_e32 v66, s11
	ds_read2_b64 v[66:69], v66 offset1:1
	s_add_i32 s11, s9, 0xffffff90
	s_waitcnt lgkmcnt(0)
	v_fma_f64 v[58:59], -v[28:29], v[72:73], v[58:59]
	v_mov_b32_e32 v74, s11
	v_fma_f64 v[58:59], -v[32:33], v[70:71], v[58:59]
	ds_read2_b64 v[74:77], v74 offset1:1
	v_fma_f64 v[58:59], -v[34:35], v[68:69], v[58:59]
	s_add_i32 s11, s9, 0xffffff80
	v_fma_f64 v[58:59], -v[38:39], v[66:67], v[58:59]
	v_mov_b32_e32 v66, s11
	ds_read2_b64 v[66:69], v66 offset1:1
	s_waitcnt lgkmcnt(0)
	v_fma_f64 v[58:59], -v[40:41], v[76:77], v[58:59]
	s_add_i32 s11, s9, 0xffffff70
	v_fma_f64 v[58:59], -v[44:45], v[74:75], v[58:59]
	v_mov_b32_e32 v70, s11
	ds_read2_b64 v[70:73], v70 offset1:1
	v_fma_f64 v[58:59], -v[46:47], v[68:69], v[58:59]
	s_addk_i32 s9, 0xff60
	v_fma_f64 v[58:59], -v[50:51], v[66:67], v[58:59]
	v_mov_b32_e32 v66, s9
	ds_read2_b64 v[66:69], v66 offset1:1
	s_lshl_b32 s9, s0, 3
	s_add_i32 s7, s7, s9
	v_mov_b32_e32 v74, s7
	ds_read2_b64 v[74:77], v74 offset1:1
	s_waitcnt lgkmcnt(0)
	v_fma_f64 v[58:59], -v[54:55], v[72:73], v[58:59]
	v_fma_f64 v[58:59], -v[56:57], v[70:71], v[58:59]
	;; [unrolled: 1-line block ×4, first 2 shown]
	v_lshl_add_u64 v[66:67], s[0:1], 3, v[0:1]
	s_sub_i32 s0, s2, 23
	s_lshl_b32 s7, s0, 9
	v_fma_f64 v[58:59], -v[62:63], v[76:77], v[58:59]
	s_add_i32 s9, s7, s3
	v_mul_f64 v[58:59], v[74:75], v[58:59]
	s_add_i32 s11, s9, -8
	flat_store_dwordx2 v[66:67], v[58:59]
	v_mov_b32_e32 v66, s11
	ds_read2_b64 v[66:69], v66 offset1:1
	s_sub_i32 s11, s9, 24
	v_mov_b32_e32 v70, s11
	ds_read2_b64 v[70:73], v70 offset1:1
	s_sub_i32 s11, s9, 40
	s_waitcnt lgkmcnt(0)
	v_fma_f64 v[52:53], -v[6:7], v[68:69], v[52:53]
	v_fma_f64 v[52:53], -v[12:13], v[66:67], v[52:53]
	v_mov_b32_e32 v66, s11
	ds_read2_b64 v[66:69], v66 offset1:1
	s_sub_i32 s11, s9, 56
	v_fma_f64 v[52:53], -v[10:11], v[72:73], v[52:53]
	v_mov_b32_e32 v74, s11
	v_fma_f64 v[52:53], -v[14:15], v[70:71], v[52:53]
	ds_read2_b64 v[74:77], v74 offset1:1
	s_waitcnt lgkmcnt(0)
	v_fma_f64 v[52:53], -v[16:17], v[68:69], v[52:53]
	s_add_i32 s11, s9, 0xffffffb8
	v_fma_f64 v[52:53], -v[18:19], v[66:67], v[52:53]
	v_mov_b32_e32 v66, s11
	ds_read2_b64 v[66:69], v66 offset1:1
	v_fma_f64 v[52:53], -v[20:21], v[76:77], v[52:53]
	s_add_i32 s11, s9, 0xffffffa8
	v_fma_f64 v[52:53], -v[24:25], v[74:75], v[52:53]
	v_mov_b32_e32 v70, s11
	ds_read2_b64 v[70:73], v70 offset1:1
	s_waitcnt lgkmcnt(0)
	v_fma_f64 v[52:53], -v[26:27], v[68:69], v[52:53]
	s_add_i32 s11, s9, 0xffffff98
	v_fma_f64 v[52:53], -v[28:29], v[66:67], v[52:53]
	v_mov_b32_e32 v66, s11
	ds_read2_b64 v[66:69], v66 offset1:1
	s_add_i32 s11, s9, 0xffffff88
	v_fma_f64 v[52:53], -v[32:33], v[72:73], v[52:53]
	v_mov_b32_e32 v74, s11
	v_fma_f64 v[52:53], -v[34:35], v[70:71], v[52:53]
	ds_read2_b64 v[74:77], v74 offset1:1
	s_waitcnt lgkmcnt(0)
	v_fma_f64 v[52:53], -v[38:39], v[68:69], v[52:53]
	s_add_i32 s11, s9, 0xffffff78
	v_fma_f64 v[52:53], -v[40:41], v[66:67], v[52:53]
	v_mov_b32_e32 v66, s11
	ds_read2_b64 v[66:69], v66 offset1:1
	v_fma_f64 v[52:53], -v[44:45], v[76:77], v[52:53]
	s_add_i32 s11, s9, 0xffffff68
	v_fma_f64 v[52:53], -v[46:47], v[74:75], v[52:53]
	v_mov_b32_e32 v70, s11
	ds_read2_b64 v[70:73], v70 offset1:1
	s_waitcnt lgkmcnt(0)
	v_fma_f64 v[52:53], -v[50:51], v[68:69], v[52:53]
	s_addk_i32 s9, 0xff58
	v_fma_f64 v[52:53], -v[54:55], v[66:67], v[52:53]
	v_mov_b32_e32 v66, s9
	ds_read2_b64 v[66:69], v66 offset1:1
	s_lshl_b32 s9, s0, 3
	s_add_i32 s7, s7, s9
	v_mov_b32_e32 v74, s7
	ds_read2_b64 v[74:77], v74 offset1:1
	v_fma_f64 v[52:53], -v[56:57], v[72:73], v[52:53]
	v_fma_f64 v[52:53], -v[60:61], v[70:71], v[52:53]
	s_waitcnt lgkmcnt(0)
	v_fma_f64 v[52:53], -v[64:65], v[68:69], v[52:53]
	v_fma_f64 v[52:53], -v[62:63], v[66:67], v[52:53]
	v_lshl_add_u64 v[66:67], s[0:1], 3, v[0:1]
	s_sub_i32 s0, s2, 24
	s_lshl_b32 s7, s0, 9
	v_fma_f64 v[52:53], -v[58:59], v[76:77], v[52:53]
	s_add_i32 s9, s7, s3
	v_mul_f64 v[52:53], v[74:75], v[52:53]
	s_add_i32 s11, s9, -16
	flat_store_dwordx2 v[66:67], v[52:53]
	v_mov_b32_e32 v66, s9
	v_mov_b32_e32 v67, s11
	ds_read_b64 v[70:71], v66
	ds_read2_b64 v[66:69], v67 offset1:1
	s_sub_i32 s11, s9, 32
	s_waitcnt lgkmcnt(0)
	v_fma_f64 v[48:49], -v[6:7], v[70:71], v[48:49]
	v_fma_f64 v[48:49], -v[12:13], v[68:69], v[48:49]
	v_mov_b32_e32 v68, s11
	ds_read2_b64 v[68:71], v68 offset1:1
	s_sub_i32 s11, s9, 48
	v_fma_f64 v[48:49], -v[10:11], v[66:67], v[48:49]
	v_mov_b32_e32 v66, s11
	ds_read2_b64 v[72:75], v66 offset1:1
	s_sub_i32 s11, s9, 64
	s_waitcnt lgkmcnt(0)
	v_fma_f64 v[48:49], -v[14:15], v[70:71], v[48:49]
	v_mov_b32_e32 v66, s11
	v_fma_f64 v[48:49], -v[16:17], v[68:69], v[48:49]
	ds_read2_b64 v[66:69], v66 offset1:1
	s_add_i32 s11, s9, 0xffffffb0
	v_fma_f64 v[48:49], -v[18:19], v[74:75], v[48:49]
	v_mov_b32_e32 v70, s11
	v_fma_f64 v[48:49], -v[20:21], v[72:73], v[48:49]
	ds_read2_b64 v[76:79], v70 offset1:1
	s_waitcnt lgkmcnt(0)
	v_fma_f64 v[48:49], -v[24:25], v[68:69], v[48:49]
	s_add_i32 s11, s9, 0xffffffa0
	v_fma_f64 v[48:49], -v[26:27], v[66:67], v[48:49]
	v_mov_b32_e32 v66, s11
	ds_read2_b64 v[66:69], v66 offset1:1
	v_fma_f64 v[48:49], -v[28:29], v[78:79], v[48:49]
	s_add_i32 s11, s9, 0xffffff90
	v_fma_f64 v[48:49], -v[32:33], v[76:77], v[48:49]
	v_mov_b32_e32 v70, s11
	ds_read2_b64 v[70:73], v70 offset1:1
	s_waitcnt lgkmcnt(0)
	v_fma_f64 v[48:49], -v[34:35], v[68:69], v[48:49]
	s_add_i32 s11, s9, 0xffffff80
	v_fma_f64 v[48:49], -v[38:39], v[66:67], v[48:49]
	v_mov_b32_e32 v66, s11
	ds_read2_b64 v[66:69], v66 offset1:1
	s_add_i32 s11, s9, 0xffffff70
	v_mov_b32_e32 v74, s11
	ds_read2_b64 v[74:77], v74 offset1:1
	v_fma_f64 v[48:49], -v[40:41], v[72:73], v[48:49]
	v_fma_f64 v[48:49], -v[44:45], v[70:71], v[48:49]
	s_waitcnt lgkmcnt(0)
	v_fma_f64 v[48:49], -v[46:47], v[68:69], v[48:49]
	s_add_i32 s11, s9, 0xffffff60
	s_addk_i32 s9, 0xff50
	v_fma_f64 v[48:49], -v[50:51], v[66:67], v[48:49]
	v_mov_b32_e32 v66, s11
	v_mov_b32_e32 v70, s9
	ds_read2_b64 v[66:69], v66 offset1:1
	ds_read2_b64 v[70:73], v70 offset1:1
	s_lshl_b32 s9, s0, 3
	v_fma_f64 v[48:49], -v[54:55], v[76:77], v[48:49]
	s_add_i32 s7, s7, s9
	v_fma_f64 v[48:49], -v[56:57], v[74:75], v[48:49]
	v_mov_b32_e32 v74, s7
	ds_read2_b64 v[74:77], v74 offset1:1
	s_waitcnt lgkmcnt(0)
	v_fma_f64 v[48:49], -v[60:61], v[68:69], v[48:49]
	v_fma_f64 v[48:49], -v[64:65], v[66:67], v[48:49]
	;; [unrolled: 1-line block ×3, first 2 shown]
	v_lshl_add_u64 v[66:67], s[0:1], 3, v[0:1]
	s_sub_i32 s0, s2, 25
	v_fma_f64 v[48:49], -v[58:59], v[70:71], v[48:49]
	s_lshl_b32 s7, s0, 9
	v_fma_f64 v[48:49], -v[52:53], v[76:77], v[48:49]
	s_add_i32 s9, s7, s3
	v_mul_f64 v[48:49], v[74:75], v[48:49]
	s_add_i32 s11, s9, -8
	flat_store_dwordx2 v[66:67], v[48:49]
	v_mov_b32_e32 v66, s11
	ds_read2_b64 v[66:69], v66 offset1:1
	s_sub_i32 s11, s9, 24
	v_mov_b32_e32 v70, s11
	ds_read2_b64 v[70:73], v70 offset1:1
	s_sub_i32 s11, s9, 40
	s_waitcnt lgkmcnt(0)
	v_fma_f64 v[42:43], -v[6:7], v[68:69], v[42:43]
	v_fma_f64 v[42:43], -v[12:13], v[66:67], v[42:43]
	v_mov_b32_e32 v66, s11
	ds_read2_b64 v[66:69], v66 offset1:1
	v_fma_f64 v[42:43], -v[10:11], v[72:73], v[42:43]
	s_sub_i32 s11, s9, 56
	v_fma_f64 v[42:43], -v[14:15], v[70:71], v[42:43]
	v_mov_b32_e32 v70, s11
	ds_read2_b64 v[70:73], v70 offset1:1
	s_waitcnt lgkmcnt(0)
	v_fma_f64 v[42:43], -v[16:17], v[68:69], v[42:43]
	s_add_i32 s11, s9, 0xffffffb8
	v_fma_f64 v[42:43], -v[18:19], v[66:67], v[42:43]
	v_mov_b32_e32 v66, s11
	ds_read2_b64 v[66:69], v66 offset1:1
	s_add_i32 s11, s9, 0xffffffa8
	v_fma_f64 v[42:43], -v[20:21], v[72:73], v[42:43]
	v_mov_b32_e32 v74, s11
	v_fma_f64 v[42:43], -v[24:25], v[70:71], v[42:43]
	ds_read2_b64 v[74:77], v74 offset1:1
	s_waitcnt lgkmcnt(0)
	v_fma_f64 v[42:43], -v[26:27], v[68:69], v[42:43]
	s_add_i32 s11, s9, 0xffffff98
	v_fma_f64 v[42:43], -v[28:29], v[66:67], v[42:43]
	v_mov_b32_e32 v66, s11
	ds_read2_b64 v[66:69], v66 offset1:1
	v_fma_f64 v[42:43], -v[32:33], v[76:77], v[42:43]
	s_add_i32 s11, s9, 0xffffff88
	v_fma_f64 v[42:43], -v[34:35], v[74:75], v[42:43]
	v_mov_b32_e32 v70, s11
	ds_read2_b64 v[70:73], v70 offset1:1
	s_waitcnt lgkmcnt(0)
	v_fma_f64 v[42:43], -v[38:39], v[68:69], v[42:43]
	s_add_i32 s11, s9, 0xffffff78
	v_fma_f64 v[42:43], -v[40:41], v[66:67], v[42:43]
	v_mov_b32_e32 v66, s11
	ds_read2_b64 v[66:69], v66 offset1:1
	s_add_i32 s11, s9, 0xffffff68
	v_mov_b32_e32 v74, s11
	ds_read2_b64 v[74:77], v74 offset1:1
	v_fma_f64 v[42:43], -v[44:45], v[72:73], v[42:43]
	v_fma_f64 v[42:43], -v[46:47], v[70:71], v[42:43]
	s_waitcnt lgkmcnt(0)
	v_fma_f64 v[42:43], -v[50:51], v[68:69], v[42:43]
	s_add_i32 s11, s9, 0xffffff58
	s_addk_i32 s9, 0xff48
	v_fma_f64 v[42:43], -v[54:55], v[66:67], v[42:43]
	v_mov_b32_e32 v66, s11
	v_mov_b32_e32 v70, s9
	ds_read2_b64 v[66:69], v66 offset1:1
	ds_read2_b64 v[70:73], v70 offset1:1
	s_lshl_b32 s9, s0, 3
	v_fma_f64 v[42:43], -v[56:57], v[76:77], v[42:43]
	s_add_i32 s7, s7, s9
	v_fma_f64 v[42:43], -v[60:61], v[74:75], v[42:43]
	v_mov_b32_e32 v74, s7
	ds_read2_b64 v[74:77], v74 offset1:1
	s_waitcnt lgkmcnt(0)
	v_fma_f64 v[42:43], -v[64:65], v[68:69], v[42:43]
	v_fma_f64 v[42:43], -v[62:63], v[66:67], v[42:43]
	;; [unrolled: 1-line block ×3, first 2 shown]
	v_lshl_add_u64 v[66:67], s[0:1], 3, v[0:1]
	s_sub_i32 s0, s2, 26
	v_fma_f64 v[42:43], -v[52:53], v[70:71], v[42:43]
	s_lshl_b32 s7, s0, 9
	v_fma_f64 v[42:43], -v[48:49], v[76:77], v[42:43]
	s_add_i32 s9, s7, s3
	v_mul_f64 v[42:43], v[74:75], v[42:43]
	s_add_i32 s11, s9, -16
	flat_store_dwordx2 v[66:67], v[42:43]
	v_mov_b32_e32 v66, s9
	v_mov_b32_e32 v67, s11
	ds_read_b64 v[70:71], v66
	ds_read2_b64 v[66:69], v67 offset1:1
	s_sub_i32 s11, s9, 32
	s_waitcnt lgkmcnt(0)
	v_fma_f64 v[36:37], -v[6:7], v[70:71], v[36:37]
	v_fma_f64 v[36:37], -v[12:13], v[68:69], v[36:37]
	v_mov_b32_e32 v68, s11
	ds_read2_b64 v[68:71], v68 offset1:1
	s_sub_i32 s11, s9, 48
	v_fma_f64 v[36:37], -v[10:11], v[66:67], v[36:37]
	v_mov_b32_e32 v66, s11
	ds_read2_b64 v[72:75], v66 offset1:1
	s_sub_i32 s11, s9, 64
	s_waitcnt lgkmcnt(0)
	v_fma_f64 v[36:37], -v[14:15], v[70:71], v[36:37]
	v_mov_b32_e32 v66, s11
	v_fma_f64 v[36:37], -v[16:17], v[68:69], v[36:37]
	ds_read2_b64 v[66:69], v66 offset1:1
	s_add_i32 s11, s9, 0xffffffb0
	v_fma_f64 v[36:37], -v[18:19], v[74:75], v[36:37]
	v_mov_b32_e32 v70, s11
	v_fma_f64 v[36:37], -v[20:21], v[72:73], v[36:37]
	ds_read2_b64 v[76:79], v70 offset1:1
	s_waitcnt lgkmcnt(0)
	v_fma_f64 v[36:37], -v[24:25], v[68:69], v[36:37]
	s_add_i32 s11, s9, 0xffffffa0
	v_fma_f64 v[36:37], -v[26:27], v[66:67], v[36:37]
	v_mov_b32_e32 v66, s11
	ds_read2_b64 v[66:69], v66 offset1:1
	v_fma_f64 v[36:37], -v[28:29], v[78:79], v[36:37]
	s_add_i32 s11, s9, 0xffffff90
	v_fma_f64 v[36:37], -v[32:33], v[76:77], v[36:37]
	v_mov_b32_e32 v70, s11
	ds_read2_b64 v[70:73], v70 offset1:1
	s_waitcnt lgkmcnt(0)
	v_fma_f64 v[36:37], -v[34:35], v[68:69], v[36:37]
	s_add_i32 s11, s9, 0xffffff80
	v_fma_f64 v[36:37], -v[38:39], v[66:67], v[36:37]
	v_mov_b32_e32 v66, s11
	ds_read2_b64 v[66:69], v66 offset1:1
	s_add_i32 s11, s9, 0xffffff70
	v_fma_f64 v[36:37], -v[40:41], v[72:73], v[36:37]
	v_mov_b32_e32 v74, s11
	v_fma_f64 v[36:37], -v[44:45], v[70:71], v[36:37]
	ds_read2_b64 v[74:77], v74 offset1:1
	s_waitcnt lgkmcnt(0)
	v_fma_f64 v[36:37], -v[46:47], v[68:69], v[36:37]
	s_add_i32 s11, s9, 0xffffff60
	v_fma_f64 v[36:37], -v[50:51], v[66:67], v[36:37]
	v_mov_b32_e32 v66, s11
	ds_read2_b64 v[66:69], v66 offset1:1
	v_fma_f64 v[36:37], -v[54:55], v[76:77], v[36:37]
	s_add_i32 s11, s9, 0xffffff50
	v_fma_f64 v[36:37], -v[56:57], v[74:75], v[36:37]
	v_mov_b32_e32 v70, s11
	ds_read2_b64 v[70:73], v70 offset1:1
	s_waitcnt lgkmcnt(0)
	v_fma_f64 v[36:37], -v[60:61], v[68:69], v[36:37]
	s_addk_i32 s9, 0xff40
	v_fma_f64 v[36:37], -v[64:65], v[66:67], v[36:37]
	v_mov_b32_e32 v66, s9
	ds_read2_b64 v[66:69], v66 offset1:1
	s_lshl_b32 s9, s0, 3
	s_add_i32 s7, s7, s9
	v_mov_b32_e32 v74, s7
	ds_read2_b64 v[74:77], v74 offset1:1
	v_fma_f64 v[36:37], -v[62:63], v[72:73], v[36:37]
	v_fma_f64 v[36:37], -v[58:59], v[70:71], v[36:37]
	s_waitcnt lgkmcnt(0)
	v_fma_f64 v[36:37], -v[52:53], v[68:69], v[36:37]
	v_fma_f64 v[36:37], -v[48:49], v[66:67], v[36:37]
	v_lshl_add_u64 v[66:67], s[0:1], 3, v[0:1]
	s_sub_i32 s0, s2, 27
	s_lshl_b32 s7, s0, 9
	v_fma_f64 v[36:37], -v[42:43], v[76:77], v[36:37]
	s_add_i32 s9, s7, s3
	v_mul_f64 v[36:37], v[74:75], v[36:37]
	s_add_i32 s11, s9, -8
	flat_store_dwordx2 v[66:67], v[36:37]
	v_mov_b32_e32 v66, s11
	ds_read2_b64 v[66:69], v66 offset1:1
	s_sub_i32 s11, s9, 24
	v_mov_b32_e32 v70, s11
	ds_read2_b64 v[70:73], v70 offset1:1
	s_sub_i32 s11, s9, 40
	s_waitcnt lgkmcnt(0)
	v_fma_f64 v[30:31], -v[6:7], v[68:69], v[30:31]
	v_fma_f64 v[30:31], -v[12:13], v[66:67], v[30:31]
	v_mov_b32_e32 v66, s11
	ds_read2_b64 v[66:69], v66 offset1:1
	v_fma_f64 v[30:31], -v[10:11], v[72:73], v[30:31]
	s_sub_i32 s11, s9, 56
	v_fma_f64 v[30:31], -v[14:15], v[70:71], v[30:31]
	v_mov_b32_e32 v70, s11
	ds_read2_b64 v[70:73], v70 offset1:1
	s_waitcnt lgkmcnt(0)
	v_fma_f64 v[30:31], -v[16:17], v[68:69], v[30:31]
	s_add_i32 s11, s9, 0xffffffb8
	v_fma_f64 v[30:31], -v[18:19], v[66:67], v[30:31]
	v_mov_b32_e32 v66, s11
	ds_read2_b64 v[66:69], v66 offset1:1
	s_add_i32 s11, s9, 0xffffffa8
	v_fma_f64 v[30:31], -v[20:21], v[72:73], v[30:31]
	v_mov_b32_e32 v74, s11
	v_fma_f64 v[30:31], -v[24:25], v[70:71], v[30:31]
	ds_read2_b64 v[74:77], v74 offset1:1
	s_waitcnt lgkmcnt(0)
	v_fma_f64 v[30:31], -v[26:27], v[68:69], v[30:31]
	s_add_i32 s11, s9, 0xffffff98
	v_fma_f64 v[30:31], -v[28:29], v[66:67], v[30:31]
	v_mov_b32_e32 v66, s11
	ds_read2_b64 v[66:69], v66 offset1:1
	v_fma_f64 v[30:31], -v[32:33], v[76:77], v[30:31]
	s_add_i32 s11, s9, 0xffffff88
	v_fma_f64 v[30:31], -v[34:35], v[74:75], v[30:31]
	v_mov_b32_e32 v70, s11
	ds_read2_b64 v[70:73], v70 offset1:1
	s_waitcnt lgkmcnt(0)
	v_fma_f64 v[30:31], -v[38:39], v[68:69], v[30:31]
	s_add_i32 s11, s9, 0xffffff78
	v_fma_f64 v[30:31], -v[40:41], v[66:67], v[30:31]
	v_mov_b32_e32 v66, s11
	ds_read2_b64 v[66:69], v66 offset1:1
	s_add_i32 s11, s9, 0xffffff68
	v_fma_f64 v[30:31], -v[44:45], v[72:73], v[30:31]
	v_mov_b32_e32 v74, s11
	v_fma_f64 v[30:31], -v[46:47], v[70:71], v[30:31]
	ds_read2_b64 v[74:77], v74 offset1:1
	s_waitcnt lgkmcnt(0)
	v_fma_f64 v[30:31], -v[50:51], v[68:69], v[30:31]
	s_add_i32 s11, s9, 0xffffff58
	v_fma_f64 v[30:31], -v[54:55], v[66:67], v[30:31]
	v_mov_b32_e32 v66, s11
	ds_read2_b64 v[66:69], v66 offset1:1
	v_fma_f64 v[30:31], -v[56:57], v[76:77], v[30:31]
	s_add_i32 s11, s9, 0xffffff48
	v_fma_f64 v[30:31], -v[60:61], v[74:75], v[30:31]
	v_mov_b32_e32 v70, s11
	ds_read2_b64 v[70:73], v70 offset1:1
	s_waitcnt lgkmcnt(0)
	v_fma_f64 v[30:31], -v[64:65], v[68:69], v[30:31]
	s_addk_i32 s9, 0xff38
	v_fma_f64 v[30:31], -v[62:63], v[66:67], v[30:31]
	v_mov_b32_e32 v66, s9
	s_lshl_b32 s9, s0, 3
	ds_read2_b64 v[66:69], v66 offset1:1
	s_add_i32 s7, s7, s9
	v_mov_b32_e32 v74, s7
	ds_read2_b64 v[74:77], v74 offset1:1
	v_fma_f64 v[30:31], -v[58:59], v[72:73], v[30:31]
	v_fma_f64 v[30:31], -v[52:53], v[70:71], v[30:31]
	s_waitcnt lgkmcnt(0)
	v_fma_f64 v[30:31], -v[48:49], v[68:69], v[30:31]
	v_fma_f64 v[30:31], -v[42:43], v[66:67], v[30:31]
	v_lshl_add_u64 v[66:67], s[0:1], 3, v[0:1]
	s_sub_i32 s0, s2, 28
	v_fma_f64 v[30:31], -v[36:37], v[76:77], v[30:31]
	s_lshl_b32 s7, s0, 9
	v_mul_f64 v[30:31], v[74:75], v[30:31]
	s_add_i32 s9, s7, s3
	flat_store_dwordx2 v[66:67], v[30:31]
	v_mov_b32_e32 v66, s9
	ds_read_b64 v[70:71], v66
	s_add_i32 s11, s9, -16
	v_mov_b32_e32 v66, s11
	ds_read2_b64 v[66:69], v66 offset1:1
	s_sub_i32 s11, s9, 32
	s_waitcnt lgkmcnt(0)
	v_fma_f64 v[22:23], -v[6:7], v[70:71], v[22:23]
	v_mov_b32_e32 v70, s11
	ds_read2_b64 v[70:73], v70 offset1:1
	s_sub_i32 s11, s9, 48
	v_mov_b32_e32 v74, s11
	ds_read2_b64 v[74:77], v74 offset1:1
	v_fma_f64 v[22:23], -v[12:13], v[68:69], v[22:23]
	s_sub_i32 s11, s9, 64
	v_fma_f64 v[22:23], -v[10:11], v[66:67], v[22:23]
	v_mov_b32_e32 v66, s11
	ds_read2_b64 v[66:69], v66 offset1:1
	s_waitcnt lgkmcnt(0)
	v_fma_f64 v[22:23], -v[14:15], v[72:73], v[22:23]
	v_fma_f64 v[22:23], -v[16:17], v[70:71], v[22:23]
	;; [unrolled: 1-line block ×3, first 2 shown]
	s_add_i32 s11, s9, 0xffffffb0
	v_fma_f64 v[22:23], -v[20:21], v[74:75], v[22:23]
	v_mov_b32_e32 v70, s11
	ds_read2_b64 v[70:73], v70 offset1:1
	v_fma_f64 v[22:23], -v[24:25], v[68:69], v[22:23]
	s_add_i32 s11, s9, 0xffffffa0
	v_fma_f64 v[22:23], -v[26:27], v[66:67], v[22:23]
	v_mov_b32_e32 v66, s11
	ds_read2_b64 v[66:69], v66 offset1:1
	s_add_i32 s11, s9, 0xffffff90
	s_waitcnt lgkmcnt(0)
	v_fma_f64 v[22:23], -v[28:29], v[72:73], v[22:23]
	v_mov_b32_e32 v74, s11
	v_fma_f64 v[22:23], -v[32:33], v[70:71], v[22:23]
	ds_read2_b64 v[74:77], v74 offset1:1
	v_fma_f64 v[22:23], -v[34:35], v[68:69], v[22:23]
	s_add_i32 s11, s9, 0xffffff80
	v_fma_f64 v[22:23], -v[38:39], v[66:67], v[22:23]
	v_mov_b32_e32 v66, s11
	ds_read2_b64 v[66:69], v66 offset1:1
	s_waitcnt lgkmcnt(0)
	v_fma_f64 v[22:23], -v[40:41], v[76:77], v[22:23]
	s_add_i32 s11, s9, 0xffffff70
	v_fma_f64 v[22:23], -v[44:45], v[74:75], v[22:23]
	v_mov_b32_e32 v70, s11
	ds_read2_b64 v[70:73], v70 offset1:1
	v_fma_f64 v[22:23], -v[46:47], v[68:69], v[22:23]
	s_add_i32 s11, s9, 0xffffff60
	v_fma_f64 v[22:23], -v[50:51], v[66:67], v[22:23]
	v_mov_b32_e32 v66, s11
	ds_read2_b64 v[66:69], v66 offset1:1
	s_add_i32 s11, s9, 0xffffff50
	v_mov_b32_e32 v74, s11
	ds_read2_b64 v[74:77], v74 offset1:1
	s_waitcnt lgkmcnt(0)
	v_fma_f64 v[22:23], -v[54:55], v[72:73], v[22:23]
	v_fma_f64 v[22:23], -v[56:57], v[70:71], v[22:23]
	;; [unrolled: 1-line block ×3, first 2 shown]
	s_add_i32 s11, s9, 0xffffff40
	s_addk_i32 s9, 0xff30
	v_fma_f64 v[22:23], -v[64:65], v[66:67], v[22:23]
	v_mov_b32_e32 v66, s11
	v_mov_b32_e32 v70, s9
	ds_read2_b64 v[66:69], v66 offset1:1
	ds_read2_b64 v[70:73], v70 offset1:1
	s_lshl_b32 s9, s0, 3
	v_fma_f64 v[22:23], -v[62:63], v[76:77], v[22:23]
	s_add_i32 s7, s7, s9
	v_fma_f64 v[22:23], -v[58:59], v[74:75], v[22:23]
	v_mov_b32_e32 v74, s7
	ds_read2_b64 v[74:77], v74 offset1:1
	s_waitcnt lgkmcnt(0)
	v_fma_f64 v[22:23], -v[52:53], v[68:69], v[22:23]
	v_fma_f64 v[22:23], -v[48:49], v[66:67], v[22:23]
	;; [unrolled: 1-line block ×3, first 2 shown]
	v_lshl_add_u64 v[66:67], s[0:1], 3, v[0:1]
	s_sub_i32 s0, s2, 29
	v_fma_f64 v[22:23], -v[36:37], v[70:71], v[22:23]
	s_lshl_b32 s7, s0, 9
	v_fma_f64 v[22:23], -v[30:31], v[76:77], v[22:23]
	s_add_i32 s9, s7, s3
	v_mul_f64 v[22:23], v[74:75], v[22:23]
	s_add_i32 s11, s9, -8
	flat_store_dwordx2 v[66:67], v[22:23]
	v_mov_b32_e32 v66, s11
	ds_read2_b64 v[66:69], v66 offset1:1
	s_sub_i32 s11, s9, 24
	v_mov_b32_e32 v70, s11
	ds_read2_b64 v[70:73], v70 offset1:1
	s_sub_i32 s11, s9, 40
	s_waitcnt lgkmcnt(0)
	v_fma_f64 v[8:9], -v[6:7], v[68:69], v[8:9]
	v_fma_f64 v[8:9], -v[12:13], v[66:67], v[8:9]
	v_mov_b32_e32 v66, s11
	ds_read2_b64 v[66:69], v66 offset1:1
	s_sub_i32 s11, s9, 56
	v_fma_f64 v[8:9], -v[10:11], v[72:73], v[8:9]
	v_mov_b32_e32 v74, s11
	v_fma_f64 v[8:9], -v[14:15], v[70:71], v[8:9]
	ds_read2_b64 v[74:77], v74 offset1:1
	s_waitcnt lgkmcnt(0)
	v_fma_f64 v[8:9], -v[16:17], v[68:69], v[8:9]
	s_add_i32 s11, s9, 0xffffffb8
	v_fma_f64 v[8:9], -v[18:19], v[66:67], v[8:9]
	v_mov_b32_e32 v66, s11
	ds_read2_b64 v[66:69], v66 offset1:1
	v_fma_f64 v[8:9], -v[20:21], v[76:77], v[8:9]
	s_add_i32 s11, s9, 0xffffffa8
	v_fma_f64 v[8:9], -v[24:25], v[74:75], v[8:9]
	v_mov_b32_e32 v70, s11
	ds_read2_b64 v[70:73], v70 offset1:1
	s_waitcnt lgkmcnt(0)
	v_fma_f64 v[8:9], -v[26:27], v[68:69], v[8:9]
	s_add_i32 s11, s9, 0xffffff98
	v_fma_f64 v[8:9], -v[28:29], v[66:67], v[8:9]
	v_mov_b32_e32 v66, s11
	ds_read2_b64 v[66:69], v66 offset1:1
	s_add_i32 s11, s9, 0xffffff88
	v_fma_f64 v[8:9], -v[32:33], v[72:73], v[8:9]
	v_mov_b32_e32 v74, s11
	v_fma_f64 v[8:9], -v[34:35], v[70:71], v[8:9]
	ds_read2_b64 v[74:77], v74 offset1:1
	s_waitcnt lgkmcnt(0)
	v_fma_f64 v[8:9], -v[38:39], v[68:69], v[8:9]
	s_add_i32 s11, s9, 0xffffff78
	v_fma_f64 v[8:9], -v[40:41], v[66:67], v[8:9]
	v_mov_b32_e32 v66, s11
	ds_read2_b64 v[66:69], v66 offset1:1
	v_fma_f64 v[8:9], -v[44:45], v[76:77], v[8:9]
	s_add_i32 s11, s9, 0xffffff68
	v_fma_f64 v[8:9], -v[46:47], v[74:75], v[8:9]
	v_mov_b32_e32 v70, s11
	ds_read2_b64 v[70:73], v70 offset1:1
	s_waitcnt lgkmcnt(0)
	v_fma_f64 v[8:9], -v[50:51], v[68:69], v[8:9]
	s_add_i32 s11, s9, 0xffffff58
	v_fma_f64 v[8:9], -v[54:55], v[66:67], v[8:9]
	v_mov_b32_e32 v66, s11
	ds_read2_b64 v[66:69], v66 offset1:1
	s_add_i32 s11, s9, 0xffffff48
	v_mov_b32_e32 v74, s11
	ds_read2_b64 v[74:77], v74 offset1:1
	v_fma_f64 v[8:9], -v[56:57], v[72:73], v[8:9]
	v_fma_f64 v[8:9], -v[60:61], v[70:71], v[8:9]
	s_waitcnt lgkmcnt(0)
	v_fma_f64 v[8:9], -v[64:65], v[68:69], v[8:9]
	s_add_i32 s11, s9, 0xffffff38
	s_addk_i32 s9, 0xff28
	v_fma_f64 v[8:9], -v[62:63], v[66:67], v[8:9]
	v_mov_b32_e32 v66, s11
	v_mov_b32_e32 v70, s9
	ds_read2_b64 v[66:69], v66 offset1:1
	ds_read2_b64 v[70:73], v70 offset1:1
	s_lshl_b32 s9, s0, 3
	v_fma_f64 v[8:9], -v[58:59], v[76:77], v[8:9]
	s_add_i32 s7, s7, s9
	v_fma_f64 v[8:9], -v[52:53], v[74:75], v[8:9]
	v_mov_b32_e32 v74, s7
	ds_read2_b64 v[74:77], v74 offset1:1
	s_waitcnt lgkmcnt(0)
	v_fma_f64 v[8:9], -v[48:49], v[68:69], v[8:9]
	v_fma_f64 v[8:9], -v[42:43], v[66:67], v[8:9]
	;; [unrolled: 1-line block ×4, first 2 shown]
	v_lshl_add_u64 v[66:67], s[0:1], 3, v[0:1]
	s_sub_i32 s0, s2, 30
	v_fma_f64 v[8:9], -v[22:23], v[76:77], v[8:9]
	s_lshl_b32 s7, s0, 9
	v_mul_f64 v[8:9], v[74:75], v[8:9]
	s_add_i32 s9, s7, s3
	flat_store_dwordx2 v[66:67], v[8:9]
	v_mov_b32_e32 v66, s9
	ds_read_b64 v[70:71], v66
	s_add_i32 s11, s9, -16
	v_mov_b32_e32 v66, s11
	ds_read2_b64 v[66:69], v66 offset1:1
	s_sub_i32 s11, s9, 32
	s_waitcnt lgkmcnt(0)
	v_fma_f64 v[4:5], -v[6:7], v[70:71], v[4:5]
	v_mov_b32_e32 v70, s11
	ds_read2_b64 v[70:73], v70 offset1:1
	s_sub_i32 s11, s9, 48
	v_mov_b32_e32 v74, s11
	ds_read2_b64 v[74:77], v74 offset1:1
	v_fma_f64 v[4:5], -v[12:13], v[68:69], v[4:5]
	s_sub_i32 s11, s9, 64
	v_fma_f64 v[4:5], -v[10:11], v[66:67], v[4:5]
	v_mov_b32_e32 v66, s11
	ds_read2_b64 v[66:69], v66 offset1:1
	s_waitcnt lgkmcnt(0)
	v_fma_f64 v[4:5], -v[14:15], v[72:73], v[4:5]
	v_fma_f64 v[4:5], -v[16:17], v[70:71], v[4:5]
	;; [unrolled: 1-line block ×3, first 2 shown]
	s_add_i32 s11, s9, 0xffffffb0
	v_fma_f64 v[4:5], -v[20:21], v[74:75], v[4:5]
	v_mov_b32_e32 v70, s11
	ds_read2_b64 v[70:73], v70 offset1:1
	v_fma_f64 v[4:5], -v[24:25], v[68:69], v[4:5]
	s_add_i32 s11, s9, 0xffffffa0
	v_fma_f64 v[4:5], -v[26:27], v[66:67], v[4:5]
	v_mov_b32_e32 v66, s11
	ds_read2_b64 v[66:69], v66 offset1:1
	s_add_i32 s11, s9, 0xffffff90
	s_waitcnt lgkmcnt(0)
	v_fma_f64 v[4:5], -v[28:29], v[72:73], v[4:5]
	v_mov_b32_e32 v74, s11
	v_fma_f64 v[4:5], -v[32:33], v[70:71], v[4:5]
	ds_read2_b64 v[74:77], v74 offset1:1
	v_fma_f64 v[4:5], -v[34:35], v[68:69], v[4:5]
	s_add_i32 s11, s9, 0xffffff80
	v_fma_f64 v[4:5], -v[38:39], v[66:67], v[4:5]
	v_mov_b32_e32 v66, s11
	ds_read2_b64 v[66:69], v66 offset1:1
	s_waitcnt lgkmcnt(0)
	v_fma_f64 v[4:5], -v[40:41], v[76:77], v[4:5]
	s_add_i32 s11, s9, 0xffffff70
	v_fma_f64 v[4:5], -v[44:45], v[74:75], v[4:5]
	v_mov_b32_e32 v70, s11
	ds_read2_b64 v[70:73], v70 offset1:1
	v_fma_f64 v[4:5], -v[46:47], v[68:69], v[4:5]
	s_add_i32 s11, s9, 0xffffff60
	v_fma_f64 v[4:5], -v[50:51], v[66:67], v[4:5]
	v_mov_b32_e32 v66, s11
	ds_read2_b64 v[66:69], v66 offset1:1
	s_add_i32 s11, s9, 0xffffff50
	s_waitcnt lgkmcnt(0)
	v_fma_f64 v[4:5], -v[54:55], v[72:73], v[4:5]
	v_mov_b32_e32 v74, s11
	v_fma_f64 v[4:5], -v[56:57], v[70:71], v[4:5]
	ds_read2_b64 v[74:77], v74 offset1:1
	v_fma_f64 v[4:5], -v[60:61], v[68:69], v[4:5]
	s_add_i32 s11, s9, 0xffffff40
	v_fma_f64 v[4:5], -v[64:65], v[66:67], v[4:5]
	v_mov_b32_e32 v66, s11
	ds_read2_b64 v[66:69], v66 offset1:1
	s_waitcnt lgkmcnt(0)
	v_fma_f64 v[4:5], -v[62:63], v[76:77], v[4:5]
	s_add_i32 s11, s9, 0xffffff30
	v_fma_f64 v[4:5], -v[58:59], v[74:75], v[4:5]
	v_mov_b32_e32 v70, s11
	ds_read2_b64 v[70:73], v70 offset1:1
	v_fma_f64 v[4:5], -v[52:53], v[68:69], v[4:5]
	s_addk_i32 s9, 0xff20
	v_fma_f64 v[4:5], -v[48:49], v[66:67], v[4:5]
	v_mov_b32_e32 v66, s9
	s_lshl_b32 s9, s0, 3
	ds_read2_b64 v[66:69], v66 offset1:1
	s_add_i32 s7, s7, s9
	v_mov_b32_e32 v74, s7
	ds_read2_b64 v[74:77], v74 offset1:1
	s_waitcnt lgkmcnt(0)
	v_fma_f64 v[4:5], -v[42:43], v[72:73], v[4:5]
	v_fma_f64 v[4:5], -v[36:37], v[70:71], v[4:5]
	;; [unrolled: 1-line block ×5, first 2 shown]
	v_mul_f64 v[74:75], v[74:75], v[4:5]
	v_lshl_add_u64 v[4:5], s[0:1], 3, v[0:1]
	s_sub_i32 s0, s2, 31
	s_lshl_b32 s7, s0, 9
	s_add_i32 s9, s7, s3
	s_add_i32 s3, s9, -8
	flat_store_dwordx2 v[4:5], v[74:75]
	v_mov_b32_e32 v4, s3
	ds_read2_b64 v[66:69], v4 offset1:1
	s_sub_i32 s11, s9, 24
	v_mov_b32_e32 v4, s11
	ds_read2_b64 v[70:73], v4 offset1:1
	s_sub_i32 s11, s9, 40
	s_waitcnt lgkmcnt(0)
	v_fma_f64 v[2:3], -v[6:7], v[68:69], v[2:3]
	v_fma_f64 v[6:7], -v[12:13], v[66:67], v[2:3]
	v_mov_b32_e32 v2, s11
	ds_read2_b64 v[2:5], v2 offset1:1
	s_sub_i32 s11, s9, 56
	v_mov_b32_e32 v12, s11
	ds_read2_b64 v[66:69], v12 offset1:1
	v_fma_f64 v[6:7], -v[10:11], v[72:73], v[6:7]
	v_fma_f64 v[6:7], -v[14:15], v[70:71], v[6:7]
	s_waitcnt lgkmcnt(0)
	v_fma_f64 v[4:5], -v[16:17], v[4:5], v[6:7]
	v_fma_f64 v[2:3], -v[18:19], v[2:3], v[4:5]
	s_add_i32 s11, s9, 0xffffffb8
	v_fma_f64 v[6:7], -v[20:21], v[68:69], v[2:3]
	v_mov_b32_e32 v2, s11
	ds_read2_b64 v[2:5], v2 offset1:1
	s_add_i32 s11, s9, 0xffffffa8
	v_fma_f64 v[6:7], -v[24:25], v[66:67], v[6:7]
	v_mov_b32_e32 v10, s11
	ds_read2_b64 v[10:13], v10 offset1:1
	s_waitcnt lgkmcnt(0)
	v_fma_f64 v[4:5], -v[26:27], v[4:5], v[6:7]
	s_add_i32 s11, s9, 0xffffff98
	v_fma_f64 v[6:7], -v[28:29], v[2:3], v[4:5]
	v_mov_b32_e32 v2, s11
	ds_read2_b64 v[2:5], v2 offset1:1
	s_add_i32 s11, s9, 0xffffff88
	v_mov_b32_e32 v14, s11
	ds_read2_b64 v[14:17], v14 offset1:1
	v_fma_f64 v[6:7], -v[32:33], v[12:13], v[6:7]
	v_fma_f64 v[6:7], -v[34:35], v[10:11], v[6:7]
	s_waitcnt lgkmcnt(0)
	v_fma_f64 v[4:5], -v[38:39], v[4:5], v[6:7]
	v_fma_f64 v[2:3], -v[40:41], v[2:3], v[4:5]
	s_add_i32 s11, s9, 0xffffff78
	v_fma_f64 v[6:7], -v[44:45], v[16:17], v[2:3]
	v_mov_b32_e32 v2, s11
	ds_read2_b64 v[2:5], v2 offset1:1
	s_add_i32 s11, s9, 0xffffff68
	v_fma_f64 v[6:7], -v[46:47], v[14:15], v[6:7]
	v_mov_b32_e32 v10, s11
	ds_read2_b64 v[10:13], v10 offset1:1
	s_waitcnt lgkmcnt(0)
	v_fma_f64 v[4:5], -v[50:51], v[4:5], v[6:7]
	s_add_i32 s11, s9, 0xffffff58
	v_fma_f64 v[6:7], -v[54:55], v[2:3], v[4:5]
	v_mov_b32_e32 v2, s11
	ds_read2_b64 v[2:5], v2 offset1:1
	s_add_i32 s11, s9, 0xffffff48
	v_mov_b32_e32 v14, s11
	ds_read2_b64 v[14:17], v14 offset1:1
	v_fma_f64 v[6:7], -v[56:57], v[12:13], v[6:7]
	v_fma_f64 v[6:7], -v[60:61], v[10:11], v[6:7]
	s_waitcnt lgkmcnt(0)
	v_fma_f64 v[4:5], -v[64:65], v[4:5], v[6:7]
	v_fma_f64 v[2:3], -v[62:63], v[2:3], v[4:5]
	s_add_i32 s11, s9, 0xffffff38
	v_fma_f64 v[6:7], -v[58:59], v[16:17], v[2:3]
	v_mov_b32_e32 v2, s11
	ds_read2_b64 v[2:5], v2 offset1:1
	s_add_i32 s11, s9, 0xffffff28
	v_fma_f64 v[6:7], -v[52:53], v[14:15], v[6:7]
	v_mov_b32_e32 v10, s11
	ds_read2_b64 v[10:13], v10 offset1:1
	s_waitcnt lgkmcnt(0)
	v_fma_f64 v[4:5], -v[48:49], v[4:5], v[6:7]
	s_addk_i32 s9, 0xff18
	v_fma_f64 v[6:7], -v[42:43], v[2:3], v[4:5]
	v_mov_b32_e32 v2, s9
	s_lshl_b32 s9, s0, 3
	ds_read2_b64 v[2:5], v2 offset1:1
	s_add_i32 s7, s7, s9
	v_mov_b32_e32 v14, s7
	ds_read2_b64 v[14:17], v14 offset1:1
	v_fma_f64 v[6:7], -v[36:37], v[12:13], v[6:7]
	v_fma_f64 v[6:7], -v[30:31], v[10:11], v[6:7]
	s_waitcnt lgkmcnt(0)
	v_fma_f64 v[4:5], -v[22:23], v[4:5], v[6:7]
	v_fma_f64 v[2:3], -v[8:9], v[2:3], v[4:5]
	v_fma_f64 v[2:3], -v[74:75], v[16:17], v[2:3]
	s_mov_b32 s3, 31
	v_mul_f64 v[2:3], v[14:15], v[2:3]
	v_lshl_add_u64 v[4:5], s[0:1], 3, v[0:1]
	s_cmp_gt_i32 s2, 62
	flat_store_dwordx2 v[4:5], v[2:3]
	s_cbranch_scc0 .LBB110_14
.LBB110_11:                             ; =>This Loop Header: Depth=1
                                        ;     Child Loop BB110_13 Depth 2
	s_mov_b32 s2, s3
	s_mov_b32 s3, s1
	v_lshl_add_u64 v[10:11], s[2:3], 3, v[0:1]
	s_ashr_i32 s3, s2, 31
	v_lshl_add_u64 v[6:7], s[2:3], 3, v[0:1]
	v_add_co_u32_e32 v2, vcc, -8, v6
	s_cmp_le_i32 s8, s2
	s_nop 0
	v_addc_co_u32_e32 v3, vcc, -1, v7, vcc
	v_add_co_u32_e32 v14, vcc, 0xffffffe8, v6
	flat_load_dwordx2 v[8:9], v[10:11]
	flat_load_dwordx2 v[12:13], v[2:3]
	v_addc_co_u32_e32 v15, vcc, -1, v7, vcc
	v_add_co_u32_e32 v16, vcc, 0xffffffd8, v6
	s_waitcnt vmcnt(0) lgkmcnt(0)
	v_mul_f64 v[12:13], s[4:5], v[12:13]
	v_addc_co_u32_e32 v17, vcc, -1, v7, vcc
	flat_load_dwordx4 v[2:5], v[14:15]
	flat_load_dwordx4 v[18:21], v[16:17]
	v_add_co_u32_e32 v14, vcc, 0xffffffc8, v6
	s_waitcnt vmcnt(0) lgkmcnt(0)
	v_mul_f64 v[66:67], s[4:5], v[4:5]
	v_addc_co_u32_e32 v15, vcc, -1, v7, vcc
	v_add_co_u32_e32 v16, vcc, 0xffffffb8, v6
	v_mul_f64 v[18:19], s[4:5], v[18:19]
	s_nop 0
	v_addc_co_u32_e32 v17, vcc, -1, v7, vcc
	flat_load_dwordx4 v[22:25], v[14:15]
	flat_load_dwordx4 v[28:31], v[16:17]
	v_add_co_u32_e32 v14, vcc, 0xffffffa8, v6
	s_waitcnt vmcnt(0) lgkmcnt(0)
	v_mul_f64 v[26:27], s[4:5], v[30:31]
	v_addc_co_u32_e32 v15, vcc, -1, v7, vcc
	v_add_co_u32_e32 v16, vcc, 0xffffff98, v6
	v_mul_f64 v[28:29], s[4:5], v[28:29]
	s_nop 0
	;; [unrolled: 10-line block ×3, first 2 shown]
	v_addc_co_u32_e32 v17, vcc, -1, v7, vcc
	flat_load_dwordx4 v[46:49], v[14:15]
	flat_load_dwordx4 v[52:55], v[16:17]
	v_add_co_u32_e32 v14, vcc, 0xffffff68, v6
	v_mul_f64 v[38:39], s[4:5], v[42:43]
	s_nop 0
	v_addc_co_u32_e32 v15, vcc, -1, v7, vcc
	v_add_co_u32_e32 v16, vcc, 0xffffff58, v6
	v_mul_f64 v[40:41], s[4:5], v[40:41]
	s_nop 0
	v_addc_co_u32_e32 v17, vcc, -1, v7, vcc
	flat_load_dwordx4 v[58:61], v[14:15]
	flat_load_dwordx4 v[62:65], v[16:17]
	v_add_co_u32_e32 v14, vcc, 0xffffff48, v6
	s_waitcnt vmcnt(0) lgkmcnt(0)
	v_mul_f64 v[44:45], s[4:5], v[48:49]
	v_addc_co_u32_e32 v15, vcc, -1, v7, vcc
	v_add_co_u32_e32 v16, vcc, 0xffffff38, v6
	v_mul_f64 v[46:47], s[4:5], v[46:47]
	s_nop 0
	v_addc_co_u32_e32 v17, vcc, -1, v7, vcc
	flat_load_dwordx4 v[68:71], v[14:15]
	flat_load_dwordx4 v[72:75], v[16:17]
	v_add_co_u32_e32 v14, vcc, 0xffffff28, v6
	v_mul_f64 v[50:51], s[4:5], v[54:55]
	s_nop 0
	v_addc_co_u32_e32 v15, vcc, -1, v7, vcc
	v_add_co_u32_e32 v16, vcc, 0xffffff18, v6
	v_mul_f64 v[54:55], s[4:5], v[52:53]
	s_nop 0
	v_addc_co_u32_e32 v17, vcc, -1, v7, vcc
	v_add_co_u32_e32 v6, vcc, 0xffffff08, v6
	flat_load_dwordx4 v[76:79], v[14:15]
	flat_load_dwordx4 v[80:83], v[16:17]
	v_addc_co_u32_e32 v7, vcc, -1, v7, vcc
	flat_load_dwordx4 v[84:87], v[6:7]
	v_mul_f64 v[6:7], s[4:5], v[8:9]
	v_mul_f64 v[14:15], s[4:5], v[2:3]
	;; [unrolled: 1-line block ×9, first 2 shown]
	s_waitcnt vmcnt(0) lgkmcnt(0)
	v_mul_f64 v[58:59], s[4:5], v[70:71]
	v_mul_f64 v[52:53], s[4:5], v[68:69]
	;; [unrolled: 1-line block ×10, first 2 shown]
	s_cbranch_scc1 .LBB110_10
; %bb.12:                               ;   in Loop: Header=BB110_11 Depth=1
	s_lshl_b32 s0, s2, 9
	s_add_i32 s3, s6, s0
	s_mov_b32 s0, s8
.LBB110_13:                             ;   Parent Loop BB110_11 Depth=1
                                        ; =>  This Inner Loop Header: Depth=2
	v_lshl_add_u64 v[68:69], s[0:1], 3, v[0:1]
	flat_load_dwordx2 v[132:133], v[68:69]
	v_mov_b32_e32 v128, s3
	ds_read2st64_b64 v[68:71], v128 offset0:30 offset1:31
	ds_read2st64_b64 v[72:75], v128 offset0:28 offset1:29
	;; [unrolled: 1-line block ×15, first 2 shown]
	ds_read2st64_b64 v[128:131], v128 offset1:1
	s_add_i32 s0, s0, -1
	s_add_i32 s3, s3, -8
	s_cmp_gt_i32 s0, s2
	s_waitcnt vmcnt(0) lgkmcnt(0)
	v_fma_f64 v[6:7], -v[132:133], v[70:71], v[6:7]
	v_fma_f64 v[12:13], -v[132:133], v[68:69], v[12:13]
	;; [unrolled: 1-line block ×32, first 2 shown]
	s_cbranch_scc1 .LBB110_13
	s_branch .LBB110_10
.LBB110_14:
	s_sub_i32 s0, s2, 32
.LBB110_15:
	s_cmp_gt_i32 s0, -1
	s_cbranch_scc0 .LBB110_40
; %bb.16:
	s_cmp_lt_u32 s0, 3
	s_cbranch_scc1 .LBB110_22
; %bb.17:
	s_lshl_b32 s1, s0, 9
	s_lshl_b32 s2, s22, 3
	s_add_i32 s1, s1, s2
	s_add_i32 s6, s1, 0xfffff9f8
	s_mov_b32 s3, 0
.LBB110_18:                             ; =>This Loop Header: Depth=1
                                        ;     Child Loop BB110_19 Depth 2
	s_mov_b32 s1, s3
	v_lshl_add_u64 v[4:5], s[0:1], 3, v[0:1]
	v_add_co_u32_e32 v2, vcc, -8, v4
	s_cmp_le_i32 s8, s0
	s_nop 0
	v_addc_co_u32_e32 v3, vcc, -1, v5, vcc
	flat_load_dwordx4 v[6:9], v[2:3]
	v_add_co_u32_e32 v2, vcc, 0xffffffe8, v4
	s_mov_b32 s1, s6
	s_nop 0
	v_addc_co_u32_e32 v3, vcc, -1, v5, vcc
	flat_load_dwordx4 v[12:15], v[2:3]
	s_mov_b32 s2, s8
	s_waitcnt vmcnt(0) lgkmcnt(0)
	v_mul_f64 v[10:11], s[4:5], v[8:9]
	v_mul_f64 v[8:9], s[4:5], v[6:7]
	v_mul_f64 v[6:7], s[4:5], v[14:15]
	v_mul_f64 v[2:3], s[4:5], v[12:13]
	s_cbranch_scc1 .LBB110_20
.LBB110_19:                             ;   Parent Loop BB110_18 Depth=1
                                        ; =>  This Inner Loop Header: Depth=2
	v_lshl_add_u64 v[12:13], s[2:3], 3, v[0:1]
	flat_load_dwordx2 v[20:21], v[12:13]
	v_mov_b32_e32 v16, s1
	ds_read2st64_b64 v[12:15], v16 offset0:2 offset1:3
	ds_read2st64_b64 v[16:19], v16 offset1:1
	s_add_i32 s2, s2, -1
	s_add_i32 s1, s1, -8
	s_cmp_gt_i32 s2, s0
	s_waitcnt vmcnt(0) lgkmcnt(0)
	v_fma_f64 v[10:11], -v[20:21], v[14:15], v[10:11]
	v_fma_f64 v[8:9], -v[20:21], v[12:13], v[8:9]
	v_fma_f64 v[6:7], -v[20:21], v[18:19], v[6:7]
	v_fma_f64 v[2:3], -v[20:21], v[16:17], v[2:3]
	s_cbranch_scc1 .LBB110_19
.LBB110_20:                             ;   in Loop: Header=BB110_18 Depth=1
	s_mul_i32 s1, s0, 0x208
	v_mov_b32_e32 v12, s1
	ds_read_b64 v[12:13], v12
	s_add_i32 s2, s0, -1
	s_lshl_b32 s1, s2, 9
	s_lshl_b32 s7, s2, 3
	s_add_i32 s1, s1, s7
	s_waitcnt lgkmcnt(0)
	v_mul_f64 v[14:15], v[12:13], v[10:11]
	flat_store_dwordx2 v[4:5], v[14:15]
	v_mov_b32_e32 v4, s1
	ds_read2_b64 v[10:13], v4 offset1:1
	v_lshl_add_u64 v[4:5], s[2:3], 3, v[0:1]
	s_add_i32 s2, s0, -2
	s_lshl_b32 s1, s2, 9
	s_lshl_b32 s7, s0, 3
	s_waitcnt lgkmcnt(0)
	v_fma_f64 v[8:9], -v[14:15], v[12:13], v[8:9]
	v_mul_f64 v[12:13], v[10:11], v[8:9]
	s_add_i32 s9, s1, s7
	flat_store_dwordx2 v[4:5], v[12:13]
	v_mov_b32_e32 v4, s9
	s_lshl_b32 s9, s2, 3
	s_add_i32 s1, s1, s9
	v_mov_b32_e32 v8, s1
	ds_read_b64 v[4:5], v4
	ds_read2_b64 v[8:11], v8 offset1:1
	s_addk_i32 s6, 0xf800
	s_waitcnt lgkmcnt(0)
	v_fma_f64 v[4:5], -v[14:15], v[4:5], v[6:7]
	v_fma_f64 v[4:5], -v[12:13], v[10:11], v[4:5]
	v_mul_f64 v[16:17], v[8:9], v[4:5]
	v_lshl_add_u64 v[4:5], s[2:3], 3, v[0:1]
	s_add_i32 s2, s0, -3
	s_lshl_b32 s1, s2, 9
	s_add_i32 s7, s1, s7
	s_add_i32 s7, s7, -8
	flat_store_dwordx2 v[4:5], v[16:17]
	v_mov_b32_e32 v4, s7
	s_lshl_b32 s7, s2, 3
	ds_read2_b64 v[4:7], v4 offset1:1
	s_add_i32 s1, s1, s7
	v_mov_b32_e32 v8, s1
	ds_read2_b64 v[8:11], v8 offset1:1
	s_add_i32 s7, s0, -4
	s_waitcnt lgkmcnt(0)
	v_fma_f64 v[2:3], -v[14:15], v[6:7], v[2:3]
	v_fma_f64 v[2:3], -v[12:13], v[4:5], v[2:3]
	v_lshl_add_u64 v[4:5], s[2:3], 3, v[0:1]
	v_fma_f64 v[2:3], -v[16:17], v[10:11], v[2:3]
	v_mul_f64 v[2:3], v[8:9], v[2:3]
	s_cmp_gt_i32 s0, 6
	flat_store_dwordx2 v[4:5], v[2:3]
	s_cbranch_scc0 .LBB110_23
; %bb.21:                               ;   in Loop: Header=BB110_18 Depth=1
	s_mov_b32 s0, s7
	s_branch .LBB110_18
.LBB110_22:
	s_mov_b32 s7, s0
.LBB110_23:
	s_cmp_lt_i32 s7, 0
	s_cbranch_scc1 .LBB110_40
; %bb.24:
	s_and_b32 s0, s7, 3
	s_cmp_eq_u32 s0, 3
	s_mov_b32 s0, s7
	s_cbranch_scc1 .LBB110_29
; %bb.25:
	s_add_i32 s0, s7, 1
	s_and_b32 s6, s0, 3
	s_lshl_b32 s0, s7, 9
	s_lshl_b32 s1, s22, 3
	s_add_i32 s0, s0, s1
	s_add_i32 s9, s0, -8
	s_mov_b32 s3, 0
	s_mov_b32 s0, s7
	;; [unrolled: 1-line block ×3, first 2 shown]
	s_branch .LBB110_27
.LBB110_26:                             ;   in Loop: Header=BB110_27 Depth=1
	s_mul_i32 s1, s0, 0x208
	v_mov_b32_e32 v6, s1
	ds_read_b64 v[6:7], v6
	s_add_i32 s0, s0, -1
	s_add_i32 s11, s11, 1
	s_addk_i32 s9, 0xfe00
	s_cmp_lg_u32 s11, s6
	s_waitcnt lgkmcnt(0)
	v_mul_f64 v[4:5], v[6:7], v[4:5]
	flat_store_dwordx2 v[2:3], v[4:5]
	s_cbranch_scc0 .LBB110_29
.LBB110_27:                             ; =>This Loop Header: Depth=1
                                        ;     Child Loop BB110_28 Depth 2
	s_mov_b32 s1, s3
	v_lshl_add_u64 v[2:3], s[0:1], 3, v[0:1]
	flat_load_dwordx2 v[4:5], v[2:3]
	s_cmp_le_i32 s8, s0
	s_mov_b32 s1, s9
	s_mov_b32 s2, s8
	s_waitcnt vmcnt(0) lgkmcnt(0)
	v_mul_f64 v[4:5], s[4:5], v[4:5]
	s_cbranch_scc1 .LBB110_26
.LBB110_28:                             ;   Parent Loop BB110_27 Depth=1
                                        ; =>  This Inner Loop Header: Depth=2
	v_lshl_add_u64 v[6:7], s[2:3], 3, v[0:1]
	flat_load_dwordx2 v[6:7], v[6:7]
	v_mov_b32_e32 v8, s1
	ds_read_b64 v[8:9], v8
	s_add_i32 s2, s2, -1
	s_add_i32 s1, s1, -8
	s_cmp_gt_i32 s2, s0
	s_waitcnt vmcnt(0) lgkmcnt(0)
	v_fma_f64 v[4:5], -v[6:7], v[8:9], v[4:5]
	s_cbranch_scc1 .LBB110_28
	s_branch .LBB110_26
.LBB110_29:
	s_cmp_lt_u32 s7, 3
	s_cbranch_scc1 .LBB110_40
; %bb.30:
	s_lshl_b32 s1, s0, 9
	s_lshl_b32 s2, s22, 3
	s_add_i32 s1, s1, s2
	s_add_i32 s9, s1, -8
	s_add_i32 s11, s1, 0xfffffdf8
	s_add_i32 s12, s1, 0xfffffbf8
	;; [unrolled: 1-line block ×3, first 2 shown]
	s_mov_b32 s3, 0
	s_branch .LBB110_32
.LBB110_31:                             ;   in Loop: Header=BB110_32 Depth=1
	s_addk_i32 s1, 0xfdf8
	v_mov_b32_e32 v6, s1
	ds_read_b64 v[6:7], v6
	s_add_i32 s1, s0, -4
	s_addk_i32 s9, 0xf800
	s_addk_i32 s11, 0xf800
	;; [unrolled: 1-line block ×4, first 2 shown]
	s_waitcnt lgkmcnt(0)
	v_mul_f64 v[4:5], v[6:7], v[4:5]
	s_cmp_lt_i32 s0, 4
	s_mov_b32 s0, s1
	flat_store_dwordx2 v[2:3], v[4:5]
	s_cbranch_scc1 .LBB110_40
.LBB110_32:                             ; =>This Loop Header: Depth=1
                                        ;     Child Loop BB110_33 Depth 2
                                        ;     Child Loop BB110_35 Depth 2
	;; [unrolled: 1-line block ×4, first 2 shown]
	s_mov_b32 s1, s3
	v_lshl_add_u64 v[4:5], s[0:1], 3, v[0:1]
	flat_load_dwordx2 v[2:3], v[4:5]
	s_cmp_le_i32 s8, s0
	s_mov_b32 s1, s9
	s_mov_b32 s2, s8
	s_waitcnt vmcnt(0) lgkmcnt(0)
	v_mul_f64 v[6:7], s[4:5], v[2:3]
	s_cbranch_scc1 .LBB110_34
.LBB110_33:                             ;   Parent Loop BB110_32 Depth=1
                                        ; =>  This Inner Loop Header: Depth=2
	v_lshl_add_u64 v[2:3], s[2:3], 3, v[0:1]
	flat_load_dwordx2 v[2:3], v[2:3]
	v_mov_b32_e32 v8, s1
	ds_read_b64 v[8:9], v8
	s_add_i32 s2, s2, -1
	s_add_i32 s1, s1, -8
	s_cmp_gt_i32 s2, s0
	s_waitcnt vmcnt(0) lgkmcnt(0)
	v_fma_f64 v[6:7], -v[2:3], v[8:9], v[6:7]
	s_cbranch_scc1 .LBB110_33
.LBB110_34:                             ;   in Loop: Header=BB110_32 Depth=1
	s_add_i32 s2, s0, -1
	v_lshl_add_u64 v[2:3], s[2:3], 3, v[0:1]
	flat_load_dwordx2 v[8:9], v[2:3]
	s_mul_i32 s1, s0, 0x208
	v_mov_b32_e32 v10, s1
	ds_read_b64 v[10:11], v10
	s_mov_b32 s6, s11
	s_cmp_le_i32 s22, s0
	s_mov_b32 s2, s22
	s_waitcnt lgkmcnt(0)
	v_mul_f64 v[6:7], v[10:11], v[6:7]
	flat_store_dwordx2 v[4:5], v[6:7]
	s_waitcnt vmcnt(0)
	v_mul_f64 v[6:7], s[4:5], v[8:9]
	s_cbranch_scc1 .LBB110_36
.LBB110_35:                             ;   Parent Loop BB110_32 Depth=1
                                        ; =>  This Inner Loop Header: Depth=2
	s_add_i32 s2, s2, -1
	v_lshl_add_u64 v[4:5], s[2:3], 3, v[0:1]
	flat_load_dwordx2 v[4:5], v[4:5]
	v_mov_b32_e32 v8, s6
	ds_read_b64 v[8:9], v8
	s_add_i32 s6, s6, -8
	s_cmp_gt_i32 s2, s0
	s_waitcnt vmcnt(0) lgkmcnt(0)
	v_fma_f64 v[6:7], -v[4:5], v[8:9], v[6:7]
	s_cbranch_scc1 .LBB110_35
.LBB110_36:                             ;   in Loop: Header=BB110_32 Depth=1
	s_add_i32 s6, s0, -2
	s_mov_b32 s7, s3
	v_lshl_add_u64 v[4:5], s[6:7], 3, v[0:1]
	flat_load_dwordx2 v[8:9], v[4:5]
	s_addk_i32 s1, 0xfdf8
	v_mov_b32_e32 v10, s1
	ds_read_b64 v[10:11], v10
	s_mov_b32 s7, s12
	s_cmp_le_i32 s8, s6
	s_mov_b32 s2, s8
	s_waitcnt lgkmcnt(0)
	v_mul_f64 v[6:7], v[10:11], v[6:7]
	flat_store_dwordx2 v[2:3], v[6:7]
	s_waitcnt vmcnt(0)
	v_mul_f64 v[6:7], s[4:5], v[8:9]
	s_cbranch_scc1 .LBB110_38
.LBB110_37:                             ;   Parent Loop BB110_32 Depth=1
                                        ; =>  This Inner Loop Header: Depth=2
	v_lshl_add_u64 v[2:3], s[2:3], 3, v[0:1]
	flat_load_dwordx2 v[2:3], v[2:3]
	v_mov_b32_e32 v8, s7
	ds_read_b64 v[8:9], v8
	s_add_i32 s2, s2, -1
	s_add_i32 s7, s7, -8
	s_cmp_gt_i32 s2, s6
	s_waitcnt vmcnt(0) lgkmcnt(0)
	v_fma_f64 v[6:7], -v[2:3], v[8:9], v[6:7]
	s_cbranch_scc1 .LBB110_37
.LBB110_38:                             ;   in Loop: Header=BB110_32 Depth=1
	s_add_i32 s6, s0, -3
	s_mov_b32 s7, s3
	v_lshl_add_u64 v[2:3], s[6:7], 3, v[0:1]
	flat_load_dwordx2 v[8:9], v[2:3]
	s_addk_i32 s1, 0xfdf8
	v_mov_b32_e32 v10, s1
	ds_read_b64 v[10:11], v10
	s_mov_b32 s7, s13
	s_cmp_le_i32 s8, s6
	s_mov_b32 s2, s8
	s_waitcnt lgkmcnt(0)
	v_mul_f64 v[6:7], v[10:11], v[6:7]
	flat_store_dwordx2 v[4:5], v[6:7]
	s_waitcnt vmcnt(0)
	v_mul_f64 v[4:5], s[4:5], v[8:9]
	s_cbranch_scc1 .LBB110_31
.LBB110_39:                             ;   Parent Loop BB110_32 Depth=1
                                        ; =>  This Inner Loop Header: Depth=2
	v_lshl_add_u64 v[6:7], s[2:3], 3, v[0:1]
	flat_load_dwordx2 v[6:7], v[6:7]
	v_mov_b32_e32 v8, s7
	ds_read_b64 v[8:9], v8
	s_add_i32 s2, s2, -1
	s_add_i32 s7, s7, -8
	s_cmp_gt_i32 s2, s6
	s_waitcnt vmcnt(0) lgkmcnt(0)
	v_fma_f64 v[4:5], -v[6:7], v[8:9], v[4:5]
	s_cbranch_scc1 .LBB110_39
	s_branch .LBB110_31
.LBB110_40:
	s_mov_b64 s[0:1], 0
.LBB110_41:
	s_and_b64 vcc, exec, s[0:1]
	s_cbranch_vccz .LBB110_61
; %bb.42:
	s_cmp_lt_i32 s10, 32
	s_mov_b32 s2, 0
	s_cbranch_scc1 .LBB110_48
; %bb.43:
	s_mov_b32 s1, 0
	s_mov_b32 s3, 0
	;; [unrolled: 1-line block ×3, first 2 shown]
.LBB110_44:                             ; =>This Loop Header: Depth=1
                                        ;     Child Loop BB110_45 Depth 2
	v_lshl_add_u64 v[2:3], s[0:1], 3, v[0:1]
	flat_load_dwordx4 v[4:7], v[2:3]
	flat_load_dwordx4 v[8:11], v[2:3] offset:16
	flat_load_dwordx4 v[20:23], v[2:3] offset:32
	;; [unrolled: 1-line block ×15, first 2 shown]
	s_cmp_eq_u32 s0, 0
	s_mov_b32 s2, s3
	v_mov_b64_e32 v[68:69], v[0:1]
	s_mov_b32 s6, s0
	s_waitcnt vmcnt(0) lgkmcnt(0)
	v_mul_f64 v[12:13], s[4:5], v[4:5]
	v_mul_f64 v[14:15], s[4:5], v[6:7]
	;; [unrolled: 1-line block ×32, first 2 shown]
	s_cbranch_scc1 .LBB110_46
.LBB110_45:                             ;   Parent Loop BB110_44 Depth=1
                                        ; =>  This Inner Loop Header: Depth=2
	flat_load_dwordx2 v[134:135], v[68:69]
	v_mov_b32_e32 v130, s2
	ds_read_b128 v[70:73], v130
	ds_read_b128 v[74:77], v130 offset:16
	ds_read_b128 v[78:81], v130 offset:32
	;; [unrolled: 1-line block ×15, first 2 shown]
	s_add_i32 s6, s6, -1
	s_addk_i32 s2, 0x200
	v_lshl_add_u64 v[68:69], v[68:69], 0, 8
	s_cmp_eq_u32 s6, 0
	s_waitcnt vmcnt(0) lgkmcnt(0)
	v_fma_f64 v[12:13], -v[134:135], v[70:71], v[12:13]
	v_fma_f64 v[14:15], -v[134:135], v[72:73], v[14:15]
	;; [unrolled: 1-line block ×32, first 2 shown]
	s_cbranch_scc0 .LBB110_45
.LBB110_46:                             ;   in Loop: Header=BB110_44 Depth=1
	s_lshl_b32 s2, s0, 3
	s_lshl_b32 s6, s0, 9
	s_add_i32 s6, s2, s6
	v_mov_b32_e32 v68, s6
	ds_read_b64 v[70:71], v68
	s_or_b32 s6, s0, 23
	s_mul_i32 s7, s6, 0x208
	v_mov_b32_e32 v69, s7
	s_lshl_b32 s6, s6, 9
	s_waitcnt lgkmcnt(0)
	v_mul_f64 v[12:13], v[70:71], v[12:13]
	flat_store_dwordx2 v[2:3], v[12:13]
	ds_read_b64 v[70:71], v68 offset:8
	ds_read_b64 v[72:73], v68 offset:520
	s_add_i32 s6, s2, s6
	s_addk_i32 s3, 0x100
	s_waitcnt lgkmcnt(0)
	v_fma_f64 v[14:15], -v[12:13], v[70:71], v[14:15]
	v_mul_f64 v[14:15], v[72:73], v[14:15]
	flat_store_dwordx2 v[2:3], v[14:15] offset:8
	ds_read_b64 v[70:71], v68 offset:16
	ds_read_b64 v[72:73], v68 offset:528
	;; [unrolled: 1-line block ×3, first 2 shown]
	s_waitcnt lgkmcnt(0)
	v_fma_f64 v[16:17], -v[12:13], v[70:71], v[16:17]
	v_fma_f64 v[16:17], -v[14:15], v[72:73], v[16:17]
	v_mul_f64 v[16:17], v[74:75], v[16:17]
	flat_store_dwordx2 v[2:3], v[16:17] offset:16
	ds_read_b64 v[70:71], v68 offset:24
	ds_read_b64 v[72:73], v68 offset:536
	;; [unrolled: 1-line block ×4, first 2 shown]
	s_waitcnt lgkmcnt(0)
	v_fma_f64 v[18:19], -v[12:13], v[70:71], v[18:19]
	v_fma_f64 v[18:19], -v[14:15], v[72:73], v[18:19]
	;; [unrolled: 1-line block ×3, first 2 shown]
	v_mul_f64 v[18:19], v[76:77], v[18:19]
	flat_store_dwordx2 v[2:3], v[18:19] offset:24
	ds_read_b64 v[70:71], v68 offset:32
	ds_read_b64 v[72:73], v68 offset:544
	;; [unrolled: 1-line block ×5, first 2 shown]
	s_waitcnt lgkmcnt(0)
	v_fma_f64 v[20:21], -v[12:13], v[70:71], v[20:21]
	v_fma_f64 v[20:21], -v[14:15], v[72:73], v[20:21]
	;; [unrolled: 1-line block ×4, first 2 shown]
	v_mul_f64 v[20:21], v[78:79], v[20:21]
	flat_store_dwordx2 v[2:3], v[20:21] offset:32
	ds_read_b64 v[70:71], v68 offset:40
	ds_read_b64 v[72:73], v68 offset:552
	;; [unrolled: 1-line block ×6, first 2 shown]
	s_waitcnt lgkmcnt(0)
	v_fma_f64 v[24:25], -v[12:13], v[70:71], v[24:25]
	v_fma_f64 v[24:25], -v[14:15], v[72:73], v[24:25]
	;; [unrolled: 1-line block ×5, first 2 shown]
	v_mul_f64 v[24:25], v[80:81], v[24:25]
	flat_store_dwordx2 v[2:3], v[24:25] offset:40
	ds_read_b64 v[70:71], v68 offset:48
	ds_read_b64 v[72:73], v68 offset:560
	;; [unrolled: 1-line block ×7, first 2 shown]
	s_waitcnt lgkmcnt(0)
	v_fma_f64 v[26:27], -v[12:13], v[70:71], v[26:27]
	v_fma_f64 v[26:27], -v[14:15], v[72:73], v[26:27]
	;; [unrolled: 1-line block ×6, first 2 shown]
	v_mul_f64 v[26:27], v[82:83], v[26:27]
	flat_store_dwordx2 v[2:3], v[26:27] offset:48
	ds_read_b64 v[70:71], v68 offset:56
	ds_read_b64 v[72:73], v68 offset:568
	;; [unrolled: 1-line block ×8, first 2 shown]
	s_waitcnt lgkmcnt(0)
	v_fma_f64 v[28:29], -v[12:13], v[70:71], v[28:29]
	v_fma_f64 v[28:29], -v[14:15], v[72:73], v[28:29]
	v_fma_f64 v[28:29], -v[16:17], v[74:75], v[28:29]
	v_fma_f64 v[28:29], -v[18:19], v[76:77], v[28:29]
	v_fma_f64 v[28:29], -v[20:21], v[78:79], v[28:29]
	v_fma_f64 v[28:29], -v[24:25], v[80:81], v[28:29]
	v_fma_f64 v[28:29], -v[26:27], v[82:83], v[28:29]
	v_mul_f64 v[28:29], v[84:85], v[28:29]
	flat_store_dwordx2 v[2:3], v[28:29] offset:56
	ds_read_b64 v[70:71], v68 offset:64
	ds_read_b64 v[72:73], v68 offset:576
	;; [unrolled: 1-line block ×8, first 2 shown]
	s_waitcnt lgkmcnt(0)
	v_fma_f64 v[30:31], -v[12:13], v[70:71], v[30:31]
	v_fma_f64 v[30:31], -v[14:15], v[72:73], v[30:31]
	;; [unrolled: 1-line block ×4, first 2 shown]
	ds_read_b64 v[70:71], v68 offset:4160
	v_fma_f64 v[30:31], -v[20:21], v[78:79], v[30:31]
	v_fma_f64 v[30:31], -v[24:25], v[80:81], v[30:31]
	;; [unrolled: 1-line block ×4, first 2 shown]
	s_waitcnt lgkmcnt(0)
	v_mul_f64 v[30:31], v[70:71], v[30:31]
	flat_store_dwordx2 v[2:3], v[30:31] offset:64
	ds_read_b64 v[70:71], v68 offset:72
	ds_read_b64 v[72:73], v68 offset:584
	;; [unrolled: 1-line block ×4, first 2 shown]
	s_waitcnt lgkmcnt(0)
	v_fma_f64 v[34:35], -v[12:13], v[70:71], v[34:35]
	ds_read_b64 v[70:71], v68 offset:2120
	v_fma_f64 v[34:35], -v[14:15], v[72:73], v[34:35]
	v_fma_f64 v[34:35], -v[16:17], v[74:75], v[34:35]
	;; [unrolled: 1-line block ×3, first 2 shown]
	ds_read_b64 v[72:73], v68 offset:2632
	ds_read_b64 v[74:75], v68 offset:3144
	;; [unrolled: 1-line block ×3, first 2 shown]
	s_waitcnt lgkmcnt(0)
	v_fma_f64 v[34:35], -v[20:21], v[70:71], v[34:35]
	ds_read_b64 v[70:71], v68 offset:4168
	ds_read_b64 v[78:79], v68 offset:4680
	v_fma_f64 v[34:35], -v[24:25], v[72:73], v[34:35]
	v_fma_f64 v[34:35], -v[26:27], v[74:75], v[34:35]
	;; [unrolled: 1-line block ×3, first 2 shown]
	s_waitcnt lgkmcnt(0)
	v_fma_f64 v[34:35], -v[30:31], v[70:71], v[34:35]
	v_mul_f64 v[34:35], v[78:79], v[34:35]
	flat_store_dwordx2 v[2:3], v[34:35] offset:72
	ds_read_b64 v[70:71], v68 offset:80
	ds_read_b64 v[72:73], v68 offset:592
	ds_read_b64 v[74:75], v68 offset:1104
	ds_read_b64 v[76:77], v68 offset:1616
	s_waitcnt lgkmcnt(0)
	v_fma_f64 v[36:37], -v[12:13], v[70:71], v[36:37]
	v_fma_f64 v[36:37], -v[14:15], v[72:73], v[36:37]
	ds_read_b64 v[70:71], v68 offset:2128
	ds_read_b64 v[72:73], v68 offset:2640
	v_fma_f64 v[36:37], -v[16:17], v[74:75], v[36:37]
	v_fma_f64 v[36:37], -v[18:19], v[76:77], v[36:37]
	ds_read_b64 v[74:75], v68 offset:3152
	ds_read_b64 v[76:77], v68 offset:3664
	s_waitcnt lgkmcnt(0)
	v_fma_f64 v[36:37], -v[20:21], v[70:71], v[36:37]
	v_fma_f64 v[36:37], -v[24:25], v[72:73], v[36:37]
	ds_read_b64 v[70:71], v68 offset:4176
	ds_read_b64 v[72:73], v68 offset:4688
	;; [unrolled: 1-line block ×3, first 2 shown]
	v_fma_f64 v[36:37], -v[26:27], v[74:75], v[36:37]
	v_fma_f64 v[36:37], -v[28:29], v[76:77], v[36:37]
	s_waitcnt lgkmcnt(0)
	v_fma_f64 v[36:37], -v[30:31], v[70:71], v[36:37]
	v_fma_f64 v[36:37], -v[34:35], v[72:73], v[36:37]
	v_mul_f64 v[36:37], v[78:79], v[36:37]
	flat_store_dwordx2 v[2:3], v[36:37] offset:80
	ds_read_b64 v[70:71], v68 offset:88
	ds_read_b64 v[72:73], v68 offset:600
	;; [unrolled: 1-line block ×4, first 2 shown]
	s_waitcnt lgkmcnt(0)
	v_fma_f64 v[38:39], -v[12:13], v[70:71], v[38:39]
	v_fma_f64 v[38:39], -v[14:15], v[72:73], v[38:39]
	;; [unrolled: 1-line block ×3, first 2 shown]
	ds_read_b64 v[70:71], v68 offset:2136
	ds_read_b64 v[72:73], v68 offset:2648
	;; [unrolled: 1-line block ×3, first 2 shown]
	v_fma_f64 v[38:39], -v[18:19], v[76:77], v[38:39]
	ds_read_b64 v[76:77], v68 offset:3672
	s_waitcnt lgkmcnt(0)
	v_fma_f64 v[38:39], -v[20:21], v[70:71], v[38:39]
	v_fma_f64 v[38:39], -v[24:25], v[72:73], v[38:39]
	;; [unrolled: 1-line block ×3, first 2 shown]
	ds_read_b64 v[70:71], v68 offset:4184
	ds_read_b64 v[72:73], v68 offset:4696
	;; [unrolled: 1-line block ×4, first 2 shown]
	v_fma_f64 v[38:39], -v[28:29], v[76:77], v[38:39]
	s_waitcnt lgkmcnt(0)
	v_fma_f64 v[38:39], -v[30:31], v[70:71], v[38:39]
	v_fma_f64 v[38:39], -v[34:35], v[72:73], v[38:39]
	;; [unrolled: 1-line block ×3, first 2 shown]
	v_mul_f64 v[38:39], v[78:79], v[38:39]
	flat_store_dwordx2 v[2:3], v[38:39] offset:88
	ds_read_b64 v[70:71], v68 offset:96
	ds_read_b64 v[72:73], v68 offset:608
	;; [unrolled: 1-line block ×4, first 2 shown]
	s_waitcnt lgkmcnt(0)
	v_fma_f64 v[42:43], -v[12:13], v[70:71], v[42:43]
	v_fma_f64 v[42:43], -v[14:15], v[72:73], v[42:43]
	;; [unrolled: 1-line block ×3, first 2 shown]
	ds_read_b64 v[70:71], v68 offset:2144
	ds_read_b64 v[72:73], v68 offset:2656
	;; [unrolled: 1-line block ×4, first 2 shown]
	v_fma_f64 v[42:43], -v[18:19], v[76:77], v[42:43]
	s_waitcnt lgkmcnt(0)
	v_fma_f64 v[42:43], -v[20:21], v[70:71], v[42:43]
	v_fma_f64 v[42:43], -v[24:25], v[72:73], v[42:43]
	v_fma_f64 v[42:43], -v[26:27], v[74:75], v[42:43]
	v_fma_f64 v[42:43], -v[28:29], v[78:79], v[42:43]
	ds_read_b64 v[70:71], v68 offset:4192
	ds_read_b64 v[72:73], v68 offset:4704
	;; [unrolled: 1-line block ×5, first 2 shown]
	s_waitcnt lgkmcnt(0)
	v_fma_f64 v[42:43], -v[30:31], v[70:71], v[42:43]
	v_fma_f64 v[42:43], -v[34:35], v[72:73], v[42:43]
	;; [unrolled: 1-line block ×4, first 2 shown]
	v_mul_f64 v[42:43], v[78:79], v[42:43]
	flat_store_dwordx2 v[2:3], v[42:43] offset:96
	ds_read_b64 v[70:71], v68 offset:104
	ds_read_b64 v[72:73], v68 offset:616
	;; [unrolled: 1-line block ×4, first 2 shown]
	s_waitcnt lgkmcnt(0)
	v_fma_f64 v[44:45], -v[12:13], v[70:71], v[44:45]
	v_fma_f64 v[44:45], -v[14:15], v[72:73], v[44:45]
	;; [unrolled: 1-line block ×3, first 2 shown]
	ds_read_b64 v[70:71], v68 offset:2152
	ds_read_b64 v[72:73], v68 offset:2664
	;; [unrolled: 1-line block ×3, first 2 shown]
	v_fma_f64 v[44:45], -v[18:19], v[76:77], v[44:45]
	ds_read_b64 v[76:77], v68 offset:3688
	s_waitcnt lgkmcnt(0)
	v_fma_f64 v[44:45], -v[20:21], v[70:71], v[44:45]
	ds_read_b64 v[70:71], v68 offset:4200
	v_fma_f64 v[44:45], -v[24:25], v[72:73], v[44:45]
	v_fma_f64 v[44:45], -v[26:27], v[74:75], v[44:45]
	;; [unrolled: 1-line block ×3, first 2 shown]
	ds_read_b64 v[72:73], v68 offset:4712
	ds_read_b64 v[74:75], v68 offset:5224
	;; [unrolled: 1-line block ×3, first 2 shown]
	s_waitcnt lgkmcnt(0)
	v_fma_f64 v[44:45], -v[30:31], v[70:71], v[44:45]
	ds_read_b64 v[70:71], v68 offset:6248
	ds_read_b64 v[78:79], v68 offset:6760
	v_fma_f64 v[44:45], -v[34:35], v[72:73], v[44:45]
	v_fma_f64 v[44:45], -v[36:37], v[74:75], v[44:45]
	;; [unrolled: 1-line block ×3, first 2 shown]
	s_waitcnt lgkmcnt(0)
	v_fma_f64 v[44:45], -v[42:43], v[70:71], v[44:45]
	v_mul_f64 v[44:45], v[78:79], v[44:45]
	flat_store_dwordx2 v[2:3], v[44:45] offset:104
	ds_read_b64 v[70:71], v68 offset:112
	ds_read_b64 v[72:73], v68 offset:624
	;; [unrolled: 1-line block ×4, first 2 shown]
	s_waitcnt lgkmcnt(0)
	v_fma_f64 v[48:49], -v[12:13], v[70:71], v[48:49]
	v_fma_f64 v[48:49], -v[14:15], v[72:73], v[48:49]
	;; [unrolled: 1-line block ×3, first 2 shown]
	ds_read_b64 v[70:71], v68 offset:2160
	ds_read_b64 v[72:73], v68 offset:2672
	;; [unrolled: 1-line block ×3, first 2 shown]
	v_fma_f64 v[48:49], -v[18:19], v[76:77], v[48:49]
	ds_read_b64 v[76:77], v68 offset:3696
	s_waitcnt lgkmcnt(0)
	v_fma_f64 v[48:49], -v[20:21], v[70:71], v[48:49]
	v_fma_f64 v[48:49], -v[24:25], v[72:73], v[48:49]
	ds_read_b64 v[70:71], v68 offset:4208
	ds_read_b64 v[72:73], v68 offset:4720
	v_fma_f64 v[48:49], -v[26:27], v[74:75], v[48:49]
	v_fma_f64 v[48:49], -v[28:29], v[76:77], v[48:49]
	ds_read_b64 v[74:75], v68 offset:5232
	ds_read_b64 v[76:77], v68 offset:5744
	s_waitcnt lgkmcnt(0)
	v_fma_f64 v[48:49], -v[30:31], v[70:71], v[48:49]
	v_fma_f64 v[48:49], -v[34:35], v[72:73], v[48:49]
	ds_read_b64 v[70:71], v68 offset:6256
	ds_read_b64 v[72:73], v68 offset:6768
	;; [unrolled: 1-line block ×3, first 2 shown]
	v_fma_f64 v[48:49], -v[36:37], v[74:75], v[48:49]
	v_fma_f64 v[48:49], -v[38:39], v[76:77], v[48:49]
	s_waitcnt lgkmcnt(0)
	v_fma_f64 v[48:49], -v[42:43], v[70:71], v[48:49]
	v_fma_f64 v[48:49], -v[44:45], v[72:73], v[48:49]
	v_mul_f64 v[48:49], v[78:79], v[48:49]
	flat_store_dwordx2 v[2:3], v[48:49] offset:112
	ds_read_b64 v[70:71], v68 offset:120
	ds_read_b64 v[72:73], v68 offset:632
	;; [unrolled: 1-line block ×4, first 2 shown]
	s_waitcnt lgkmcnt(0)
	v_fma_f64 v[50:51], -v[12:13], v[70:71], v[50:51]
	v_fma_f64 v[50:51], -v[14:15], v[72:73], v[50:51]
	v_fma_f64 v[50:51], -v[16:17], v[74:75], v[50:51]
	ds_read_b64 v[70:71], v68 offset:2168
	ds_read_b64 v[72:73], v68 offset:2680
	;; [unrolled: 1-line block ×3, first 2 shown]
	v_fma_f64 v[50:51], -v[18:19], v[76:77], v[50:51]
	ds_read_b64 v[76:77], v68 offset:3704
	s_waitcnt lgkmcnt(0)
	v_fma_f64 v[50:51], -v[20:21], v[70:71], v[50:51]
	v_fma_f64 v[50:51], -v[24:25], v[72:73], v[50:51]
	;; [unrolled: 1-line block ×3, first 2 shown]
	ds_read_b64 v[70:71], v68 offset:4216
	ds_read_b64 v[72:73], v68 offset:4728
	;; [unrolled: 1-line block ×3, first 2 shown]
	v_fma_f64 v[50:51], -v[28:29], v[76:77], v[50:51]
	ds_read_b64 v[76:77], v68 offset:5752
	s_waitcnt lgkmcnt(0)
	v_fma_f64 v[50:51], -v[30:31], v[70:71], v[50:51]
	v_fma_f64 v[50:51], -v[34:35], v[72:73], v[50:51]
	;; [unrolled: 1-line block ×3, first 2 shown]
	ds_read_b64 v[70:71], v68 offset:6264
	ds_read_b64 v[72:73], v68 offset:6776
	;; [unrolled: 1-line block ×4, first 2 shown]
	v_fma_f64 v[50:51], -v[38:39], v[76:77], v[50:51]
	s_waitcnt lgkmcnt(0)
	v_fma_f64 v[50:51], -v[42:43], v[70:71], v[50:51]
	v_fma_f64 v[50:51], -v[44:45], v[72:73], v[50:51]
	;; [unrolled: 1-line block ×3, first 2 shown]
	v_mul_f64 v[50:51], v[78:79], v[50:51]
	flat_store_dwordx2 v[2:3], v[50:51] offset:120
	ds_read_b64 v[70:71], v68 offset:128
	ds_read_b64 v[72:73], v68 offset:640
	;; [unrolled: 1-line block ×4, first 2 shown]
	s_waitcnt lgkmcnt(0)
	v_fma_f64 v[54:55], -v[12:13], v[70:71], v[54:55]
	v_fma_f64 v[54:55], -v[14:15], v[72:73], v[54:55]
	;; [unrolled: 1-line block ×3, first 2 shown]
	ds_read_b64 v[70:71], v68 offset:2176
	ds_read_b64 v[72:73], v68 offset:2688
	ds_read_b64 v[74:75], v68 offset:3200
	v_fma_f64 v[54:55], -v[18:19], v[76:77], v[54:55]
	ds_read_b64 v[76:77], v68 offset:3712
	s_waitcnt lgkmcnt(0)
	v_fma_f64 v[54:55], -v[20:21], v[70:71], v[54:55]
	v_fma_f64 v[54:55], -v[24:25], v[72:73], v[54:55]
	;; [unrolled: 1-line block ×3, first 2 shown]
	ds_read_b64 v[70:71], v68 offset:4224
	ds_read_b64 v[72:73], v68 offset:4736
	;; [unrolled: 1-line block ×4, first 2 shown]
	v_fma_f64 v[54:55], -v[28:29], v[76:77], v[54:55]
	s_waitcnt lgkmcnt(0)
	v_fma_f64 v[54:55], -v[30:31], v[70:71], v[54:55]
	v_fma_f64 v[54:55], -v[34:35], v[72:73], v[54:55]
	;; [unrolled: 1-line block ×4, first 2 shown]
	ds_read_b64 v[70:71], v68 offset:6272
	ds_read_b64 v[72:73], v68 offset:6784
	ds_read_b64 v[74:75], v68 offset:7296
	ds_read_b64 v[76:77], v68 offset:7808
	ds_read_b64 v[78:79], v68 offset:8320
	s_waitcnt lgkmcnt(0)
	v_fma_f64 v[54:55], -v[42:43], v[70:71], v[54:55]
	v_fma_f64 v[54:55], -v[44:45], v[72:73], v[54:55]
	;; [unrolled: 1-line block ×4, first 2 shown]
	v_mul_f64 v[54:55], v[78:79], v[54:55]
	flat_store_dwordx2 v[2:3], v[54:55] offset:128
	ds_read_b64 v[70:71], v68 offset:136
	ds_read_b64 v[72:73], v68 offset:648
	;; [unrolled: 1-line block ×4, first 2 shown]
	s_waitcnt lgkmcnt(0)
	v_fma_f64 v[58:59], -v[12:13], v[70:71], v[58:59]
	v_fma_f64 v[58:59], -v[14:15], v[72:73], v[58:59]
	;; [unrolled: 1-line block ×3, first 2 shown]
	ds_read_b64 v[70:71], v68 offset:2184
	ds_read_b64 v[72:73], v68 offset:2696
	;; [unrolled: 1-line block ×3, first 2 shown]
	v_fma_f64 v[58:59], -v[18:19], v[76:77], v[58:59]
	ds_read_b64 v[76:77], v68 offset:3720
	s_waitcnt lgkmcnt(0)
	v_fma_f64 v[58:59], -v[20:21], v[70:71], v[58:59]
	v_fma_f64 v[58:59], -v[24:25], v[72:73], v[58:59]
	;; [unrolled: 1-line block ×3, first 2 shown]
	ds_read_b64 v[70:71], v68 offset:4232
	ds_read_b64 v[72:73], v68 offset:4744
	;; [unrolled: 1-line block ×3, first 2 shown]
	v_fma_f64 v[58:59], -v[28:29], v[76:77], v[58:59]
	ds_read_b64 v[76:77], v68 offset:5768
	s_waitcnt lgkmcnt(0)
	v_fma_f64 v[58:59], -v[30:31], v[70:71], v[58:59]
	ds_read_b64 v[70:71], v68 offset:6280
	v_fma_f64 v[58:59], -v[34:35], v[72:73], v[58:59]
	v_fma_f64 v[58:59], -v[36:37], v[74:75], v[58:59]
	v_fma_f64 v[58:59], -v[38:39], v[76:77], v[58:59]
	ds_read_b64 v[72:73], v68 offset:6792
	ds_read_b64 v[74:75], v68 offset:7304
	;; [unrolled: 1-line block ×3, first 2 shown]
	s_waitcnt lgkmcnt(0)
	v_fma_f64 v[58:59], -v[42:43], v[70:71], v[58:59]
	ds_read_b64 v[70:71], v68 offset:8328
	ds_read_b64 v[78:79], v68 offset:8840
	v_fma_f64 v[58:59], -v[44:45], v[72:73], v[58:59]
	v_fma_f64 v[58:59], -v[48:49], v[74:75], v[58:59]
	;; [unrolled: 1-line block ×3, first 2 shown]
	s_waitcnt lgkmcnt(0)
	v_fma_f64 v[58:59], -v[54:55], v[70:71], v[58:59]
	v_mul_f64 v[58:59], v[78:79], v[58:59]
	flat_store_dwordx2 v[2:3], v[58:59] offset:136
	ds_read_b64 v[70:71], v68 offset:144
	ds_read_b64 v[72:73], v68 offset:656
	ds_read_b64 v[74:75], v68 offset:1168
	ds_read_b64 v[76:77], v68 offset:1680
	s_waitcnt lgkmcnt(0)
	v_fma_f64 v[62:63], -v[12:13], v[70:71], v[62:63]
	v_fma_f64 v[62:63], -v[14:15], v[72:73], v[62:63]
	v_fma_f64 v[62:63], -v[16:17], v[74:75], v[62:63]
	ds_read_b64 v[70:71], v68 offset:2192
	ds_read_b64 v[72:73], v68 offset:2704
	;; [unrolled: 1-line block ×3, first 2 shown]
	v_fma_f64 v[62:63], -v[18:19], v[76:77], v[62:63]
	ds_read_b64 v[76:77], v68 offset:3728
	s_waitcnt lgkmcnt(0)
	v_fma_f64 v[62:63], -v[20:21], v[70:71], v[62:63]
	v_fma_f64 v[62:63], -v[24:25], v[72:73], v[62:63]
	;; [unrolled: 1-line block ×3, first 2 shown]
	ds_read_b64 v[70:71], v68 offset:4240
	ds_read_b64 v[72:73], v68 offset:4752
	;; [unrolled: 1-line block ×3, first 2 shown]
	v_fma_f64 v[62:63], -v[28:29], v[76:77], v[62:63]
	ds_read_b64 v[76:77], v68 offset:5776
	s_waitcnt lgkmcnt(0)
	v_fma_f64 v[62:63], -v[30:31], v[70:71], v[62:63]
	v_fma_f64 v[62:63], -v[34:35], v[72:73], v[62:63]
	ds_read_b64 v[70:71], v68 offset:6288
	ds_read_b64 v[72:73], v68 offset:6800
	v_fma_f64 v[62:63], -v[36:37], v[74:75], v[62:63]
	v_fma_f64 v[62:63], -v[38:39], v[76:77], v[62:63]
	ds_read_b64 v[74:75], v68 offset:7312
	ds_read_b64 v[76:77], v68 offset:7824
	s_waitcnt lgkmcnt(0)
	v_fma_f64 v[62:63], -v[42:43], v[70:71], v[62:63]
	v_fma_f64 v[62:63], -v[44:45], v[72:73], v[62:63]
	ds_read_b64 v[70:71], v68 offset:8336
	ds_read_b64 v[72:73], v68 offset:8848
	;; [unrolled: 1-line block ×3, first 2 shown]
	v_fma_f64 v[62:63], -v[48:49], v[74:75], v[62:63]
	v_fma_f64 v[62:63], -v[50:51], v[76:77], v[62:63]
	s_waitcnt lgkmcnt(0)
	v_fma_f64 v[62:63], -v[54:55], v[70:71], v[62:63]
	v_fma_f64 v[62:63], -v[58:59], v[72:73], v[62:63]
	v_mul_f64 v[62:63], v[78:79], v[62:63]
	flat_store_dwordx2 v[2:3], v[62:63] offset:144
	ds_read_b64 v[70:71], v68 offset:152
	ds_read_b64 v[72:73], v68 offset:664
	;; [unrolled: 1-line block ×4, first 2 shown]
	s_waitcnt lgkmcnt(0)
	v_fma_f64 v[66:67], -v[12:13], v[70:71], v[66:67]
	v_fma_f64 v[66:67], -v[14:15], v[72:73], v[66:67]
	v_fma_f64 v[66:67], -v[16:17], v[74:75], v[66:67]
	ds_read_b64 v[70:71], v68 offset:2200
	ds_read_b64 v[72:73], v68 offset:2712
	ds_read_b64 v[74:75], v68 offset:3224
	v_fma_f64 v[66:67], -v[18:19], v[76:77], v[66:67]
	ds_read_b64 v[76:77], v68 offset:3736
	s_waitcnt lgkmcnt(0)
	v_fma_f64 v[66:67], -v[20:21], v[70:71], v[66:67]
	v_fma_f64 v[66:67], -v[24:25], v[72:73], v[66:67]
	v_fma_f64 v[66:67], -v[26:27], v[74:75], v[66:67]
	ds_read_b64 v[70:71], v68 offset:4248
	ds_read_b64 v[72:73], v68 offset:4760
	ds_read_b64 v[74:75], v68 offset:5272
	v_fma_f64 v[66:67], -v[28:29], v[76:77], v[66:67]
	ds_read_b64 v[76:77], v68 offset:5784
	;; [unrolled: 9-line block ×3, first 2 shown]
	s_waitcnt lgkmcnt(0)
	v_fma_f64 v[66:67], -v[42:43], v[70:71], v[66:67]
	v_fma_f64 v[66:67], -v[44:45], v[72:73], v[66:67]
	;; [unrolled: 1-line block ×3, first 2 shown]
	ds_read_b64 v[70:71], v68 offset:8344
	ds_read_b64 v[72:73], v68 offset:8856
	;; [unrolled: 1-line block ×4, first 2 shown]
	v_fma_f64 v[66:67], -v[50:51], v[76:77], v[66:67]
	s_waitcnt lgkmcnt(0)
	v_fma_f64 v[66:67], -v[54:55], v[70:71], v[66:67]
	v_fma_f64 v[66:67], -v[58:59], v[72:73], v[66:67]
	;; [unrolled: 1-line block ×3, first 2 shown]
	v_mul_f64 v[66:67], v[78:79], v[66:67]
	flat_store_dwordx2 v[2:3], v[66:67] offset:152
	ds_read_b64 v[70:71], v68 offset:160
	ds_read_b64 v[72:73], v68 offset:672
	;; [unrolled: 1-line block ×4, first 2 shown]
	s_waitcnt lgkmcnt(0)
	v_fma_f64 v[64:65], -v[12:13], v[70:71], v[64:65]
	v_fma_f64 v[64:65], -v[14:15], v[72:73], v[64:65]
	;; [unrolled: 1-line block ×3, first 2 shown]
	ds_read_b64 v[70:71], v68 offset:2208
	ds_read_b64 v[72:73], v68 offset:2720
	;; [unrolled: 1-line block ×3, first 2 shown]
	v_fma_f64 v[64:65], -v[18:19], v[76:77], v[64:65]
	ds_read_b64 v[76:77], v68 offset:3744
	s_waitcnt lgkmcnt(0)
	v_fma_f64 v[64:65], -v[20:21], v[70:71], v[64:65]
	v_fma_f64 v[64:65], -v[24:25], v[72:73], v[64:65]
	;; [unrolled: 1-line block ×3, first 2 shown]
	ds_read_b64 v[70:71], v68 offset:4256
	ds_read_b64 v[72:73], v68 offset:4768
	;; [unrolled: 1-line block ×3, first 2 shown]
	v_fma_f64 v[64:65], -v[28:29], v[76:77], v[64:65]
	ds_read_b64 v[76:77], v68 offset:5792
	s_waitcnt lgkmcnt(0)
	v_fma_f64 v[64:65], -v[30:31], v[70:71], v[64:65]
	v_fma_f64 v[64:65], -v[34:35], v[72:73], v[64:65]
	v_fma_f64 v[64:65], -v[36:37], v[74:75], v[64:65]
	ds_read_b64 v[70:71], v68 offset:6304
	ds_read_b64 v[72:73], v68 offset:6816
	;; [unrolled: 1-line block ×4, first 2 shown]
	v_fma_f64 v[64:65], -v[38:39], v[76:77], v[64:65]
	s_waitcnt lgkmcnt(0)
	v_fma_f64 v[64:65], -v[42:43], v[70:71], v[64:65]
	v_fma_f64 v[64:65], -v[44:45], v[72:73], v[64:65]
	;; [unrolled: 1-line block ×4, first 2 shown]
	ds_read_b64 v[70:71], v68 offset:8352
	ds_read_b64 v[72:73], v68 offset:8864
	;; [unrolled: 1-line block ×5, first 2 shown]
	s_waitcnt lgkmcnt(0)
	v_fma_f64 v[64:65], -v[54:55], v[70:71], v[64:65]
	v_fma_f64 v[64:65], -v[58:59], v[72:73], v[64:65]
	;; [unrolled: 1-line block ×4, first 2 shown]
	v_mul_f64 v[64:65], v[78:79], v[64:65]
	flat_store_dwordx2 v[2:3], v[64:65] offset:160
	ds_read_b64 v[70:71], v68 offset:168
	ds_read_b64 v[72:73], v68 offset:680
	;; [unrolled: 1-line block ×4, first 2 shown]
	s_waitcnt lgkmcnt(0)
	v_fma_f64 v[60:61], -v[12:13], v[70:71], v[60:61]
	v_fma_f64 v[60:61], -v[14:15], v[72:73], v[60:61]
	v_fma_f64 v[60:61], -v[16:17], v[74:75], v[60:61]
	ds_read_b64 v[70:71], v68 offset:2216
	ds_read_b64 v[72:73], v68 offset:2728
	ds_read_b64 v[74:75], v68 offset:3240
	v_fma_f64 v[60:61], -v[18:19], v[76:77], v[60:61]
	ds_read_b64 v[76:77], v68 offset:3752
	s_waitcnt lgkmcnt(0)
	v_fma_f64 v[60:61], -v[20:21], v[70:71], v[60:61]
	v_fma_f64 v[60:61], -v[24:25], v[72:73], v[60:61]
	v_fma_f64 v[60:61], -v[26:27], v[74:75], v[60:61]
	ds_read_b64 v[70:71], v68 offset:4264
	ds_read_b64 v[72:73], v68 offset:4776
	ds_read_b64 v[74:75], v68 offset:5288
	v_fma_f64 v[60:61], -v[28:29], v[76:77], v[60:61]
	ds_read_b64 v[76:77], v68 offset:5800
	s_waitcnt lgkmcnt(0)
	v_fma_f64 v[60:61], -v[30:31], v[70:71], v[60:61]
	v_fma_f64 v[60:61], -v[34:35], v[72:73], v[60:61]
	v_fma_f64 v[60:61], -v[36:37], v[74:75], v[60:61]
	ds_read_b64 v[70:71], v68 offset:6312
	ds_read_b64 v[72:73], v68 offset:6824
	ds_read_b64 v[74:75], v68 offset:7336
	v_fma_f64 v[60:61], -v[38:39], v[76:77], v[60:61]
	ds_read_b64 v[76:77], v68 offset:7848
	s_waitcnt lgkmcnt(0)
	v_fma_f64 v[60:61], -v[42:43], v[70:71], v[60:61]
	ds_read_b64 v[70:71], v68 offset:8360
	v_fma_f64 v[60:61], -v[44:45], v[72:73], v[60:61]
	v_fma_f64 v[60:61], -v[48:49], v[74:75], v[60:61]
	;; [unrolled: 1-line block ×3, first 2 shown]
	ds_read_b64 v[72:73], v68 offset:8872
	ds_read_b64 v[74:75], v68 offset:9384
	;; [unrolled: 1-line block ×3, first 2 shown]
	s_waitcnt lgkmcnt(0)
	v_fma_f64 v[60:61], -v[54:55], v[70:71], v[60:61]
	ds_read_b64 v[70:71], v68 offset:10408
	ds_read_b64 v[78:79], v68 offset:10920
	v_fma_f64 v[60:61], -v[58:59], v[72:73], v[60:61]
	v_fma_f64 v[60:61], -v[62:63], v[74:75], v[60:61]
	;; [unrolled: 1-line block ×3, first 2 shown]
	s_waitcnt lgkmcnt(0)
	v_fma_f64 v[60:61], -v[64:65], v[70:71], v[60:61]
	v_mul_f64 v[60:61], v[78:79], v[60:61]
	flat_store_dwordx2 v[2:3], v[60:61] offset:168
	ds_read_b64 v[70:71], v68 offset:176
	ds_read_b64 v[72:73], v68 offset:688
	;; [unrolled: 1-line block ×4, first 2 shown]
	s_waitcnt lgkmcnt(0)
	v_fma_f64 v[56:57], -v[12:13], v[70:71], v[56:57]
	v_fma_f64 v[56:57], -v[14:15], v[72:73], v[56:57]
	v_fma_f64 v[56:57], -v[16:17], v[74:75], v[56:57]
	ds_read_b64 v[70:71], v68 offset:2224
	ds_read_b64 v[72:73], v68 offset:2736
	ds_read_b64 v[74:75], v68 offset:3248
	v_fma_f64 v[56:57], -v[18:19], v[76:77], v[56:57]
	ds_read_b64 v[76:77], v68 offset:3760
	s_waitcnt lgkmcnt(0)
	v_fma_f64 v[56:57], -v[20:21], v[70:71], v[56:57]
	v_fma_f64 v[56:57], -v[24:25], v[72:73], v[56:57]
	v_fma_f64 v[56:57], -v[26:27], v[74:75], v[56:57]
	ds_read_b64 v[70:71], v68 offset:4272
	ds_read_b64 v[72:73], v68 offset:4784
	ds_read_b64 v[74:75], v68 offset:5296
	v_fma_f64 v[56:57], -v[28:29], v[76:77], v[56:57]
	ds_read_b64 v[76:77], v68 offset:5808
	s_waitcnt lgkmcnt(0)
	v_fma_f64 v[56:57], -v[30:31], v[70:71], v[56:57]
	v_fma_f64 v[56:57], -v[34:35], v[72:73], v[56:57]
	v_fma_f64 v[56:57], -v[36:37], v[74:75], v[56:57]
	ds_read_b64 v[70:71], v68 offset:6320
	ds_read_b64 v[72:73], v68 offset:6832
	ds_read_b64 v[74:75], v68 offset:7344
	v_fma_f64 v[56:57], -v[38:39], v[76:77], v[56:57]
	ds_read_b64 v[76:77], v68 offset:7856
	s_waitcnt lgkmcnt(0)
	v_fma_f64 v[56:57], -v[42:43], v[70:71], v[56:57]
	v_fma_f64 v[56:57], -v[44:45], v[72:73], v[56:57]
	ds_read_b64 v[70:71], v68 offset:8368
	ds_read_b64 v[72:73], v68 offset:8880
	v_fma_f64 v[56:57], -v[48:49], v[74:75], v[56:57]
	v_fma_f64 v[56:57], -v[50:51], v[76:77], v[56:57]
	ds_read_b64 v[74:75], v68 offset:9392
	ds_read_b64 v[76:77], v68 offset:9904
	s_waitcnt lgkmcnt(0)
	v_fma_f64 v[56:57], -v[54:55], v[70:71], v[56:57]
	v_fma_f64 v[56:57], -v[58:59], v[72:73], v[56:57]
	ds_read_b64 v[70:71], v68 offset:10416
	ds_read_b64 v[72:73], v68 offset:10928
	;; [unrolled: 1-line block ×3, first 2 shown]
	v_fma_f64 v[56:57], -v[62:63], v[74:75], v[56:57]
	v_fma_f64 v[56:57], -v[66:67], v[76:77], v[56:57]
	s_waitcnt lgkmcnt(0)
	v_fma_f64 v[56:57], -v[64:65], v[70:71], v[56:57]
	v_fma_f64 v[56:57], -v[60:61], v[72:73], v[56:57]
	v_mul_f64 v[56:57], v[78:79], v[56:57]
	flat_store_dwordx2 v[2:3], v[56:57] offset:176
	ds_read_b64 v[70:71], v68 offset:184
	ds_read_b64 v[72:73], v68 offset:696
	;; [unrolled: 1-line block ×4, first 2 shown]
	s_waitcnt lgkmcnt(0)
	v_fma_f64 v[52:53], -v[12:13], v[70:71], v[52:53]
	v_fma_f64 v[52:53], -v[14:15], v[72:73], v[52:53]
	v_fma_f64 v[52:53], -v[16:17], v[74:75], v[52:53]
	ds_read_b64 v[70:71], v68 offset:2232
	ds_read_b64 v[72:73], v68 offset:2744
	ds_read_b64 v[74:75], v68 offset:3256
	v_fma_f64 v[52:53], -v[18:19], v[76:77], v[52:53]
	ds_read_b64 v[76:77], v68 offset:3768
	s_waitcnt lgkmcnt(0)
	v_fma_f64 v[52:53], -v[20:21], v[70:71], v[52:53]
	v_fma_f64 v[52:53], -v[24:25], v[72:73], v[52:53]
	v_fma_f64 v[52:53], -v[26:27], v[74:75], v[52:53]
	ds_read_b64 v[70:71], v68 offset:4280
	ds_read_b64 v[72:73], v68 offset:4792
	ds_read_b64 v[74:75], v68 offset:5304
	v_fma_f64 v[52:53], -v[28:29], v[76:77], v[52:53]
	ds_read_b64 v[76:77], v68 offset:5816
	;; [unrolled: 9-line block ×4, first 2 shown]
	s_waitcnt lgkmcnt(0)
	v_fma_f64 v[52:53], -v[54:55], v[70:71], v[52:53]
	v_fma_f64 v[52:53], -v[58:59], v[72:73], v[52:53]
	;; [unrolled: 1-line block ×3, first 2 shown]
	ds_read_b64 v[70:71], v68 offset:10424
	ds_read_b64 v[72:73], v68 offset:10936
	;; [unrolled: 1-line block ×3, first 2 shown]
	ds_read_b64 v[78:79], v69
	v_fma_f64 v[52:53], -v[66:67], v[76:77], v[52:53]
	s_waitcnt lgkmcnt(0)
	v_fma_f64 v[52:53], -v[64:65], v[70:71], v[52:53]
	v_fma_f64 v[52:53], -v[60:61], v[72:73], v[52:53]
	;; [unrolled: 1-line block ×3, first 2 shown]
	v_mul_f64 v[52:53], v[78:79], v[52:53]
	flat_store_dwordx2 v[2:3], v[52:53] offset:184
	ds_read_b64 v[70:71], v68 offset:192
	ds_read_b64 v[72:73], v68 offset:704
	;; [unrolled: 1-line block ×4, first 2 shown]
	v_mov_b32_e32 v69, s6
	s_waitcnt lgkmcnt(0)
	v_fma_f64 v[46:47], -v[12:13], v[70:71], v[46:47]
	v_fma_f64 v[46:47], -v[14:15], v[72:73], v[46:47]
	v_fma_f64 v[46:47], -v[16:17], v[74:75], v[46:47]
	ds_read_b64 v[70:71], v68 offset:2240
	ds_read_b64 v[72:73], v68 offset:2752
	ds_read_b64 v[74:75], v68 offset:3264
	v_fma_f64 v[46:47], -v[18:19], v[76:77], v[46:47]
	ds_read_b64 v[76:77], v68 offset:3776
	s_waitcnt lgkmcnt(0)
	v_fma_f64 v[46:47], -v[20:21], v[70:71], v[46:47]
	v_fma_f64 v[46:47], -v[24:25], v[72:73], v[46:47]
	v_fma_f64 v[46:47], -v[26:27], v[74:75], v[46:47]
	ds_read_b64 v[70:71], v68 offset:4288
	ds_read_b64 v[72:73], v68 offset:4800
	ds_read_b64 v[74:75], v68 offset:5312
	v_fma_f64 v[46:47], -v[28:29], v[76:77], v[46:47]
	ds_read_b64 v[76:77], v68 offset:5824
	;; [unrolled: 9-line block ×3, first 2 shown]
	s_waitcnt lgkmcnt(0)
	v_fma_f64 v[46:47], -v[42:43], v[70:71], v[46:47]
	v_fma_f64 v[46:47], -v[44:45], v[72:73], v[46:47]
	;; [unrolled: 1-line block ×3, first 2 shown]
	ds_read_b64 v[70:71], v68 offset:8384
	ds_read_b64 v[72:73], v68 offset:8896
	;; [unrolled: 1-line block ×4, first 2 shown]
	v_fma_f64 v[46:47], -v[50:51], v[76:77], v[46:47]
	s_waitcnt lgkmcnt(0)
	v_fma_f64 v[46:47], -v[54:55], v[70:71], v[46:47]
	v_fma_f64 v[46:47], -v[58:59], v[72:73], v[46:47]
	s_or_b32 s6, s0, 24
	v_fma_f64 v[46:47], -v[62:63], v[74:75], v[46:47]
	s_mul_i32 s7, s6, 0x208
	v_fma_f64 v[46:47], -v[66:67], v[78:79], v[46:47]
	ds_read_b64 v[70:71], v68 offset:10432
	ds_read_b64 v[72:73], v68 offset:10944
	ds_read_b64 v[74:75], v68 offset:11456
	ds_read_b64 v[76:77], v69 offset:192
	v_mov_b32_e32 v78, s7
	ds_read_b64 v[78:79], v78
	s_waitcnt lgkmcnt(0)
	v_fma_f64 v[46:47], -v[64:65], v[70:71], v[46:47]
	v_fma_f64 v[46:47], -v[60:61], v[72:73], v[46:47]
	;; [unrolled: 1-line block ×4, first 2 shown]
	v_mul_f64 v[46:47], v[78:79], v[46:47]
	flat_store_dwordx2 v[2:3], v[46:47] offset:192
	ds_read_b64 v[70:71], v68 offset:200
	ds_read_b64 v[72:73], v68 offset:712
	;; [unrolled: 1-line block ×4, first 2 shown]
	s_lshl_b32 s6, s6, 9
	s_waitcnt lgkmcnt(0)
	v_fma_f64 v[40:41], -v[12:13], v[70:71], v[40:41]
	v_fma_f64 v[40:41], -v[14:15], v[72:73], v[40:41]
	v_fma_f64 v[40:41], -v[16:17], v[74:75], v[40:41]
	ds_read_b64 v[70:71], v68 offset:2248
	ds_read_b64 v[72:73], v68 offset:2760
	ds_read_b64 v[74:75], v68 offset:3272
	v_fma_f64 v[40:41], -v[18:19], v[76:77], v[40:41]
	ds_read_b64 v[76:77], v68 offset:3784
	s_waitcnt lgkmcnt(0)
	v_fma_f64 v[40:41], -v[20:21], v[70:71], v[40:41]
	v_fma_f64 v[40:41], -v[24:25], v[72:73], v[40:41]
	v_fma_f64 v[40:41], -v[26:27], v[74:75], v[40:41]
	ds_read_b64 v[70:71], v68 offset:4296
	ds_read_b64 v[72:73], v68 offset:4808
	ds_read_b64 v[74:75], v68 offset:5320
	v_fma_f64 v[40:41], -v[28:29], v[76:77], v[40:41]
	ds_read_b64 v[76:77], v68 offset:5832
	;; [unrolled: 9-line block ×4, first 2 shown]
	s_waitcnt lgkmcnt(0)
	v_fma_f64 v[40:41], -v[54:55], v[70:71], v[40:41]
	ds_read_b64 v[70:71], v68 offset:10440
	v_fma_f64 v[40:41], -v[58:59], v[72:73], v[40:41]
	v_fma_f64 v[40:41], -v[62:63], v[74:75], v[40:41]
	;; [unrolled: 1-line block ×3, first 2 shown]
	s_add_i32 s6, s2, s6
	ds_read_b64 v[72:73], v68 offset:10952
	ds_read_b64 v[74:75], v68 offset:11464
	;; [unrolled: 1-line block ×3, first 2 shown]
	s_waitcnt lgkmcnt(0)
	v_fma_f64 v[40:41], -v[64:65], v[70:71], v[40:41]
	v_mov_b32_e32 v70, s6
	s_or_b32 s6, s0, 25
	s_mul_i32 s7, s6, 0x208
	v_mov_b32_e32 v71, s7
	ds_read_b64 v[78:79], v70 offset:200
	ds_read_b64 v[80:81], v71
	v_fma_f64 v[40:41], -v[60:61], v[72:73], v[40:41]
	v_fma_f64 v[40:41], -v[56:57], v[74:75], v[40:41]
	;; [unrolled: 1-line block ×3, first 2 shown]
	s_waitcnt lgkmcnt(0)
	v_fma_f64 v[40:41], -v[46:47], v[78:79], v[40:41]
	v_mul_f64 v[40:41], v[80:81], v[40:41]
	flat_store_dwordx2 v[2:3], v[40:41] offset:200
	ds_read_b64 v[72:73], v68 offset:208
	ds_read_b64 v[74:75], v68 offset:720
	;; [unrolled: 1-line block ×4, first 2 shown]
	s_lshl_b32 s6, s6, 9
	s_waitcnt lgkmcnt(0)
	v_fma_f64 v[32:33], -v[12:13], v[72:73], v[32:33]
	v_fma_f64 v[32:33], -v[14:15], v[74:75], v[32:33]
	v_fma_f64 v[32:33], -v[16:17], v[76:77], v[32:33]
	ds_read_b64 v[72:73], v68 offset:2256
	ds_read_b64 v[74:75], v68 offset:2768
	ds_read_b64 v[76:77], v68 offset:3280
	v_fma_f64 v[32:33], -v[18:19], v[78:79], v[32:33]
	ds_read_b64 v[78:79], v68 offset:3792
	s_waitcnt lgkmcnt(0)
	v_fma_f64 v[32:33], -v[20:21], v[72:73], v[32:33]
	v_fma_f64 v[32:33], -v[24:25], v[74:75], v[32:33]
	v_fma_f64 v[32:33], -v[26:27], v[76:77], v[32:33]
	ds_read_b64 v[72:73], v68 offset:4304
	ds_read_b64 v[74:75], v68 offset:4816
	ds_read_b64 v[76:77], v68 offset:5328
	v_fma_f64 v[32:33], -v[28:29], v[78:79], v[32:33]
	ds_read_b64 v[78:79], v68 offset:5840
	s_waitcnt lgkmcnt(0)
	v_fma_f64 v[32:33], -v[30:31], v[72:73], v[32:33]
	v_fma_f64 v[32:33], -v[34:35], v[74:75], v[32:33]
	v_fma_f64 v[32:33], -v[36:37], v[76:77], v[32:33]
	ds_read_b64 v[72:73], v68 offset:6352
	ds_read_b64 v[74:75], v68 offset:6864
	ds_read_b64 v[76:77], v68 offset:7376
	v_fma_f64 v[32:33], -v[38:39], v[78:79], v[32:33]
	ds_read_b64 v[78:79], v68 offset:7888
	s_waitcnt lgkmcnt(0)
	v_fma_f64 v[32:33], -v[42:43], v[72:73], v[32:33]
	v_fma_f64 v[32:33], -v[44:45], v[74:75], v[32:33]
	v_fma_f64 v[32:33], -v[48:49], v[76:77], v[32:33]
	ds_read_b64 v[72:73], v68 offset:8400
	ds_read_b64 v[74:75], v68 offset:8912
	ds_read_b64 v[76:77], v68 offset:9424
	v_fma_f64 v[32:33], -v[50:51], v[78:79], v[32:33]
	ds_read_b64 v[78:79], v68 offset:9936
	s_waitcnt lgkmcnt(0)
	v_fma_f64 v[32:33], -v[54:55], v[72:73], v[32:33]
	v_fma_f64 v[32:33], -v[58:59], v[74:75], v[32:33]
	ds_read_b64 v[72:73], v68 offset:10448
	ds_read_b64 v[74:75], v68 offset:10960
	v_fma_f64 v[32:33], -v[62:63], v[76:77], v[32:33]
	s_add_i32 s6, s2, s6
	v_fma_f64 v[32:33], -v[66:67], v[78:79], v[32:33]
	ds_read_b64 v[76:77], v68 offset:11472
	ds_read_b64 v[78:79], v69 offset:208
	v_mov_b32_e32 v71, s6
	s_or_b32 s6, s0, 26
	s_mul_i32 s7, s6, 0x208
	s_waitcnt lgkmcnt(0)
	v_fma_f64 v[32:33], -v[64:65], v[72:73], v[32:33]
	v_mov_b32_e32 v80, s7
	v_fma_f64 v[32:33], -v[60:61], v[74:75], v[32:33]
	ds_read_b64 v[72:73], v70 offset:208
	ds_read_b64 v[74:75], v71 offset:208
	ds_read_b64 v[80:81], v80
	v_fma_f64 v[32:33], -v[56:57], v[76:77], v[32:33]
	v_fma_f64 v[32:33], -v[52:53], v[78:79], v[32:33]
	s_waitcnt lgkmcnt(0)
	v_fma_f64 v[32:33], -v[46:47], v[72:73], v[32:33]
	v_fma_f64 v[32:33], -v[40:41], v[74:75], v[32:33]
	v_mul_f64 v[32:33], v[80:81], v[32:33]
	flat_store_dwordx2 v[2:3], v[32:33] offset:208
	ds_read_b64 v[72:73], v68 offset:216
	ds_read_b64 v[74:75], v68 offset:728
	;; [unrolled: 1-line block ×4, first 2 shown]
	s_lshl_b32 s6, s6, 9
	s_waitcnt lgkmcnt(0)
	v_fma_f64 v[22:23], -v[12:13], v[72:73], v[22:23]
	v_fma_f64 v[22:23], -v[14:15], v[74:75], v[22:23]
	v_fma_f64 v[22:23], -v[16:17], v[76:77], v[22:23]
	ds_read_b64 v[72:73], v68 offset:2264
	ds_read_b64 v[74:75], v68 offset:2776
	ds_read_b64 v[76:77], v68 offset:3288
	v_fma_f64 v[22:23], -v[18:19], v[78:79], v[22:23]
	ds_read_b64 v[78:79], v68 offset:3800
	s_waitcnt lgkmcnt(0)
	v_fma_f64 v[22:23], -v[20:21], v[72:73], v[22:23]
	v_fma_f64 v[22:23], -v[24:25], v[74:75], v[22:23]
	v_fma_f64 v[22:23], -v[26:27], v[76:77], v[22:23]
	ds_read_b64 v[72:73], v68 offset:4312
	ds_read_b64 v[74:75], v68 offset:4824
	ds_read_b64 v[76:77], v68 offset:5336
	v_fma_f64 v[22:23], -v[28:29], v[78:79], v[22:23]
	ds_read_b64 v[78:79], v68 offset:5848
	;; [unrolled: 9-line block ×5, first 2 shown]
	s_add_i32 s6, s2, s6
	v_mov_b32_e32 v82, s6
	s_or_b32 s6, s0, 27
	s_waitcnt lgkmcnt(0)
	v_fma_f64 v[22:23], -v[64:65], v[72:73], v[22:23]
	s_mul_i32 s7, s6, 0x208
	v_fma_f64 v[22:23], -v[60:61], v[74:75], v[22:23]
	v_mov_b32_e32 v80, s7
	v_fma_f64 v[22:23], -v[56:57], v[76:77], v[22:23]
	ds_read_b64 v[72:73], v70 offset:216
	ds_read_b64 v[74:75], v71 offset:216
	ds_read_b64 v[76:77], v82 offset:216
	ds_read_b64 v[80:81], v80
	v_fma_f64 v[22:23], -v[52:53], v[78:79], v[22:23]
	s_waitcnt lgkmcnt(0)
	v_fma_f64 v[22:23], -v[46:47], v[72:73], v[22:23]
	v_fma_f64 v[22:23], -v[40:41], v[74:75], v[22:23]
	;; [unrolled: 1-line block ×3, first 2 shown]
	v_mul_f64 v[22:23], v[80:81], v[22:23]
	flat_store_dwordx2 v[2:3], v[22:23] offset:216
	ds_read_b64 v[72:73], v68 offset:224
	ds_read_b64 v[74:75], v68 offset:736
	;; [unrolled: 1-line block ×4, first 2 shown]
	s_lshl_b32 s6, s6, 9
	s_waitcnt lgkmcnt(0)
	v_fma_f64 v[10:11], -v[12:13], v[72:73], v[10:11]
	v_fma_f64 v[10:11], -v[14:15], v[74:75], v[10:11]
	v_fma_f64 v[10:11], -v[16:17], v[76:77], v[10:11]
	ds_read_b64 v[72:73], v68 offset:2272
	ds_read_b64 v[74:75], v68 offset:2784
	ds_read_b64 v[76:77], v68 offset:3296
	v_fma_f64 v[10:11], -v[18:19], v[78:79], v[10:11]
	ds_read_b64 v[78:79], v68 offset:3808
	s_waitcnt lgkmcnt(0)
	v_fma_f64 v[10:11], -v[20:21], v[72:73], v[10:11]
	v_fma_f64 v[10:11], -v[24:25], v[74:75], v[10:11]
	v_fma_f64 v[10:11], -v[26:27], v[76:77], v[10:11]
	ds_read_b64 v[72:73], v68 offset:4320
	ds_read_b64 v[74:75], v68 offset:4832
	ds_read_b64 v[76:77], v68 offset:5344
	v_fma_f64 v[10:11], -v[28:29], v[78:79], v[10:11]
	ds_read_b64 v[78:79], v68 offset:5856
	;; [unrolled: 9-line block ×4, first 2 shown]
	s_waitcnt lgkmcnt(0)
	v_fma_f64 v[10:11], -v[54:55], v[72:73], v[10:11]
	v_fma_f64 v[10:11], -v[58:59], v[74:75], v[10:11]
	v_fma_f64 v[10:11], -v[62:63], v[76:77], v[10:11]
	ds_read_b64 v[72:73], v68 offset:10464
	ds_read_b64 v[74:75], v68 offset:10976
	;; [unrolled: 1-line block ×4, first 2 shown]
	v_fma_f64 v[10:11], -v[66:67], v[78:79], v[10:11]
	s_waitcnt lgkmcnt(0)
	v_fma_f64 v[10:11], -v[64:65], v[72:73], v[10:11]
	s_add_i32 s6, s2, s6
	v_fma_f64 v[10:11], -v[60:61], v[74:75], v[10:11]
	v_mov_b32_e32 v83, s6
	s_or_b32 s6, s0, 28
	v_fma_f64 v[10:11], -v[56:57], v[76:77], v[10:11]
	s_mul_i32 s7, s6, 0x208
	v_fma_f64 v[10:11], -v[52:53], v[80:81], v[10:11]
	ds_read_b64 v[72:73], v70 offset:224
	ds_read_b64 v[74:75], v71 offset:224
	;; [unrolled: 1-line block ×4, first 2 shown]
	v_mov_b32_e32 v80, s7
	ds_read_b64 v[80:81], v80
	s_waitcnt lgkmcnt(0)
	v_fma_f64 v[10:11], -v[46:47], v[72:73], v[10:11]
	v_fma_f64 v[10:11], -v[40:41], v[74:75], v[10:11]
	;; [unrolled: 1-line block ×4, first 2 shown]
	v_mul_f64 v[10:11], v[80:81], v[10:11]
	flat_store_dwordx2 v[2:3], v[10:11] offset:224
	ds_read_b64 v[72:73], v68 offset:232
	ds_read_b64 v[74:75], v68 offset:744
	;; [unrolled: 1-line block ×4, first 2 shown]
	s_lshl_b32 s6, s6, 9
	s_waitcnt lgkmcnt(0)
	v_fma_f64 v[8:9], -v[12:13], v[72:73], v[8:9]
	v_fma_f64 v[8:9], -v[14:15], v[74:75], v[8:9]
	v_fma_f64 v[8:9], -v[16:17], v[76:77], v[8:9]
	ds_read_b64 v[72:73], v68 offset:2280
	ds_read_b64 v[74:75], v68 offset:2792
	ds_read_b64 v[76:77], v68 offset:3304
	v_fma_f64 v[8:9], -v[18:19], v[78:79], v[8:9]
	ds_read_b64 v[78:79], v68 offset:3816
	s_waitcnt lgkmcnt(0)
	v_fma_f64 v[8:9], -v[20:21], v[72:73], v[8:9]
	v_fma_f64 v[8:9], -v[24:25], v[74:75], v[8:9]
	v_fma_f64 v[8:9], -v[26:27], v[76:77], v[8:9]
	ds_read_b64 v[72:73], v68 offset:4328
	ds_read_b64 v[74:75], v68 offset:4840
	ds_read_b64 v[76:77], v68 offset:5352
	v_fma_f64 v[8:9], -v[28:29], v[78:79], v[8:9]
	ds_read_b64 v[78:79], v68 offset:5864
	;; [unrolled: 9-line block ×5, first 2 shown]
	s_waitcnt lgkmcnt(0)
	v_fma_f64 v[8:9], -v[64:65], v[72:73], v[8:9]
	ds_read_b64 v[72:73], v70 offset:232
	v_fma_f64 v[8:9], -v[60:61], v[74:75], v[8:9]
	s_add_i32 s6, s2, s6
	v_fma_f64 v[8:9], -v[56:57], v[76:77], v[8:9]
	v_mov_b32_e32 v84, s6
	s_or_b32 s6, s0, 29
	v_fma_f64 v[8:9], -v[52:53], v[78:79], v[8:9]
	ds_read_b64 v[74:75], v71 offset:232
	ds_read_b64 v[76:77], v82 offset:232
	;; [unrolled: 1-line block ×3, first 2 shown]
	s_mul_i32 s7, s6, 0x208
	v_mov_b32_e32 v80, s7
	s_waitcnt lgkmcnt(0)
	v_fma_f64 v[8:9], -v[46:47], v[72:73], v[8:9]
	ds_read_b64 v[72:73], v84 offset:232
	ds_read_b64 v[80:81], v80
	v_fma_f64 v[8:9], -v[40:41], v[74:75], v[8:9]
	v_fma_f64 v[8:9], -v[32:33], v[76:77], v[8:9]
	;; [unrolled: 1-line block ×3, first 2 shown]
	s_waitcnt lgkmcnt(0)
	v_fma_f64 v[8:9], -v[10:11], v[72:73], v[8:9]
	v_mul_f64 v[8:9], v[80:81], v[8:9]
	flat_store_dwordx2 v[2:3], v[8:9] offset:232
	ds_read_b64 v[72:73], v68 offset:240
	ds_read_b64 v[74:75], v68 offset:752
	;; [unrolled: 1-line block ×4, first 2 shown]
	s_lshl_b32 s6, s6, 9
	s_waitcnt lgkmcnt(0)
	v_fma_f64 v[6:7], -v[12:13], v[72:73], v[6:7]
	v_fma_f64 v[6:7], -v[14:15], v[74:75], v[6:7]
	v_fma_f64 v[6:7], -v[16:17], v[76:77], v[6:7]
	ds_read_b64 v[72:73], v68 offset:2288
	ds_read_b64 v[74:75], v68 offset:2800
	ds_read_b64 v[76:77], v68 offset:3312
	v_fma_f64 v[6:7], -v[18:19], v[78:79], v[6:7]
	ds_read_b64 v[78:79], v68 offset:3824
	s_waitcnt lgkmcnt(0)
	v_fma_f64 v[6:7], -v[20:21], v[72:73], v[6:7]
	v_fma_f64 v[6:7], -v[24:25], v[74:75], v[6:7]
	v_fma_f64 v[6:7], -v[26:27], v[76:77], v[6:7]
	ds_read_b64 v[72:73], v68 offset:4336
	ds_read_b64 v[74:75], v68 offset:4848
	ds_read_b64 v[76:77], v68 offset:5360
	v_fma_f64 v[6:7], -v[28:29], v[78:79], v[6:7]
	ds_read_b64 v[78:79], v68 offset:5872
	;; [unrolled: 9-line block ×5, first 2 shown]
	s_waitcnt lgkmcnt(0)
	v_fma_f64 v[6:7], -v[64:65], v[72:73], v[6:7]
	v_fma_f64 v[6:7], -v[60:61], v[74:75], v[6:7]
	ds_read_b64 v[72:73], v70 offset:240
	ds_read_b64 v[74:75], v71 offset:240
	v_fma_f64 v[6:7], -v[56:57], v[76:77], v[6:7]
	s_add_i32 s6, s2, s6
	v_fma_f64 v[6:7], -v[52:53], v[78:79], v[6:7]
	ds_read_b64 v[76:77], v82 offset:240
	ds_read_b64 v[78:79], v83 offset:240
	v_mov_b32_e32 v85, s6
	s_or_b32 s6, s0, 30
	s_mul_i32 s7, s6, 0x208
	s_waitcnt lgkmcnt(0)
	v_fma_f64 v[6:7], -v[46:47], v[72:73], v[6:7]
	v_mov_b32_e32 v80, s7
	v_fma_f64 v[6:7], -v[40:41], v[74:75], v[6:7]
	ds_read_b64 v[72:73], v84 offset:240
	ds_read_b64 v[74:75], v85 offset:240
	ds_read_b64 v[80:81], v80
	v_fma_f64 v[6:7], -v[32:33], v[76:77], v[6:7]
	v_fma_f64 v[6:7], -v[22:23], v[78:79], v[6:7]
	s_waitcnt lgkmcnt(0)
	v_fma_f64 v[6:7], -v[10:11], v[72:73], v[6:7]
	v_fma_f64 v[6:7], -v[8:9], v[74:75], v[6:7]
	v_mul_f64 v[6:7], v[80:81], v[6:7]
	flat_store_dwordx2 v[2:3], v[6:7] offset:240
	ds_read_b64 v[72:73], v68 offset:248
	ds_read_b64 v[74:75], v68 offset:760
	ds_read_b64 v[76:77], v68 offset:1272
	ds_read_b64 v[78:79], v68 offset:1784
	s_lshl_b32 s6, s6, 9
	s_waitcnt lgkmcnt(0)
	v_fma_f64 v[4:5], -v[12:13], v[72:73], v[4:5]
	v_fma_f64 v[4:5], -v[14:15], v[74:75], v[4:5]
	v_fma_f64 v[4:5], -v[16:17], v[76:77], v[4:5]
	ds_read_b64 v[12:13], v68 offset:2296
	ds_read_b64 v[14:15], v68 offset:2808
	ds_read_b64 v[16:17], v68 offset:3320
	v_fma_f64 v[4:5], -v[18:19], v[78:79], v[4:5]
	ds_read_b64 v[18:19], v68 offset:3832
	s_waitcnt lgkmcnt(0)
	v_fma_f64 v[4:5], -v[20:21], v[12:13], v[4:5]
	v_fma_f64 v[4:5], -v[24:25], v[14:15], v[4:5]
	v_fma_f64 v[4:5], -v[26:27], v[16:17], v[4:5]
	ds_read_b64 v[12:13], v68 offset:4344
	ds_read_b64 v[14:15], v68 offset:4856
	ds_read_b64 v[16:17], v68 offset:5368
	v_fma_f64 v[4:5], -v[28:29], v[18:19], v[4:5]
	ds_read_b64 v[18:19], v68 offset:5880
	;; [unrolled: 9-line block ×6, first 2 shown]
	s_waitcnt lgkmcnt(0)
	v_fma_f64 v[4:5], -v[46:47], v[12:13], v[4:5]
	v_fma_f64 v[4:5], -v[40:41], v[14:15], v[4:5]
	s_add_i32 s2, s2, s6
	v_fma_f64 v[4:5], -v[32:33], v[16:17], v[4:5]
	v_mov_b32_e32 v16, s2
	s_or_b32 s2, s0, 31
	s_mulk_i32 s2, 0x208
	v_mov_b32_e32 v20, s2
	ds_read_b64 v[12:13], v84 offset:248
	ds_read_b64 v[14:15], v85 offset:248
	;; [unrolled: 1-line block ×3, first 2 shown]
	ds_read_b64 v[20:21], v20
	v_fma_f64 v[4:5], -v[22:23], v[18:19], v[4:5]
	s_waitcnt lgkmcnt(0)
	v_fma_f64 v[4:5], -v[10:11], v[12:13], v[4:5]
	v_fma_f64 v[4:5], -v[8:9], v[14:15], v[4:5]
	;; [unrolled: 1-line block ×3, first 2 shown]
	s_add_i32 s2, s0, 32
	s_add_i32 s0, s0, 63
	v_mul_f64 v[4:5], v[20:21], v[4:5]
	s_cmp_ge_i32 s0, s22
	flat_store_dwordx2 v[2:3], v[4:5] offset:248
	s_cbranch_scc1 .LBB110_48
; %bb.47:                               ;   in Loop: Header=BB110_44 Depth=1
	s_mov_b32 s0, s2
	s_branch .LBB110_44
.LBB110_48:
	s_cmp_lt_i32 s2, s22
	s_cbranch_scc0 .LBB110_61
; %bb.49:
	s_add_i32 s0, s2, 3
	s_cmp_ge_i32 s0, s22
	s_cbranch_scc1 .LBB110_55
; %bb.50:
	s_lshl_b32 s1, s2, 3
.LBB110_51:                             ; =>This Loop Header: Depth=1
                                        ;     Child Loop BB110_52 Depth 2
	s_ashr_i32 s3, s2, 31
	v_lshl_add_u64 v[2:3], s[2:3], 3, v[0:1]
	flat_load_dwordx4 v[4:7], v[2:3]
	flat_load_dwordx4 v[14:17], v[2:3] offset:16
	v_mov_b64_e32 v[12:13], v[0:1]
	s_mov_b32 s0, s1
	s_cmp_eq_u32 s2, 0
	s_mov_b32 s3, s2
	s_waitcnt vmcnt(0) lgkmcnt(0)
	v_mul_f64 v[10:11], s[4:5], v[4:5]
	v_mul_f64 v[8:9], s[4:5], v[6:7]
	;; [unrolled: 1-line block ×4, first 2 shown]
	s_cbranch_scc1 .LBB110_53
.LBB110_52:                             ;   Parent Loop BB110_51 Depth=1
                                        ; =>  This Inner Loop Header: Depth=2
	flat_load_dwordx2 v[22:23], v[12:13]
	v_mov_b32_e32 v18, s0
	ds_read2_b64 v[14:17], v18 offset1:1
	ds_read2_b64 v[18:21], v18 offset0:2 offset1:3
	s_add_i32 s3, s3, -1
	s_addk_i32 s0, 0x200
	v_lshl_add_u64 v[12:13], v[12:13], 0, 8
	s_cmp_lg_u32 s3, 0
	s_waitcnt vmcnt(0) lgkmcnt(0)
	v_fma_f64 v[10:11], -v[22:23], v[14:15], v[10:11]
	v_fma_f64 v[8:9], -v[22:23], v[16:17], v[8:9]
	;; [unrolled: 1-line block ×4, first 2 shown]
	s_cbranch_scc1 .LBB110_52
.LBB110_53:                             ;   in Loop: Header=BB110_51 Depth=1
	s_lshl_b32 s0, s2, 3
	s_lshl_b32 s3, s2, 9
	s_add_i32 s0, s0, s3
	v_mov_b32_e32 v20, s0
	ds_read_b64 v[12:13], v20
	s_add_i32 s0, s2, 4
	s_add_i32 s2, s2, 7
	;; [unrolled: 1-line block ×3, first 2 shown]
	s_cmp_lt_i32 s2, s22
	s_waitcnt lgkmcnt(0)
	v_mul_f64 v[10:11], v[12:13], v[10:11]
	flat_store_dwordx2 v[2:3], v[10:11]
	ds_read_b64 v[12:13], v20 offset:8
	ds_read_b64 v[14:15], v20 offset:520
	s_waitcnt lgkmcnt(0)
	v_fma_f64 v[8:9], -v[10:11], v[12:13], v[8:9]
	v_mul_f64 v[12:13], v[14:15], v[8:9]
	flat_store_dwordx2 v[2:3], v[12:13] offset:8
	ds_read_b64 v[8:9], v20 offset:16
	ds_read_b64 v[14:15], v20 offset:528
	;; [unrolled: 1-line block ×3, first 2 shown]
	s_waitcnt lgkmcnt(0)
	v_fma_f64 v[6:7], -v[10:11], v[8:9], v[6:7]
	v_fma_f64 v[6:7], -v[12:13], v[14:15], v[6:7]
	v_mul_f64 v[14:15], v[16:17], v[6:7]
	flat_store_dwordx2 v[2:3], v[14:15] offset:16
	ds_read_b64 v[16:17], v20 offset:24
	ds_read_b64 v[18:19], v20 offset:536
	ds_read2_b64 v[6:9], v20 offset0:131 offset1:195
	s_waitcnt lgkmcnt(0)
	v_fma_f64 v[4:5], -v[10:11], v[16:17], v[4:5]
	v_fma_f64 v[4:5], -v[12:13], v[18:19], v[4:5]
	;; [unrolled: 1-line block ×3, first 2 shown]
	v_mul_f64 v[4:5], v[8:9], v[4:5]
	flat_store_dwordx2 v[2:3], v[4:5] offset:24
	s_cbranch_scc0 .LBB110_56
; %bb.54:                               ;   in Loop: Header=BB110_51 Depth=1
	s_mov_b32 s2, s0
	s_branch .LBB110_51
.LBB110_55:
	s_mov_b32 s0, s2
.LBB110_56:
	s_cmp_ge_i32 s0, s22
	s_cbranch_scc1 .LBB110_61
; %bb.57:
	s_lshl_b32 s2, s0, 3
	s_branch .LBB110_59
.LBB110_58:                             ;   in Loop: Header=BB110_59 Depth=1
	s_mul_i32 s1, s0, 0x208
	v_mov_b32_e32 v6, s1
	ds_read_b64 v[6:7], v6
	s_add_i32 s0, s0, 1
	s_add_i32 s2, s2, 8
	s_cmp_ge_i32 s0, s22
	s_waitcnt lgkmcnt(0)
	v_mul_f64 v[4:5], v[6:7], v[4:5]
	flat_store_dwordx2 v[2:3], v[4:5]
	s_cbranch_scc1 .LBB110_61
.LBB110_59:                             ; =>This Loop Header: Depth=1
                                        ;     Child Loop BB110_60 Depth 2
	s_ashr_i32 s1, s0, 31
	v_lshl_add_u64 v[2:3], s[0:1], 3, v[0:1]
	flat_load_dwordx2 v[4:5], v[2:3]
	v_mov_b64_e32 v[6:7], v[0:1]
	s_mov_b32 s1, s2
	s_cmp_eq_u32 s0, 0
	s_mov_b32 s3, s0
	s_waitcnt vmcnt(0) lgkmcnt(0)
	v_mul_f64 v[4:5], s[4:5], v[4:5]
	s_cbranch_scc1 .LBB110_58
.LBB110_60:                             ;   Parent Loop BB110_59 Depth=1
                                        ; =>  This Inner Loop Header: Depth=2
	flat_load_dwordx2 v[8:9], v[6:7]
	v_mov_b32_e32 v10, s1
	ds_read_b64 v[10:11], v10
	s_add_i32 s3, s3, -1
	s_addk_i32 s1, 0x200
	v_lshl_add_u64 v[6:7], v[6:7], 0, 8
	s_cmp_lg_u32 s3, 0
	s_waitcnt vmcnt(0) lgkmcnt(0)
	v_fma_f64 v[4:5], -v[8:9], v[10:11], v[4:5]
	s_cbranch_scc1 .LBB110_60
	s_branch .LBB110_58
.LBB110_61:
	s_endpgm
	.section	.rodata,"a",@progbits
	.p2align	6, 0x0
	.amdhsa_kernel _ZL30rocblas_trsm_small_left_deviceILi64ELi32ELb1EddPKPKdPKPdEv13rocblas_fill_18rocblas_operation_17rocblas_diagonal_iiT3_T4_lilT5_lili
		.amdhsa_group_segment_fixed_size 32768
		.amdhsa_private_segment_fixed_size 0
		.amdhsa_kernarg_size 360
		.amdhsa_user_sgpr_count 2
		.amdhsa_user_sgpr_dispatch_ptr 0
		.amdhsa_user_sgpr_queue_ptr 0
		.amdhsa_user_sgpr_kernarg_segment_ptr 1
		.amdhsa_user_sgpr_dispatch_id 0
		.amdhsa_user_sgpr_kernarg_preload_length 0
		.amdhsa_user_sgpr_kernarg_preload_offset 0
		.amdhsa_user_sgpr_private_segment_size 0
		.amdhsa_uses_dynamic_stack 0
		.amdhsa_enable_private_segment 0
		.amdhsa_system_sgpr_workgroup_id_x 1
		.amdhsa_system_sgpr_workgroup_id_y 0
		.amdhsa_system_sgpr_workgroup_id_z 1
		.amdhsa_system_sgpr_workgroup_info 0
		.amdhsa_system_vgpr_workitem_id 0
		.amdhsa_next_free_vgpr 169
		.amdhsa_next_free_sgpr 96
		.amdhsa_accum_offset 136
		.amdhsa_reserve_vcc 1
		.amdhsa_float_round_mode_32 0
		.amdhsa_float_round_mode_16_64 0
		.amdhsa_float_denorm_mode_32 3
		.amdhsa_float_denorm_mode_16_64 3
		.amdhsa_dx10_clamp 1
		.amdhsa_ieee_mode 1
		.amdhsa_fp16_overflow 0
		.amdhsa_tg_split 0
		.amdhsa_exception_fp_ieee_invalid_op 0
		.amdhsa_exception_fp_denorm_src 0
		.amdhsa_exception_fp_ieee_div_zero 0
		.amdhsa_exception_fp_ieee_overflow 0
		.amdhsa_exception_fp_ieee_underflow 0
		.amdhsa_exception_fp_ieee_inexact 0
		.amdhsa_exception_int_div_zero 0
	.end_amdhsa_kernel
	.section	.text._ZL30rocblas_trsm_small_left_deviceILi64ELi32ELb1EddPKPKdPKPdEv13rocblas_fill_18rocblas_operation_17rocblas_diagonal_iiT3_T4_lilT5_lili,"axG",@progbits,_ZL30rocblas_trsm_small_left_deviceILi64ELi32ELb1EddPKPKdPKPdEv13rocblas_fill_18rocblas_operation_17rocblas_diagonal_iiT3_T4_lilT5_lili,comdat
.Lfunc_end110:
	.size	_ZL30rocblas_trsm_small_left_deviceILi64ELi32ELb1EddPKPKdPKPdEv13rocblas_fill_18rocblas_operation_17rocblas_diagonal_iiT3_T4_lilT5_lili, .Lfunc_end110-_ZL30rocblas_trsm_small_left_deviceILi64ELi32ELb1EddPKPKdPKPdEv13rocblas_fill_18rocblas_operation_17rocblas_diagonal_iiT3_T4_lilT5_lili
                                        ; -- End function
	.set _ZL30rocblas_trsm_small_left_deviceILi64ELi32ELb1EddPKPKdPKPdEv13rocblas_fill_18rocblas_operation_17rocblas_diagonal_iiT3_T4_lilT5_lili.num_vgpr, 136
	.set _ZL30rocblas_trsm_small_left_deviceILi64ELi32ELb1EddPKPKdPKPdEv13rocblas_fill_18rocblas_operation_17rocblas_diagonal_iiT3_T4_lilT5_lili.num_agpr, 0
	.set _ZL30rocblas_trsm_small_left_deviceILi64ELi32ELb1EddPKPKdPKPdEv13rocblas_fill_18rocblas_operation_17rocblas_diagonal_iiT3_T4_lilT5_lili.numbered_sgpr, 26
	.set _ZL30rocblas_trsm_small_left_deviceILi64ELi32ELb1EddPKPKdPKPdEv13rocblas_fill_18rocblas_operation_17rocblas_diagonal_iiT3_T4_lilT5_lili.num_named_barrier, 0
	.set _ZL30rocblas_trsm_small_left_deviceILi64ELi32ELb1EddPKPKdPKPdEv13rocblas_fill_18rocblas_operation_17rocblas_diagonal_iiT3_T4_lilT5_lili.private_seg_size, 0
	.set _ZL30rocblas_trsm_small_left_deviceILi64ELi32ELb1EddPKPKdPKPdEv13rocblas_fill_18rocblas_operation_17rocblas_diagonal_iiT3_T4_lilT5_lili.uses_vcc, 1
	.set _ZL30rocblas_trsm_small_left_deviceILi64ELi32ELb1EddPKPKdPKPdEv13rocblas_fill_18rocblas_operation_17rocblas_diagonal_iiT3_T4_lilT5_lili.uses_flat_scratch, 0
	.set _ZL30rocblas_trsm_small_left_deviceILi64ELi32ELb1EddPKPKdPKPdEv13rocblas_fill_18rocblas_operation_17rocblas_diagonal_iiT3_T4_lilT5_lili.has_dyn_sized_stack, 0
	.set _ZL30rocblas_trsm_small_left_deviceILi64ELi32ELb1EddPKPKdPKPdEv13rocblas_fill_18rocblas_operation_17rocblas_diagonal_iiT3_T4_lilT5_lili.has_recursion, 0
	.set _ZL30rocblas_trsm_small_left_deviceILi64ELi32ELb1EddPKPKdPKPdEv13rocblas_fill_18rocblas_operation_17rocblas_diagonal_iiT3_T4_lilT5_lili.has_indirect_call, 0
	.section	.AMDGPU.csdata,"",@progbits
; Kernel info:
; codeLenInByte = 24500
; TotalNumSgprs: 32
; NumVgprs: 136
; NumAgprs: 0
; TotalNumVgprs: 136
; ScratchSize: 0
; MemoryBound: 1
; FloatMode: 240
; IeeeMode: 1
; LDSByteSize: 32768 bytes/workgroup (compile time only)
; SGPRBlocks: 12
; VGPRBlocks: 21
; NumSGPRsForWavesPerEU: 102
; NumVGPRsForWavesPerEU: 169
; AccumOffset: 136
; Occupancy: 2
; WaveLimiterHint : 1
; COMPUTE_PGM_RSRC2:SCRATCH_EN: 0
; COMPUTE_PGM_RSRC2:USER_SGPR: 2
; COMPUTE_PGM_RSRC2:TRAP_HANDLER: 0
; COMPUTE_PGM_RSRC2:TGID_X_EN: 1
; COMPUTE_PGM_RSRC2:TGID_Y_EN: 0
; COMPUTE_PGM_RSRC2:TGID_Z_EN: 1
; COMPUTE_PGM_RSRC2:TIDIG_COMP_CNT: 0
; COMPUTE_PGM_RSRC3_GFX90A:ACCUM_OFFSET: 33
; COMPUTE_PGM_RSRC3_GFX90A:TG_SPLIT: 0
	.section	.text._ZL31rocblas_trsm_small_right_deviceIddPKPKdPKPdLi64EEv13rocblas_fill_18rocblas_operation_17rocblas_diagonal_iiT0_T1_lilT2_lili,"axG",@progbits,_ZL31rocblas_trsm_small_right_deviceIddPKPKdPKPdLi64EEv13rocblas_fill_18rocblas_operation_17rocblas_diagonal_iiT0_T1_lilT2_lili,comdat
	.globl	_ZL31rocblas_trsm_small_right_deviceIddPKPKdPKPdLi64EEv13rocblas_fill_18rocblas_operation_17rocblas_diagonal_iiT0_T1_lilT2_lili ; -- Begin function _ZL31rocblas_trsm_small_right_deviceIddPKPKdPKPdLi64EEv13rocblas_fill_18rocblas_operation_17rocblas_diagonal_iiT0_T1_lilT2_lili
	.p2align	8
	.type	_ZL31rocblas_trsm_small_right_deviceIddPKPKdPKPdLi64EEv13rocblas_fill_18rocblas_operation_17rocblas_diagonal_iiT0_T1_lilT2_lili,@function
_ZL31rocblas_trsm_small_right_deviceIddPKPKdPKPdLi64EEv13rocblas_fill_18rocblas_operation_17rocblas_diagonal_iiT0_T1_lilT2_lili: ; @_ZL31rocblas_trsm_small_right_deviceIddPKPKdPKPdLi64EEv13rocblas_fill_18rocblas_operation_17rocblas_diagonal_iiT0_T1_lilT2_lili
; %bb.0:
	s_load_dwordx4 s[4:7], s[0:1], 0x0
	s_load_dword s22, s[0:1], 0x10
	s_load_dwordx4 s[12:15], s[0:1], 0x40
	s_load_dwordx4 s[8:11], s[0:1], 0x18
	s_load_dwordx2 s[18:19], s[0:1], 0x28
	s_mov_b32 s16, s3
	s_mov_b32 s17, 0
	s_lshl_b64 s[20:21], s[16:17], 3
	s_waitcnt lgkmcnt(0)
	s_add_u32 s12, s12, s20
	s_addc_u32 s13, s13, s21
	s_load_dwordx2 s[12:13], s[12:13], 0x0
	s_min_i32 s23, s22, 64
	v_cmp_gt_i32_e32 vcc, s23, v0
	s_and_saveexec_b64 s[16:17], vcc
	s_cbranch_execz .LBB111_5
; %bb.1:
	s_load_dword s24, s[0:1], 0x30
	v_lshlrev_b32_e32 v2, 3, v0
	v_mov_b32_e32 v3, 0
	v_mov_b32_e32 v1, v2
	s_mov_b32 s3, s23
	s_waitcnt lgkmcnt(0)
	s_ashr_i32 s25, s24, 31
	s_add_u32 s10, s10, s20
	s_addc_u32 s11, s11, s21
	s_load_dwordx2 s[10:11], s[10:11], 0x0
	s_lshl_b64 s[18:19], s[18:19], 3
	s_waitcnt lgkmcnt(0)
	s_add_u32 s18, s10, s18
	s_addc_u32 s19, s11, s19
	s_lshl_b64 s[10:11], s[24:25], 3
	v_lshl_add_u64 v[4:5], s[18:19], 0, v[2:3]
.LBB111_2:                              ; =>This Inner Loop Header: Depth=1
	flat_load_dwordx2 v[6:7], v[4:5]
	s_add_i32 s3, s3, -1
	v_lshl_add_u64 v[4:5], v[4:5], 0, s[10:11]
	s_cmp_eq_u32 s3, 0
	s_waitcnt vmcnt(0) lgkmcnt(0)
	ds_write_b64 v1, v[6:7]
	v_add_u32_e32 v1, 0x200, v1
	s_cbranch_scc0 .LBB111_2
; %bb.3:
	s_cmpk_eq_i32 s6, 0x84
	s_cbranch_scc0 .LBB111_5
; %bb.4:
	v_lshl_or_b32 v1, v0, 9, v2
	v_mov_b32_e32 v2, 0
	v_mov_b32_e32 v3, 0x3ff00000
	ds_write_b64 v1, v[2:3]
.LBB111_5:
	s_or_b64 exec, exec, s[16:17]
	s_load_dword s3, s[0:1], 0x68
	s_load_dword s6, s[0:1], 0x50
	s_lshl_b64 s[0:1], s[14:15], 3
	s_waitcnt lgkmcnt(0)
	s_add_u32 s10, s12, s0
	s_addc_u32 s11, s13, s1
	s_lshl_b32 s0, s2, 6
	s_add_i32 s3, s3, -1
	s_sub_i32 s0, s7, s0
	s_cmp_ge_u32 s2, s3
	s_cselect_b32 s7, s0, 64
	s_ashr_i32 s3, s2, 31
	s_lshl_b64 s[0:1], s[2:3], 9
	s_add_u32 s2, s10, s0
	s_addc_u32 s3, s11, s1
	v_cmp_gt_i32_e64 s[0:1], s7, v0
	s_and_saveexec_b64 s[10:11], s[0:1]
	s_cbranch_execz .LBB111_9
; %bb.6:
	s_cmp_lt_i32 s22, 1
	s_cbranch_scc1 .LBB111_9
; %bb.7:
	s_ashr_i32 s7, s6, 31
	v_lshlrev_b32_e32 v4, 3, v0
	v_mov_b32_e32 v5, 0
	v_lshl_add_u64 v[2:3], s[2:3], 0, v[4:5]
	s_lshl_b64 s[12:13], s[6:7], 3
	v_or_b32_e32 v1, 0x8000, v4
	s_mov_b32 s7, s22
.LBB111_8:                              ; =>This Inner Loop Header: Depth=1
	flat_load_dwordx2 v[4:5], v[2:3]
	s_add_i32 s7, s7, -1
	v_lshl_add_u64 v[2:3], v[2:3], 0, s[12:13]
	s_cmp_lg_u32 s7, 0
	s_waitcnt vmcnt(0) lgkmcnt(0)
	v_mul_f64 v[4:5], s[8:9], v[4:5]
	ds_write_b64 v1, v[4:5]
	v_add_u32_e32 v1, 0x200, v1
	s_cbranch_scc1 .LBB111_8
.LBB111_9:
	s_or_b64 exec, exec, s[10:11]
	s_cmpk_eq_i32 s5, 0x6f
	s_cselect_b64 s[10:11], -1, 0
	s_cmpk_lg_i32 s4, 0x79
	s_cselect_b64 s[8:9], -1, 0
	s_cmpk_eq_i32 s4, 0x79
	s_cselect_b64 s[12:13], -1, 0
	s_and_b64 s[12:13], s[12:13], s[10:11]
	s_andn2_b64 vcc, exec, s[12:13]
	s_mov_b64 s[12:13], -1
	s_waitcnt lgkmcnt(0)
	; wave barrier
	s_cbranch_vccz .LBB111_66
; %bb.10:
	s_cmpk_lg_i32 s4, 0x7a
	s_cselect_b64 s[4:5], -1, 0
	s_xor_b64 s[10:11], s[10:11], -1
	s_add_i32 s7, s23, -1
	s_or_b64 s[10:11], s[4:5], s[10:11]
	v_mov_b32_e32 v1, 0x8000
	s_cmp_gt_i32 s22, 3
	v_lshl_or_b32 v1, v0, 3, v1
	s_cselect_b64 s[4:5], -1, 0
	s_and_b64 vcc, exec, s[10:11]
	s_cbranch_vccz .LBB111_45
; %bb.11:
	s_andn2_b64 vcc, exec, s[8:9]
	s_mov_b64 s[8:9], -1
	s_cbranch_vccnz .LBB111_24
; %bb.12:
	s_andn2_b64 vcc, exec, s[4:5]
	s_mov_b32 s10, 0
	s_cbranch_vccnz .LBB111_18
; %bb.13:
	v_mov_b32_e32 v2, 0x8000
	v_lshl_or_b32 v10, v0, 3, v2
	s_mov_b32 s8, 0
	s_mov_b32 s9, 0
.LBB111_14:                             ; =>This Loop Header: Depth=1
                                        ;     Child Loop BB111_15 Depth 2
	s_lshl_b32 s11, s9, 9
	s_or_b32 s10, s9, 1
	v_add_u32_e32 v12, s11, v1
	v_lshl_add_u32 v13, s10, 9, v1
	s_or_b32 s12, s11, 0x600
	ds_read2st64_b64 v[2:5], v12 offset1:2
	v_add_u32_e32 v11, s12, v1
	ds_read_b64 v[8:9], v13
	ds_read_b64 v[6:7], v11
	s_cmp_eq_u32 s9, 0
	v_mov_b32_e32 v14, v10
	s_mov_b32 s12, s8
	s_mov_b32 s13, s9
	s_cbranch_scc1 .LBB111_16
.LBB111_15:                             ;   Parent Loop BB111_14 Depth=1
                                        ; =>  This Inner Loop Header: Depth=2
	v_mov_b32_e32 v15, s12
	ds_read_b64 v[24:25], v14
	ds_read_b128 v[16:19], v15
	ds_read_b128 v[20:23], v15 offset:16
	s_add_i32 s13, s13, -1
	s_addk_i32 s12, 0x200
	v_add_u32_e32 v14, 0x200, v14
	s_cmp_eq_u32 s13, 0
	s_waitcnt lgkmcnt(1)
	v_fma_f64 v[2:3], -v[24:25], v[16:17], v[2:3]
	v_fma_f64 v[8:9], -v[24:25], v[18:19], v[8:9]
	s_waitcnt lgkmcnt(0)
	v_fma_f64 v[4:5], -v[24:25], v[20:21], v[4:5]
	v_fma_f64 v[6:7], -v[24:25], v[22:23], v[6:7]
	s_cbranch_scc0 .LBB111_15
.LBB111_16:                             ;   in Loop: Header=BB111_14 Depth=1
	s_lshl_b32 s14, s9, 3
	s_add_i32 s11, s14, s11
	v_mov_b32_e32 v15, s11
	ds_read_b128 v[16:19], v15
	ds_read_b128 v[20:23], v15 offset:16
	ds_read2_b64 v[24:27], v15 offset0:65 offset1:66
	ds_read_b128 v[28:31], v15 offset:1040
	s_addk_i32 s11, 0x208
	s_lshl_b32 s10, s10, 3
	s_waitcnt lgkmcnt(3)
	v_div_scale_f64 v[32:33], s[12:13], v[16:17], v[16:17], v[2:3]
	v_rcp_f64_e32 v[34:35], v[32:33]
	v_div_scale_f64 v[36:37], vcc, v[2:3], v[16:17], v[2:3]
	s_sub_i32 s10, s11, s10
	v_fma_f64 v[38:39], -v[32:33], v[34:35], 1.0
	v_fmac_f64_e32 v[34:35], v[34:35], v[38:39]
	v_fma_f64 v[38:39], -v[32:33], v[34:35], 1.0
	v_fmac_f64_e32 v[34:35], v[34:35], v[38:39]
	v_mul_f64 v[38:39], v[36:37], v[34:35]
	v_fma_f64 v[32:33], -v[32:33], v[38:39], v[36:37]
	v_div_fmas_f64 v[32:33], v[32:33], v[34:35], v[38:39]
	v_div_fixup_f64 v[2:3], v[32:33], v[16:17], v[2:3]
	v_fma_f64 v[8:9], -v[2:3], v[18:19], v[8:9]
	s_waitcnt lgkmcnt(1)
	v_div_scale_f64 v[16:17], s[12:13], v[24:25], v[24:25], v[8:9]
	v_rcp_f64_e32 v[18:19], v[16:17]
	v_fma_f64 v[4:5], -v[2:3], v[20:21], v[4:5]
	s_add_i32 s10, s10, s14
	v_fma_f64 v[6:7], -v[2:3], v[22:23], v[6:7]
	v_fma_f64 v[32:33], -v[16:17], v[18:19], 1.0
	v_fmac_f64_e32 v[18:19], v[18:19], v[32:33]
	v_fma_f64 v[32:33], -v[16:17], v[18:19], 1.0
	v_fmac_f64_e32 v[18:19], v[18:19], v[32:33]
	v_div_scale_f64 v[32:33], vcc, v[8:9], v[24:25], v[8:9]
	v_mul_f64 v[34:35], v[32:33], v[18:19]
	v_fma_f64 v[16:17], -v[16:17], v[34:35], v[32:33]
	v_add_u32_e32 v14, 0x400, v12
	s_nop 0
	v_div_fmas_f64 v[16:17], v[16:17], v[18:19], v[34:35]
	v_div_fixup_f64 v[8:9], v[16:17], v[24:25], v[8:9]
	v_fma_f64 v[4:5], -v[8:9], v[26:27], v[4:5]
	s_waitcnt lgkmcnt(0)
	v_div_scale_f64 v[16:17], s[12:13], v[28:29], v[28:29], v[4:5]
	v_rcp_f64_e32 v[18:19], v[16:17]
	s_add_i32 s8, s8, 32
	v_fma_f64 v[20:21], -v[16:17], v[18:19], 1.0
	v_fmac_f64_e32 v[18:19], v[18:19], v[20:21]
	v_fma_f64 v[20:21], -v[16:17], v[18:19], 1.0
	v_fmac_f64_e32 v[18:19], v[18:19], v[20:21]
	v_div_scale_f64 v[20:21], vcc, v[4:5], v[28:29], v[4:5]
	v_mul_f64 v[24:25], v[20:21], v[18:19]
	v_fma_f64 v[16:17], -v[16:17], v[24:25], v[20:21]
	v_mov_b32_e32 v20, s10
	ds_read_b64 v[20:21], v20 offset:24
	v_div_fmas_f64 v[16:17], v[16:17], v[18:19], v[24:25]
	v_div_fixup_f64 v[4:5], v[16:17], v[28:29], v[4:5]
	ds_read_b64 v[16:17], v15 offset:1560
	ds_write_b64 v12, v[2:3]
	ds_write_b64 v13, v[8:9]
	;; [unrolled: 1-line block ×3, first 2 shown]
	s_waitcnt lgkmcnt(4)
	v_fma_f64 v[6:7], -v[8:9], v[20:21], v[6:7]
	v_fma_f64 v[6:7], -v[4:5], v[30:31], v[6:7]
	s_waitcnt lgkmcnt(3)
	v_div_scale_f64 v[18:19], s[10:11], v[16:17], v[16:17], v[6:7]
	v_rcp_f64_e32 v[20:21], v[18:19]
	s_add_i32 s10, s9, 4
	s_add_i32 s9, s9, 7
	s_cmp_ge_i32 s9, s23
	v_fma_f64 v[2:3], -v[18:19], v[20:21], 1.0
	v_fmac_f64_e32 v[20:21], v[20:21], v[2:3]
	v_fma_f64 v[2:3], -v[18:19], v[20:21], 1.0
	v_fmac_f64_e32 v[20:21], v[20:21], v[2:3]
	v_div_scale_f64 v[2:3], vcc, v[6:7], v[16:17], v[6:7]
	v_mul_f64 v[4:5], v[2:3], v[20:21]
	v_fma_f64 v[2:3], -v[18:19], v[4:5], v[2:3]
	s_nop 1
	v_div_fmas_f64 v[2:3], v[2:3], v[20:21], v[4:5]
	v_div_fixup_f64 v[2:3], v[2:3], v[16:17], v[6:7]
	ds_write_b64 v11, v[2:3]
	s_cbranch_scc1 .LBB111_18
; %bb.17:                               ;   in Loop: Header=BB111_14 Depth=1
	s_mov_b32 s9, s10
	s_branch .LBB111_14
.LBB111_18:
	s_cmp_ge_i32 s10, s23
	s_cbranch_scc1 .LBB111_23
; %bb.19:
	v_mov_b32_e32 v2, 0x8000
	s_lshl_b32 s8, s10, 3
	v_lshl_or_b32 v4, v0, 3, v2
	s_branch .LBB111_21
.LBB111_20:                             ;   in Loop: Header=BB111_21 Depth=1
	s_lshl_b32 s11, s10, 3
	s_add_i32 s9, s11, s9
	v_mov_b32_e32 v6, s9
	ds_read_b64 v[6:7], v6
	s_add_i32 s10, s10, 1
	s_add_i32 s8, s8, 8
	s_cmp_ge_i32 s10, s23
	s_waitcnt lgkmcnt(0)
	v_div_scale_f64 v[8:9], s[12:13], v[6:7], v[6:7], v[2:3]
	v_rcp_f64_e32 v[10:11], v[8:9]
	v_div_scale_f64 v[12:13], vcc, v[2:3], v[6:7], v[2:3]
	v_fma_f64 v[14:15], -v[8:9], v[10:11], 1.0
	v_fmac_f64_e32 v[10:11], v[10:11], v[14:15]
	v_fma_f64 v[14:15], -v[8:9], v[10:11], 1.0
	v_fmac_f64_e32 v[10:11], v[10:11], v[14:15]
	v_mul_f64 v[14:15], v[12:13], v[10:11]
	v_fma_f64 v[8:9], -v[8:9], v[14:15], v[12:13]
	v_div_fmas_f64 v[8:9], v[8:9], v[10:11], v[14:15]
	v_div_fixup_f64 v[2:3], v[8:9], v[6:7], v[2:3]
	ds_write_b64 v5, v[2:3]
	s_cbranch_scc1 .LBB111_23
.LBB111_21:                             ; =>This Loop Header: Depth=1
                                        ;     Child Loop BB111_22 Depth 2
	s_lshl_b32 s9, s10, 9
	v_add_u32_e32 v5, s9, v1
	ds_read_b64 v[2:3], v5
	s_cmp_eq_u32 s10, 0
	v_mov_b32_e32 v6, v4
	s_mov_b32 s11, s8
	s_mov_b32 s12, s10
	s_cbranch_scc1 .LBB111_20
.LBB111_22:                             ;   Parent Loop BB111_21 Depth=1
                                        ; =>  This Inner Loop Header: Depth=2
	v_mov_b32_e32 v7, s11
	ds_read_b64 v[8:9], v6
	ds_read_b64 v[10:11], v7
	s_add_i32 s12, s12, -1
	s_addk_i32 s11, 0x200
	v_add_u32_e32 v6, 0x200, v6
	s_cmp_eq_u32 s12, 0
	s_waitcnt lgkmcnt(0)
	v_fma_f64 v[2:3], -v[8:9], v[10:11], v[2:3]
	s_cbranch_scc0 .LBB111_22
	s_branch .LBB111_20
.LBB111_23:
	s_mov_b64 s[8:9], 0
.LBB111_24:
	s_and_b64 vcc, exec, s[8:9]
	s_cbranch_vccz .LBB111_44
; %bb.25:
	s_andn2_b64 vcc, exec, s[4:5]
	s_mov_b32 s10, s7
	s_cbranch_vccnz .LBB111_31
; %bb.26:
	v_lshlrev_b32_e32 v2, 3, v0
	s_mul_i32 s8, s23, 0x208
	v_lshl_or_b32 v2, s23, 9, v2
	s_addk_i32 s8, 0xfde0
	v_add_u32_e32 v10, 0x7e00, v2
	s_mov_b32 s9, s7
.LBB111_27:                             ; =>This Loop Header: Depth=1
                                        ;     Child Loop BB111_28 Depth 2
	s_add_i32 s12, s9, -3
	v_lshl_add_u32 v12, s9, 9, v1
	s_add_i32 s11, s9, -1
	s_add_i32 s10, s9, -2
	s_lshl_b32 s13, s12, 9
	v_lshl_add_u32 v13, s11, 9, v1
	v_lshl_add_u32 v14, s10, 9, v1
	v_add_u32_e32 v11, s13, v1
	ds_read_b64 v[8:9], v12
	ds_read_b64 v[6:7], v13
	;; [unrolled: 1-line block ×4, first 2 shown]
	s_cmp_le_i32 s7, s9
	v_mov_b32_e32 v15, v10
	s_mov_b32 s14, s8
	s_mov_b32 s15, s7
	s_cbranch_scc1 .LBB111_29
.LBB111_28:                             ;   Parent Loop BB111_27 Depth=1
                                        ; =>  This Inner Loop Header: Depth=2
	v_mov_b32_e32 v20, s14
	ds_read_b64 v[24:25], v15
	ds_read2_b64 v[16:19], v20 offset0:2 offset1:3
	ds_read2_b64 v[20:23], v20 offset1:1
	s_add_i32 s15, s15, -1
	s_addk_i32 s14, 0xfe00
	v_add_u32_e32 v15, 0xfffffe00, v15
	s_cmp_le_i32 s15, s9
	s_waitcnt lgkmcnt(1)
	v_fma_f64 v[8:9], -v[24:25], v[18:19], v[8:9]
	v_fma_f64 v[6:7], -v[24:25], v[16:17], v[6:7]
	s_waitcnt lgkmcnt(0)
	v_fma_f64 v[4:5], -v[24:25], v[22:23], v[4:5]
	v_fma_f64 v[2:3], -v[24:25], v[20:21], v[2:3]
	s_cbranch_scc0 .LBB111_28
.LBB111_29:                             ;   in Loop: Header=BB111_27 Depth=1
	s_lshl_b32 s16, s9, 3
	s_lshl_b32 s15, s9, 9
	s_add_i32 s17, s16, s15
	s_add_i32 s15, s17, -8
	v_mov_b32_e32 v15, s15
	ds_read2_b64 v[16:19], v15 offset1:1
	s_lshl_b32 s14, s11, 9
	s_add_i32 s14, s16, s14
	s_add_i32 s18, s14, -8
	v_mov_b32_e32 v15, s18
	s_waitcnt lgkmcnt(0)
	v_div_scale_f64 v[22:23], s[14:15], v[18:19], v[18:19], v[8:9]
	v_rcp_f64_e32 v[24:25], v[22:23]
	ds_read_b64 v[20:21], v15
	s_lshl_b32 s11, s11, 3
	s_sub_i32 s11, s18, s11
	v_fma_f64 v[26:27], -v[22:23], v[24:25], 1.0
	v_fmac_f64_e32 v[24:25], v[24:25], v[26:27]
	v_fma_f64 v[26:27], -v[22:23], v[24:25], 1.0
	v_fmac_f64_e32 v[24:25], v[24:25], v[26:27]
	v_div_scale_f64 v[26:27], vcc, v[8:9], v[18:19], v[8:9]
	v_mul_f64 v[28:29], v[26:27], v[24:25]
	v_fma_f64 v[22:23], -v[22:23], v[28:29], v[26:27]
	s_lshl_b32 s12, s12, 3
	s_nop 0
	v_div_fmas_f64 v[22:23], v[22:23], v[24:25], v[28:29]
	v_div_fixup_f64 v[22:23], v[22:23], v[18:19], v[8:9]
	v_fma_f64 v[24:25], -v[22:23], v[16:17], v[6:7]
	s_waitcnt lgkmcnt(0)
	v_div_scale_f64 v[6:7], s[14:15], v[20:21], v[20:21], v[24:25]
	v_rcp_f64_e32 v[26:27], v[6:7]
	s_lshl_b32 s14, s10, 9
	s_add_i32 s14, s16, s14
	s_add_i32 s16, s16, s13
	v_fma_f64 v[8:9], -v[6:7], v[26:27], 1.0
	v_fmac_f64_e32 v[26:27], v[26:27], v[8:9]
	v_fma_f64 v[8:9], -v[6:7], v[26:27], 1.0
	v_fmac_f64_e32 v[26:27], v[26:27], v[8:9]
	v_div_scale_f64 v[8:9], vcc, v[24:25], v[20:21], v[24:25]
	v_mul_f64 v[28:29], v[8:9], v[26:27]
	s_sub_i32 s13, s17, 24
	v_fma_f64 v[30:31], -v[6:7], v[28:29], v[8:9]
	v_mov_b32_e32 v6, s13
	s_add_i32 s11, s11, s12
	v_mov_b32_e32 v15, s11
	ds_read2_b64 v[6:9], v6 offset1:1
	ds_read2_b64 v[16:19], v15 offset1:1
	s_lshl_b32 s10, s10, 3
	s_sub_i32 s10, s14, s10
	s_add_i32 s10, s10, s12
	v_div_fmas_f64 v[26:27], v[30:31], v[26:27], v[28:29]
	s_add_i32 s10, s10, -16
	v_div_fixup_f64 v[24:25], v[26:27], v[20:21], v[24:25]
	s_waitcnt lgkmcnt(1)
	v_fma_f64 v[4:5], -v[22:23], v[8:9], v[4:5]
	v_mov_b32_e32 v8, s10
	s_waitcnt lgkmcnt(0)
	v_fma_f64 v[4:5], -v[24:25], v[18:19], v[4:5]
	ds_read2_b64 v[18:21], v8 offset1:1
	s_sub_i32 s10, s16, 24
	v_mov_b32_e32 v8, s10
	ds_read_b64 v[8:9], v8
	v_fma_f64 v[2:3], -v[22:23], v[6:7], v[2:3]
	s_waitcnt lgkmcnt(1)
	v_div_scale_f64 v[26:27], s[10:11], v[20:21], v[20:21], v[4:5]
	v_rcp_f64_e32 v[28:29], v[26:27]
	v_fma_f64 v[2:3], -v[24:25], v[16:17], v[2:3]
	s_sub_i32 s8, s8, 32
	v_fma_f64 v[30:31], -v[26:27], v[28:29], 1.0
	v_fmac_f64_e32 v[28:29], v[28:29], v[30:31]
	v_fma_f64 v[30:31], -v[26:27], v[28:29], 1.0
	v_fmac_f64_e32 v[28:29], v[28:29], v[30:31]
	v_div_scale_f64 v[30:31], vcc, v[4:5], v[20:21], v[4:5]
	v_mul_f64 v[32:33], v[30:31], v[28:29]
	v_fma_f64 v[26:27], -v[26:27], v[32:33], v[30:31]
	s_nop 1
	v_div_fmas_f64 v[26:27], v[26:27], v[28:29], v[32:33]
	v_div_fixup_f64 v[4:5], v[26:27], v[20:21], v[4:5]
	v_fma_f64 v[2:3], -v[4:5], v[18:19], v[2:3]
	s_waitcnt lgkmcnt(0)
	v_div_scale_f64 v[6:7], s[10:11], v[8:9], v[8:9], v[2:3]
	v_rcp_f64_e32 v[16:17], v[6:7]
	ds_write_b64 v12, v[22:23]
	ds_write_b64 v13, v[24:25]
	;; [unrolled: 1-line block ×3, first 2 shown]
	s_add_i32 s10, s9, -4
	s_cmp_lt_i32 s9, 7
	v_fma_f64 v[4:5], -v[6:7], v[16:17], 1.0
	v_fmac_f64_e32 v[16:17], v[16:17], v[4:5]
	v_fma_f64 v[4:5], -v[6:7], v[16:17], 1.0
	v_fmac_f64_e32 v[16:17], v[16:17], v[4:5]
	v_div_scale_f64 v[4:5], vcc, v[2:3], v[8:9], v[2:3]
	v_mul_f64 v[12:13], v[4:5], v[16:17]
	v_fma_f64 v[4:5], -v[6:7], v[12:13], v[4:5]
	s_nop 1
	v_div_fmas_f64 v[4:5], v[4:5], v[16:17], v[12:13]
	v_div_fixup_f64 v[2:3], v[4:5], v[8:9], v[2:3]
	ds_write_b64 v11, v[2:3]
	s_cbranch_scc1 .LBB111_31
; %bb.30:                               ;   in Loop: Header=BB111_27 Depth=1
	s_mov_b32 s9, s10
	s_branch .LBB111_27
.LBB111_31:
	s_cmp_lt_i32 s10, 0
	s_cbranch_scc1 .LBB111_44
; %bb.32:
	s_bitcmp1_b32 s10, 0
	s_cselect_b64 s[8:9], -1, 0
	s_and_b64 vcc, exec, s[8:9]
	s_mov_b32 s8, s10
	s_cbranch_vccnz .LBB111_37
; %bb.33:
	s_lshl_b32 s8, s10, 9
	v_add_u32_e32 v4, s8, v1
	ds_read_b64 v[2:3], v4
	s_cmp_le_i32 s7, s10
	s_cbranch_scc1 .LBB111_36
; %bb.34:
	s_lshl_b32 s11, s23, 9
	s_lshl_b32 s9, s10, 3
	s_add_i32 s9, s11, s9
	v_lshl_or_b32 v5, v0, 3, s11
	s_addk_i32 s9, 0xfe00
	v_add_u32_e32 v5, 0x7e00, v5
	s_mov_b32 s11, s7
.LBB111_35:                             ; =>This Inner Loop Header: Depth=1
	v_mov_b32_e32 v8, s9
	ds_read_b64 v[6:7], v5
	ds_read_b64 v[8:9], v8
	s_add_i32 s11, s11, -1
	s_addk_i32 s9, 0xfe00
	v_add_u32_e32 v5, 0xfffffe00, v5
	s_cmp_gt_u32 s11, s10
	s_waitcnt lgkmcnt(0)
	v_fma_f64 v[2:3], -v[6:7], v[8:9], v[2:3]
	s_cbranch_scc1 .LBB111_35
.LBB111_36:
	s_lshl_b32 s9, s10, 3
	s_add_i32 s8, s9, s8
	v_mov_b32_e32 v5, s8
	ds_read_b64 v[6:7], v5
	s_waitcnt lgkmcnt(0)
	v_div_scale_f64 v[8:9], s[8:9], v[6:7], v[6:7], v[2:3]
	v_rcp_f64_e32 v[10:11], v[8:9]
	v_div_scale_f64 v[12:13], vcc, v[2:3], v[6:7], v[2:3]
	s_add_i32 s8, s10, -1
	v_fma_f64 v[14:15], -v[8:9], v[10:11], 1.0
	v_fmac_f64_e32 v[10:11], v[10:11], v[14:15]
	v_fma_f64 v[14:15], -v[8:9], v[10:11], 1.0
	v_fmac_f64_e32 v[10:11], v[10:11], v[14:15]
	v_mul_f64 v[14:15], v[12:13], v[10:11]
	v_fma_f64 v[8:9], -v[8:9], v[14:15], v[12:13]
	v_div_fmas_f64 v[8:9], v[8:9], v[10:11], v[14:15]
	v_div_fixup_f64 v[2:3], v[8:9], v[6:7], v[2:3]
	ds_write_b64 v4, v[2:3]
.LBB111_37:
	s_cmp_eq_u32 s10, 0
	s_cbranch_scc1 .LBB111_44
; %bb.38:
	s_lshl_b32 s10, s23, 9
	s_lshl_b32 s9, s8, 3
	s_add_i32 s11, s10, s9
	v_lshl_or_b32 v2, v0, 3, s10
	s_add_i32 s9, s11, 0xfffffe00
	v_add_u32_e32 v6, 0x7e00, v2
	s_add_i32 s10, s11, 0xfffffdf8
	s_branch .LBB111_40
.LBB111_39:                             ;   in Loop: Header=BB111_40 Depth=1
	s_add_i32 s12, s12, s13
	s_add_i32 s12, s12, -8
	v_mov_b32_e32 v4, s12
	ds_read_b64 v[4:5], v4
	s_add_i32 s8, s8, -2
	s_add_i32 s9, s9, -16
	;; [unrolled: 1-line block ×3, first 2 shown]
	s_cmp_eq_u32 s11, 0
	s_waitcnt lgkmcnt(0)
	v_div_scale_f64 v[8:9], s[12:13], v[4:5], v[4:5], v[2:3]
	v_rcp_f64_e32 v[10:11], v[8:9]
	v_div_scale_f64 v[12:13], vcc, v[2:3], v[4:5], v[2:3]
	v_fma_f64 v[14:15], -v[8:9], v[10:11], 1.0
	v_fmac_f64_e32 v[10:11], v[10:11], v[14:15]
	v_fma_f64 v[14:15], -v[8:9], v[10:11], 1.0
	v_fmac_f64_e32 v[10:11], v[10:11], v[14:15]
	v_mul_f64 v[14:15], v[12:13], v[10:11]
	v_fma_f64 v[8:9], -v[8:9], v[14:15], v[12:13]
	v_div_fmas_f64 v[8:9], v[8:9], v[10:11], v[14:15]
	v_div_fixup_f64 v[2:3], v[8:9], v[4:5], v[2:3]
	ds_write_b64 v7, v[2:3]
	s_cbranch_scc1 .LBB111_44
.LBB111_40:                             ; =>This Loop Header: Depth=1
                                        ;     Child Loop BB111_41 Depth 2
                                        ;     Child Loop BB111_43 Depth 2
	s_lshl_b32 s11, s8, 9
	v_add_u32_e32 v8, s11, v1
	ds_read_b64 v[4:5], v8
	s_cmp_le_i32 s7, s8
	v_mov_b32_e32 v2, v6
	s_mov_b32 s12, s9
	s_mov_b32 s13, s7
	s_cbranch_scc1 .LBB111_42
.LBB111_41:                             ;   Parent Loop BB111_40 Depth=1
                                        ; =>  This Inner Loop Header: Depth=2
	v_mov_b32_e32 v3, s12
	ds_read_b64 v[10:11], v2
	ds_read_b64 v[12:13], v3
	s_add_i32 s13, s13, -1
	s_addk_i32 s12, 0xfe00
	v_add_u32_e32 v2, 0xfffffe00, v2
	s_cmp_le_u32 s13, s8
	s_waitcnt lgkmcnt(0)
	v_fma_f64 v[4:5], -v[10:11], v[12:13], v[4:5]
	s_cbranch_scc0 .LBB111_41
.LBB111_42:                             ;   in Loop: Header=BB111_40 Depth=1
	s_lshl_b32 s12, s8, 3
	s_add_i32 s11, s12, s11
	v_mov_b32_e32 v2, s11
	ds_read_b64 v[10:11], v2
	s_add_i32 s11, s8, -1
	s_lshl_b32 s13, s11, 9
	v_add_u32_e32 v7, s13, v1
	ds_read_b64 v[2:3], v7
	s_waitcnt lgkmcnt(1)
	v_div_scale_f64 v[12:13], s[14:15], v[10:11], v[10:11], v[4:5]
	v_rcp_f64_e32 v[14:15], v[12:13]
	v_div_scale_f64 v[16:17], vcc, v[4:5], v[10:11], v[4:5]
	s_cmp_le_i32 s23, s8
	v_fma_f64 v[18:19], -v[12:13], v[14:15], 1.0
	v_fmac_f64_e32 v[14:15], v[14:15], v[18:19]
	v_fma_f64 v[18:19], -v[12:13], v[14:15], 1.0
	v_fmac_f64_e32 v[14:15], v[14:15], v[18:19]
	v_mul_f64 v[18:19], v[16:17], v[14:15]
	v_fma_f64 v[12:13], -v[12:13], v[18:19], v[16:17]
	v_div_fmas_f64 v[12:13], v[12:13], v[14:15], v[18:19]
	v_div_fixup_f64 v[4:5], v[12:13], v[10:11], v[4:5]
	ds_write_b64 v8, v[4:5]
	v_mov_b32_e32 v4, v6
	s_mov_b32 s14, s10
	s_mov_b32 s15, s7
	s_cbranch_scc1 .LBB111_39
.LBB111_43:                             ;   Parent Loop BB111_40 Depth=1
                                        ; =>  This Inner Loop Header: Depth=2
	v_mov_b32_e32 v5, s14
	ds_read_b64 v[8:9], v4
	ds_read_b64 v[10:11], v5
	s_add_i32 s15, s15, -1
	s_addk_i32 s14, 0xfe00
	v_add_u32_e32 v4, 0xfffffe00, v4
	s_cmp_gt_u32 s15, s11
	s_waitcnt lgkmcnt(0)
	v_fma_f64 v[2:3], -v[8:9], v[10:11], v[2:3]
	s_cbranch_scc1 .LBB111_43
	s_branch .LBB111_39
.LBB111_44:
	s_mov_b64 s[12:13], 0
.LBB111_45:
	s_andn2_b64 vcc, exec, s[12:13]
	s_cbranch_vccnz .LBB111_65
; %bb.46:
	s_andn2_b64 vcc, exec, s[4:5]
	s_mov_b32 s8, s7
	s_cbranch_vccnz .LBB111_52
; %bb.47:
	v_lshlrev_b32_e32 v2, 3, v0
	v_lshl_or_b32 v2, s23, 9, v2
	s_mul_i32 s4, s23, 0x208
	v_add_u32_e32 v10, 0x7e00, v2
	s_addk_i32 s4, 0xf7f8
	s_mov_b32 s5, s7
.LBB111_48:                             ; =>This Loop Header: Depth=1
                                        ;     Child Loop BB111_49 Depth 2
	v_lshl_add_u32 v12, s5, 9, v1
	s_add_i32 s10, s5, -1
	s_add_i32 s9, s5, -2
	;; [unrolled: 1-line block ×3, first 2 shown]
	v_lshl_add_u32 v13, s10, 9, v1
	v_lshl_add_u32 v14, s9, 9, v1
	;; [unrolled: 1-line block ×3, first 2 shown]
	ds_read_b64 v[8:9], v12
	ds_read_b64 v[6:7], v13
	;; [unrolled: 1-line block ×4, first 2 shown]
	s_cmp_le_i32 s7, s5
	s_mov_b32 s11, s4
	v_mov_b32_e32 v15, v10
	s_mov_b32 s12, s7
	s_cbranch_scc1 .LBB111_50
.LBB111_49:                             ;   Parent Loop BB111_48 Depth=1
                                        ; =>  This Inner Loop Header: Depth=2
	v_mov_b32_e32 v20, s11
	ds_read_b64 v[24:25], v15
	ds_read2st64_b64 v[16:19], v20 offset0:2 offset1:3
	ds_read2st64_b64 v[20:23], v20 offset1:1
	s_add_i32 s12, s12, -1
	s_add_i32 s11, s11, -8
	v_add_u32_e32 v15, 0xfffffe00, v15
	s_cmp_le_i32 s12, s5
	s_waitcnt lgkmcnt(1)
	v_fma_f64 v[8:9], -v[24:25], v[18:19], v[8:9]
	v_fma_f64 v[6:7], -v[24:25], v[16:17], v[6:7]
	s_waitcnt lgkmcnt(0)
	v_fma_f64 v[4:5], -v[24:25], v[22:23], v[4:5]
	v_fma_f64 v[2:3], -v[24:25], v[20:21], v[2:3]
	s_cbranch_scc0 .LBB111_49
.LBB111_50:                             ;   in Loop: Header=BB111_48 Depth=1
	s_mul_i32 s14, s5, 0x208
	v_mov_b32_e32 v15, s14
	ds_read_b64 v[20:21], v15
	s_lshl_b32 s13, s10, 6
	s_lshl_b32 s13, s13, 3
	;; [unrolled: 1-line block ×3, first 2 shown]
	s_add_i32 s10, s13, s10
	s_waitcnt lgkmcnt(0)
	v_div_scale_f64 v[22:23], s[14:15], v[20:21], v[20:21], v[8:9]
	v_rcp_f64_e32 v[24:25], v[22:23]
	v_mov_b32_e32 v15, s10
	ds_read2_b64 v[16:19], v15 offset1:1
	s_lshl_b32 s12, s9, 6
	v_fma_f64 v[26:27], -v[22:23], v[24:25], 1.0
	v_fmac_f64_e32 v[24:25], v[24:25], v[26:27]
	v_fma_f64 v[26:27], -v[22:23], v[24:25], 1.0
	v_fmac_f64_e32 v[24:25], v[24:25], v[26:27]
	v_div_scale_f64 v[26:27], vcc, v[8:9], v[20:21], v[8:9]
	v_mul_f64 v[28:29], v[26:27], v[24:25]
	v_fma_f64 v[22:23], -v[22:23], v[28:29], v[26:27]
	s_lshl_b32 s10, s12, 3
	s_nop 0
	v_div_fmas_f64 v[22:23], v[22:23], v[24:25], v[28:29]
	v_div_fixup_f64 v[24:25], v[22:23], v[20:21], v[8:9]
	s_waitcnt lgkmcnt(0)
	v_fma_f64 v[18:19], -v[24:25], v[18:19], v[6:7]
	v_div_scale_f64 v[6:7], s[14:15], v[16:17], v[16:17], v[18:19]
	v_rcp_f64_e32 v[20:21], v[6:7]
	s_lshl_b32 s14, s5, 3
	s_lshl_b32 s9, s9, 3
	s_add_i32 s12, s10, s14
	v_fma_f64 v[8:9], -v[6:7], v[20:21], 1.0
	v_fmac_f64_e32 v[20:21], v[20:21], v[8:9]
	v_fma_f64 v[8:9], -v[6:7], v[20:21], 1.0
	v_fmac_f64_e32 v[20:21], v[20:21], v[8:9]
	v_div_scale_f64 v[8:9], vcc, v[18:19], v[16:17], v[18:19]
	v_mul_f64 v[22:23], v[8:9], v[20:21]
	s_add_i32 s9, s10, s9
	v_fma_f64 v[26:27], -v[6:7], v[22:23], v[8:9]
	v_mov_b32_e32 v6, s12
	v_mov_b32_e32 v7, s9
	ds_read_b64 v[28:29], v6
	ds_read2_b64 v[6:9], v7 offset1:1
	v_div_fmas_f64 v[20:21], v[26:27], v[20:21], v[22:23]
	v_div_fixup_f64 v[26:27], v[20:21], v[16:17], v[18:19]
	s_lshl_b32 s11, s8, 6
	s_waitcnt lgkmcnt(1)
	v_fma_f64 v[4:5], -v[24:25], v[28:29], v[4:5]
	s_waitcnt lgkmcnt(0)
	v_fma_f64 v[4:5], -v[26:27], v[8:9], v[4:5]
	v_div_scale_f64 v[8:9], s[12:13], v[6:7], v[6:7], v[4:5]
	v_rcp_f64_e32 v[28:29], v[8:9]
	s_lshl_b32 s9, s11, 3
	s_add_i32 s10, s9, s14
	s_lshl_b32 s8, s8, 3
	v_fma_f64 v[16:17], -v[8:9], v[28:29], 1.0
	v_fmac_f64_e32 v[28:29], v[28:29], v[16:17]
	v_fma_f64 v[16:17], -v[8:9], v[28:29], 1.0
	v_fmac_f64_e32 v[28:29], v[28:29], v[16:17]
	v_div_scale_f64 v[16:17], vcc, v[4:5], v[6:7], v[4:5]
	s_add_i32 s10, s10, -8
	s_add_i32 s8, s9, s8
	v_mul_f64 v[30:31], v[16:17], v[28:29]
	v_mov_b32_e32 v15, s10
	v_mov_b32_e32 v20, s8
	v_fma_f64 v[8:9], -v[8:9], v[30:31], v[16:17]
	ds_read2_b64 v[16:19], v15 offset1:1
	ds_read2_b64 v[20:23], v20 offset1:1
	v_div_fmas_f64 v[8:9], v[8:9], v[28:29], v[30:31]
	v_div_fixup_f64 v[4:5], v[8:9], v[6:7], v[4:5]
	ds_write_b64 v12, v[24:25]
	ds_write_b64 v13, v[26:27]
	;; [unrolled: 1-line block ×3, first 2 shown]
	s_waitcnt lgkmcnt(4)
	v_fma_f64 v[2:3], -v[24:25], v[18:19], v[2:3]
	v_fma_f64 v[2:3], -v[26:27], v[16:17], v[2:3]
	s_waitcnt lgkmcnt(3)
	v_fma_f64 v[2:3], -v[4:5], v[22:23], v[2:3]
	v_div_scale_f64 v[6:7], s[8:9], v[20:21], v[20:21], v[2:3]
	v_rcp_f64_e32 v[8:9], v[6:7]
	s_add_i32 s8, s5, -4
	s_addk_i32 s4, 0xf800
	s_cmp_lt_i32 s5, 7
	v_fma_f64 v[4:5], -v[6:7], v[8:9], 1.0
	v_fmac_f64_e32 v[8:9], v[8:9], v[4:5]
	v_fma_f64 v[4:5], -v[6:7], v[8:9], 1.0
	v_fmac_f64_e32 v[8:9], v[8:9], v[4:5]
	v_div_scale_f64 v[4:5], vcc, v[2:3], v[20:21], v[2:3]
	v_mul_f64 v[12:13], v[4:5], v[8:9]
	v_fma_f64 v[4:5], -v[6:7], v[12:13], v[4:5]
	s_nop 1
	v_div_fmas_f64 v[4:5], v[4:5], v[8:9], v[12:13]
	v_div_fixup_f64 v[2:3], v[4:5], v[20:21], v[2:3]
	ds_write_b64 v11, v[2:3]
	s_cbranch_scc1 .LBB111_52
; %bb.51:                               ;   in Loop: Header=BB111_48 Depth=1
	s_mov_b32 s5, s8
	s_branch .LBB111_48
.LBB111_52:
	s_cmp_lt_i32 s8, 0
	s_cbranch_scc1 .LBB111_65
; %bb.53:
	s_bitcmp1_b32 s8, 0
	s_cselect_b64 s[4:5], -1, 0
	s_and_b64 vcc, exec, s[4:5]
	s_mov_b32 s4, s8
	s_cbranch_vccnz .LBB111_58
; %bb.54:
	v_lshl_add_u32 v4, s8, 9, v1
	ds_read_b64 v[2:3], v4
	s_cmp_le_i32 s7, s8
	s_cbranch_scc1 .LBB111_57
; %bb.55:
	s_lshl_b32 s4, s8, 9
	s_lshl_b32 s5, s23, 3
	v_lshlrev_b32_e32 v5, 3, v0
	s_add_i32 s4, s4, s5
	v_lshl_or_b32 v5, s23, 9, v5
	s_add_i32 s4, s4, -8
	v_add_u32_e32 v5, 0x7e00, v5
	s_mov_b32 s5, s7
.LBB111_56:                             ; =>This Inner Loop Header: Depth=1
	v_mov_b32_e32 v8, s4
	ds_read_b64 v[6:7], v5
	ds_read_b64 v[8:9], v8
	s_add_i32 s5, s5, -1
	s_add_i32 s4, s4, -8
	v_add_u32_e32 v5, 0xfffffe00, v5
	s_cmp_gt_u32 s5, s8
	s_waitcnt lgkmcnt(0)
	v_fma_f64 v[2:3], -v[6:7], v[8:9], v[2:3]
	s_cbranch_scc1 .LBB111_56
.LBB111_57:
	s_mul_i32 s4, s8, 0x208
	v_mov_b32_e32 v5, s4
	ds_read_b64 v[6:7], v5
	s_waitcnt lgkmcnt(0)
	v_div_scale_f64 v[8:9], s[4:5], v[6:7], v[6:7], v[2:3]
	v_rcp_f64_e32 v[10:11], v[8:9]
	v_div_scale_f64 v[12:13], vcc, v[2:3], v[6:7], v[2:3]
	s_add_i32 s4, s8, -1
	v_fma_f64 v[14:15], -v[8:9], v[10:11], 1.0
	v_fmac_f64_e32 v[10:11], v[10:11], v[14:15]
	v_fma_f64 v[14:15], -v[8:9], v[10:11], 1.0
	v_fmac_f64_e32 v[10:11], v[10:11], v[14:15]
	v_mul_f64 v[14:15], v[12:13], v[10:11]
	v_fma_f64 v[8:9], -v[8:9], v[14:15], v[12:13]
	v_div_fmas_f64 v[8:9], v[8:9], v[10:11], v[14:15]
	v_div_fixup_f64 v[2:3], v[8:9], v[6:7], v[2:3]
	ds_write_b64 v4, v[2:3]
.LBB111_58:
	s_cmp_eq_u32 s8, 0
	s_cbranch_scc1 .LBB111_65
; %bb.59:
	v_lshlrev_b32_e32 v2, 3, v0
	s_lshl_b32 s5, s4, 9
	s_lshl_b32 s8, s23, 3
	v_lshl_or_b32 v2, s23, 9, v2
	s_add_i32 s8, s5, s8
	v_add_u32_e32 v6, 0x7e00, v2
	s_add_i32 s5, s8, -8
	s_addk_i32 s8, 0xfdf8
	s_branch .LBB111_61
.LBB111_60:                             ;   in Loop: Header=BB111_61 Depth=1
	s_addk_i32 s10, 0xfdf8
	v_mov_b32_e32 v4, s10
	ds_read_b64 v[4:5], v4
	s_add_i32 s4, s4, -2
	s_addk_i32 s5, 0xfc00
	s_addk_i32 s8, 0xfc00
	s_cmp_eq_u32 s9, 0
	s_waitcnt lgkmcnt(0)
	v_div_scale_f64 v[8:9], s[10:11], v[4:5], v[4:5], v[2:3]
	v_rcp_f64_e32 v[10:11], v[8:9]
	v_div_scale_f64 v[12:13], vcc, v[2:3], v[4:5], v[2:3]
	v_fma_f64 v[14:15], -v[8:9], v[10:11], 1.0
	v_fmac_f64_e32 v[10:11], v[10:11], v[14:15]
	v_fma_f64 v[14:15], -v[8:9], v[10:11], 1.0
	v_fmac_f64_e32 v[10:11], v[10:11], v[14:15]
	v_mul_f64 v[14:15], v[12:13], v[10:11]
	v_fma_f64 v[8:9], -v[8:9], v[14:15], v[12:13]
	v_div_fmas_f64 v[8:9], v[8:9], v[10:11], v[14:15]
	v_div_fixup_f64 v[2:3], v[8:9], v[4:5], v[2:3]
	ds_write_b64 v7, v[2:3]
	s_cbranch_scc1 .LBB111_65
.LBB111_61:                             ; =>This Loop Header: Depth=1
                                        ;     Child Loop BB111_62 Depth 2
                                        ;     Child Loop BB111_64 Depth 2
	v_lshl_add_u32 v8, s4, 9, v1
	ds_read_b64 v[4:5], v8
	s_cmp_le_i32 s7, s4
	s_mov_b32 s9, s5
	v_mov_b32_e32 v2, v6
	s_mov_b32 s10, s7
	s_cbranch_scc1 .LBB111_63
.LBB111_62:                             ;   Parent Loop BB111_61 Depth=1
                                        ; =>  This Inner Loop Header: Depth=2
	v_mov_b32_e32 v3, s9
	ds_read_b64 v[10:11], v2
	ds_read_b64 v[12:13], v3
	s_add_i32 s10, s10, -1
	s_add_i32 s9, s9, -8
	v_add_u32_e32 v2, 0xfffffe00, v2
	s_cmp_le_u32 s10, s4
	s_waitcnt lgkmcnt(0)
	v_fma_f64 v[4:5], -v[10:11], v[12:13], v[4:5]
	s_cbranch_scc0 .LBB111_62
.LBB111_63:                             ;   in Loop: Header=BB111_61 Depth=1
	s_mul_i32 s10, s4, 0x208
	v_mov_b32_e32 v2, s10
	ds_read_b64 v[10:11], v2
	s_add_i32 s9, s4, -1
	v_lshl_add_u32 v7, s9, 9, v1
	ds_read_b64 v[2:3], v7
	s_cmp_le_i32 s23, s4
	s_waitcnt lgkmcnt(1)
	v_div_scale_f64 v[12:13], s[12:13], v[10:11], v[10:11], v[4:5]
	v_rcp_f64_e32 v[14:15], v[12:13]
	v_div_scale_f64 v[16:17], vcc, v[4:5], v[10:11], v[4:5]
	s_mov_b32 s11, s8
	v_fma_f64 v[18:19], -v[12:13], v[14:15], 1.0
	v_fmac_f64_e32 v[14:15], v[14:15], v[18:19]
	v_fma_f64 v[18:19], -v[12:13], v[14:15], 1.0
	v_fmac_f64_e32 v[14:15], v[14:15], v[18:19]
	v_mul_f64 v[18:19], v[16:17], v[14:15]
	v_fma_f64 v[12:13], -v[12:13], v[18:19], v[16:17]
	v_div_fmas_f64 v[12:13], v[12:13], v[14:15], v[18:19]
	v_div_fixup_f64 v[4:5], v[12:13], v[10:11], v[4:5]
	ds_write_b64 v8, v[4:5]
	v_mov_b32_e32 v4, v6
	s_mov_b32 s12, s7
	s_cbranch_scc1 .LBB111_60
.LBB111_64:                             ;   Parent Loop BB111_61 Depth=1
                                        ; =>  This Inner Loop Header: Depth=2
	v_mov_b32_e32 v5, s11
	ds_read_b64 v[8:9], v4
	ds_read_b64 v[10:11], v5
	s_add_i32 s12, s12, -1
	s_add_i32 s11, s11, -8
	v_add_u32_e32 v4, 0xfffffe00, v4
	s_cmp_gt_u32 s12, s9
	s_waitcnt lgkmcnt(0)
	v_fma_f64 v[2:3], -v[8:9], v[10:11], v[2:3]
	s_cbranch_scc1 .LBB111_64
	s_branch .LBB111_60
.LBB111_65:
	s_mov_b64 s[12:13], 0
.LBB111_66:
	s_andn2_b64 vcc, exec, s[12:13]
	s_cbranch_vccnz .LBB111_78
; %bb.67:
	v_mov_b32_e32 v1, 0x8000
	v_lshl_or_b32 v1, v0, 3, v1
	s_cmp_lt_i32 s22, 4
	s_mov_b32 s7, 0
	s_cbranch_scc1 .LBB111_73
; %bb.68:
	s_mov_b32 s4, 0
	s_mov_b32 s5, 0
.LBB111_69:                             ; =>This Loop Header: Depth=1
                                        ;     Child Loop BB111_70 Depth 2
	s_or_b32 s8, s5, 3
	v_lshl_add_u32 v11, s5, 9, v1
	s_or_b32 s9, s5, 1
	s_or_b32 s7, s5, 2
	v_lshl_add_u32 v12, s9, 9, v1
	v_lshl_add_u32 v13, s7, 9, v1
	;; [unrolled: 1-line block ×3, first 2 shown]
	ds_read_b64 v[8:9], v11
	ds_read_b64 v[6:7], v12
	;; [unrolled: 1-line block ×4, first 2 shown]
	s_cmp_eq_u32 s5, 0
	s_mov_b32 s10, s4
	v_mov_b32_e32 v14, v1
	s_mov_b32 s11, s5
	s_cbranch_scc1 .LBB111_71
.LBB111_70:                             ;   Parent Loop BB111_69 Depth=1
                                        ; =>  This Inner Loop Header: Depth=2
	v_mov_b32_e32 v15, s10
	ds_read_b64 v[24:25], v14
	ds_read2st64_b64 v[16:19], v15 offset1:1
	ds_read2st64_b64 v[20:23], v15 offset0:2 offset1:3
	s_add_i32 s11, s11, -1
	s_add_i32 s10, s10, 8
	v_add_u32_e32 v14, 0x200, v14
	s_cmp_eq_u32 s11, 0
	s_waitcnt lgkmcnt(1)
	v_fma_f64 v[8:9], -v[24:25], v[16:17], v[8:9]
	v_fma_f64 v[6:7], -v[24:25], v[18:19], v[6:7]
	s_waitcnt lgkmcnt(0)
	v_fma_f64 v[4:5], -v[24:25], v[20:21], v[4:5]
	v_fma_f64 v[2:3], -v[24:25], v[22:23], v[2:3]
	s_cbranch_scc0 .LBB111_70
.LBB111_71:                             ;   in Loop: Header=BB111_69 Depth=1
	s_mul_i32 s11, s5, 0x208
	v_mov_b32_e32 v14, s11
	ds_read_b64 v[18:19], v14
	s_lshl_b32 s10, s9, 6
	s_lshl_b32 s10, s10, 3
	;; [unrolled: 1-line block ×3, first 2 shown]
	s_add_i32 s10, s10, s12
	v_mov_b32_e32 v14, s10
	s_waitcnt lgkmcnt(0)
	v_div_scale_f64 v[20:21], s[10:11], v[18:19], v[18:19], v[8:9]
	v_rcp_f64_e32 v[22:23], v[20:21]
	ds_read_b128 v[14:17], v14
	s_lshl_b32 s9, s7, 6
	s_lshl_b32 s9, s9, 3
	v_fma_f64 v[24:25], -v[20:21], v[22:23], 1.0
	v_fmac_f64_e32 v[22:23], v[22:23], v[24:25]
	v_fma_f64 v[24:25], -v[20:21], v[22:23], 1.0
	v_fmac_f64_e32 v[22:23], v[22:23], v[24:25]
	v_div_scale_f64 v[24:25], vcc, v[8:9], v[18:19], v[8:9]
	v_mul_f64 v[26:27], v[24:25], v[22:23]
	v_fma_f64 v[20:21], -v[20:21], v[26:27], v[24:25]
	s_lshl_b32 s7, s7, 3
	s_nop 0
	v_div_fmas_f64 v[20:21], v[20:21], v[22:23], v[26:27]
	v_div_fixup_f64 v[18:19], v[20:21], v[18:19], v[8:9]
	s_waitcnt lgkmcnt(0)
	v_fma_f64 v[14:15], -v[18:19], v[14:15], v[6:7]
	v_div_scale_f64 v[6:7], s[10:11], v[16:17], v[16:17], v[14:15]
	v_rcp_f64_e32 v[8:9], v[6:7]
	s_add_i32 s10, s9, s12
	s_add_i32 s7, s9, s7
	s_lshl_b32 s8, s8, 6
	v_fma_f64 v[20:21], -v[6:7], v[8:9], 1.0
	v_fmac_f64_e32 v[8:9], v[8:9], v[20:21]
	v_fma_f64 v[20:21], -v[6:7], v[8:9], 1.0
	v_fmac_f64_e32 v[8:9], v[8:9], v[20:21]
	v_div_scale_f64 v[20:21], vcc, v[14:15], v[16:17], v[14:15]
	v_mul_f64 v[22:23], v[20:21], v[8:9]
	v_fma_f64 v[6:7], -v[6:7], v[22:23], v[20:21]
	s_addk_i32 s4, 0x800
	s_nop 0
	v_div_fmas_f64 v[20:21], v[6:7], v[8:9], v[22:23]
	v_mov_b32_e32 v6, s10
	ds_read_b128 v[6:9], v6
	v_mov_b32_e32 v22, s7
	ds_read_b64 v[22:23], v22
	v_div_fixup_f64 v[20:21], v[20:21], v[16:17], v[14:15]
	s_lshl_b32 s7, s8, 3
	s_waitcnt lgkmcnt(1)
	v_fma_f64 v[4:5], -v[18:19], v[6:7], v[4:5]
	v_fma_f64 v[8:9], -v[20:21], v[8:9], v[4:5]
	s_waitcnt lgkmcnt(0)
	v_div_scale_f64 v[4:5], s[10:11], v[22:23], v[22:23], v[8:9]
	v_rcp_f64_e32 v[24:25], v[4:5]
	s_add_i32 s7, s7, s12
	v_mov_b32_e32 v14, s7
	s_add_i32 s7, s5, 4
	v_fma_f64 v[6:7], -v[4:5], v[24:25], 1.0
	v_fmac_f64_e32 v[24:25], v[24:25], v[6:7]
	v_fma_f64 v[6:7], -v[4:5], v[24:25], 1.0
	v_fmac_f64_e32 v[24:25], v[24:25], v[6:7]
	v_div_scale_f64 v[6:7], vcc, v[8:9], v[22:23], v[8:9]
	v_mul_f64 v[26:27], v[6:7], v[24:25]
	v_fma_f64 v[28:29], -v[4:5], v[26:27], v[6:7]
	ds_read_b128 v[4:7], v14
	ds_read_b128 v[14:17], v14 offset:16
	v_div_fmas_f64 v[24:25], v[28:29], v[24:25], v[26:27]
	v_div_fixup_f64 v[8:9], v[24:25], v[22:23], v[8:9]
	ds_write_b64 v11, v[18:19]
	ds_write_b64 v12, v[20:21]
	;; [unrolled: 1-line block ×3, first 2 shown]
	s_waitcnt lgkmcnt(4)
	v_fma_f64 v[2:3], -v[18:19], v[4:5], v[2:3]
	v_fma_f64 v[2:3], -v[20:21], v[6:7], v[2:3]
	s_waitcnt lgkmcnt(3)
	v_fma_f64 v[2:3], -v[8:9], v[14:15], v[2:3]
	v_div_scale_f64 v[4:5], s[8:9], v[16:17], v[16:17], v[2:3]
	v_rcp_f64_e32 v[6:7], v[4:5]
	s_add_i32 s5, s5, 7
	s_cmp_ge_i32 s5, s23
	v_fma_f64 v[8:9], -v[4:5], v[6:7], 1.0
	v_fmac_f64_e32 v[6:7], v[6:7], v[8:9]
	v_fma_f64 v[8:9], -v[4:5], v[6:7], 1.0
	v_fmac_f64_e32 v[6:7], v[6:7], v[8:9]
	v_div_scale_f64 v[8:9], vcc, v[2:3], v[16:17], v[2:3]
	v_mul_f64 v[12:13], v[8:9], v[6:7]
	v_fma_f64 v[4:5], -v[4:5], v[12:13], v[8:9]
	s_nop 1
	v_div_fmas_f64 v[4:5], v[4:5], v[6:7], v[12:13]
	v_div_fixup_f64 v[2:3], v[4:5], v[16:17], v[2:3]
	ds_write_b64 v10, v[2:3]
	s_cbranch_scc1 .LBB111_73
; %bb.72:                               ;   in Loop: Header=BB111_69 Depth=1
	s_mov_b32 s5, s7
	s_branch .LBB111_69
.LBB111_73:
	s_cmp_ge_i32 s7, s23
	s_cbranch_scc1 .LBB111_78
; %bb.74:
	v_mov_b32_e32 v2, 0x8000
	v_lshl_or_b32 v4, v0, 3, v2
	s_lshl_b32 s4, s7, 9
	s_branch .LBB111_76
.LBB111_75:                             ;   in Loop: Header=BB111_76 Depth=1
	s_mul_i32 s5, s7, 0x208
	v_mov_b32_e32 v6, s5
	ds_read_b64 v[6:7], v6
	s_add_i32 s7, s7, 1
	s_addk_i32 s4, 0x200
	s_cmp_ge_i32 s7, s23
	s_waitcnt lgkmcnt(0)
	v_div_scale_f64 v[8:9], s[8:9], v[6:7], v[6:7], v[2:3]
	v_rcp_f64_e32 v[10:11], v[8:9]
	v_div_scale_f64 v[12:13], vcc, v[2:3], v[6:7], v[2:3]
	v_fma_f64 v[14:15], -v[8:9], v[10:11], 1.0
	v_fmac_f64_e32 v[10:11], v[10:11], v[14:15]
	v_fma_f64 v[14:15], -v[8:9], v[10:11], 1.0
	v_fmac_f64_e32 v[10:11], v[10:11], v[14:15]
	v_mul_f64 v[14:15], v[12:13], v[10:11]
	v_fma_f64 v[8:9], -v[8:9], v[14:15], v[12:13]
	v_div_fmas_f64 v[8:9], v[8:9], v[10:11], v[14:15]
	v_div_fixup_f64 v[2:3], v[8:9], v[6:7], v[2:3]
	ds_write_b64 v5, v[2:3]
	s_cbranch_scc1 .LBB111_78
.LBB111_76:                             ; =>This Loop Header: Depth=1
                                        ;     Child Loop BB111_77 Depth 2
	v_lshl_add_u32 v5, s7, 9, v1
	ds_read_b64 v[2:3], v5
	s_cmp_eq_u32 s7, 0
	s_mov_b32 s5, s4
	v_mov_b32_e32 v6, v4
	s_mov_b32 s8, s7
	s_cbranch_scc1 .LBB111_75
.LBB111_77:                             ;   Parent Loop BB111_76 Depth=1
                                        ; =>  This Inner Loop Header: Depth=2
	v_mov_b32_e32 v7, s5
	ds_read_b64 v[8:9], v6
	ds_read_b64 v[10:11], v7
	s_add_i32 s8, s8, -1
	s_add_i32 s5, s5, 8
	v_add_u32_e32 v6, 0x200, v6
	s_cmp_eq_u32 s8, 0
	s_waitcnt lgkmcnt(0)
	v_fma_f64 v[2:3], -v[8:9], v[10:11], v[2:3]
	s_cbranch_scc0 .LBB111_77
	s_branch .LBB111_75
.LBB111_78:
	s_and_saveexec_b64 s[4:5], s[0:1]
	s_cbranch_execz .LBB111_82
; %bb.79:
	s_cmp_lt_i32 s22, 1
	s_cbranch_scc1 .LBB111_82
; %bb.80:
	s_ashr_i32 s7, s6, 31
	v_lshlrev_b32_e32 v2, 3, v0
	v_mov_b32_e32 v3, 0
	v_lshl_add_u64 v[0:1], s[2:3], 0, v[2:3]
	s_lshl_b64 s[0:1], s[6:7], 3
	v_or_b32_e32 v2, 0x8000, v2
.LBB111_81:                             ; =>This Inner Loop Header: Depth=1
	ds_read_b64 v[4:5], v2
	s_add_i32 s22, s22, -1
	v_add_u32_e32 v2, 0x200, v2
	s_cmp_lg_u32 s22, 0
	s_waitcnt lgkmcnt(0)
	flat_store_dwordx2 v[0:1], v[4:5]
	v_lshl_add_u64 v[0:1], v[0:1], 0, s[0:1]
	s_cbranch_scc1 .LBB111_81
.LBB111_82:
	s_endpgm
	.section	.rodata,"a",@progbits
	.p2align	6, 0x0
	.amdhsa_kernel _ZL31rocblas_trsm_small_right_deviceIddPKPKdPKPdLi64EEv13rocblas_fill_18rocblas_operation_17rocblas_diagonal_iiT0_T1_lilT2_lili
		.amdhsa_group_segment_fixed_size 65536
		.amdhsa_private_segment_fixed_size 0
		.amdhsa_kernarg_size 360
		.amdhsa_user_sgpr_count 2
		.amdhsa_user_sgpr_dispatch_ptr 0
		.amdhsa_user_sgpr_queue_ptr 0
		.amdhsa_user_sgpr_kernarg_segment_ptr 1
		.amdhsa_user_sgpr_dispatch_id 0
		.amdhsa_user_sgpr_kernarg_preload_length 0
		.amdhsa_user_sgpr_kernarg_preload_offset 0
		.amdhsa_user_sgpr_private_segment_size 0
		.amdhsa_uses_dynamic_stack 0
		.amdhsa_enable_private_segment 0
		.amdhsa_system_sgpr_workgroup_id_x 1
		.amdhsa_system_sgpr_workgroup_id_y 0
		.amdhsa_system_sgpr_workgroup_id_z 1
		.amdhsa_system_sgpr_workgroup_info 0
		.amdhsa_system_vgpr_workitem_id 0
		.amdhsa_next_free_vgpr 257
		.amdhsa_next_free_sgpr 96
		.amdhsa_accum_offset 40
		.amdhsa_reserve_vcc 1
		.amdhsa_float_round_mode_32 0
		.amdhsa_float_round_mode_16_64 0
		.amdhsa_float_denorm_mode_32 3
		.amdhsa_float_denorm_mode_16_64 3
		.amdhsa_dx10_clamp 1
		.amdhsa_ieee_mode 1
		.amdhsa_fp16_overflow 0
		.amdhsa_tg_split 0
		.amdhsa_exception_fp_ieee_invalid_op 0
		.amdhsa_exception_fp_denorm_src 0
		.amdhsa_exception_fp_ieee_div_zero 0
		.amdhsa_exception_fp_ieee_overflow 0
		.amdhsa_exception_fp_ieee_underflow 0
		.amdhsa_exception_fp_ieee_inexact 0
		.amdhsa_exception_int_div_zero 0
	.end_amdhsa_kernel
	.section	.text._ZL31rocblas_trsm_small_right_deviceIddPKPKdPKPdLi64EEv13rocblas_fill_18rocblas_operation_17rocblas_diagonal_iiT0_T1_lilT2_lili,"axG",@progbits,_ZL31rocblas_trsm_small_right_deviceIddPKPKdPKPdLi64EEv13rocblas_fill_18rocblas_operation_17rocblas_diagonal_iiT0_T1_lilT2_lili,comdat
.Lfunc_end111:
	.size	_ZL31rocblas_trsm_small_right_deviceIddPKPKdPKPdLi64EEv13rocblas_fill_18rocblas_operation_17rocblas_diagonal_iiT0_T1_lilT2_lili, .Lfunc_end111-_ZL31rocblas_trsm_small_right_deviceIddPKPKdPKPdLi64EEv13rocblas_fill_18rocblas_operation_17rocblas_diagonal_iiT0_T1_lilT2_lili
                                        ; -- End function
	.set _ZL31rocblas_trsm_small_right_deviceIddPKPKdPKPdLi64EEv13rocblas_fill_18rocblas_operation_17rocblas_diagonal_iiT0_T1_lilT2_lili.num_vgpr, 40
	.set _ZL31rocblas_trsm_small_right_deviceIddPKPKdPKPdLi64EEv13rocblas_fill_18rocblas_operation_17rocblas_diagonal_iiT0_T1_lilT2_lili.num_agpr, 0
	.set _ZL31rocblas_trsm_small_right_deviceIddPKPKdPKPdLi64EEv13rocblas_fill_18rocblas_operation_17rocblas_diagonal_iiT0_T1_lilT2_lili.numbered_sgpr, 26
	.set _ZL31rocblas_trsm_small_right_deviceIddPKPKdPKPdLi64EEv13rocblas_fill_18rocblas_operation_17rocblas_diagonal_iiT0_T1_lilT2_lili.num_named_barrier, 0
	.set _ZL31rocblas_trsm_small_right_deviceIddPKPKdPKPdLi64EEv13rocblas_fill_18rocblas_operation_17rocblas_diagonal_iiT0_T1_lilT2_lili.private_seg_size, 0
	.set _ZL31rocblas_trsm_small_right_deviceIddPKPKdPKPdLi64EEv13rocblas_fill_18rocblas_operation_17rocblas_diagonal_iiT0_T1_lilT2_lili.uses_vcc, 1
	.set _ZL31rocblas_trsm_small_right_deviceIddPKPKdPKPdLi64EEv13rocblas_fill_18rocblas_operation_17rocblas_diagonal_iiT0_T1_lilT2_lili.uses_flat_scratch, 0
	.set _ZL31rocblas_trsm_small_right_deviceIddPKPKdPKPdLi64EEv13rocblas_fill_18rocblas_operation_17rocblas_diagonal_iiT0_T1_lilT2_lili.has_dyn_sized_stack, 0
	.set _ZL31rocblas_trsm_small_right_deviceIddPKPKdPKPdLi64EEv13rocblas_fill_18rocblas_operation_17rocblas_diagonal_iiT0_T1_lilT2_lili.has_recursion, 0
	.set _ZL31rocblas_trsm_small_right_deviceIddPKPKdPKPdLi64EEv13rocblas_fill_18rocblas_operation_17rocblas_diagonal_iiT0_T1_lilT2_lili.has_indirect_call, 0
	.section	.AMDGPU.csdata,"",@progbits
; Kernel info:
; codeLenInByte = 5844
; TotalNumSgprs: 32
; NumVgprs: 40
; NumAgprs: 0
; TotalNumVgprs: 40
; ScratchSize: 0
; MemoryBound: 0
; FloatMode: 240
; IeeeMode: 1
; LDSByteSize: 65536 bytes/workgroup (compile time only)
; SGPRBlocks: 12
; VGPRBlocks: 32
; NumSGPRsForWavesPerEU: 102
; NumVGPRsForWavesPerEU: 257
; AccumOffset: 40
; Occupancy: 1
; WaveLimiterHint : 0
; COMPUTE_PGM_RSRC2:SCRATCH_EN: 0
; COMPUTE_PGM_RSRC2:USER_SGPR: 2
; COMPUTE_PGM_RSRC2:TRAP_HANDLER: 0
; COMPUTE_PGM_RSRC2:TGID_X_EN: 1
; COMPUTE_PGM_RSRC2:TGID_Y_EN: 0
; COMPUTE_PGM_RSRC2:TGID_Z_EN: 1
; COMPUTE_PGM_RSRC2:TIDIG_COMP_CNT: 0
; COMPUTE_PGM_RSRC3_GFX90A:ACCUM_OFFSET: 9
; COMPUTE_PGM_RSRC3_GFX90A:TG_SPLIT: 0
	.section	.text._ZL39rocblas_trsm_block_forward_substitutionIddPKPKdPKPdLb0ELb0ELb0EEv18rocblas_operation_llT0_T1_lllT2_lllib,"axG",@progbits,_ZL39rocblas_trsm_block_forward_substitutionIddPKPKdPKPdLb0ELb0ELb0EEv18rocblas_operation_llT0_T1_lllT2_lllib,comdat
	.globl	_ZL39rocblas_trsm_block_forward_substitutionIddPKPKdPKPdLb0ELb0ELb0EEv18rocblas_operation_llT0_T1_lllT2_lllib ; -- Begin function _ZL39rocblas_trsm_block_forward_substitutionIddPKPKdPKPdLb0ELb0ELb0EEv18rocblas_operation_llT0_T1_lllT2_lllib
	.p2align	8
	.type	_ZL39rocblas_trsm_block_forward_substitutionIddPKPKdPKPdLb0ELb0ELb0EEv18rocblas_operation_llT0_T1_lllT2_lllib,@function
_ZL39rocblas_trsm_block_forward_substitutionIddPKPKdPKPdLb0ELb0ELb0EEv18rocblas_operation_llT0_T1_lllT2_lllib: ; @_ZL39rocblas_trsm_block_forward_substitutionIddPKPKdPKPdLb0ELb0ELb0EEv18rocblas_operation_llT0_T1_lllT2_lllib
; %bb.0:
	s_load_dword s28, s[0:1], 0x64
	s_load_dwordx8 s[8:15], s[0:1], 0x8
	s_load_dwordx4 s[16:19], s[0:1], 0x28
	s_load_dword s2, s[0:1], 0x74
	s_mov_b32 s5, 0
	s_waitcnt lgkmcnt(0)
	s_bitcmp1_b32 s28, 0
	s_cselect_b64 s[6:7], -1, 0
	s_lshl_b64 s[24:25], s[4:5], 3
	s_add_u32 s14, s14, s24
	s_addc_u32 s15, s15, s25
	s_load_dwordx2 s[26:27], s[14:15], 0x0
	s_load_dwordx4 s[20:23], s[0:1], 0x40
	s_load_dwordx2 s[4:5], s[0:1], 0x50
	s_lshl_b64 s[14:15], s[16:17], 3
	v_and_b32_e32 v2, 0x3ff, v0
	s_waitcnt lgkmcnt(0)
	s_add_u32 s14, s26, s14
	s_addc_u32 s15, s27, s15
	s_add_u32 s16, s20, s24
	s_addc_u32 s17, s21, s25
	s_load_dwordx2 s[16:17], s[16:17], 0x0
	s_add_u32 s0, s0, 0x68
	s_addc_u32 s1, s1, 0
	s_lshr_b32 s2, s2, 16
	s_bitcmp0_b32 s28, 0
	v_bfe_u32 v10, v0, 10, 10
	s_cbranch_scc1 .LBB112_13
; %bb.1:
	s_lshl_b32 s20, s2, 3
	v_cmp_lt_i64_e64 s[24:25], s[8:9], 1
	s_add_i32 s20, s20, 0
	s_and_b64 vcc, exec, s[24:25]
	s_cbranch_vccnz .LBB112_12
; %bb.2:
	v_mov_b32_e32 v3, 0
	v_lshlrev_b32_e32 v0, 3, v2
	v_mov_b32_e32 v1, v3
	v_add_u32_e32 v8, s20, v0
	v_lshl_add_u64 v[0:1], s[14:15], 0, v[0:1]
	v_mad_u64_u32 v[4:5], s[14:15], s18, v2, 0
	v_mov_b32_e32 v6, v5
	v_mad_u64_u32 v[6:7], s[14:15], s19, v2, v[6:7]
	v_cmp_le_u64_e32 vcc, s[8:9], v[2:3]
	v_mov_b32_e32 v5, v6
	v_lshl_add_u64 v[4:5], v[4:5], 3, v[0:1]
	s_xor_b64 s[14:15], vcc, -1
	s_mov_b32 s21, s2
	v_mov_b32_e32 v3, v10
	s_branch .LBB112_4
.LBB112_3:                              ;   in Loop: Header=BB112_4 Depth=1
	s_or_b64 exec, exec, s[26:27]
	s_ashr_i32 s24, s21, 31
	s_waitcnt vmcnt(0) lgkmcnt(0)
	v_mov_b32_e32 v6, s21
	v_mov_b32_e32 v7, s24
	v_cmp_le_i64_e32 vcc, s[8:9], v[6:7]
	v_add_u32_e32 v3, s2, v3
	s_add_i32 s21, s21, s2
	s_cbranch_vccnz .LBB112_12
.LBB112_4:                              ; =>This Inner Loop Header: Depth=1
	v_cmp_gt_i32_e32 vcc, v2, v3
	s_and_b64 s[26:27], s[14:15], vcc
	s_mov_b64 s[24:25], 0
                                        ; implicit-def: $vgpr6_vgpr7
	s_and_saveexec_b64 s[28:29], s[26:27]
	s_xor_b64 s[26:27], exec, s[28:29]
	s_cbranch_execnz .LBB112_7
; %bb.5:                                ;   in Loop: Header=BB112_4 Depth=1
	s_or_saveexec_b64 s[26:27], s[26:27]
	v_mov_b32_e32 v9, v3
	s_xor_b64 exec, exec, s[26:27]
	s_cbranch_execnz .LBB112_8
.LBB112_6:                              ;   in Loop: Header=BB112_4 Depth=1
	s_or_b64 exec, exec, s[26:27]
	s_and_saveexec_b64 s[26:27], s[24:25]
	s_cbranch_execz .LBB112_3
	s_branch .LBB112_11
.LBB112_7:                              ;   in Loop: Header=BB112_4 Depth=1
	v_ashrrev_i32_e32 v6, 31, v3
	v_mul_lo_u32 v9, s19, v3
	v_mul_lo_u32 v11, s18, v6
	v_mad_u64_u32 v[6:7], s[28:29], s18, v3, 0
	v_add3_u32 v7, v7, v11, v9
	v_lshl_add_u64 v[6:7], v[6:7], 3, v[0:1]
	flat_load_dwordx2 v[6:7], v[6:7]
	s_mov_b64 s[24:25], exec
	s_or_saveexec_b64 s[26:27], s[26:27]
	v_mov_b32_e32 v9, v3
	s_xor_b64 exec, exec, s[26:27]
	s_cbranch_execz .LBB112_6
.LBB112_8:                              ;   in Loop: Header=BB112_4 Depth=1
	v_cmp_eq_u32_e32 vcc, v2, v3
	s_and_b64 s[34:35], s[14:15], vcc
	s_mov_b64 s[30:31], s[24:25]
                                        ; implicit-def: $vgpr6_vgpr7
	s_and_saveexec_b64 s[28:29], s[34:35]
	s_cbranch_execz .LBB112_10
; %bb.9:                                ;   in Loop: Header=BB112_4 Depth=1
	s_waitcnt vmcnt(0) lgkmcnt(0)
	flat_load_dwordx2 v[6:7], v[4:5]
	s_waitcnt vmcnt(0) lgkmcnt(0)
	v_div_scale_f64 v[12:13], s[30:31], v[6:7], v[6:7], 1.0
	v_rcp_f64_e32 v[14:15], v[12:13]
	v_div_scale_f64 v[16:17], vcc, 1.0, v[6:7], 1.0
	s_or_b64 s[30:31], s[24:25], exec
	v_fma_f64 v[18:19], -v[12:13], v[14:15], 1.0
	v_fmac_f64_e32 v[14:15], v[14:15], v[18:19]
	v_fma_f64 v[18:19], -v[12:13], v[14:15], 1.0
	v_fmac_f64_e32 v[14:15], v[14:15], v[18:19]
	v_mul_f64 v[18:19], v[16:17], v[14:15]
	v_fma_f64 v[12:13], -v[12:13], v[18:19], v[16:17]
	v_div_fmas_f64 v[12:13], v[12:13], v[14:15], v[18:19]
	v_div_fixup_f64 v[6:7], v[12:13], v[6:7], 1.0
.LBB112_10:                             ;   in Loop: Header=BB112_4 Depth=1
	s_or_b64 exec, exec, s[28:29]
	s_andn2_b64 s[24:25], s[24:25], exec
	s_and_b64 s[28:29], s[30:31], exec
	s_or_b64 s[24:25], s[24:25], s[28:29]
	v_mov_b32_e32 v9, v2
	s_or_b64 exec, exec, s[26:27]
	s_and_saveexec_b64 s[26:27], s[24:25]
	s_cbranch_execz .LBB112_3
.LBB112_11:                             ;   in Loop: Header=BB112_4 Depth=1
	s_load_dword s24, s[0:1], 0xc
	s_waitcnt lgkmcnt(0)
	s_and_b32 s24, s24, 0xffff
	v_mul_lo_u32 v9, v9, s24
	v_lshl_add_u32 v9, v9, 3, v8
	s_waitcnt vmcnt(0)
	ds_write_b64 v9, v[6:7]
	s_branch .LBB112_3
.LBB112_12:
	s_load_dword s0, s[0:1], 0xc
	s_mov_b64 s[14:15], src_shared_base
	s_mov_b32 s21, s15
	s_mov_b32 s19, 0
	s_mov_b64 s[14:15], s[20:21]
	s_waitcnt lgkmcnt(0)
	s_and_b32 s18, s0, 0xffff
.LBB112_13:
	s_mul_i32 s3, s3, s2
	v_add_u32_e32 v0, s3, v10
	v_mov_b32_e32 v1, 0
	v_cmp_gt_i64_e32 vcc, s[10:11], v[0:1]
	s_and_saveexec_b64 s[0:1], vcc
	s_cbranch_execz .LBB112_25
; %bb.14:
	v_mov_b32_e32 v3, v1
	v_cmp_gt_i64_e32 vcc, s[8:9], v[2:3]
	s_and_b64 exec, exec, vcc
	s_cbranch_execz .LBB112_25
; %bb.15:
	v_mad_u64_u32 v[4:5], s[2:3], s4, v0, 0
	s_lshl_b64 s[0:1], s[22:23], 3
	v_mov_b32_e32 v6, v5
	s_waitcnt lgkmcnt(0)
	s_add_u32 s0, s16, s0
	v_mad_u64_u32 v[0:1], s[2:3], s5, v0, v[6:7]
	s_addc_u32 s1, s17, s1
	v_mov_b32_e32 v5, v0
	v_lshl_add_u64 v[0:1], v[4:5], 3, s[0:1]
	v_lshlrev_b32_e32 v6, 3, v2
	v_mov_b32_e32 v7, 0
	v_lshl_add_u64 v[0:1], v[0:1], 0, v[6:7]
	flat_load_dwordx2 v[4:5], v[0:1]
	v_cmp_lt_u64_e64 s[2:3], s[8:9], 2
	s_add_u32 s0, s8, -1
	s_addc_u32 s1, s9, -1
	s_and_b64 vcc, exec, s[2:3]
	s_waitcnt vmcnt(0) lgkmcnt(0)
	v_mul_f64 v[4:5], s[12:13], v[4:5]
	s_cbranch_vccnz .LBB112_22
; %bb.16:
	v_mad_u64_u32 v[8:9], s[2:3], v2, s18, v[2:3]
	v_mov_b32_e32 v12, v9
	v_mad_u64_u32 v[12:13], s[2:3], v2, s19, v[12:13]
	v_mov_b32_e32 v9, v12
	v_lshl_add_u64 v[6:7], s[14:15], 0, v[6:7]
	v_lshl_add_u64 v[8:9], v[8:9], 3, s[14:15]
	v_lshl_add_u32 v10, v10, 3, 0
	s_lshl_b64 s[2:3], s[18:19], 3
	s_mov_b64 s[4:5], 0
	s_branch .LBB112_18
.LBB112_17:                             ;   in Loop: Header=BB112_18 Depth=1
	s_or_b64 exec, exec, s[8:9]
	s_add_u32 s4, s4, 1
	s_addc_u32 s5, s5, 0
	s_cmp_eq_u64 s[0:1], s[4:5]
	v_lshl_add_u64 v[6:7], v[6:7], 0, s[2:3]
	s_cbranch_scc1 .LBB112_22
.LBB112_18:                             ; =>This Inner Loop Header: Depth=1
	v_cmp_eq_u64_e32 vcc, s[4:5], v[2:3]
	s_barrier
	s_and_saveexec_b64 s[8:9], vcc
	s_cbranch_execz .LBB112_20
; %bb.19:                               ;   in Loop: Header=BB112_18 Depth=1
	flat_load_dwordx2 v[12:13], v[8:9]
	s_waitcnt vmcnt(0) lgkmcnt(0)
	v_div_scale_f64 v[14:15], s[10:11], v[12:13], v[12:13], 1.0
	v_rcp_f64_e32 v[16:17], v[14:15]
	v_div_scale_f64 v[18:19], vcc, 1.0, v[12:13], 1.0
	v_fma_f64 v[20:21], -v[14:15], v[16:17], 1.0
	v_fmac_f64_e32 v[16:17], v[16:17], v[20:21]
	v_fma_f64 v[20:21], -v[14:15], v[16:17], 1.0
	v_fmac_f64_e32 v[16:17], v[16:17], v[20:21]
	v_mul_f64 v[20:21], v[18:19], v[16:17]
	v_fma_f64 v[14:15], -v[14:15], v[20:21], v[18:19]
	v_div_fmas_f64 v[14:15], v[14:15], v[16:17], v[20:21]
	v_div_fixup_f64 v[14:15], v[14:15], v[12:13], 1.0
	v_cndmask_b32_e64 v13, v15, v13, s[6:7]
	v_cndmask_b32_e64 v12, v14, v12, s[6:7]
	v_mul_f64 v[4:5], v[4:5], v[12:13]
	ds_write_b64 v10, v[4:5]
.LBB112_20:                             ;   in Loop: Header=BB112_18 Depth=1
	s_or_b64 exec, exec, s[8:9]
	v_cmp_lt_u64_e32 vcc, s[4:5], v[2:3]
	s_waitcnt lgkmcnt(0)
	s_barrier
	s_and_saveexec_b64 s[8:9], vcc
	s_cbranch_execz .LBB112_17
; %bb.21:                               ;   in Loop: Header=BB112_18 Depth=1
	flat_load_dwordx2 v[12:13], v[6:7]
	ds_read_b64 v[14:15], v10
	s_waitcnt vmcnt(0) lgkmcnt(0)
	v_fma_f64 v[4:5], -v[12:13], v[14:15], v[4:5]
	s_branch .LBB112_17
.LBB112_22:
	v_cmp_eq_u64_e32 vcc, s[0:1], v[2:3]
	s_and_saveexec_b64 s[0:1], vcc
	s_cbranch_execz .LBB112_24
; %bb.23:
	v_mad_u64_u32 v[6:7], s[2:3], v2, s18, v[2:3]
	v_mov_b32_e32 v8, v7
	v_mad_u64_u32 v[2:3], s[2:3], v2, s19, v[8:9]
	v_mov_b32_e32 v7, v2
	v_lshl_add_u64 v[2:3], v[6:7], 3, s[14:15]
	flat_load_dwordx2 v[2:3], v[2:3]
	s_waitcnt vmcnt(0) lgkmcnt(0)
	v_div_scale_f64 v[6:7], s[2:3], v[2:3], v[2:3], 1.0
	v_rcp_f64_e32 v[8:9], v[6:7]
	v_div_scale_f64 v[10:11], vcc, 1.0, v[2:3], 1.0
	v_fma_f64 v[12:13], -v[6:7], v[8:9], 1.0
	v_fmac_f64_e32 v[8:9], v[8:9], v[12:13]
	v_fma_f64 v[12:13], -v[6:7], v[8:9], 1.0
	v_fmac_f64_e32 v[8:9], v[8:9], v[12:13]
	v_mul_f64 v[12:13], v[10:11], v[8:9]
	v_fma_f64 v[6:7], -v[6:7], v[12:13], v[10:11]
	v_div_fmas_f64 v[6:7], v[6:7], v[8:9], v[12:13]
	v_div_fixup_f64 v[6:7], v[6:7], v[2:3], 1.0
	v_cndmask_b32_e64 v3, v7, v3, s[6:7]
	v_cndmask_b32_e64 v2, v6, v2, s[6:7]
	v_mul_f64 v[4:5], v[4:5], v[2:3]
.LBB112_24:
	s_or_b64 exec, exec, s[0:1]
	flat_store_dwordx2 v[0:1], v[4:5]
.LBB112_25:
	s_endpgm
	.section	.rodata,"a",@progbits
	.p2align	6, 0x0
	.amdhsa_kernel _ZL39rocblas_trsm_block_forward_substitutionIddPKPKdPKPdLb0ELb0ELb0EEv18rocblas_operation_llT0_T1_lllT2_lllib
		.amdhsa_group_segment_fixed_size 0
		.amdhsa_private_segment_fixed_size 0
		.amdhsa_kernarg_size 360
		.amdhsa_user_sgpr_count 2
		.amdhsa_user_sgpr_dispatch_ptr 0
		.amdhsa_user_sgpr_queue_ptr 0
		.amdhsa_user_sgpr_kernarg_segment_ptr 1
		.amdhsa_user_sgpr_dispatch_id 0
		.amdhsa_user_sgpr_kernarg_preload_length 0
		.amdhsa_user_sgpr_kernarg_preload_offset 0
		.amdhsa_user_sgpr_private_segment_size 0
		.amdhsa_uses_dynamic_stack 0
		.amdhsa_enable_private_segment 0
		.amdhsa_system_sgpr_workgroup_id_x 1
		.amdhsa_system_sgpr_workgroup_id_y 1
		.amdhsa_system_sgpr_workgroup_id_z 1
		.amdhsa_system_sgpr_workgroup_info 0
		.amdhsa_system_vgpr_workitem_id 1
		.amdhsa_next_free_vgpr 22
		.amdhsa_next_free_sgpr 36
		.amdhsa_accum_offset 24
		.amdhsa_reserve_vcc 1
		.amdhsa_float_round_mode_32 0
		.amdhsa_float_round_mode_16_64 0
		.amdhsa_float_denorm_mode_32 3
		.amdhsa_float_denorm_mode_16_64 3
		.amdhsa_dx10_clamp 1
		.amdhsa_ieee_mode 1
		.amdhsa_fp16_overflow 0
		.amdhsa_tg_split 0
		.amdhsa_exception_fp_ieee_invalid_op 0
		.amdhsa_exception_fp_denorm_src 0
		.amdhsa_exception_fp_ieee_div_zero 0
		.amdhsa_exception_fp_ieee_overflow 0
		.amdhsa_exception_fp_ieee_underflow 0
		.amdhsa_exception_fp_ieee_inexact 0
		.amdhsa_exception_int_div_zero 0
	.end_amdhsa_kernel
	.section	.text._ZL39rocblas_trsm_block_forward_substitutionIddPKPKdPKPdLb0ELb0ELb0EEv18rocblas_operation_llT0_T1_lllT2_lllib,"axG",@progbits,_ZL39rocblas_trsm_block_forward_substitutionIddPKPKdPKPdLb0ELb0ELb0EEv18rocblas_operation_llT0_T1_lllT2_lllib,comdat
.Lfunc_end112:
	.size	_ZL39rocblas_trsm_block_forward_substitutionIddPKPKdPKPdLb0ELb0ELb0EEv18rocblas_operation_llT0_T1_lllT2_lllib, .Lfunc_end112-_ZL39rocblas_trsm_block_forward_substitutionIddPKPKdPKPdLb0ELb0ELb0EEv18rocblas_operation_llT0_T1_lllT2_lllib
                                        ; -- End function
	.set _ZL39rocblas_trsm_block_forward_substitutionIddPKPKdPKPdLb0ELb0ELb0EEv18rocblas_operation_llT0_T1_lllT2_lllib.num_vgpr, 22
	.set _ZL39rocblas_trsm_block_forward_substitutionIddPKPKdPKPdLb0ELb0ELb0EEv18rocblas_operation_llT0_T1_lllT2_lllib.num_agpr, 0
	.set _ZL39rocblas_trsm_block_forward_substitutionIddPKPKdPKPdLb0ELb0ELb0EEv18rocblas_operation_llT0_T1_lllT2_lllib.numbered_sgpr, 36
	.set _ZL39rocblas_trsm_block_forward_substitutionIddPKPKdPKPdLb0ELb0ELb0EEv18rocblas_operation_llT0_T1_lllT2_lllib.num_named_barrier, 0
	.set _ZL39rocblas_trsm_block_forward_substitutionIddPKPKdPKPdLb0ELb0ELb0EEv18rocblas_operation_llT0_T1_lllT2_lllib.private_seg_size, 0
	.set _ZL39rocblas_trsm_block_forward_substitutionIddPKPKdPKPdLb0ELb0ELb0EEv18rocblas_operation_llT0_T1_lllT2_lllib.uses_vcc, 1
	.set _ZL39rocblas_trsm_block_forward_substitutionIddPKPKdPKPdLb0ELb0ELb0EEv18rocblas_operation_llT0_T1_lllT2_lllib.uses_flat_scratch, 0
	.set _ZL39rocblas_trsm_block_forward_substitutionIddPKPKdPKPdLb0ELb0ELb0EEv18rocblas_operation_llT0_T1_lllT2_lllib.has_dyn_sized_stack, 0
	.set _ZL39rocblas_trsm_block_forward_substitutionIddPKPKdPKPdLb0ELb0ELb0EEv18rocblas_operation_llT0_T1_lllT2_lllib.has_recursion, 0
	.set _ZL39rocblas_trsm_block_forward_substitutionIddPKPKdPKPdLb0ELb0ELb0EEv18rocblas_operation_llT0_T1_lllT2_lllib.has_indirect_call, 0
	.section	.AMDGPU.csdata,"",@progbits
; Kernel info:
; codeLenInByte = 1256
; TotalNumSgprs: 42
; NumVgprs: 22
; NumAgprs: 0
; TotalNumVgprs: 22
; ScratchSize: 0
; MemoryBound: 1
; FloatMode: 240
; IeeeMode: 1
; LDSByteSize: 0 bytes/workgroup (compile time only)
; SGPRBlocks: 5
; VGPRBlocks: 2
; NumSGPRsForWavesPerEU: 42
; NumVGPRsForWavesPerEU: 22
; AccumOffset: 24
; Occupancy: 8
; WaveLimiterHint : 1
; COMPUTE_PGM_RSRC2:SCRATCH_EN: 0
; COMPUTE_PGM_RSRC2:USER_SGPR: 2
; COMPUTE_PGM_RSRC2:TRAP_HANDLER: 0
; COMPUTE_PGM_RSRC2:TGID_X_EN: 1
; COMPUTE_PGM_RSRC2:TGID_Y_EN: 1
; COMPUTE_PGM_RSRC2:TGID_Z_EN: 1
; COMPUTE_PGM_RSRC2:TIDIG_COMP_CNT: 1
; COMPUTE_PGM_RSRC3_GFX90A:ACCUM_OFFSET: 5
; COMPUTE_PGM_RSRC3_GFX90A:TG_SPLIT: 0
	.section	.text._ZL40rocblas_trsm_block_backward_substitutionIddPKPKdPKPdLb0ELb0ELb0EEv18rocblas_operation_llT0_T1_lllT2_lllib,"axG",@progbits,_ZL40rocblas_trsm_block_backward_substitutionIddPKPKdPKPdLb0ELb0ELb0EEv18rocblas_operation_llT0_T1_lllT2_lllib,comdat
	.globl	_ZL40rocblas_trsm_block_backward_substitutionIddPKPKdPKPdLb0ELb0ELb0EEv18rocblas_operation_llT0_T1_lllT2_lllib ; -- Begin function _ZL40rocblas_trsm_block_backward_substitutionIddPKPKdPKPdLb0ELb0ELb0EEv18rocblas_operation_llT0_T1_lllT2_lllib
	.p2align	8
	.type	_ZL40rocblas_trsm_block_backward_substitutionIddPKPKdPKPdLb0ELb0ELb0EEv18rocblas_operation_llT0_T1_lllT2_lllib,@function
_ZL40rocblas_trsm_block_backward_substitutionIddPKPKdPKPdLb0ELb0ELb0EEv18rocblas_operation_llT0_T1_lllT2_lllib: ; @_ZL40rocblas_trsm_block_backward_substitutionIddPKPKdPKPdLb0ELb0ELb0EEv18rocblas_operation_llT0_T1_lllT2_lllib
; %bb.0:
	s_load_dword s28, s[0:1], 0x64
	s_load_dwordx8 s[8:15], s[0:1], 0x8
	s_load_dwordx4 s[20:23], s[0:1], 0x28
	s_load_dword s2, s[0:1], 0x74
	s_mov_b32 s5, 0
	s_waitcnt lgkmcnt(0)
	s_bitcmp1_b32 s28, 0
	s_cselect_b64 s[6:7], -1, 0
	s_lshl_b64 s[4:5], s[4:5], 3
	s_add_u32 s14, s14, s4
	s_addc_u32 s15, s15, s5
	s_load_dwordx2 s[26:27], s[14:15], 0x0
	s_load_dwordx4 s[16:19], s[0:1], 0x40
	s_load_dwordx2 s[24:25], s[0:1], 0x50
	s_lshl_b64 s[14:15], s[20:21], 3
	v_and_b32_e32 v2, 0x3ff, v0
	s_waitcnt lgkmcnt(0)
	s_add_u32 s20, s26, s14
	s_addc_u32 s21, s27, s15
	s_add_u32 s4, s16, s4
	s_addc_u32 s5, s17, s5
	s_load_dwordx2 s[16:17], s[4:5], 0x0
	s_add_u32 s26, s0, 0x68
	s_addc_u32 s27, s1, 0
	s_lshr_b32 s2, s2, 16
	v_bfe_u32 v10, v0, 10, 10
	s_bitcmp0_b32 s28, 0
	s_mov_b64 s[0:1], 1
	s_cbranch_scc1 .LBB113_14
; %bb.1:
	s_lshl_b32 s0, s2, 3
	s_add_i32 s28, s0, 0
	v_cmp_lt_i64_e64 s[0:1], s[8:9], 1
	s_mov_b64 s[14:15], 1
	s_and_b64 vcc, exec, s[0:1]
	s_cbranch_vccnz .LBB113_15
; %bb.2:
	v_mad_u64_u32 v[0:1], s[0:1], s22, v2, 0
	v_mov_b32_e32 v6, v1
	v_mad_u64_u32 v[6:7], s[0:1], s23, v2, v[6:7]
	v_mov_b32_e32 v3, 0
	v_mov_b32_e32 v1, v6
	v_lshlrev_b32_e32 v4, 3, v2
	v_cmp_le_u64_e64 s[30:31], s[8:9], v[2:3]
	v_lshl_add_u64 v[0:1], v[0:1], 3, s[20:21]
	v_mov_b32_e32 v5, v3
	v_add_u32_e32 v11, s28, v4
	v_cmp_gt_u64_e64 s[4:5], s[8:9], v[2:3]
	v_lshl_add_u64 v[4:5], v[0:1], 0, v[4:5]
	s_xor_b64 s[20:21], s[30:31], -1
	s_mov_b32 s29, s2
	v_mov_b32_e32 v6, v10
	s_branch .LBB113_4
.LBB113_3:                              ;   in Loop: Header=BB113_4 Depth=1
	s_or_b64 exec, exec, s[22:23]
	s_ashr_i32 s0, s29, 31
	s_waitcnt vmcnt(0) lgkmcnt(0)
	v_mov_b32_e32 v8, s29
	v_mov_b32_e32 v9, s0
	v_cmp_le_i64_e32 vcc, s[8:9], v[8:9]
	v_add_u32_e32 v6, s2, v6
	s_add_i32 s29, s29, s2
	s_cbranch_vccnz .LBB113_15
.LBB113_4:                              ; =>This Inner Loop Header: Depth=1
	s_mov_b64 s[0:1], 0
	s_mov_b64 s[34:35], s[30:31]
                                        ; implicit-def: $vgpr8_vgpr9
	s_and_saveexec_b64 s[22:23], s[4:5]
	s_cbranch_execnz .LBB113_7
; %bb.5:                                ;   in Loop: Header=BB113_4 Depth=1
	s_or_b64 exec, exec, s[22:23]
	v_mov_b32_e32 v3, v6
	s_and_saveexec_b64 s[22:23], s[34:35]
	s_cbranch_execnz .LBB113_10
.LBB113_6:                              ;   in Loop: Header=BB113_4 Depth=1
	s_or_b64 exec, exec, s[22:23]
	s_and_saveexec_b64 s[22:23], s[0:1]
	s_cbranch_execz .LBB113_3
	s_branch .LBB113_13
.LBB113_7:                              ;   in Loop: Header=BB113_4 Depth=1
	v_ashrrev_i32_e32 v7, 31, v6
	v_cmp_gt_i64_e32 vcc, s[8:9], v[6:7]
	v_cmp_lt_i32_e64 s[0:1], v2, v6
	s_and_b64 s[38:39], s[0:1], vcc
	s_mov_b64 s[34:35], -1
	s_mov_b64 s[0:1], 0
                                        ; implicit-def: $vgpr8_vgpr9
	s_and_saveexec_b64 s[36:37], s[38:39]
	s_cbranch_execz .LBB113_9
; %bb.8:                                ;   in Loop: Header=BB113_4 Depth=1
	v_lshl_add_u64 v[8:9], v[6:7], 3, v[0:1]
	flat_load_dwordx2 v[8:9], v[8:9]
	s_mov_b64 s[0:1], exec
	s_xor_b64 s[34:35], exec, -1
.LBB113_9:                              ;   in Loop: Header=BB113_4 Depth=1
	s_or_b64 exec, exec, s[36:37]
	s_andn2_b64 s[36:37], s[30:31], exec
	s_and_b64 s[34:35], s[34:35], exec
	s_and_b64 s[0:1], s[0:1], exec
	s_or_b64 s[34:35], s[36:37], s[34:35]
	s_or_b64 exec, exec, s[22:23]
	v_mov_b32_e32 v3, v6
	s_and_saveexec_b64 s[22:23], s[34:35]
	s_cbranch_execz .LBB113_6
.LBB113_10:                             ;   in Loop: Header=BB113_4 Depth=1
	v_cmp_eq_u32_e32 vcc, v2, v6
	s_and_b64 s[38:39], s[20:21], vcc
	s_mov_b64 s[36:37], s[0:1]
                                        ; implicit-def: $vgpr8_vgpr9
	s_and_saveexec_b64 s[34:35], s[38:39]
	s_cbranch_execz .LBB113_12
; %bb.11:                               ;   in Loop: Header=BB113_4 Depth=1
	s_waitcnt vmcnt(0) lgkmcnt(0)
	flat_load_dwordx2 v[8:9], v[4:5]
	s_waitcnt vmcnt(0) lgkmcnt(0)
	v_div_scale_f64 v[12:13], s[36:37], v[8:9], v[8:9], 1.0
	v_rcp_f64_e32 v[14:15], v[12:13]
	v_div_scale_f64 v[16:17], vcc, 1.0, v[8:9], 1.0
	s_or_b64 s[36:37], s[0:1], exec
	v_fma_f64 v[18:19], -v[12:13], v[14:15], 1.0
	v_fmac_f64_e32 v[14:15], v[14:15], v[18:19]
	v_fma_f64 v[18:19], -v[12:13], v[14:15], 1.0
	v_fmac_f64_e32 v[14:15], v[14:15], v[18:19]
	v_mul_f64 v[18:19], v[16:17], v[14:15]
	v_fma_f64 v[12:13], -v[12:13], v[18:19], v[16:17]
	v_div_fmas_f64 v[12:13], v[12:13], v[14:15], v[18:19]
	v_div_fixup_f64 v[8:9], v[12:13], v[8:9], 1.0
.LBB113_12:                             ;   in Loop: Header=BB113_4 Depth=1
	s_or_b64 exec, exec, s[34:35]
	s_andn2_b64 s[0:1], s[0:1], exec
	s_and_b64 s[34:35], s[36:37], exec
	s_or_b64 s[0:1], s[0:1], s[34:35]
	v_mov_b32_e32 v3, v2
	s_or_b64 exec, exec, s[22:23]
	s_and_saveexec_b64 s[22:23], s[0:1]
	s_cbranch_execz .LBB113_3
.LBB113_13:                             ;   in Loop: Header=BB113_4 Depth=1
	s_load_dword s0, s[26:27], 0xc
	s_waitcnt lgkmcnt(0)
	s_and_b32 s0, s0, 0xffff
	v_mul_lo_u32 v3, v3, s0
	v_lshl_add_u32 v3, v3, 3, v11
	s_waitcnt vmcnt(0)
	ds_write_b64 v3, v[8:9]
	s_branch .LBB113_3
.LBB113_14:
	s_mov_b64 s[14:15], s[22:23]
	s_branch .LBB113_16
.LBB113_15:
	s_load_dword s0, s[26:27], 0xc
	s_mov_b64 s[4:5], src_shared_base
	s_mov_b32 s29, s5
	s_mov_b32 s1, 0
	s_mov_b64 s[20:21], s[28:29]
	s_waitcnt lgkmcnt(0)
	s_and_b32 s0, s0, 0xffff
.LBB113_16:
	s_mul_i32 s3, s3, s2
	v_add_u32_e32 v0, s3, v10
	v_mov_b32_e32 v1, 0
	v_cmp_gt_i64_e32 vcc, s[10:11], v[0:1]
	s_and_saveexec_b64 s[2:3], vcc
	s_cbranch_execz .LBB113_29
; %bb.17:
	v_mov_b32_e32 v3, v1
	v_cmp_gt_i64_e32 vcc, s[8:9], v[2:3]
	s_and_b64 exec, exec, vcc
	s_cbranch_execz .LBB113_29
; %bb.18:
	v_mad_u64_u32 v[4:5], s[4:5], s24, v2, 0
	s_lshl_b64 s[2:3], s[18:19], 3
	v_mov_b32_e32 v6, v5
	s_waitcnt lgkmcnt(0)
	s_add_u32 s2, s16, s2
	v_mad_u64_u32 v[6:7], s[4:5], s25, v2, v[6:7]
	s_addc_u32 s3, s17, s3
	v_mov_b32_e32 v5, v6
	v_lshl_add_u64 v[4:5], v[4:5], 3, s[2:3]
	v_lshl_add_u64 v[0:1], v[0:1], 3, v[4:5]
	flat_load_dwordx2 v[4:5], v[0:1]
	v_cmp_lt_u64_e64 s[2:3], s[8:9], 2
	s_and_b64 vcc, exec, s[2:3]
	s_waitcnt vmcnt(0) lgkmcnt(0)
	v_mul_f64 v[4:5], s[12:13], v[4:5]
	s_cbranch_vccnz .LBB113_26
; %bb.19:
	s_add_u32 s2, s0, s14
	v_mad_u64_u32 v[6:7], s[2:3], s2, v2, 0
	s_addc_u32 s4, s1, s15
	v_mov_b32_e32 v8, v7
	v_mad_u64_u32 v[8:9], s[2:3], s4, v2, v[8:9]
	v_mov_b32_e32 v7, v8
	v_mad_u64_u32 v[8:9], s[2:3], s14, v2, 0
	;; [unrolled: 2-line block ×3, first 2 shown]
	s_add_u32 s2, s8, -1
	s_addc_u32 s3, s9, -1
	s_mul_i32 s4, s0, s3
	s_mul_hi_u32 s5, s0, s2
	s_add_i32 s5, s5, s4
	s_mul_i32 s4, s0, s2
	s_lshl_b64 s[4:5], s[4:5], 3
	s_add_u32 s4, s20, s4
	v_mov_b32_e32 v9, v12
	s_addc_u32 s5, s21, s5
	v_lshl_add_u64 v[8:9], v[8:9], 3, s[4:5]
	s_lshl_b32 s4, s0, 3
	s_sub_u32 s4, 0, s4
	v_lshl_add_u64 v[6:7], v[6:7], 3, s[20:21]
	v_lshl_add_u32 v10, v10, 3, 0
	s_subb_u32 s5, 0, 0
.LBB113_20:                             ; =>This Inner Loop Header: Depth=1
	v_cmp_eq_u64_e32 vcc, s[2:3], v[2:3]
	s_barrier
	s_and_saveexec_b64 s[8:9], vcc
	s_cbranch_execz .LBB113_22
; %bb.21:                               ;   in Loop: Header=BB113_20 Depth=1
	flat_load_dwordx2 v[12:13], v[6:7]
	s_waitcnt vmcnt(0) lgkmcnt(0)
	v_div_scale_f64 v[14:15], s[10:11], v[12:13], v[12:13], 1.0
	v_rcp_f64_e32 v[16:17], v[14:15]
	v_div_scale_f64 v[18:19], vcc, 1.0, v[12:13], 1.0
	v_fma_f64 v[20:21], -v[14:15], v[16:17], 1.0
	v_fmac_f64_e32 v[16:17], v[16:17], v[20:21]
	v_fma_f64 v[20:21], -v[14:15], v[16:17], 1.0
	v_fmac_f64_e32 v[16:17], v[16:17], v[20:21]
	v_mul_f64 v[20:21], v[18:19], v[16:17]
	v_fma_f64 v[14:15], -v[14:15], v[20:21], v[18:19]
	v_div_fmas_f64 v[14:15], v[14:15], v[16:17], v[20:21]
	v_div_fixup_f64 v[14:15], v[14:15], v[12:13], 1.0
	v_cndmask_b32_e64 v13, v15, v13, s[6:7]
	v_cndmask_b32_e64 v12, v14, v12, s[6:7]
	v_mul_f64 v[4:5], v[4:5], v[12:13]
	ds_write_b64 v10, v[4:5]
.LBB113_22:                             ;   in Loop: Header=BB113_20 Depth=1
	s_or_b64 exec, exec, s[8:9]
	v_cmp_gt_i64_e32 vcc, s[2:3], v[2:3]
	s_waitcnt lgkmcnt(0)
	s_barrier
	s_and_saveexec_b64 s[8:9], vcc
	s_cbranch_execz .LBB113_24
; %bb.23:                               ;   in Loop: Header=BB113_20 Depth=1
	flat_load_dwordx2 v[12:13], v[8:9]
	ds_read_b64 v[14:15], v10
	s_waitcnt vmcnt(0) lgkmcnt(0)
	v_fma_f64 v[4:5], -v[12:13], v[14:15], v[4:5]
.LBB113_24:                             ;   in Loop: Header=BB113_20 Depth=1
	s_or_b64 exec, exec, s[8:9]
	s_add_u32 s8, s2, -1
	s_addc_u32 s9, s3, -1
	s_add_u32 s2, s2, 1
	s_addc_u32 s3, s3, 0
	v_cmp_lt_u64_e64 s[2:3], s[2:3], 3
	v_lshl_add_u64 v[8:9], v[8:9], 0, s[4:5]
	s_and_b64 vcc, exec, s[2:3]
	s_cbranch_vccnz .LBB113_26
; %bb.25:                               ;   in Loop: Header=BB113_20 Depth=1
	s_mov_b64 s[2:3], s[8:9]
	s_branch .LBB113_20
.LBB113_26:
	v_cmp_eq_u32_e32 vcc, 0, v2
	s_and_saveexec_b64 s[2:3], vcc
	s_cbranch_execz .LBB113_28
; %bb.27:
	s_add_u32 s0, s0, s14
	s_addc_u32 s4, s1, s15
	v_mad_u64_u32 v[6:7], s[0:1], s0, v2, 0
	v_mov_b32_e32 v8, v7
	v_mad_u64_u32 v[2:3], s[0:1], s4, v2, v[8:9]
	v_mov_b32_e32 v7, v2
	v_lshl_add_u64 v[2:3], v[6:7], 3, s[20:21]
	flat_load_dwordx2 v[2:3], v[2:3]
	s_waitcnt vmcnt(0) lgkmcnt(0)
	v_div_scale_f64 v[6:7], s[0:1], v[2:3], v[2:3], 1.0
	v_rcp_f64_e32 v[8:9], v[6:7]
	v_div_scale_f64 v[10:11], vcc, 1.0, v[2:3], 1.0
	v_fma_f64 v[12:13], -v[6:7], v[8:9], 1.0
	v_fmac_f64_e32 v[8:9], v[8:9], v[12:13]
	v_fma_f64 v[12:13], -v[6:7], v[8:9], 1.0
	v_fmac_f64_e32 v[8:9], v[8:9], v[12:13]
	v_mul_f64 v[12:13], v[10:11], v[8:9]
	v_fma_f64 v[6:7], -v[6:7], v[12:13], v[10:11]
	v_div_fmas_f64 v[6:7], v[6:7], v[8:9], v[12:13]
	v_div_fixup_f64 v[6:7], v[6:7], v[2:3], 1.0
	v_cndmask_b32_e64 v3, v7, v3, s[6:7]
	v_cndmask_b32_e64 v2, v6, v2, s[6:7]
	v_mul_f64 v[4:5], v[4:5], v[2:3]
.LBB113_28:
	s_or_b64 exec, exec, s[2:3]
	flat_store_dwordx2 v[0:1], v[4:5]
.LBB113_29:
	s_endpgm
	.section	.rodata,"a",@progbits
	.p2align	6, 0x0
	.amdhsa_kernel _ZL40rocblas_trsm_block_backward_substitutionIddPKPKdPKPdLb0ELb0ELb0EEv18rocblas_operation_llT0_T1_lllT2_lllib
		.amdhsa_group_segment_fixed_size 0
		.amdhsa_private_segment_fixed_size 0
		.amdhsa_kernarg_size 360
		.amdhsa_user_sgpr_count 2
		.amdhsa_user_sgpr_dispatch_ptr 0
		.amdhsa_user_sgpr_queue_ptr 0
		.amdhsa_user_sgpr_kernarg_segment_ptr 1
		.amdhsa_user_sgpr_dispatch_id 0
		.amdhsa_user_sgpr_kernarg_preload_length 0
		.amdhsa_user_sgpr_kernarg_preload_offset 0
		.amdhsa_user_sgpr_private_segment_size 0
		.amdhsa_uses_dynamic_stack 0
		.amdhsa_enable_private_segment 0
		.amdhsa_system_sgpr_workgroup_id_x 1
		.amdhsa_system_sgpr_workgroup_id_y 1
		.amdhsa_system_sgpr_workgroup_id_z 1
		.amdhsa_system_sgpr_workgroup_info 0
		.amdhsa_system_vgpr_workitem_id 1
		.amdhsa_next_free_vgpr 22
		.amdhsa_next_free_sgpr 40
		.amdhsa_accum_offset 24
		.amdhsa_reserve_vcc 1
		.amdhsa_float_round_mode_32 0
		.amdhsa_float_round_mode_16_64 0
		.amdhsa_float_denorm_mode_32 3
		.amdhsa_float_denorm_mode_16_64 3
		.amdhsa_dx10_clamp 1
		.amdhsa_ieee_mode 1
		.amdhsa_fp16_overflow 0
		.amdhsa_tg_split 0
		.amdhsa_exception_fp_ieee_invalid_op 0
		.amdhsa_exception_fp_denorm_src 0
		.amdhsa_exception_fp_ieee_div_zero 0
		.amdhsa_exception_fp_ieee_overflow 0
		.amdhsa_exception_fp_ieee_underflow 0
		.amdhsa_exception_fp_ieee_inexact 0
		.amdhsa_exception_int_div_zero 0
	.end_amdhsa_kernel
	.section	.text._ZL40rocblas_trsm_block_backward_substitutionIddPKPKdPKPdLb0ELb0ELb0EEv18rocblas_operation_llT0_T1_lllT2_lllib,"axG",@progbits,_ZL40rocblas_trsm_block_backward_substitutionIddPKPKdPKPdLb0ELb0ELb0EEv18rocblas_operation_llT0_T1_lllT2_lllib,comdat
.Lfunc_end113:
	.size	_ZL40rocblas_trsm_block_backward_substitutionIddPKPKdPKPdLb0ELb0ELb0EEv18rocblas_operation_llT0_T1_lllT2_lllib, .Lfunc_end113-_ZL40rocblas_trsm_block_backward_substitutionIddPKPKdPKPdLb0ELb0ELb0EEv18rocblas_operation_llT0_T1_lllT2_lllib
                                        ; -- End function
	.set _ZL40rocblas_trsm_block_backward_substitutionIddPKPKdPKPdLb0ELb0ELb0EEv18rocblas_operation_llT0_T1_lllT2_lllib.num_vgpr, 22
	.set _ZL40rocblas_trsm_block_backward_substitutionIddPKPKdPKPdLb0ELb0ELb0EEv18rocblas_operation_llT0_T1_lllT2_lllib.num_agpr, 0
	.set _ZL40rocblas_trsm_block_backward_substitutionIddPKPKdPKPdLb0ELb0ELb0EEv18rocblas_operation_llT0_T1_lllT2_lllib.numbered_sgpr, 40
	.set _ZL40rocblas_trsm_block_backward_substitutionIddPKPKdPKPdLb0ELb0ELb0EEv18rocblas_operation_llT0_T1_lllT2_lllib.num_named_barrier, 0
	.set _ZL40rocblas_trsm_block_backward_substitutionIddPKPKdPKPdLb0ELb0ELb0EEv18rocblas_operation_llT0_T1_lllT2_lllib.private_seg_size, 0
	.set _ZL40rocblas_trsm_block_backward_substitutionIddPKPKdPKPdLb0ELb0ELb0EEv18rocblas_operation_llT0_T1_lllT2_lllib.uses_vcc, 1
	.set _ZL40rocblas_trsm_block_backward_substitutionIddPKPKdPKPdLb0ELb0ELb0EEv18rocblas_operation_llT0_T1_lllT2_lllib.uses_flat_scratch, 0
	.set _ZL40rocblas_trsm_block_backward_substitutionIddPKPKdPKPdLb0ELb0ELb0EEv18rocblas_operation_llT0_T1_lllT2_lllib.has_dyn_sized_stack, 0
	.set _ZL40rocblas_trsm_block_backward_substitutionIddPKPKdPKPdLb0ELb0ELb0EEv18rocblas_operation_llT0_T1_lllT2_lllib.has_recursion, 0
	.set _ZL40rocblas_trsm_block_backward_substitutionIddPKPKdPKPdLb0ELb0ELb0EEv18rocblas_operation_llT0_T1_lllT2_lllib.has_indirect_call, 0
	.section	.AMDGPU.csdata,"",@progbits
; Kernel info:
; codeLenInByte = 1380
; TotalNumSgprs: 46
; NumVgprs: 22
; NumAgprs: 0
; TotalNumVgprs: 22
; ScratchSize: 0
; MemoryBound: 1
; FloatMode: 240
; IeeeMode: 1
; LDSByteSize: 0 bytes/workgroup (compile time only)
; SGPRBlocks: 5
; VGPRBlocks: 2
; NumSGPRsForWavesPerEU: 46
; NumVGPRsForWavesPerEU: 22
; AccumOffset: 24
; Occupancy: 8
; WaveLimiterHint : 1
; COMPUTE_PGM_RSRC2:SCRATCH_EN: 0
; COMPUTE_PGM_RSRC2:USER_SGPR: 2
; COMPUTE_PGM_RSRC2:TRAP_HANDLER: 0
; COMPUTE_PGM_RSRC2:TGID_X_EN: 1
; COMPUTE_PGM_RSRC2:TGID_Y_EN: 1
; COMPUTE_PGM_RSRC2:TGID_Z_EN: 1
; COMPUTE_PGM_RSRC2:TIDIG_COMP_CNT: 1
; COMPUTE_PGM_RSRC3_GFX90A:ACCUM_OFFSET: 5
; COMPUTE_PGM_RSRC3_GFX90A:TG_SPLIT: 0
	.section	.text._ZL39rocblas_trsm_block_forward_substitutionIddPKPKdPKPdLb0ELb0ELb1EEv18rocblas_operation_llT0_T1_lllT2_lllib,"axG",@progbits,_ZL39rocblas_trsm_block_forward_substitutionIddPKPKdPKPdLb0ELb0ELb1EEv18rocblas_operation_llT0_T1_lllT2_lllib,comdat
	.globl	_ZL39rocblas_trsm_block_forward_substitutionIddPKPKdPKPdLb0ELb0ELb1EEv18rocblas_operation_llT0_T1_lllT2_lllib ; -- Begin function _ZL39rocblas_trsm_block_forward_substitutionIddPKPKdPKPdLb0ELb0ELb1EEv18rocblas_operation_llT0_T1_lllT2_lllib
	.p2align	8
	.type	_ZL39rocblas_trsm_block_forward_substitutionIddPKPKdPKPdLb0ELb0ELb1EEv18rocblas_operation_llT0_T1_lllT2_lllib,@function
_ZL39rocblas_trsm_block_forward_substitutionIddPKPKdPKPdLb0ELb0ELb1EEv18rocblas_operation_llT0_T1_lllT2_lllib: ; @_ZL39rocblas_trsm_block_forward_substitutionIddPKPKdPKPdLb0ELb0ELb1EEv18rocblas_operation_llT0_T1_lllT2_lllib
; %bb.0:
	s_load_dwordx8 s[8:15], s[0:1], 0x8
	s_load_dwordx4 s[16:19], s[0:1], 0x28
	s_mov_b32 s5, 0
	s_lshl_b64 s[20:21], s[4:5], 3
	v_and_b32_e32 v2, 0x3ff, v0
	s_waitcnt lgkmcnt(0)
	s_add_u32 s14, s14, s20
	s_addc_u32 s15, s15, s21
	s_load_dwordx2 s[22:23], s[14:15], 0x0
	s_load_dwordx4 s[4:7], s[0:1], 0x40
	s_lshl_b64 s[14:15], s[16:17], 3
	v_bfe_u32 v8, v0, 10, 10
	s_waitcnt lgkmcnt(0)
	s_add_u32 s16, s22, s14
	s_addc_u32 s17, s23, s15
	s_add_u32 s20, s4, s20
	s_addc_u32 s21, s5, s21
	s_load_dwordx2 s[4:5], s[0:1], 0x50
	s_load_dword s22, s[0:1], 0x64
	s_load_dword s2, s[0:1], 0x74
	s_load_dwordx2 s[14:15], s[20:21], 0x0
	s_add_u32 s20, s0, 0x68
	s_addc_u32 s21, s1, 0
	s_waitcnt lgkmcnt(0)
	s_lshr_b32 s2, s2, 16
	s_bitcmp0_b32 s22, 0
	s_cbranch_scc1 .LBB114_7
; %bb.1:
	s_lshl_b32 s0, s2, 3
	s_add_i32 s22, s0, 0
	v_cmp_lt_i64_e64 s[0:1], s[8:9], 1
	s_and_b64 vcc, exec, s[0:1]
	s_cbranch_vccnz .LBB114_6
; %bb.2:
	v_mov_b32_e32 v3, 0
	v_lshlrev_b32_e32 v0, 3, v2
	v_mov_b32_e32 v1, v3
	v_add_u32_e32 v4, s22, v0
	v_cmp_gt_u64_e64 s[0:1], s[8:9], v[2:3]
	v_lshl_add_u64 v[0:1], s[16:17], 0, v[0:1]
	s_mov_b32 s23, 0
	s_branch .LBB114_4
.LBB114_3:                              ;   in Loop: Header=BB114_4 Depth=1
	s_or_b64 exec, exec, s[16:17]
	s_add_i32 s23, s23, s2
	s_ashr_i32 s16, s23, 31
	v_mov_b32_e32 v6, s23
	v_mov_b32_e32 v7, s16
	v_cmp_le_i64_e32 vcc, s[8:9], v[6:7]
	s_cbranch_vccnz .LBB114_6
.LBB114_4:                              ; =>This Inner Loop Header: Depth=1
	v_add_u32_e32 v3, s23, v8
	v_cmp_gt_i32_e32 vcc, v2, v3
	s_and_b64 s[24:25], s[0:1], vcc
	s_and_saveexec_b64 s[16:17], s[24:25]
	s_cbranch_execz .LBB114_3
; %bb.5:                                ;   in Loop: Header=BB114_4 Depth=1
	v_ashrrev_i32_e32 v5, 31, v3
	v_mul_lo_u32 v9, s19, v3
	v_mul_lo_u32 v5, s18, v5
	v_mad_u64_u32 v[6:7], s[24:25], s18, v3, 0
	v_add3_u32 v7, v7, v5, v9
	v_lshl_add_u64 v[6:7], v[6:7], 3, v[0:1]
	flat_load_dwordx2 v[6:7], v[6:7]
	s_load_dword s24, s[20:21], 0xc
	s_waitcnt lgkmcnt(0)
	s_and_b32 s24, s24, 0xffff
	v_mul_lo_u32 v3, v3, s24
	v_lshl_add_u32 v3, v3, 3, v4
	s_waitcnt vmcnt(0)
	ds_write_b64 v3, v[6:7]
	s_branch .LBB114_3
.LBB114_6:
	s_mov_b64 s[0:1], src_shared_base
	s_load_dword s0, s[20:21], 0xc
	s_mov_b32 s23, s1
	s_mov_b32 s19, 0
	s_mov_b64 s[16:17], s[22:23]
	s_waitcnt lgkmcnt(0)
	s_and_b32 s18, s0, 0xffff
.LBB114_7:
	s_mul_i32 s3, s3, s2
	v_add_u32_e32 v0, s3, v8
	v_mov_b32_e32 v1, 0
	v_cmp_gt_i64_e32 vcc, s[10:11], v[0:1]
	s_and_saveexec_b64 s[0:1], vcc
	s_cbranch_execz .LBB114_17
; %bb.8:
	v_mov_b32_e32 v3, v1
	v_cmp_gt_i64_e32 vcc, s[8:9], v[2:3]
	s_and_b64 exec, exec, vcc
	s_cbranch_execz .LBB114_17
; %bb.9:
	v_mad_u64_u32 v[4:5], s[2:3], s4, v0, 0
	s_lshl_b64 s[0:1], s[6:7], 3
	v_mov_b32_e32 v6, v5
	s_add_u32 s0, s14, s0
	v_mad_u64_u32 v[0:1], s[2:3], s5, v0, v[6:7]
	s_addc_u32 s1, s15, s1
	v_mov_b32_e32 v5, v0
	v_lshl_add_u64 v[0:1], v[4:5], 3, s[0:1]
	v_lshlrev_b32_e32 v6, 3, v2
	v_mov_b32_e32 v7, 0
	v_lshl_add_u64 v[0:1], v[0:1], 0, v[6:7]
	flat_load_dwordx2 v[4:5], v[0:1]
	v_cmp_lt_u64_e64 s[0:1], s[8:9], 2
	s_and_b64 vcc, exec, s[0:1]
	s_waitcnt vmcnt(0) lgkmcnt(0)
	v_mul_f64 v[4:5], s[12:13], v[4:5]
	s_cbranch_vccnz .LBB114_16
; %bb.10:
	s_add_u32 s0, s8, -1
	v_lshl_add_u64 v[6:7], s[16:17], 0, v[6:7]
	v_lshl_add_u32 v8, v8, 3, 0
	s_addc_u32 s1, s9, -1
	s_lshl_b64 s[2:3], s[18:19], 3
	s_mov_b64 s[4:5], 0
	s_branch .LBB114_12
.LBB114_11:                             ;   in Loop: Header=BB114_12 Depth=1
	s_or_b64 exec, exec, s[6:7]
	s_add_u32 s4, s4, 1
	s_addc_u32 s5, s5, 0
	s_cmp_eq_u64 s[0:1], s[4:5]
	v_lshl_add_u64 v[6:7], v[6:7], 0, s[2:3]
	s_cbranch_scc1 .LBB114_16
.LBB114_12:                             ; =>This Inner Loop Header: Depth=1
	v_cmp_eq_u64_e32 vcc, s[4:5], v[2:3]
	s_barrier
	s_and_saveexec_b64 s[6:7], vcc
; %bb.13:                               ;   in Loop: Header=BB114_12 Depth=1
	ds_write_b64 v8, v[4:5]
; %bb.14:                               ;   in Loop: Header=BB114_12 Depth=1
	s_or_b64 exec, exec, s[6:7]
	v_cmp_lt_u64_e32 vcc, s[4:5], v[2:3]
	s_waitcnt lgkmcnt(0)
	s_barrier
	s_and_saveexec_b64 s[6:7], vcc
	s_cbranch_execz .LBB114_11
; %bb.15:                               ;   in Loop: Header=BB114_12 Depth=1
	flat_load_dwordx2 v[10:11], v[6:7]
	ds_read_b64 v[12:13], v8
	s_waitcnt vmcnt(0) lgkmcnt(0)
	v_fma_f64 v[4:5], -v[10:11], v[12:13], v[4:5]
	s_branch .LBB114_11
.LBB114_16:
	flat_store_dwordx2 v[0:1], v[4:5]
.LBB114_17:
	s_endpgm
	.section	.rodata,"a",@progbits
	.p2align	6, 0x0
	.amdhsa_kernel _ZL39rocblas_trsm_block_forward_substitutionIddPKPKdPKPdLb0ELb0ELb1EEv18rocblas_operation_llT0_T1_lllT2_lllib
		.amdhsa_group_segment_fixed_size 0
		.amdhsa_private_segment_fixed_size 0
		.amdhsa_kernarg_size 360
		.amdhsa_user_sgpr_count 2
		.amdhsa_user_sgpr_dispatch_ptr 0
		.amdhsa_user_sgpr_queue_ptr 0
		.amdhsa_user_sgpr_kernarg_segment_ptr 1
		.amdhsa_user_sgpr_dispatch_id 0
		.amdhsa_user_sgpr_kernarg_preload_length 0
		.amdhsa_user_sgpr_kernarg_preload_offset 0
		.amdhsa_user_sgpr_private_segment_size 0
		.amdhsa_uses_dynamic_stack 0
		.amdhsa_enable_private_segment 0
		.amdhsa_system_sgpr_workgroup_id_x 1
		.amdhsa_system_sgpr_workgroup_id_y 1
		.amdhsa_system_sgpr_workgroup_id_z 1
		.amdhsa_system_sgpr_workgroup_info 0
		.amdhsa_system_vgpr_workitem_id 1
		.amdhsa_next_free_vgpr 14
		.amdhsa_next_free_sgpr 26
		.amdhsa_accum_offset 16
		.amdhsa_reserve_vcc 1
		.amdhsa_float_round_mode_32 0
		.amdhsa_float_round_mode_16_64 0
		.amdhsa_float_denorm_mode_32 3
		.amdhsa_float_denorm_mode_16_64 3
		.amdhsa_dx10_clamp 1
		.amdhsa_ieee_mode 1
		.amdhsa_fp16_overflow 0
		.amdhsa_tg_split 0
		.amdhsa_exception_fp_ieee_invalid_op 0
		.amdhsa_exception_fp_denorm_src 0
		.amdhsa_exception_fp_ieee_div_zero 0
		.amdhsa_exception_fp_ieee_overflow 0
		.amdhsa_exception_fp_ieee_underflow 0
		.amdhsa_exception_fp_ieee_inexact 0
		.amdhsa_exception_int_div_zero 0
	.end_amdhsa_kernel
	.section	.text._ZL39rocblas_trsm_block_forward_substitutionIddPKPKdPKPdLb0ELb0ELb1EEv18rocblas_operation_llT0_T1_lllT2_lllib,"axG",@progbits,_ZL39rocblas_trsm_block_forward_substitutionIddPKPKdPKPdLb0ELb0ELb1EEv18rocblas_operation_llT0_T1_lllT2_lllib,comdat
.Lfunc_end114:
	.size	_ZL39rocblas_trsm_block_forward_substitutionIddPKPKdPKPdLb0ELb0ELb1EEv18rocblas_operation_llT0_T1_lllT2_lllib, .Lfunc_end114-_ZL39rocblas_trsm_block_forward_substitutionIddPKPKdPKPdLb0ELb0ELb1EEv18rocblas_operation_llT0_T1_lllT2_lllib
                                        ; -- End function
	.set _ZL39rocblas_trsm_block_forward_substitutionIddPKPKdPKPdLb0ELb0ELb1EEv18rocblas_operation_llT0_T1_lllT2_lllib.num_vgpr, 14
	.set _ZL39rocblas_trsm_block_forward_substitutionIddPKPKdPKPdLb0ELb0ELb1EEv18rocblas_operation_llT0_T1_lllT2_lllib.num_agpr, 0
	.set _ZL39rocblas_trsm_block_forward_substitutionIddPKPKdPKPdLb0ELb0ELb1EEv18rocblas_operation_llT0_T1_lllT2_lllib.numbered_sgpr, 26
	.set _ZL39rocblas_trsm_block_forward_substitutionIddPKPKdPKPdLb0ELb0ELb1EEv18rocblas_operation_llT0_T1_lllT2_lllib.num_named_barrier, 0
	.set _ZL39rocblas_trsm_block_forward_substitutionIddPKPKdPKPdLb0ELb0ELb1EEv18rocblas_operation_llT0_T1_lllT2_lllib.private_seg_size, 0
	.set _ZL39rocblas_trsm_block_forward_substitutionIddPKPKdPKPdLb0ELb0ELb1EEv18rocblas_operation_llT0_T1_lllT2_lllib.uses_vcc, 1
	.set _ZL39rocblas_trsm_block_forward_substitutionIddPKPKdPKPdLb0ELb0ELb1EEv18rocblas_operation_llT0_T1_lllT2_lllib.uses_flat_scratch, 0
	.set _ZL39rocblas_trsm_block_forward_substitutionIddPKPKdPKPdLb0ELb0ELb1EEv18rocblas_operation_llT0_T1_lllT2_lllib.has_dyn_sized_stack, 0
	.set _ZL39rocblas_trsm_block_forward_substitutionIddPKPKdPKPdLb0ELb0ELb1EEv18rocblas_operation_llT0_T1_lllT2_lllib.has_recursion, 0
	.set _ZL39rocblas_trsm_block_forward_substitutionIddPKPKdPKPdLb0ELb0ELb1EEv18rocblas_operation_llT0_T1_lllT2_lllib.has_indirect_call, 0
	.section	.AMDGPU.csdata,"",@progbits
; Kernel info:
; codeLenInByte = 692
; TotalNumSgprs: 32
; NumVgprs: 14
; NumAgprs: 0
; TotalNumVgprs: 14
; ScratchSize: 0
; MemoryBound: 0
; FloatMode: 240
; IeeeMode: 1
; LDSByteSize: 0 bytes/workgroup (compile time only)
; SGPRBlocks: 3
; VGPRBlocks: 1
; NumSGPRsForWavesPerEU: 32
; NumVGPRsForWavesPerEU: 14
; AccumOffset: 16
; Occupancy: 8
; WaveLimiterHint : 1
; COMPUTE_PGM_RSRC2:SCRATCH_EN: 0
; COMPUTE_PGM_RSRC2:USER_SGPR: 2
; COMPUTE_PGM_RSRC2:TRAP_HANDLER: 0
; COMPUTE_PGM_RSRC2:TGID_X_EN: 1
; COMPUTE_PGM_RSRC2:TGID_Y_EN: 1
; COMPUTE_PGM_RSRC2:TGID_Z_EN: 1
; COMPUTE_PGM_RSRC2:TIDIG_COMP_CNT: 1
; COMPUTE_PGM_RSRC3_GFX90A:ACCUM_OFFSET: 3
; COMPUTE_PGM_RSRC3_GFX90A:TG_SPLIT: 0
	.section	.text._ZL40rocblas_trsm_block_backward_substitutionIddPKPKdPKPdLb0ELb0ELb1EEv18rocblas_operation_llT0_T1_lllT2_lllib,"axG",@progbits,_ZL40rocblas_trsm_block_backward_substitutionIddPKPKdPKPdLb0ELb0ELb1EEv18rocblas_operation_llT0_T1_lllT2_lllib,comdat
	.globl	_ZL40rocblas_trsm_block_backward_substitutionIddPKPKdPKPdLb0ELb0ELb1EEv18rocblas_operation_llT0_T1_lllT2_lllib ; -- Begin function _ZL40rocblas_trsm_block_backward_substitutionIddPKPKdPKPdLb0ELb0ELb1EEv18rocblas_operation_llT0_T1_lllT2_lllib
	.p2align	8
	.type	_ZL40rocblas_trsm_block_backward_substitutionIddPKPKdPKPdLb0ELb0ELb1EEv18rocblas_operation_llT0_T1_lllT2_lllib,@function
_ZL40rocblas_trsm_block_backward_substitutionIddPKPKdPKPdLb0ELb0ELb1EEv18rocblas_operation_llT0_T1_lllT2_lllib: ; @_ZL40rocblas_trsm_block_backward_substitutionIddPKPKdPKPdLb0ELb0ELb1EEv18rocblas_operation_llT0_T1_lllT2_lllib
; %bb.0:
	s_load_dwordx8 s[8:15], s[0:1], 0x8
	s_load_dwordx4 s[16:19], s[0:1], 0x28
	s_mov_b32 s5, 0
	s_lshl_b64 s[20:21], s[4:5], 3
	v_and_b32_e32 v2, 0x3ff, v0
	s_waitcnt lgkmcnt(0)
	s_add_u32 s14, s14, s20
	s_addc_u32 s15, s15, s21
	s_load_dwordx2 s[22:23], s[14:15], 0x0
	s_load_dwordx4 s[4:7], s[0:1], 0x40
	s_lshl_b64 s[14:15], s[16:17], 3
	v_bfe_u32 v6, v0, 10, 10
	s_waitcnt lgkmcnt(0)
	s_add_u32 s22, s22, s14
	s_addc_u32 s23, s23, s15
	s_add_u32 s4, s4, s20
	s_addc_u32 s5, s5, s21
	s_load_dwordx2 s[16:17], s[4:5], 0x0
	s_load_dwordx2 s[14:15], s[0:1], 0x50
	s_load_dword s20, s[0:1], 0x64
	s_load_dword s2, s[0:1], 0x74
	s_add_u32 s24, s0, 0x68
	s_addc_u32 s25, s1, 0
	s_mov_b64 s[0:1], 1
	s_waitcnt lgkmcnt(0)
	s_lshr_b32 s2, s2, 16
	s_bitcmp0_b32 s20, 0
	s_cbranch_scc1 .LBB115_6
; %bb.1:
	s_lshl_b32 s0, s2, 3
	s_add_i32 s26, s0, 0
	v_cmp_lt_i64_e64 s[0:1], s[8:9], 1
	s_mov_b64 s[20:21], 1
	s_and_b64 vcc, exec, s[0:1]
	s_cbranch_vccnz .LBB115_7
; %bb.2:
	v_mad_u64_u32 v[0:1], s[4:5], s18, v2, 0
	v_mov_b32_e32 v4, v1
	v_mad_u64_u32 v[4:5], s[4:5], s19, v2, v[4:5]
	v_mov_b32_e32 v3, 0
	v_mov_b32_e32 v1, v4
	v_lshl_add_u32 v7, v2, 3, s26
	v_cmp_gt_u64_e64 s[0:1], s[8:9], v[2:3]
	v_lshl_add_u64 v[0:1], v[0:1], 3, s[22:23]
	s_mov_b32 s18, 0
	s_branch .LBB115_4
.LBB115_3:                              ;   in Loop: Header=BB115_4 Depth=1
	s_or_b64 exec, exec, s[4:5]
	s_add_i32 s18, s18, s2
	s_ashr_i32 s4, s18, 31
	v_mov_b32_e32 v4, s18
	v_mov_b32_e32 v5, s4
	v_cmp_le_i64_e32 vcc, s[8:9], v[4:5]
	s_cbranch_vccnz .LBB115_7
.LBB115_4:                              ; =>This Inner Loop Header: Depth=1
	v_add_u32_e32 v4, s18, v6
	v_ashrrev_i32_e32 v5, 31, v4
	v_cmp_gt_i64_e32 vcc, s[8:9], v[4:5]
	v_cmp_lt_i32_e64 s[4:5], v2, v4
	s_and_b64 s[4:5], s[4:5], vcc
	s_and_b64 s[22:23], s[0:1], s[4:5]
	s_and_saveexec_b64 s[4:5], s[22:23]
	s_cbranch_execz .LBB115_3
; %bb.5:                                ;   in Loop: Header=BB115_4 Depth=1
	v_lshl_add_u64 v[8:9], v[4:5], 3, v[0:1]
	flat_load_dwordx2 v[8:9], v[8:9]
	s_load_dword s19, s[24:25], 0xc
	s_waitcnt lgkmcnt(0)
	s_and_b32 s19, s19, 0xffff
	v_mul_lo_u32 v3, v4, s19
	v_lshl_add_u32 v3, v3, 3, v7
	s_waitcnt vmcnt(0)
	ds_write_b64 v3, v[8:9]
	s_branch .LBB115_3
.LBB115_6:
	s_mov_b64 s[20:21], s[18:19]
	s_branch .LBB115_8
.LBB115_7:
	s_mov_b64 s[0:1], src_shared_base
	s_load_dword s0, s[24:25], 0xc
	s_mov_b32 s27, s1
	s_mov_b64 s[22:23], s[26:27]
	s_waitcnt lgkmcnt(0)
	s_and_b32 s0, s0, 0xffff
.LBB115_8:
	s_mul_i32 s3, s3, s2
	v_add_u32_e32 v0, s3, v6
	v_mov_b32_e32 v1, 0
	v_cmp_gt_i64_e32 vcc, s[10:11], v[0:1]
	s_and_saveexec_b64 s[2:3], vcc
	s_cbranch_execz .LBB115_19
; %bb.9:
	v_mov_b32_e32 v3, v1
	v_cmp_gt_i64_e32 vcc, s[8:9], v[2:3]
	s_and_b64 exec, exec, vcc
	s_cbranch_execz .LBB115_19
; %bb.10:
	v_mad_u64_u32 v[4:5], s[4:5], s14, v2, 0
	s_lshl_b64 s[2:3], s[6:7], 3
	v_mov_b32_e32 v8, v5
	s_add_u32 s2, s16, s2
	v_mad_u64_u32 v[8:9], s[4:5], s15, v2, v[8:9]
	s_addc_u32 s3, s17, s3
	v_mov_b32_e32 v5, v8
	v_lshl_add_u64 v[4:5], v[4:5], 3, s[2:3]
	v_lshl_add_u64 v[0:1], v[0:1], 3, v[4:5]
	flat_load_dwordx2 v[4:5], v[0:1]
	v_cmp_lt_u64_e64 s[2:3], s[8:9], 2
	s_and_b64 vcc, exec, s[2:3]
	s_waitcnt vmcnt(0) lgkmcnt(0)
	v_mul_f64 v[4:5], s[12:13], v[4:5]
	s_cbranch_vccnz .LBB115_18
; %bb.11:
	v_lshl_add_u32 v8, v6, 3, 0
	v_mad_u64_u32 v[6:7], s[2:3], s20, v2, 0
	v_mov_b32_e32 v10, v7
	v_mad_u64_u32 v[10:11], s[2:3], s21, v2, v[10:11]
	s_add_u32 s2, s8, -1
	s_addc_u32 s3, s9, -1
	s_mul_i32 s1, s0, s3
	s_mul_hi_u32 s4, s0, s2
	s_add_i32 s5, s4, s1
	s_mul_i32 s4, s0, s2
	s_lshl_b64 s[4:5], s[4:5], 3
	s_add_u32 s4, s22, s4
	s_addc_u32 s5, s23, s5
	s_lshl_b32 s0, s0, 3
	v_mov_b32_e32 v7, v10
	s_sub_u32 s0, 0, s0
	v_lshl_add_u64 v[6:7], v[6:7], 3, s[4:5]
	s_subb_u32 s1, 0, 0
.LBB115_12:                             ; =>This Inner Loop Header: Depth=1
	v_cmp_eq_u64_e32 vcc, s[2:3], v[2:3]
	s_barrier
	s_and_saveexec_b64 s[4:5], vcc
; %bb.13:                               ;   in Loop: Header=BB115_12 Depth=1
	ds_write_b64 v8, v[4:5]
; %bb.14:                               ;   in Loop: Header=BB115_12 Depth=1
	s_or_b64 exec, exec, s[4:5]
	v_cmp_gt_i64_e32 vcc, s[2:3], v[2:3]
	s_waitcnt lgkmcnt(0)
	s_barrier
	s_and_saveexec_b64 s[4:5], vcc
	s_cbranch_execz .LBB115_16
; %bb.15:                               ;   in Loop: Header=BB115_12 Depth=1
	flat_load_dwordx2 v[10:11], v[6:7]
	ds_read_b64 v[12:13], v8
	s_waitcnt vmcnt(0) lgkmcnt(0)
	v_fma_f64 v[4:5], -v[10:11], v[12:13], v[4:5]
.LBB115_16:                             ;   in Loop: Header=BB115_12 Depth=1
	s_or_b64 exec, exec, s[4:5]
	s_add_u32 s4, s2, -1
	s_addc_u32 s5, s3, -1
	s_add_u32 s2, s2, 1
	s_addc_u32 s3, s3, 0
	v_cmp_lt_u64_e64 s[2:3], s[2:3], 3
	v_lshl_add_u64 v[6:7], v[6:7], 0, s[0:1]
	s_and_b64 vcc, exec, s[2:3]
	s_cbranch_vccnz .LBB115_18
; %bb.17:                               ;   in Loop: Header=BB115_12 Depth=1
	s_mov_b64 s[2:3], s[4:5]
	s_branch .LBB115_12
.LBB115_18:
	flat_store_dwordx2 v[0:1], v[4:5]
.LBB115_19:
	s_endpgm
	.section	.rodata,"a",@progbits
	.p2align	6, 0x0
	.amdhsa_kernel _ZL40rocblas_trsm_block_backward_substitutionIddPKPKdPKPdLb0ELb0ELb1EEv18rocblas_operation_llT0_T1_lllT2_lllib
		.amdhsa_group_segment_fixed_size 0
		.amdhsa_private_segment_fixed_size 0
		.amdhsa_kernarg_size 360
		.amdhsa_user_sgpr_count 2
		.amdhsa_user_sgpr_dispatch_ptr 0
		.amdhsa_user_sgpr_queue_ptr 0
		.amdhsa_user_sgpr_kernarg_segment_ptr 1
		.amdhsa_user_sgpr_dispatch_id 0
		.amdhsa_user_sgpr_kernarg_preload_length 0
		.amdhsa_user_sgpr_kernarg_preload_offset 0
		.amdhsa_user_sgpr_private_segment_size 0
		.amdhsa_uses_dynamic_stack 0
		.amdhsa_enable_private_segment 0
		.amdhsa_system_sgpr_workgroup_id_x 1
		.amdhsa_system_sgpr_workgroup_id_y 1
		.amdhsa_system_sgpr_workgroup_id_z 1
		.amdhsa_system_sgpr_workgroup_info 0
		.amdhsa_system_vgpr_workitem_id 1
		.amdhsa_next_free_vgpr 14
		.amdhsa_next_free_sgpr 28
		.amdhsa_accum_offset 16
		.amdhsa_reserve_vcc 1
		.amdhsa_float_round_mode_32 0
		.amdhsa_float_round_mode_16_64 0
		.amdhsa_float_denorm_mode_32 3
		.amdhsa_float_denorm_mode_16_64 3
		.amdhsa_dx10_clamp 1
		.amdhsa_ieee_mode 1
		.amdhsa_fp16_overflow 0
		.amdhsa_tg_split 0
		.amdhsa_exception_fp_ieee_invalid_op 0
		.amdhsa_exception_fp_denorm_src 0
		.amdhsa_exception_fp_ieee_div_zero 0
		.amdhsa_exception_fp_ieee_overflow 0
		.amdhsa_exception_fp_ieee_underflow 0
		.amdhsa_exception_fp_ieee_inexact 0
		.amdhsa_exception_int_div_zero 0
	.end_amdhsa_kernel
	.section	.text._ZL40rocblas_trsm_block_backward_substitutionIddPKPKdPKPdLb0ELb0ELb1EEv18rocblas_operation_llT0_T1_lllT2_lllib,"axG",@progbits,_ZL40rocblas_trsm_block_backward_substitutionIddPKPKdPKPdLb0ELb0ELb1EEv18rocblas_operation_llT0_T1_lllT2_lllib,comdat
.Lfunc_end115:
	.size	_ZL40rocblas_trsm_block_backward_substitutionIddPKPKdPKPdLb0ELb0ELb1EEv18rocblas_operation_llT0_T1_lllT2_lllib, .Lfunc_end115-_ZL40rocblas_trsm_block_backward_substitutionIddPKPKdPKPdLb0ELb0ELb1EEv18rocblas_operation_llT0_T1_lllT2_lllib
                                        ; -- End function
	.set _ZL40rocblas_trsm_block_backward_substitutionIddPKPKdPKPdLb0ELb0ELb1EEv18rocblas_operation_llT0_T1_lllT2_lllib.num_vgpr, 14
	.set _ZL40rocblas_trsm_block_backward_substitutionIddPKPKdPKPdLb0ELb0ELb1EEv18rocblas_operation_llT0_T1_lllT2_lllib.num_agpr, 0
	.set _ZL40rocblas_trsm_block_backward_substitutionIddPKPKdPKPdLb0ELb0ELb1EEv18rocblas_operation_llT0_T1_lllT2_lllib.numbered_sgpr, 28
	.set _ZL40rocblas_trsm_block_backward_substitutionIddPKPKdPKPdLb0ELb0ELb1EEv18rocblas_operation_llT0_T1_lllT2_lllib.num_named_barrier, 0
	.set _ZL40rocblas_trsm_block_backward_substitutionIddPKPKdPKPdLb0ELb0ELb1EEv18rocblas_operation_llT0_T1_lllT2_lllib.private_seg_size, 0
	.set _ZL40rocblas_trsm_block_backward_substitutionIddPKPKdPKPdLb0ELb0ELb1EEv18rocblas_operation_llT0_T1_lllT2_lllib.uses_vcc, 1
	.set _ZL40rocblas_trsm_block_backward_substitutionIddPKPKdPKPdLb0ELb0ELb1EEv18rocblas_operation_llT0_T1_lllT2_lllib.uses_flat_scratch, 0
	.set _ZL40rocblas_trsm_block_backward_substitutionIddPKPKdPKPdLb0ELb0ELb1EEv18rocblas_operation_llT0_T1_lllT2_lllib.has_dyn_sized_stack, 0
	.set _ZL40rocblas_trsm_block_backward_substitutionIddPKPKdPKPdLb0ELb0ELb1EEv18rocblas_operation_llT0_T1_lllT2_lllib.has_recursion, 0
	.set _ZL40rocblas_trsm_block_backward_substitutionIddPKPKdPKPdLb0ELb0ELb1EEv18rocblas_operation_llT0_T1_lllT2_lllib.has_indirect_call, 0
	.section	.AMDGPU.csdata,"",@progbits
; Kernel info:
; codeLenInByte = 768
; TotalNumSgprs: 34
; NumVgprs: 14
; NumAgprs: 0
; TotalNumVgprs: 14
; ScratchSize: 0
; MemoryBound: 0
; FloatMode: 240
; IeeeMode: 1
; LDSByteSize: 0 bytes/workgroup (compile time only)
; SGPRBlocks: 4
; VGPRBlocks: 1
; NumSGPRsForWavesPerEU: 34
; NumVGPRsForWavesPerEU: 14
; AccumOffset: 16
; Occupancy: 8
; WaveLimiterHint : 1
; COMPUTE_PGM_RSRC2:SCRATCH_EN: 0
; COMPUTE_PGM_RSRC2:USER_SGPR: 2
; COMPUTE_PGM_RSRC2:TRAP_HANDLER: 0
; COMPUTE_PGM_RSRC2:TGID_X_EN: 1
; COMPUTE_PGM_RSRC2:TGID_Y_EN: 1
; COMPUTE_PGM_RSRC2:TGID_Z_EN: 1
; COMPUTE_PGM_RSRC2:TIDIG_COMP_CNT: 1
; COMPUTE_PGM_RSRC3_GFX90A:ACCUM_OFFSET: 3
; COMPUTE_PGM_RSRC3_GFX90A:TG_SPLIT: 0
	.section	.text._ZL39rocblas_trsm_block_forward_substitutionIddPKPKdPKPdLb0ELb1ELb0EEv18rocblas_operation_llT0_T1_lllT2_lllib,"axG",@progbits,_ZL39rocblas_trsm_block_forward_substitutionIddPKPKdPKPdLb0ELb1ELb0EEv18rocblas_operation_llT0_T1_lllT2_lllib,comdat
	.globl	_ZL39rocblas_trsm_block_forward_substitutionIddPKPKdPKPdLb0ELb1ELb0EEv18rocblas_operation_llT0_T1_lllT2_lllib ; -- Begin function _ZL39rocblas_trsm_block_forward_substitutionIddPKPKdPKPdLb0ELb1ELb0EEv18rocblas_operation_llT0_T1_lllT2_lllib
	.p2align	8
	.type	_ZL39rocblas_trsm_block_forward_substitutionIddPKPKdPKPdLb0ELb1ELb0EEv18rocblas_operation_llT0_T1_lllT2_lllib,@function
_ZL39rocblas_trsm_block_forward_substitutionIddPKPKdPKPdLb0ELb1ELb0EEv18rocblas_operation_llT0_T1_lllT2_lllib: ; @_ZL39rocblas_trsm_block_forward_substitutionIddPKPKdPKPdLb0ELb1ELb0EEv18rocblas_operation_llT0_T1_lllT2_lllib
; %bb.0:
	s_load_dword s28, s[0:1], 0x64
	s_load_dwordx8 s[8:15], s[0:1], 0x8
	s_load_dwordx4 s[16:19], s[0:1], 0x28
	s_load_dword s2, s[0:1], 0x74
	s_mov_b32 s5, 0
	s_waitcnt lgkmcnt(0)
	s_bitcmp1_b32 s28, 0
	s_cselect_b64 s[6:7], -1, 0
	s_lshl_b64 s[24:25], s[4:5], 3
	s_add_u32 s14, s14, s24
	s_addc_u32 s15, s15, s25
	s_load_dwordx2 s[26:27], s[14:15], 0x0
	s_load_dwordx4 s[20:23], s[0:1], 0x40
	s_load_dwordx2 s[4:5], s[0:1], 0x50
	s_lshl_b64 s[14:15], s[16:17], 3
	v_and_b32_e32 v2, 0x3ff, v0
	s_waitcnt lgkmcnt(0)
	s_add_u32 s14, s26, s14
	s_addc_u32 s15, s27, s15
	s_add_u32 s16, s20, s24
	s_addc_u32 s17, s21, s25
	s_load_dwordx2 s[16:17], s[16:17], 0x0
	s_add_u32 s0, s0, 0x68
	s_addc_u32 s1, s1, 0
	s_lshr_b32 s2, s2, 16
	s_bitcmp0_b32 s28, 0
	v_bfe_u32 v10, v0, 10, 10
	s_cbranch_scc1 .LBB116_13
; %bb.1:
	s_lshl_b32 s20, s2, 3
	v_cmp_lt_i64_e64 s[24:25], s[8:9], 1
	s_add_i32 s20, s20, 0
	s_and_b64 vcc, exec, s[24:25]
	s_cbranch_vccnz .LBB116_12
; %bb.2:
	v_mov_b32_e32 v3, 0
	v_lshlrev_b32_e32 v0, 3, v2
	v_mov_b32_e32 v1, v3
	v_add_u32_e32 v8, s20, v0
	v_lshl_add_u64 v[0:1], s[14:15], 0, v[0:1]
	v_mad_u64_u32 v[4:5], s[14:15], s18, v2, 0
	v_mov_b32_e32 v6, v5
	v_mad_u64_u32 v[6:7], s[14:15], s19, v2, v[6:7]
	v_cmp_le_u64_e32 vcc, s[8:9], v[2:3]
	v_mov_b32_e32 v5, v6
	v_lshl_add_u64 v[4:5], v[4:5], 3, v[0:1]
	s_xor_b64 s[14:15], vcc, -1
	s_mov_b32 s21, s2
	v_mov_b32_e32 v3, v10
	s_branch .LBB116_4
.LBB116_3:                              ;   in Loop: Header=BB116_4 Depth=1
	s_or_b64 exec, exec, s[26:27]
	s_ashr_i32 s24, s21, 31
	s_waitcnt vmcnt(0) lgkmcnt(0)
	v_mov_b32_e32 v6, s21
	v_mov_b32_e32 v7, s24
	v_cmp_le_i64_e32 vcc, s[8:9], v[6:7]
	v_add_u32_e32 v3, s2, v3
	s_add_i32 s21, s21, s2
	s_cbranch_vccnz .LBB116_12
.LBB116_4:                              ; =>This Inner Loop Header: Depth=1
	v_cmp_gt_i32_e32 vcc, v2, v3
	s_and_b64 s[26:27], s[14:15], vcc
	s_mov_b64 s[24:25], 0
                                        ; implicit-def: $vgpr6_vgpr7
	s_and_saveexec_b64 s[28:29], s[26:27]
	s_xor_b64 s[26:27], exec, s[28:29]
	s_cbranch_execnz .LBB116_7
; %bb.5:                                ;   in Loop: Header=BB116_4 Depth=1
	s_or_saveexec_b64 s[26:27], s[26:27]
	v_mov_b32_e32 v9, v3
	s_xor_b64 exec, exec, s[26:27]
	s_cbranch_execnz .LBB116_8
.LBB116_6:                              ;   in Loop: Header=BB116_4 Depth=1
	s_or_b64 exec, exec, s[26:27]
	s_and_saveexec_b64 s[26:27], s[24:25]
	s_cbranch_execz .LBB116_3
	s_branch .LBB116_11
.LBB116_7:                              ;   in Loop: Header=BB116_4 Depth=1
	v_ashrrev_i32_e32 v6, 31, v3
	v_mul_lo_u32 v9, s19, v3
	v_mul_lo_u32 v11, s18, v6
	v_mad_u64_u32 v[6:7], s[28:29], s18, v3, 0
	v_add3_u32 v7, v7, v11, v9
	v_lshl_add_u64 v[6:7], v[6:7], 3, v[0:1]
	flat_load_dwordx2 v[6:7], v[6:7]
	s_mov_b64 s[24:25], exec
	s_or_saveexec_b64 s[26:27], s[26:27]
	v_mov_b32_e32 v9, v3
	s_xor_b64 exec, exec, s[26:27]
	s_cbranch_execz .LBB116_6
.LBB116_8:                              ;   in Loop: Header=BB116_4 Depth=1
	v_cmp_eq_u32_e32 vcc, v2, v3
	s_and_b64 s[34:35], s[14:15], vcc
	s_mov_b64 s[30:31], s[24:25]
                                        ; implicit-def: $vgpr6_vgpr7
	s_and_saveexec_b64 s[28:29], s[34:35]
	s_cbranch_execz .LBB116_10
; %bb.9:                                ;   in Loop: Header=BB116_4 Depth=1
	s_waitcnt vmcnt(0) lgkmcnt(0)
	flat_load_dwordx2 v[6:7], v[4:5]
	s_waitcnt vmcnt(0) lgkmcnt(0)
	v_div_scale_f64 v[12:13], s[30:31], v[6:7], v[6:7], 1.0
	v_rcp_f64_e32 v[14:15], v[12:13]
	v_div_scale_f64 v[16:17], vcc, 1.0, v[6:7], 1.0
	s_or_b64 s[30:31], s[24:25], exec
	v_fma_f64 v[18:19], -v[12:13], v[14:15], 1.0
	v_fmac_f64_e32 v[14:15], v[14:15], v[18:19]
	v_fma_f64 v[18:19], -v[12:13], v[14:15], 1.0
	v_fmac_f64_e32 v[14:15], v[14:15], v[18:19]
	v_mul_f64 v[18:19], v[16:17], v[14:15]
	v_fma_f64 v[12:13], -v[12:13], v[18:19], v[16:17]
	v_div_fmas_f64 v[12:13], v[12:13], v[14:15], v[18:19]
	v_div_fixup_f64 v[6:7], v[12:13], v[6:7], 1.0
.LBB116_10:                             ;   in Loop: Header=BB116_4 Depth=1
	s_or_b64 exec, exec, s[28:29]
	s_andn2_b64 s[24:25], s[24:25], exec
	s_and_b64 s[28:29], s[30:31], exec
	s_or_b64 s[24:25], s[24:25], s[28:29]
	v_mov_b32_e32 v9, v2
	s_or_b64 exec, exec, s[26:27]
	s_and_saveexec_b64 s[26:27], s[24:25]
	s_cbranch_execz .LBB116_3
.LBB116_11:                             ;   in Loop: Header=BB116_4 Depth=1
	s_load_dword s24, s[0:1], 0xc
	s_waitcnt lgkmcnt(0)
	s_and_b32 s24, s24, 0xffff
	v_mul_lo_u32 v9, v9, s24
	v_lshl_add_u32 v9, v9, 3, v8
	s_waitcnt vmcnt(0)
	ds_write_b64 v9, v[6:7]
	s_branch .LBB116_3
.LBB116_12:
	s_load_dword s0, s[0:1], 0xc
	s_mov_b64 s[14:15], src_shared_base
	s_mov_b32 s21, s15
	s_mov_b32 s19, 0
	s_mov_b64 s[14:15], s[20:21]
	s_waitcnt lgkmcnt(0)
	s_and_b32 s18, s0, 0xffff
.LBB116_13:
	s_mul_i32 s3, s3, s2
	v_add_u32_e32 v0, s3, v10
	v_mov_b32_e32 v1, 0
	v_cmp_gt_i64_e32 vcc, s[10:11], v[0:1]
	s_and_saveexec_b64 s[0:1], vcc
	s_cbranch_execz .LBB116_25
; %bb.14:
	v_mov_b32_e32 v3, v1
	v_cmp_gt_i64_e32 vcc, s[8:9], v[2:3]
	s_and_b64 exec, exec, vcc
	s_cbranch_execz .LBB116_25
; %bb.15:
	v_mad_u64_u32 v[4:5], s[2:3], s4, v2, 0
	s_lshl_b64 s[0:1], s[22:23], 3
	v_mov_b32_e32 v6, v5
	s_waitcnt lgkmcnt(0)
	s_add_u32 s0, s16, s0
	v_mad_u64_u32 v[6:7], s[2:3], s5, v2, v[6:7]
	s_addc_u32 s1, s17, s1
	v_mov_b32_e32 v5, v6
	v_lshl_add_u64 v[4:5], v[4:5], 3, s[0:1]
	v_lshl_add_u64 v[0:1], v[0:1], 3, v[4:5]
	flat_load_dwordx2 v[4:5], v[0:1]
	v_cmp_lt_u64_e64 s[2:3], s[8:9], 2
	s_add_u32 s0, s8, -1
	s_addc_u32 s1, s9, -1
	s_and_b64 vcc, exec, s[2:3]
	s_waitcnt vmcnt(0) lgkmcnt(0)
	v_mul_f64 v[4:5], s[12:13], v[4:5]
	s_cbranch_vccnz .LBB116_22
; %bb.16:
	v_mad_u64_u32 v[8:9], s[2:3], v2, s18, v[2:3]
	v_mov_b32_e32 v12, v9
	v_mad_u64_u32 v[12:13], s[2:3], v2, s19, v[12:13]
	v_lshlrev_b32_e32 v6, 3, v2
	v_mov_b32_e32 v7, 0
	v_mov_b32_e32 v9, v12
	v_lshl_add_u64 v[6:7], s[14:15], 0, v[6:7]
	v_lshl_add_u64 v[8:9], v[8:9], 3, s[14:15]
	v_lshl_add_u32 v10, v10, 3, 0
	s_lshl_b64 s[2:3], s[18:19], 3
	s_mov_b64 s[4:5], 0
	s_branch .LBB116_18
.LBB116_17:                             ;   in Loop: Header=BB116_18 Depth=1
	s_or_b64 exec, exec, s[8:9]
	s_add_u32 s4, s4, 1
	s_addc_u32 s5, s5, 0
	s_cmp_eq_u64 s[0:1], s[4:5]
	v_lshl_add_u64 v[6:7], v[6:7], 0, s[2:3]
	s_cbranch_scc1 .LBB116_22
.LBB116_18:                             ; =>This Inner Loop Header: Depth=1
	v_cmp_eq_u64_e32 vcc, s[4:5], v[2:3]
	s_barrier
	s_and_saveexec_b64 s[8:9], vcc
	s_cbranch_execz .LBB116_20
; %bb.19:                               ;   in Loop: Header=BB116_18 Depth=1
	flat_load_dwordx2 v[12:13], v[8:9]
	s_waitcnt vmcnt(0) lgkmcnt(0)
	v_div_scale_f64 v[14:15], s[10:11], v[12:13], v[12:13], 1.0
	v_rcp_f64_e32 v[16:17], v[14:15]
	v_div_scale_f64 v[18:19], vcc, 1.0, v[12:13], 1.0
	v_fma_f64 v[20:21], -v[14:15], v[16:17], 1.0
	v_fmac_f64_e32 v[16:17], v[16:17], v[20:21]
	v_fma_f64 v[20:21], -v[14:15], v[16:17], 1.0
	v_fmac_f64_e32 v[16:17], v[16:17], v[20:21]
	v_mul_f64 v[20:21], v[18:19], v[16:17]
	v_fma_f64 v[14:15], -v[14:15], v[20:21], v[18:19]
	v_div_fmas_f64 v[14:15], v[14:15], v[16:17], v[20:21]
	v_div_fixup_f64 v[14:15], v[14:15], v[12:13], 1.0
	v_cndmask_b32_e64 v13, v15, v13, s[6:7]
	v_cndmask_b32_e64 v12, v14, v12, s[6:7]
	v_mul_f64 v[4:5], v[4:5], v[12:13]
	ds_write_b64 v10, v[4:5]
.LBB116_20:                             ;   in Loop: Header=BB116_18 Depth=1
	s_or_b64 exec, exec, s[8:9]
	v_cmp_lt_u64_e32 vcc, s[4:5], v[2:3]
	s_waitcnt lgkmcnt(0)
	s_barrier
	s_and_saveexec_b64 s[8:9], vcc
	s_cbranch_execz .LBB116_17
; %bb.21:                               ;   in Loop: Header=BB116_18 Depth=1
	flat_load_dwordx2 v[12:13], v[6:7]
	ds_read_b64 v[14:15], v10
	s_waitcnt vmcnt(0) lgkmcnt(0)
	v_fma_f64 v[4:5], -v[12:13], v[14:15], v[4:5]
	s_branch .LBB116_17
.LBB116_22:
	v_cmp_eq_u64_e32 vcc, s[0:1], v[2:3]
	s_and_saveexec_b64 s[0:1], vcc
	s_cbranch_execz .LBB116_24
; %bb.23:
	v_mad_u64_u32 v[6:7], s[2:3], v2, s18, v[2:3]
	v_mov_b32_e32 v8, v7
	v_mad_u64_u32 v[2:3], s[2:3], v2, s19, v[8:9]
	v_mov_b32_e32 v7, v2
	v_lshl_add_u64 v[2:3], v[6:7], 3, s[14:15]
	flat_load_dwordx2 v[2:3], v[2:3]
	s_waitcnt vmcnt(0) lgkmcnt(0)
	v_div_scale_f64 v[6:7], s[2:3], v[2:3], v[2:3], 1.0
	v_rcp_f64_e32 v[8:9], v[6:7]
	v_div_scale_f64 v[10:11], vcc, 1.0, v[2:3], 1.0
	v_fma_f64 v[12:13], -v[6:7], v[8:9], 1.0
	v_fmac_f64_e32 v[8:9], v[8:9], v[12:13]
	v_fma_f64 v[12:13], -v[6:7], v[8:9], 1.0
	v_fmac_f64_e32 v[8:9], v[8:9], v[12:13]
	v_mul_f64 v[12:13], v[10:11], v[8:9]
	v_fma_f64 v[6:7], -v[6:7], v[12:13], v[10:11]
	v_div_fmas_f64 v[6:7], v[6:7], v[8:9], v[12:13]
	v_div_fixup_f64 v[6:7], v[6:7], v[2:3], 1.0
	v_cndmask_b32_e64 v3, v7, v3, s[6:7]
	v_cndmask_b32_e64 v2, v6, v2, s[6:7]
	v_mul_f64 v[4:5], v[4:5], v[2:3]
.LBB116_24:
	s_or_b64 exec, exec, s[0:1]
	flat_store_dwordx2 v[0:1], v[4:5]
.LBB116_25:
	s_endpgm
	.section	.rodata,"a",@progbits
	.p2align	6, 0x0
	.amdhsa_kernel _ZL39rocblas_trsm_block_forward_substitutionIddPKPKdPKPdLb0ELb1ELb0EEv18rocblas_operation_llT0_T1_lllT2_lllib
		.amdhsa_group_segment_fixed_size 0
		.amdhsa_private_segment_fixed_size 0
		.amdhsa_kernarg_size 360
		.amdhsa_user_sgpr_count 2
		.amdhsa_user_sgpr_dispatch_ptr 0
		.amdhsa_user_sgpr_queue_ptr 0
		.amdhsa_user_sgpr_kernarg_segment_ptr 1
		.amdhsa_user_sgpr_dispatch_id 0
		.amdhsa_user_sgpr_kernarg_preload_length 0
		.amdhsa_user_sgpr_kernarg_preload_offset 0
		.amdhsa_user_sgpr_private_segment_size 0
		.amdhsa_uses_dynamic_stack 0
		.amdhsa_enable_private_segment 0
		.amdhsa_system_sgpr_workgroup_id_x 1
		.amdhsa_system_sgpr_workgroup_id_y 1
		.amdhsa_system_sgpr_workgroup_id_z 1
		.amdhsa_system_sgpr_workgroup_info 0
		.amdhsa_system_vgpr_workitem_id 1
		.amdhsa_next_free_vgpr 22
		.amdhsa_next_free_sgpr 36
		.amdhsa_accum_offset 24
		.amdhsa_reserve_vcc 1
		.amdhsa_float_round_mode_32 0
		.amdhsa_float_round_mode_16_64 0
		.amdhsa_float_denorm_mode_32 3
		.amdhsa_float_denorm_mode_16_64 3
		.amdhsa_dx10_clamp 1
		.amdhsa_ieee_mode 1
		.amdhsa_fp16_overflow 0
		.amdhsa_tg_split 0
		.amdhsa_exception_fp_ieee_invalid_op 0
		.amdhsa_exception_fp_denorm_src 0
		.amdhsa_exception_fp_ieee_div_zero 0
		.amdhsa_exception_fp_ieee_overflow 0
		.amdhsa_exception_fp_ieee_underflow 0
		.amdhsa_exception_fp_ieee_inexact 0
		.amdhsa_exception_int_div_zero 0
	.end_amdhsa_kernel
	.section	.text._ZL39rocblas_trsm_block_forward_substitutionIddPKPKdPKPdLb0ELb1ELb0EEv18rocblas_operation_llT0_T1_lllT2_lllib,"axG",@progbits,_ZL39rocblas_trsm_block_forward_substitutionIddPKPKdPKPdLb0ELb1ELb0EEv18rocblas_operation_llT0_T1_lllT2_lllib,comdat
.Lfunc_end116:
	.size	_ZL39rocblas_trsm_block_forward_substitutionIddPKPKdPKPdLb0ELb1ELb0EEv18rocblas_operation_llT0_T1_lllT2_lllib, .Lfunc_end116-_ZL39rocblas_trsm_block_forward_substitutionIddPKPKdPKPdLb0ELb1ELb0EEv18rocblas_operation_llT0_T1_lllT2_lllib
                                        ; -- End function
	.set _ZL39rocblas_trsm_block_forward_substitutionIddPKPKdPKPdLb0ELb1ELb0EEv18rocblas_operation_llT0_T1_lllT2_lllib.num_vgpr, 22
	.set _ZL39rocblas_trsm_block_forward_substitutionIddPKPKdPKPdLb0ELb1ELb0EEv18rocblas_operation_llT0_T1_lllT2_lllib.num_agpr, 0
	.set _ZL39rocblas_trsm_block_forward_substitutionIddPKPKdPKPdLb0ELb1ELb0EEv18rocblas_operation_llT0_T1_lllT2_lllib.numbered_sgpr, 36
	.set _ZL39rocblas_trsm_block_forward_substitutionIddPKPKdPKPdLb0ELb1ELb0EEv18rocblas_operation_llT0_T1_lllT2_lllib.num_named_barrier, 0
	.set _ZL39rocblas_trsm_block_forward_substitutionIddPKPKdPKPdLb0ELb1ELb0EEv18rocblas_operation_llT0_T1_lllT2_lllib.private_seg_size, 0
	.set _ZL39rocblas_trsm_block_forward_substitutionIddPKPKdPKPdLb0ELb1ELb0EEv18rocblas_operation_llT0_T1_lllT2_lllib.uses_vcc, 1
	.set _ZL39rocblas_trsm_block_forward_substitutionIddPKPKdPKPdLb0ELb1ELb0EEv18rocblas_operation_llT0_T1_lllT2_lllib.uses_flat_scratch, 0
	.set _ZL39rocblas_trsm_block_forward_substitutionIddPKPKdPKPdLb0ELb1ELb0EEv18rocblas_operation_llT0_T1_lllT2_lllib.has_dyn_sized_stack, 0
	.set _ZL39rocblas_trsm_block_forward_substitutionIddPKPKdPKPdLb0ELb1ELb0EEv18rocblas_operation_llT0_T1_lllT2_lllib.has_recursion, 0
	.set _ZL39rocblas_trsm_block_forward_substitutionIddPKPKdPKPdLb0ELb1ELb0EEv18rocblas_operation_llT0_T1_lllT2_lllib.has_indirect_call, 0
	.section	.AMDGPU.csdata,"",@progbits
; Kernel info:
; codeLenInByte = 1256
; TotalNumSgprs: 42
; NumVgprs: 22
; NumAgprs: 0
; TotalNumVgprs: 22
; ScratchSize: 0
; MemoryBound: 1
; FloatMode: 240
; IeeeMode: 1
; LDSByteSize: 0 bytes/workgroup (compile time only)
; SGPRBlocks: 5
; VGPRBlocks: 2
; NumSGPRsForWavesPerEU: 42
; NumVGPRsForWavesPerEU: 22
; AccumOffset: 24
; Occupancy: 8
; WaveLimiterHint : 1
; COMPUTE_PGM_RSRC2:SCRATCH_EN: 0
; COMPUTE_PGM_RSRC2:USER_SGPR: 2
; COMPUTE_PGM_RSRC2:TRAP_HANDLER: 0
; COMPUTE_PGM_RSRC2:TGID_X_EN: 1
; COMPUTE_PGM_RSRC2:TGID_Y_EN: 1
; COMPUTE_PGM_RSRC2:TGID_Z_EN: 1
; COMPUTE_PGM_RSRC2:TIDIG_COMP_CNT: 1
; COMPUTE_PGM_RSRC3_GFX90A:ACCUM_OFFSET: 5
; COMPUTE_PGM_RSRC3_GFX90A:TG_SPLIT: 0
	.section	.text._ZL40rocblas_trsm_block_backward_substitutionIddPKPKdPKPdLb0ELb1ELb0EEv18rocblas_operation_llT0_T1_lllT2_lllib,"axG",@progbits,_ZL40rocblas_trsm_block_backward_substitutionIddPKPKdPKPdLb0ELb1ELb0EEv18rocblas_operation_llT0_T1_lllT2_lllib,comdat
	.globl	_ZL40rocblas_trsm_block_backward_substitutionIddPKPKdPKPdLb0ELb1ELb0EEv18rocblas_operation_llT0_T1_lllT2_lllib ; -- Begin function _ZL40rocblas_trsm_block_backward_substitutionIddPKPKdPKPdLb0ELb1ELb0EEv18rocblas_operation_llT0_T1_lllT2_lllib
	.p2align	8
	.type	_ZL40rocblas_trsm_block_backward_substitutionIddPKPKdPKPdLb0ELb1ELb0EEv18rocblas_operation_llT0_T1_lllT2_lllib,@function
_ZL40rocblas_trsm_block_backward_substitutionIddPKPKdPKPdLb0ELb1ELb0EEv18rocblas_operation_llT0_T1_lllT2_lllib: ; @_ZL40rocblas_trsm_block_backward_substitutionIddPKPKdPKPdLb0ELb1ELb0EEv18rocblas_operation_llT0_T1_lllT2_lllib
; %bb.0:
	s_load_dword s28, s[0:1], 0x64
	s_load_dwordx8 s[8:15], s[0:1], 0x8
	s_load_dwordx4 s[20:23], s[0:1], 0x28
	s_load_dword s2, s[0:1], 0x74
	s_mov_b32 s5, 0
	s_waitcnt lgkmcnt(0)
	s_bitcmp1_b32 s28, 0
	s_cselect_b64 s[6:7], -1, 0
	s_lshl_b64 s[4:5], s[4:5], 3
	s_add_u32 s14, s14, s4
	s_addc_u32 s15, s15, s5
	s_load_dwordx2 s[26:27], s[14:15], 0x0
	s_load_dwordx4 s[16:19], s[0:1], 0x40
	s_load_dwordx2 s[24:25], s[0:1], 0x50
	s_lshl_b64 s[14:15], s[20:21], 3
	v_and_b32_e32 v2, 0x3ff, v0
	s_waitcnt lgkmcnt(0)
	s_add_u32 s20, s26, s14
	s_addc_u32 s21, s27, s15
	s_add_u32 s4, s16, s4
	s_addc_u32 s5, s17, s5
	s_load_dwordx2 s[16:17], s[4:5], 0x0
	s_add_u32 s26, s0, 0x68
	s_addc_u32 s27, s1, 0
	s_lshr_b32 s2, s2, 16
	v_bfe_u32 v10, v0, 10, 10
	s_bitcmp0_b32 s28, 0
	s_mov_b64 s[0:1], 1
	s_cbranch_scc1 .LBB117_14
; %bb.1:
	s_lshl_b32 s0, s2, 3
	s_add_i32 s28, s0, 0
	v_cmp_lt_i64_e64 s[0:1], s[8:9], 1
	s_mov_b64 s[14:15], 1
	s_and_b64 vcc, exec, s[0:1]
	s_cbranch_vccnz .LBB117_15
; %bb.2:
	v_mad_u64_u32 v[0:1], s[0:1], s22, v2, 0
	v_mov_b32_e32 v6, v1
	v_mad_u64_u32 v[6:7], s[0:1], s23, v2, v[6:7]
	v_mov_b32_e32 v3, 0
	v_mov_b32_e32 v1, v6
	v_lshlrev_b32_e32 v4, 3, v2
	v_cmp_le_u64_e64 s[30:31], s[8:9], v[2:3]
	v_lshl_add_u64 v[0:1], v[0:1], 3, s[20:21]
	v_mov_b32_e32 v5, v3
	v_add_u32_e32 v11, s28, v4
	v_cmp_gt_u64_e64 s[4:5], s[8:9], v[2:3]
	v_lshl_add_u64 v[4:5], v[0:1], 0, v[4:5]
	s_xor_b64 s[20:21], s[30:31], -1
	s_mov_b32 s29, s2
	v_mov_b32_e32 v6, v10
	s_branch .LBB117_4
.LBB117_3:                              ;   in Loop: Header=BB117_4 Depth=1
	s_or_b64 exec, exec, s[22:23]
	s_ashr_i32 s0, s29, 31
	s_waitcnt vmcnt(0) lgkmcnt(0)
	v_mov_b32_e32 v8, s29
	v_mov_b32_e32 v9, s0
	v_cmp_le_i64_e32 vcc, s[8:9], v[8:9]
	v_add_u32_e32 v6, s2, v6
	s_add_i32 s29, s29, s2
	s_cbranch_vccnz .LBB117_15
.LBB117_4:                              ; =>This Inner Loop Header: Depth=1
	s_mov_b64 s[0:1], 0
	s_mov_b64 s[34:35], s[30:31]
                                        ; implicit-def: $vgpr8_vgpr9
	s_and_saveexec_b64 s[22:23], s[4:5]
	s_cbranch_execnz .LBB117_7
; %bb.5:                                ;   in Loop: Header=BB117_4 Depth=1
	s_or_b64 exec, exec, s[22:23]
	v_mov_b32_e32 v3, v6
	s_and_saveexec_b64 s[22:23], s[34:35]
	s_cbranch_execnz .LBB117_10
.LBB117_6:                              ;   in Loop: Header=BB117_4 Depth=1
	s_or_b64 exec, exec, s[22:23]
	s_and_saveexec_b64 s[22:23], s[0:1]
	s_cbranch_execz .LBB117_3
	s_branch .LBB117_13
.LBB117_7:                              ;   in Loop: Header=BB117_4 Depth=1
	v_ashrrev_i32_e32 v7, 31, v6
	v_cmp_gt_i64_e32 vcc, s[8:9], v[6:7]
	v_cmp_lt_i32_e64 s[0:1], v2, v6
	s_and_b64 s[38:39], s[0:1], vcc
	s_mov_b64 s[34:35], -1
	s_mov_b64 s[0:1], 0
                                        ; implicit-def: $vgpr8_vgpr9
	s_and_saveexec_b64 s[36:37], s[38:39]
	s_cbranch_execz .LBB117_9
; %bb.8:                                ;   in Loop: Header=BB117_4 Depth=1
	v_lshl_add_u64 v[8:9], v[6:7], 3, v[0:1]
	flat_load_dwordx2 v[8:9], v[8:9]
	s_mov_b64 s[0:1], exec
	s_xor_b64 s[34:35], exec, -1
.LBB117_9:                              ;   in Loop: Header=BB117_4 Depth=1
	s_or_b64 exec, exec, s[36:37]
	s_andn2_b64 s[36:37], s[30:31], exec
	s_and_b64 s[34:35], s[34:35], exec
	s_and_b64 s[0:1], s[0:1], exec
	s_or_b64 s[34:35], s[36:37], s[34:35]
	s_or_b64 exec, exec, s[22:23]
	v_mov_b32_e32 v3, v6
	s_and_saveexec_b64 s[22:23], s[34:35]
	s_cbranch_execz .LBB117_6
.LBB117_10:                             ;   in Loop: Header=BB117_4 Depth=1
	v_cmp_eq_u32_e32 vcc, v2, v6
	s_and_b64 s[38:39], s[20:21], vcc
	s_mov_b64 s[36:37], s[0:1]
                                        ; implicit-def: $vgpr8_vgpr9
	s_and_saveexec_b64 s[34:35], s[38:39]
	s_cbranch_execz .LBB117_12
; %bb.11:                               ;   in Loop: Header=BB117_4 Depth=1
	s_waitcnt vmcnt(0) lgkmcnt(0)
	flat_load_dwordx2 v[8:9], v[4:5]
	s_waitcnt vmcnt(0) lgkmcnt(0)
	v_div_scale_f64 v[12:13], s[36:37], v[8:9], v[8:9], 1.0
	v_rcp_f64_e32 v[14:15], v[12:13]
	v_div_scale_f64 v[16:17], vcc, 1.0, v[8:9], 1.0
	s_or_b64 s[36:37], s[0:1], exec
	v_fma_f64 v[18:19], -v[12:13], v[14:15], 1.0
	v_fmac_f64_e32 v[14:15], v[14:15], v[18:19]
	v_fma_f64 v[18:19], -v[12:13], v[14:15], 1.0
	v_fmac_f64_e32 v[14:15], v[14:15], v[18:19]
	v_mul_f64 v[18:19], v[16:17], v[14:15]
	v_fma_f64 v[12:13], -v[12:13], v[18:19], v[16:17]
	v_div_fmas_f64 v[12:13], v[12:13], v[14:15], v[18:19]
	v_div_fixup_f64 v[8:9], v[12:13], v[8:9], 1.0
.LBB117_12:                             ;   in Loop: Header=BB117_4 Depth=1
	s_or_b64 exec, exec, s[34:35]
	s_andn2_b64 s[0:1], s[0:1], exec
	s_and_b64 s[34:35], s[36:37], exec
	s_or_b64 s[0:1], s[0:1], s[34:35]
	v_mov_b32_e32 v3, v2
	s_or_b64 exec, exec, s[22:23]
	s_and_saveexec_b64 s[22:23], s[0:1]
	s_cbranch_execz .LBB117_3
.LBB117_13:                             ;   in Loop: Header=BB117_4 Depth=1
	s_load_dword s0, s[26:27], 0xc
	s_waitcnt lgkmcnt(0)
	s_and_b32 s0, s0, 0xffff
	v_mul_lo_u32 v3, v3, s0
	v_lshl_add_u32 v3, v3, 3, v11
	s_waitcnt vmcnt(0)
	ds_write_b64 v3, v[8:9]
	s_branch .LBB117_3
.LBB117_14:
	s_mov_b64 s[14:15], s[22:23]
	s_branch .LBB117_16
.LBB117_15:
	s_load_dword s0, s[26:27], 0xc
	s_mov_b64 s[4:5], src_shared_base
	s_mov_b32 s29, s5
	s_mov_b32 s1, 0
	s_mov_b64 s[20:21], s[28:29]
	s_waitcnt lgkmcnt(0)
	s_and_b32 s0, s0, 0xffff
.LBB117_16:
	s_mul_i32 s3, s3, s2
	v_add_u32_e32 v0, s3, v10
	v_mov_b32_e32 v1, 0
	v_cmp_gt_i64_e32 vcc, s[10:11], v[0:1]
	s_and_saveexec_b64 s[2:3], vcc
	s_cbranch_execz .LBB117_29
; %bb.17:
	v_mov_b32_e32 v3, v1
	v_cmp_gt_i64_e32 vcc, s[8:9], v[2:3]
	s_and_b64 exec, exec, vcc
	s_cbranch_execz .LBB117_29
; %bb.18:
	v_mad_u64_u32 v[4:5], s[4:5], s24, v0, 0
	s_lshl_b64 s[2:3], s[18:19], 3
	v_mov_b32_e32 v6, v5
	s_waitcnt lgkmcnt(0)
	s_add_u32 s2, s16, s2
	v_mad_u64_u32 v[0:1], s[4:5], s25, v0, v[6:7]
	s_addc_u32 s3, s17, s3
	v_mov_b32_e32 v5, v0
	v_lshl_add_u64 v[0:1], v[4:5], 3, s[2:3]
	v_lshlrev_b32_e32 v4, 3, v2
	v_mov_b32_e32 v5, 0
	v_lshl_add_u64 v[0:1], v[0:1], 0, v[4:5]
	flat_load_dwordx2 v[4:5], v[0:1]
	v_cmp_lt_u64_e64 s[2:3], s[8:9], 2
	s_and_b64 vcc, exec, s[2:3]
	s_waitcnt vmcnt(0) lgkmcnt(0)
	v_mul_f64 v[4:5], s[12:13], v[4:5]
	s_cbranch_vccnz .LBB117_26
; %bb.19:
	s_add_u32 s2, s0, s14
	v_mad_u64_u32 v[6:7], s[2:3], s2, v2, 0
	s_addc_u32 s4, s1, s15
	v_mov_b32_e32 v8, v7
	v_mad_u64_u32 v[8:9], s[2:3], s4, v2, v[8:9]
	v_mov_b32_e32 v7, v8
	v_mad_u64_u32 v[8:9], s[2:3], s14, v2, 0
	;; [unrolled: 2-line block ×3, first 2 shown]
	s_add_u32 s2, s8, -1
	s_addc_u32 s3, s9, -1
	s_mul_i32 s4, s0, s3
	s_mul_hi_u32 s5, s0, s2
	s_add_i32 s5, s5, s4
	s_mul_i32 s4, s0, s2
	s_lshl_b64 s[4:5], s[4:5], 3
	s_add_u32 s4, s20, s4
	v_mov_b32_e32 v9, v12
	s_addc_u32 s5, s21, s5
	v_lshl_add_u64 v[8:9], v[8:9], 3, s[4:5]
	s_lshl_b32 s4, s0, 3
	s_sub_u32 s4, 0, s4
	v_lshl_add_u64 v[6:7], v[6:7], 3, s[20:21]
	v_lshl_add_u32 v10, v10, 3, 0
	s_subb_u32 s5, 0, 0
.LBB117_20:                             ; =>This Inner Loop Header: Depth=1
	v_cmp_eq_u64_e32 vcc, s[2:3], v[2:3]
	s_barrier
	s_and_saveexec_b64 s[8:9], vcc
	s_cbranch_execz .LBB117_22
; %bb.21:                               ;   in Loop: Header=BB117_20 Depth=1
	flat_load_dwordx2 v[12:13], v[6:7]
	s_waitcnt vmcnt(0) lgkmcnt(0)
	v_div_scale_f64 v[14:15], s[10:11], v[12:13], v[12:13], 1.0
	v_rcp_f64_e32 v[16:17], v[14:15]
	v_div_scale_f64 v[18:19], vcc, 1.0, v[12:13], 1.0
	v_fma_f64 v[20:21], -v[14:15], v[16:17], 1.0
	v_fmac_f64_e32 v[16:17], v[16:17], v[20:21]
	v_fma_f64 v[20:21], -v[14:15], v[16:17], 1.0
	v_fmac_f64_e32 v[16:17], v[16:17], v[20:21]
	v_mul_f64 v[20:21], v[18:19], v[16:17]
	v_fma_f64 v[14:15], -v[14:15], v[20:21], v[18:19]
	v_div_fmas_f64 v[14:15], v[14:15], v[16:17], v[20:21]
	v_div_fixup_f64 v[14:15], v[14:15], v[12:13], 1.0
	v_cndmask_b32_e64 v13, v15, v13, s[6:7]
	v_cndmask_b32_e64 v12, v14, v12, s[6:7]
	v_mul_f64 v[4:5], v[4:5], v[12:13]
	ds_write_b64 v10, v[4:5]
.LBB117_22:                             ;   in Loop: Header=BB117_20 Depth=1
	s_or_b64 exec, exec, s[8:9]
	v_cmp_gt_i64_e32 vcc, s[2:3], v[2:3]
	s_waitcnt lgkmcnt(0)
	s_barrier
	s_and_saveexec_b64 s[8:9], vcc
	s_cbranch_execz .LBB117_24
; %bb.23:                               ;   in Loop: Header=BB117_20 Depth=1
	flat_load_dwordx2 v[12:13], v[8:9]
	ds_read_b64 v[14:15], v10
	s_waitcnt vmcnt(0) lgkmcnt(0)
	v_fma_f64 v[4:5], -v[12:13], v[14:15], v[4:5]
.LBB117_24:                             ;   in Loop: Header=BB117_20 Depth=1
	s_or_b64 exec, exec, s[8:9]
	s_add_u32 s8, s2, -1
	s_addc_u32 s9, s3, -1
	s_add_u32 s2, s2, 1
	s_addc_u32 s3, s3, 0
	v_cmp_lt_u64_e64 s[2:3], s[2:3], 3
	v_lshl_add_u64 v[8:9], v[8:9], 0, s[4:5]
	s_and_b64 vcc, exec, s[2:3]
	s_cbranch_vccnz .LBB117_26
; %bb.25:                               ;   in Loop: Header=BB117_20 Depth=1
	s_mov_b64 s[2:3], s[8:9]
	s_branch .LBB117_20
.LBB117_26:
	v_cmp_eq_u32_e32 vcc, 0, v2
	s_and_saveexec_b64 s[2:3], vcc
	s_cbranch_execz .LBB117_28
; %bb.27:
	s_add_u32 s0, s0, s14
	s_addc_u32 s4, s1, s15
	v_mad_u64_u32 v[6:7], s[0:1], s0, v2, 0
	v_mov_b32_e32 v8, v7
	v_mad_u64_u32 v[2:3], s[0:1], s4, v2, v[8:9]
	v_mov_b32_e32 v7, v2
	v_lshl_add_u64 v[2:3], v[6:7], 3, s[20:21]
	flat_load_dwordx2 v[2:3], v[2:3]
	s_waitcnt vmcnt(0) lgkmcnt(0)
	v_div_scale_f64 v[6:7], s[0:1], v[2:3], v[2:3], 1.0
	v_rcp_f64_e32 v[8:9], v[6:7]
	v_div_scale_f64 v[10:11], vcc, 1.0, v[2:3], 1.0
	v_fma_f64 v[12:13], -v[6:7], v[8:9], 1.0
	v_fmac_f64_e32 v[8:9], v[8:9], v[12:13]
	v_fma_f64 v[12:13], -v[6:7], v[8:9], 1.0
	v_fmac_f64_e32 v[8:9], v[8:9], v[12:13]
	v_mul_f64 v[12:13], v[10:11], v[8:9]
	v_fma_f64 v[6:7], -v[6:7], v[12:13], v[10:11]
	v_div_fmas_f64 v[6:7], v[6:7], v[8:9], v[12:13]
	v_div_fixup_f64 v[6:7], v[6:7], v[2:3], 1.0
	v_cndmask_b32_e64 v3, v7, v3, s[6:7]
	v_cndmask_b32_e64 v2, v6, v2, s[6:7]
	v_mul_f64 v[4:5], v[4:5], v[2:3]
.LBB117_28:
	s_or_b64 exec, exec, s[2:3]
	flat_store_dwordx2 v[0:1], v[4:5]
.LBB117_29:
	s_endpgm
	.section	.rodata,"a",@progbits
	.p2align	6, 0x0
	.amdhsa_kernel _ZL40rocblas_trsm_block_backward_substitutionIddPKPKdPKPdLb0ELb1ELb0EEv18rocblas_operation_llT0_T1_lllT2_lllib
		.amdhsa_group_segment_fixed_size 0
		.amdhsa_private_segment_fixed_size 0
		.amdhsa_kernarg_size 360
		.amdhsa_user_sgpr_count 2
		.amdhsa_user_sgpr_dispatch_ptr 0
		.amdhsa_user_sgpr_queue_ptr 0
		.amdhsa_user_sgpr_kernarg_segment_ptr 1
		.amdhsa_user_sgpr_dispatch_id 0
		.amdhsa_user_sgpr_kernarg_preload_length 0
		.amdhsa_user_sgpr_kernarg_preload_offset 0
		.amdhsa_user_sgpr_private_segment_size 0
		.amdhsa_uses_dynamic_stack 0
		.amdhsa_enable_private_segment 0
		.amdhsa_system_sgpr_workgroup_id_x 1
		.amdhsa_system_sgpr_workgroup_id_y 1
		.amdhsa_system_sgpr_workgroup_id_z 1
		.amdhsa_system_sgpr_workgroup_info 0
		.amdhsa_system_vgpr_workitem_id 1
		.amdhsa_next_free_vgpr 22
		.amdhsa_next_free_sgpr 40
		.amdhsa_accum_offset 24
		.amdhsa_reserve_vcc 1
		.amdhsa_float_round_mode_32 0
		.amdhsa_float_round_mode_16_64 0
		.amdhsa_float_denorm_mode_32 3
		.amdhsa_float_denorm_mode_16_64 3
		.amdhsa_dx10_clamp 1
		.amdhsa_ieee_mode 1
		.amdhsa_fp16_overflow 0
		.amdhsa_tg_split 0
		.amdhsa_exception_fp_ieee_invalid_op 0
		.amdhsa_exception_fp_denorm_src 0
		.amdhsa_exception_fp_ieee_div_zero 0
		.amdhsa_exception_fp_ieee_overflow 0
		.amdhsa_exception_fp_ieee_underflow 0
		.amdhsa_exception_fp_ieee_inexact 0
		.amdhsa_exception_int_div_zero 0
	.end_amdhsa_kernel
	.section	.text._ZL40rocblas_trsm_block_backward_substitutionIddPKPKdPKPdLb0ELb1ELb0EEv18rocblas_operation_llT0_T1_lllT2_lllib,"axG",@progbits,_ZL40rocblas_trsm_block_backward_substitutionIddPKPKdPKPdLb0ELb1ELb0EEv18rocblas_operation_llT0_T1_lllT2_lllib,comdat
.Lfunc_end117:
	.size	_ZL40rocblas_trsm_block_backward_substitutionIddPKPKdPKPdLb0ELb1ELb0EEv18rocblas_operation_llT0_T1_lllT2_lllib, .Lfunc_end117-_ZL40rocblas_trsm_block_backward_substitutionIddPKPKdPKPdLb0ELb1ELb0EEv18rocblas_operation_llT0_T1_lllT2_lllib
                                        ; -- End function
	.set _ZL40rocblas_trsm_block_backward_substitutionIddPKPKdPKPdLb0ELb1ELb0EEv18rocblas_operation_llT0_T1_lllT2_lllib.num_vgpr, 22
	.set _ZL40rocblas_trsm_block_backward_substitutionIddPKPKdPKPdLb0ELb1ELb0EEv18rocblas_operation_llT0_T1_lllT2_lllib.num_agpr, 0
	.set _ZL40rocblas_trsm_block_backward_substitutionIddPKPKdPKPdLb0ELb1ELb0EEv18rocblas_operation_llT0_T1_lllT2_lllib.numbered_sgpr, 40
	.set _ZL40rocblas_trsm_block_backward_substitutionIddPKPKdPKPdLb0ELb1ELb0EEv18rocblas_operation_llT0_T1_lllT2_lllib.num_named_barrier, 0
	.set _ZL40rocblas_trsm_block_backward_substitutionIddPKPKdPKPdLb0ELb1ELb0EEv18rocblas_operation_llT0_T1_lllT2_lllib.private_seg_size, 0
	.set _ZL40rocblas_trsm_block_backward_substitutionIddPKPKdPKPdLb0ELb1ELb0EEv18rocblas_operation_llT0_T1_lllT2_lllib.uses_vcc, 1
	.set _ZL40rocblas_trsm_block_backward_substitutionIddPKPKdPKPdLb0ELb1ELb0EEv18rocblas_operation_llT0_T1_lllT2_lllib.uses_flat_scratch, 0
	.set _ZL40rocblas_trsm_block_backward_substitutionIddPKPKdPKPdLb0ELb1ELb0EEv18rocblas_operation_llT0_T1_lllT2_lllib.has_dyn_sized_stack, 0
	.set _ZL40rocblas_trsm_block_backward_substitutionIddPKPKdPKPdLb0ELb1ELb0EEv18rocblas_operation_llT0_T1_lllT2_lllib.has_recursion, 0
	.set _ZL40rocblas_trsm_block_backward_substitutionIddPKPKdPKPdLb0ELb1ELb0EEv18rocblas_operation_llT0_T1_lllT2_lllib.has_indirect_call, 0
	.section	.AMDGPU.csdata,"",@progbits
; Kernel info:
; codeLenInByte = 1388
; TotalNumSgprs: 46
; NumVgprs: 22
; NumAgprs: 0
; TotalNumVgprs: 22
; ScratchSize: 0
; MemoryBound: 1
; FloatMode: 240
; IeeeMode: 1
; LDSByteSize: 0 bytes/workgroup (compile time only)
; SGPRBlocks: 5
; VGPRBlocks: 2
; NumSGPRsForWavesPerEU: 46
; NumVGPRsForWavesPerEU: 22
; AccumOffset: 24
; Occupancy: 8
; WaveLimiterHint : 1
; COMPUTE_PGM_RSRC2:SCRATCH_EN: 0
; COMPUTE_PGM_RSRC2:USER_SGPR: 2
; COMPUTE_PGM_RSRC2:TRAP_HANDLER: 0
; COMPUTE_PGM_RSRC2:TGID_X_EN: 1
; COMPUTE_PGM_RSRC2:TGID_Y_EN: 1
; COMPUTE_PGM_RSRC2:TGID_Z_EN: 1
; COMPUTE_PGM_RSRC2:TIDIG_COMP_CNT: 1
; COMPUTE_PGM_RSRC3_GFX90A:ACCUM_OFFSET: 5
; COMPUTE_PGM_RSRC3_GFX90A:TG_SPLIT: 0
	.section	.text._ZL39rocblas_trsm_block_forward_substitutionIddPKPKdPKPdLb0ELb1ELb1EEv18rocblas_operation_llT0_T1_lllT2_lllib,"axG",@progbits,_ZL39rocblas_trsm_block_forward_substitutionIddPKPKdPKPdLb0ELb1ELb1EEv18rocblas_operation_llT0_T1_lllT2_lllib,comdat
	.globl	_ZL39rocblas_trsm_block_forward_substitutionIddPKPKdPKPdLb0ELb1ELb1EEv18rocblas_operation_llT0_T1_lllT2_lllib ; -- Begin function _ZL39rocblas_trsm_block_forward_substitutionIddPKPKdPKPdLb0ELb1ELb1EEv18rocblas_operation_llT0_T1_lllT2_lllib
	.p2align	8
	.type	_ZL39rocblas_trsm_block_forward_substitutionIddPKPKdPKPdLb0ELb1ELb1EEv18rocblas_operation_llT0_T1_lllT2_lllib,@function
_ZL39rocblas_trsm_block_forward_substitutionIddPKPKdPKPdLb0ELb1ELb1EEv18rocblas_operation_llT0_T1_lllT2_lllib: ; @_ZL39rocblas_trsm_block_forward_substitutionIddPKPKdPKPdLb0ELb1ELb1EEv18rocblas_operation_llT0_T1_lllT2_lllib
; %bb.0:
	s_load_dwordx8 s[8:15], s[0:1], 0x8
	s_load_dwordx4 s[16:19], s[0:1], 0x28
	s_mov_b32 s5, 0
	s_lshl_b64 s[20:21], s[4:5], 3
	v_and_b32_e32 v2, 0x3ff, v0
	s_waitcnt lgkmcnt(0)
	s_add_u32 s14, s14, s20
	s_addc_u32 s15, s15, s21
	s_load_dwordx2 s[22:23], s[14:15], 0x0
	s_load_dwordx4 s[4:7], s[0:1], 0x40
	s_lshl_b64 s[14:15], s[16:17], 3
	v_bfe_u32 v8, v0, 10, 10
	s_waitcnt lgkmcnt(0)
	s_add_u32 s16, s22, s14
	s_addc_u32 s17, s23, s15
	s_add_u32 s20, s4, s20
	s_addc_u32 s21, s5, s21
	s_load_dwordx2 s[4:5], s[0:1], 0x50
	s_load_dword s22, s[0:1], 0x64
	s_load_dword s2, s[0:1], 0x74
	s_load_dwordx2 s[14:15], s[20:21], 0x0
	s_add_u32 s20, s0, 0x68
	s_addc_u32 s21, s1, 0
	s_waitcnt lgkmcnt(0)
	s_lshr_b32 s2, s2, 16
	s_bitcmp0_b32 s22, 0
	s_cbranch_scc1 .LBB118_7
; %bb.1:
	s_lshl_b32 s0, s2, 3
	s_add_i32 s22, s0, 0
	v_cmp_lt_i64_e64 s[0:1], s[8:9], 1
	s_and_b64 vcc, exec, s[0:1]
	s_cbranch_vccnz .LBB118_6
; %bb.2:
	v_mov_b32_e32 v3, 0
	v_lshlrev_b32_e32 v0, 3, v2
	v_mov_b32_e32 v1, v3
	v_add_u32_e32 v4, s22, v0
	v_cmp_gt_u64_e64 s[0:1], s[8:9], v[2:3]
	v_lshl_add_u64 v[0:1], s[16:17], 0, v[0:1]
	s_mov_b32 s23, 0
	s_branch .LBB118_4
.LBB118_3:                              ;   in Loop: Header=BB118_4 Depth=1
	s_or_b64 exec, exec, s[16:17]
	s_add_i32 s23, s23, s2
	s_ashr_i32 s16, s23, 31
	v_mov_b32_e32 v6, s23
	v_mov_b32_e32 v7, s16
	v_cmp_le_i64_e32 vcc, s[8:9], v[6:7]
	s_cbranch_vccnz .LBB118_6
.LBB118_4:                              ; =>This Inner Loop Header: Depth=1
	v_add_u32_e32 v3, s23, v8
	v_cmp_gt_i32_e32 vcc, v2, v3
	s_and_b64 s[24:25], s[0:1], vcc
	s_and_saveexec_b64 s[16:17], s[24:25]
	s_cbranch_execz .LBB118_3
; %bb.5:                                ;   in Loop: Header=BB118_4 Depth=1
	v_ashrrev_i32_e32 v5, 31, v3
	v_mul_lo_u32 v9, s19, v3
	v_mul_lo_u32 v5, s18, v5
	v_mad_u64_u32 v[6:7], s[24:25], s18, v3, 0
	v_add3_u32 v7, v7, v5, v9
	v_lshl_add_u64 v[6:7], v[6:7], 3, v[0:1]
	flat_load_dwordx2 v[6:7], v[6:7]
	s_load_dword s24, s[20:21], 0xc
	s_waitcnt lgkmcnt(0)
	s_and_b32 s24, s24, 0xffff
	v_mul_lo_u32 v3, v3, s24
	v_lshl_add_u32 v3, v3, 3, v4
	s_waitcnt vmcnt(0)
	ds_write_b64 v3, v[6:7]
	s_branch .LBB118_3
.LBB118_6:
	s_mov_b64 s[0:1], src_shared_base
	s_load_dword s0, s[20:21], 0xc
	s_mov_b32 s23, s1
	s_mov_b32 s19, 0
	s_mov_b64 s[16:17], s[22:23]
	s_waitcnt lgkmcnt(0)
	s_and_b32 s18, s0, 0xffff
.LBB118_7:
	s_mul_i32 s3, s3, s2
	v_add_u32_e32 v0, s3, v8
	v_mov_b32_e32 v1, 0
	v_cmp_gt_i64_e32 vcc, s[10:11], v[0:1]
	s_and_saveexec_b64 s[0:1], vcc
	s_cbranch_execz .LBB118_17
; %bb.8:
	v_mov_b32_e32 v3, v1
	v_cmp_gt_i64_e32 vcc, s[8:9], v[2:3]
	s_and_b64 exec, exec, vcc
	s_cbranch_execz .LBB118_17
; %bb.9:
	v_mad_u64_u32 v[4:5], s[2:3], s4, v2, 0
	s_lshl_b64 s[0:1], s[6:7], 3
	v_mov_b32_e32 v6, v5
	s_add_u32 s0, s14, s0
	v_mad_u64_u32 v[6:7], s[2:3], s5, v2, v[6:7]
	s_addc_u32 s1, s15, s1
	v_mov_b32_e32 v5, v6
	v_lshl_add_u64 v[4:5], v[4:5], 3, s[0:1]
	v_lshl_add_u64 v[0:1], v[0:1], 3, v[4:5]
	flat_load_dwordx2 v[4:5], v[0:1]
	v_cmp_lt_u64_e64 s[0:1], s[8:9], 2
	s_and_b64 vcc, exec, s[0:1]
	s_waitcnt vmcnt(0) lgkmcnt(0)
	v_mul_f64 v[4:5], s[12:13], v[4:5]
	s_cbranch_vccnz .LBB118_16
; %bb.10:
	v_lshlrev_b32_e32 v6, 3, v2
	v_mov_b32_e32 v7, 0
	s_add_u32 s0, s8, -1
	v_lshl_add_u64 v[6:7], s[16:17], 0, v[6:7]
	v_lshl_add_u32 v8, v8, 3, 0
	s_addc_u32 s1, s9, -1
	s_lshl_b64 s[2:3], s[18:19], 3
	s_mov_b64 s[4:5], 0
	s_branch .LBB118_12
.LBB118_11:                             ;   in Loop: Header=BB118_12 Depth=1
	s_or_b64 exec, exec, s[6:7]
	s_add_u32 s4, s4, 1
	s_addc_u32 s5, s5, 0
	s_cmp_eq_u64 s[0:1], s[4:5]
	v_lshl_add_u64 v[6:7], v[6:7], 0, s[2:3]
	s_cbranch_scc1 .LBB118_16
.LBB118_12:                             ; =>This Inner Loop Header: Depth=1
	v_cmp_eq_u64_e32 vcc, s[4:5], v[2:3]
	s_barrier
	s_and_saveexec_b64 s[6:7], vcc
; %bb.13:                               ;   in Loop: Header=BB118_12 Depth=1
	ds_write_b64 v8, v[4:5]
; %bb.14:                               ;   in Loop: Header=BB118_12 Depth=1
	s_or_b64 exec, exec, s[6:7]
	v_cmp_lt_u64_e32 vcc, s[4:5], v[2:3]
	s_waitcnt lgkmcnt(0)
	s_barrier
	s_and_saveexec_b64 s[6:7], vcc
	s_cbranch_execz .LBB118_11
; %bb.15:                               ;   in Loop: Header=BB118_12 Depth=1
	flat_load_dwordx2 v[10:11], v[6:7]
	ds_read_b64 v[12:13], v8
	s_waitcnt vmcnt(0) lgkmcnt(0)
	v_fma_f64 v[4:5], -v[10:11], v[12:13], v[4:5]
	s_branch .LBB118_11
.LBB118_16:
	flat_store_dwordx2 v[0:1], v[4:5]
.LBB118_17:
	s_endpgm
	.section	.rodata,"a",@progbits
	.p2align	6, 0x0
	.amdhsa_kernel _ZL39rocblas_trsm_block_forward_substitutionIddPKPKdPKPdLb0ELb1ELb1EEv18rocblas_operation_llT0_T1_lllT2_lllib
		.amdhsa_group_segment_fixed_size 0
		.amdhsa_private_segment_fixed_size 0
		.amdhsa_kernarg_size 360
		.amdhsa_user_sgpr_count 2
		.amdhsa_user_sgpr_dispatch_ptr 0
		.amdhsa_user_sgpr_queue_ptr 0
		.amdhsa_user_sgpr_kernarg_segment_ptr 1
		.amdhsa_user_sgpr_dispatch_id 0
		.amdhsa_user_sgpr_kernarg_preload_length 0
		.amdhsa_user_sgpr_kernarg_preload_offset 0
		.amdhsa_user_sgpr_private_segment_size 0
		.amdhsa_uses_dynamic_stack 0
		.amdhsa_enable_private_segment 0
		.amdhsa_system_sgpr_workgroup_id_x 1
		.amdhsa_system_sgpr_workgroup_id_y 1
		.amdhsa_system_sgpr_workgroup_id_z 1
		.amdhsa_system_sgpr_workgroup_info 0
		.amdhsa_system_vgpr_workitem_id 1
		.amdhsa_next_free_vgpr 14
		.amdhsa_next_free_sgpr 26
		.amdhsa_accum_offset 16
		.amdhsa_reserve_vcc 1
		.amdhsa_float_round_mode_32 0
		.amdhsa_float_round_mode_16_64 0
		.amdhsa_float_denorm_mode_32 3
		.amdhsa_float_denorm_mode_16_64 3
		.amdhsa_dx10_clamp 1
		.amdhsa_ieee_mode 1
		.amdhsa_fp16_overflow 0
		.amdhsa_tg_split 0
		.amdhsa_exception_fp_ieee_invalid_op 0
		.amdhsa_exception_fp_denorm_src 0
		.amdhsa_exception_fp_ieee_div_zero 0
		.amdhsa_exception_fp_ieee_overflow 0
		.amdhsa_exception_fp_ieee_underflow 0
		.amdhsa_exception_fp_ieee_inexact 0
		.amdhsa_exception_int_div_zero 0
	.end_amdhsa_kernel
	.section	.text._ZL39rocblas_trsm_block_forward_substitutionIddPKPKdPKPdLb0ELb1ELb1EEv18rocblas_operation_llT0_T1_lllT2_lllib,"axG",@progbits,_ZL39rocblas_trsm_block_forward_substitutionIddPKPKdPKPdLb0ELb1ELb1EEv18rocblas_operation_llT0_T1_lllT2_lllib,comdat
.Lfunc_end118:
	.size	_ZL39rocblas_trsm_block_forward_substitutionIddPKPKdPKPdLb0ELb1ELb1EEv18rocblas_operation_llT0_T1_lllT2_lllib, .Lfunc_end118-_ZL39rocblas_trsm_block_forward_substitutionIddPKPKdPKPdLb0ELb1ELb1EEv18rocblas_operation_llT0_T1_lllT2_lllib
                                        ; -- End function
	.set _ZL39rocblas_trsm_block_forward_substitutionIddPKPKdPKPdLb0ELb1ELb1EEv18rocblas_operation_llT0_T1_lllT2_lllib.num_vgpr, 14
	.set _ZL39rocblas_trsm_block_forward_substitutionIddPKPKdPKPdLb0ELb1ELb1EEv18rocblas_operation_llT0_T1_lllT2_lllib.num_agpr, 0
	.set _ZL39rocblas_trsm_block_forward_substitutionIddPKPKdPKPdLb0ELb1ELb1EEv18rocblas_operation_llT0_T1_lllT2_lllib.numbered_sgpr, 26
	.set _ZL39rocblas_trsm_block_forward_substitutionIddPKPKdPKPdLb0ELb1ELb1EEv18rocblas_operation_llT0_T1_lllT2_lllib.num_named_barrier, 0
	.set _ZL39rocblas_trsm_block_forward_substitutionIddPKPKdPKPdLb0ELb1ELb1EEv18rocblas_operation_llT0_T1_lllT2_lllib.private_seg_size, 0
	.set _ZL39rocblas_trsm_block_forward_substitutionIddPKPKdPKPdLb0ELb1ELb1EEv18rocblas_operation_llT0_T1_lllT2_lllib.uses_vcc, 1
	.set _ZL39rocblas_trsm_block_forward_substitutionIddPKPKdPKPdLb0ELb1ELb1EEv18rocblas_operation_llT0_T1_lllT2_lllib.uses_flat_scratch, 0
	.set _ZL39rocblas_trsm_block_forward_substitutionIddPKPKdPKPdLb0ELb1ELb1EEv18rocblas_operation_llT0_T1_lllT2_lllib.has_dyn_sized_stack, 0
	.set _ZL39rocblas_trsm_block_forward_substitutionIddPKPKdPKPdLb0ELb1ELb1EEv18rocblas_operation_llT0_T1_lllT2_lllib.has_recursion, 0
	.set _ZL39rocblas_trsm_block_forward_substitutionIddPKPKdPKPdLb0ELb1ELb1EEv18rocblas_operation_llT0_T1_lllT2_lllib.has_indirect_call, 0
	.section	.AMDGPU.csdata,"",@progbits
; Kernel info:
; codeLenInByte = 692
; TotalNumSgprs: 32
; NumVgprs: 14
; NumAgprs: 0
; TotalNumVgprs: 14
; ScratchSize: 0
; MemoryBound: 0
; FloatMode: 240
; IeeeMode: 1
; LDSByteSize: 0 bytes/workgroup (compile time only)
; SGPRBlocks: 3
; VGPRBlocks: 1
; NumSGPRsForWavesPerEU: 32
; NumVGPRsForWavesPerEU: 14
; AccumOffset: 16
; Occupancy: 8
; WaveLimiterHint : 1
; COMPUTE_PGM_RSRC2:SCRATCH_EN: 0
; COMPUTE_PGM_RSRC2:USER_SGPR: 2
; COMPUTE_PGM_RSRC2:TRAP_HANDLER: 0
; COMPUTE_PGM_RSRC2:TGID_X_EN: 1
; COMPUTE_PGM_RSRC2:TGID_Y_EN: 1
; COMPUTE_PGM_RSRC2:TGID_Z_EN: 1
; COMPUTE_PGM_RSRC2:TIDIG_COMP_CNT: 1
; COMPUTE_PGM_RSRC3_GFX90A:ACCUM_OFFSET: 3
; COMPUTE_PGM_RSRC3_GFX90A:TG_SPLIT: 0
	.section	.text._ZL40rocblas_trsm_block_backward_substitutionIddPKPKdPKPdLb0ELb1ELb1EEv18rocblas_operation_llT0_T1_lllT2_lllib,"axG",@progbits,_ZL40rocblas_trsm_block_backward_substitutionIddPKPKdPKPdLb0ELb1ELb1EEv18rocblas_operation_llT0_T1_lllT2_lllib,comdat
	.globl	_ZL40rocblas_trsm_block_backward_substitutionIddPKPKdPKPdLb0ELb1ELb1EEv18rocblas_operation_llT0_T1_lllT2_lllib ; -- Begin function _ZL40rocblas_trsm_block_backward_substitutionIddPKPKdPKPdLb0ELb1ELb1EEv18rocblas_operation_llT0_T1_lllT2_lllib
	.p2align	8
	.type	_ZL40rocblas_trsm_block_backward_substitutionIddPKPKdPKPdLb0ELb1ELb1EEv18rocblas_operation_llT0_T1_lllT2_lllib,@function
_ZL40rocblas_trsm_block_backward_substitutionIddPKPKdPKPdLb0ELb1ELb1EEv18rocblas_operation_llT0_T1_lllT2_lllib: ; @_ZL40rocblas_trsm_block_backward_substitutionIddPKPKdPKPdLb0ELb1ELb1EEv18rocblas_operation_llT0_T1_lllT2_lllib
; %bb.0:
	s_load_dwordx8 s[8:15], s[0:1], 0x8
	s_load_dwordx4 s[16:19], s[0:1], 0x28
	s_mov_b32 s5, 0
	s_lshl_b64 s[20:21], s[4:5], 3
	v_and_b32_e32 v2, 0x3ff, v0
	s_waitcnt lgkmcnt(0)
	s_add_u32 s14, s14, s20
	s_addc_u32 s15, s15, s21
	s_load_dwordx2 s[22:23], s[14:15], 0x0
	s_load_dwordx4 s[4:7], s[0:1], 0x40
	s_lshl_b64 s[14:15], s[16:17], 3
	v_bfe_u32 v6, v0, 10, 10
	s_waitcnt lgkmcnt(0)
	s_add_u32 s22, s22, s14
	s_addc_u32 s23, s23, s15
	s_add_u32 s4, s4, s20
	s_addc_u32 s5, s5, s21
	s_load_dwordx2 s[20:21], s[4:5], 0x0
	s_load_dwordx2 s[14:15], s[0:1], 0x50
	s_load_dword s16, s[0:1], 0x64
	s_load_dword s2, s[0:1], 0x74
	s_add_u32 s24, s0, 0x68
	s_addc_u32 s25, s1, 0
	s_mov_b64 s[0:1], 1
	s_waitcnt lgkmcnt(0)
	s_lshr_b32 s2, s2, 16
	s_bitcmp0_b32 s16, 0
	s_cbranch_scc1 .LBB119_6
; %bb.1:
	s_lshl_b32 s0, s2, 3
	s_add_i32 s26, s0, 0
	v_cmp_lt_i64_e64 s[0:1], s[8:9], 1
	s_mov_b64 s[16:17], 1
	s_and_b64 vcc, exec, s[0:1]
	s_cbranch_vccnz .LBB119_7
; %bb.2:
	v_mad_u64_u32 v[0:1], s[4:5], s18, v2, 0
	v_mov_b32_e32 v4, v1
	v_mad_u64_u32 v[4:5], s[4:5], s19, v2, v[4:5]
	v_mov_b32_e32 v3, 0
	v_mov_b32_e32 v1, v4
	v_lshl_add_u32 v7, v2, 3, s26
	v_cmp_gt_u64_e64 s[0:1], s[8:9], v[2:3]
	v_lshl_add_u64 v[0:1], v[0:1], 3, s[22:23]
	s_mov_b32 s18, 0
	s_branch .LBB119_4
.LBB119_3:                              ;   in Loop: Header=BB119_4 Depth=1
	s_or_b64 exec, exec, s[4:5]
	s_add_i32 s18, s18, s2
	s_ashr_i32 s4, s18, 31
	v_mov_b32_e32 v4, s18
	v_mov_b32_e32 v5, s4
	v_cmp_le_i64_e32 vcc, s[8:9], v[4:5]
	s_cbranch_vccnz .LBB119_7
.LBB119_4:                              ; =>This Inner Loop Header: Depth=1
	v_add_u32_e32 v4, s18, v6
	v_ashrrev_i32_e32 v5, 31, v4
	v_cmp_gt_i64_e32 vcc, s[8:9], v[4:5]
	v_cmp_lt_i32_e64 s[4:5], v2, v4
	s_and_b64 s[4:5], s[4:5], vcc
	s_and_b64 s[22:23], s[0:1], s[4:5]
	s_and_saveexec_b64 s[4:5], s[22:23]
	s_cbranch_execz .LBB119_3
; %bb.5:                                ;   in Loop: Header=BB119_4 Depth=1
	v_lshl_add_u64 v[8:9], v[4:5], 3, v[0:1]
	flat_load_dwordx2 v[8:9], v[8:9]
	s_load_dword s19, s[24:25], 0xc
	s_waitcnt lgkmcnt(0)
	s_and_b32 s19, s19, 0xffff
	v_mul_lo_u32 v3, v4, s19
	v_lshl_add_u32 v3, v3, 3, v7
	s_waitcnt vmcnt(0)
	ds_write_b64 v3, v[8:9]
	s_branch .LBB119_3
.LBB119_6:
	s_mov_b64 s[16:17], s[18:19]
	s_branch .LBB119_8
.LBB119_7:
	s_mov_b64 s[0:1], src_shared_base
	s_load_dword s0, s[24:25], 0xc
	s_mov_b32 s27, s1
	s_mov_b64 s[22:23], s[26:27]
	s_waitcnt lgkmcnt(0)
	s_and_b32 s0, s0, 0xffff
.LBB119_8:
	s_mul_i32 s3, s3, s2
	v_add_u32_e32 v0, s3, v6
	v_mov_b32_e32 v1, 0
	v_cmp_gt_i64_e32 vcc, s[10:11], v[0:1]
	s_and_saveexec_b64 s[2:3], vcc
	s_cbranch_execz .LBB119_19
; %bb.9:
	v_mov_b32_e32 v3, v1
	v_cmp_gt_i64_e32 vcc, s[8:9], v[2:3]
	s_and_b64 exec, exec, vcc
	s_cbranch_execz .LBB119_19
; %bb.10:
	v_mad_u64_u32 v[4:5], s[4:5], s14, v0, 0
	s_lshl_b64 s[2:3], s[6:7], 3
	v_mov_b32_e32 v8, v5
	s_add_u32 s2, s20, s2
	v_mad_u64_u32 v[0:1], s[4:5], s15, v0, v[8:9]
	s_addc_u32 s3, s21, s3
	v_mov_b32_e32 v5, v0
	v_lshl_add_u64 v[0:1], v[4:5], 3, s[2:3]
	v_lshlrev_b32_e32 v4, 3, v2
	v_mov_b32_e32 v5, 0
	v_lshl_add_u64 v[0:1], v[0:1], 0, v[4:5]
	flat_load_dwordx2 v[4:5], v[0:1]
	v_cmp_lt_u64_e64 s[2:3], s[8:9], 2
	s_and_b64 vcc, exec, s[2:3]
	s_waitcnt vmcnt(0) lgkmcnt(0)
	v_mul_f64 v[4:5], s[12:13], v[4:5]
	s_cbranch_vccnz .LBB119_18
; %bb.11:
	v_lshl_add_u32 v8, v6, 3, 0
	v_mad_u64_u32 v[6:7], s[2:3], s16, v2, 0
	v_mov_b32_e32 v10, v7
	v_mad_u64_u32 v[10:11], s[2:3], s17, v2, v[10:11]
	s_add_u32 s2, s8, -1
	s_addc_u32 s3, s9, -1
	s_mul_i32 s1, s0, s3
	s_mul_hi_u32 s4, s0, s2
	s_add_i32 s5, s4, s1
	s_mul_i32 s4, s0, s2
	s_lshl_b64 s[4:5], s[4:5], 3
	s_add_u32 s4, s22, s4
	s_addc_u32 s5, s23, s5
	s_lshl_b32 s0, s0, 3
	v_mov_b32_e32 v7, v10
	s_sub_u32 s0, 0, s0
	v_lshl_add_u64 v[6:7], v[6:7], 3, s[4:5]
	s_subb_u32 s1, 0, 0
.LBB119_12:                             ; =>This Inner Loop Header: Depth=1
	v_cmp_eq_u64_e32 vcc, s[2:3], v[2:3]
	s_barrier
	s_and_saveexec_b64 s[4:5], vcc
; %bb.13:                               ;   in Loop: Header=BB119_12 Depth=1
	ds_write_b64 v8, v[4:5]
; %bb.14:                               ;   in Loop: Header=BB119_12 Depth=1
	s_or_b64 exec, exec, s[4:5]
	v_cmp_gt_i64_e32 vcc, s[2:3], v[2:3]
	s_waitcnt lgkmcnt(0)
	s_barrier
	s_and_saveexec_b64 s[4:5], vcc
	s_cbranch_execz .LBB119_16
; %bb.15:                               ;   in Loop: Header=BB119_12 Depth=1
	flat_load_dwordx2 v[10:11], v[6:7]
	ds_read_b64 v[12:13], v8
	s_waitcnt vmcnt(0) lgkmcnt(0)
	v_fma_f64 v[4:5], -v[10:11], v[12:13], v[4:5]
.LBB119_16:                             ;   in Loop: Header=BB119_12 Depth=1
	s_or_b64 exec, exec, s[4:5]
	s_add_u32 s4, s2, -1
	s_addc_u32 s5, s3, -1
	s_add_u32 s2, s2, 1
	s_addc_u32 s3, s3, 0
	v_cmp_lt_u64_e64 s[2:3], s[2:3], 3
	v_lshl_add_u64 v[6:7], v[6:7], 0, s[0:1]
	s_and_b64 vcc, exec, s[2:3]
	s_cbranch_vccnz .LBB119_18
; %bb.17:                               ;   in Loop: Header=BB119_12 Depth=1
	s_mov_b64 s[2:3], s[4:5]
	s_branch .LBB119_12
.LBB119_18:
	flat_store_dwordx2 v[0:1], v[4:5]
.LBB119_19:
	s_endpgm
	.section	.rodata,"a",@progbits
	.p2align	6, 0x0
	.amdhsa_kernel _ZL40rocblas_trsm_block_backward_substitutionIddPKPKdPKPdLb0ELb1ELb1EEv18rocblas_operation_llT0_T1_lllT2_lllib
		.amdhsa_group_segment_fixed_size 0
		.amdhsa_private_segment_fixed_size 0
		.amdhsa_kernarg_size 360
		.amdhsa_user_sgpr_count 2
		.amdhsa_user_sgpr_dispatch_ptr 0
		.amdhsa_user_sgpr_queue_ptr 0
		.amdhsa_user_sgpr_kernarg_segment_ptr 1
		.amdhsa_user_sgpr_dispatch_id 0
		.amdhsa_user_sgpr_kernarg_preload_length 0
		.amdhsa_user_sgpr_kernarg_preload_offset 0
		.amdhsa_user_sgpr_private_segment_size 0
		.amdhsa_uses_dynamic_stack 0
		.amdhsa_enable_private_segment 0
		.amdhsa_system_sgpr_workgroup_id_x 1
		.amdhsa_system_sgpr_workgroup_id_y 1
		.amdhsa_system_sgpr_workgroup_id_z 1
		.amdhsa_system_sgpr_workgroup_info 0
		.amdhsa_system_vgpr_workitem_id 1
		.amdhsa_next_free_vgpr 14
		.amdhsa_next_free_sgpr 28
		.amdhsa_accum_offset 16
		.amdhsa_reserve_vcc 1
		.amdhsa_float_round_mode_32 0
		.amdhsa_float_round_mode_16_64 0
		.amdhsa_float_denorm_mode_32 3
		.amdhsa_float_denorm_mode_16_64 3
		.amdhsa_dx10_clamp 1
		.amdhsa_ieee_mode 1
		.amdhsa_fp16_overflow 0
		.amdhsa_tg_split 0
		.amdhsa_exception_fp_ieee_invalid_op 0
		.amdhsa_exception_fp_denorm_src 0
		.amdhsa_exception_fp_ieee_div_zero 0
		.amdhsa_exception_fp_ieee_overflow 0
		.amdhsa_exception_fp_ieee_underflow 0
		.amdhsa_exception_fp_ieee_inexact 0
		.amdhsa_exception_int_div_zero 0
	.end_amdhsa_kernel
	.section	.text._ZL40rocblas_trsm_block_backward_substitutionIddPKPKdPKPdLb0ELb1ELb1EEv18rocblas_operation_llT0_T1_lllT2_lllib,"axG",@progbits,_ZL40rocblas_trsm_block_backward_substitutionIddPKPKdPKPdLb0ELb1ELb1EEv18rocblas_operation_llT0_T1_lllT2_lllib,comdat
.Lfunc_end119:
	.size	_ZL40rocblas_trsm_block_backward_substitutionIddPKPKdPKPdLb0ELb1ELb1EEv18rocblas_operation_llT0_T1_lllT2_lllib, .Lfunc_end119-_ZL40rocblas_trsm_block_backward_substitutionIddPKPKdPKPdLb0ELb1ELb1EEv18rocblas_operation_llT0_T1_lllT2_lllib
                                        ; -- End function
	.set _ZL40rocblas_trsm_block_backward_substitutionIddPKPKdPKPdLb0ELb1ELb1EEv18rocblas_operation_llT0_T1_lllT2_lllib.num_vgpr, 14
	.set _ZL40rocblas_trsm_block_backward_substitutionIddPKPKdPKPdLb0ELb1ELb1EEv18rocblas_operation_llT0_T1_lllT2_lllib.num_agpr, 0
	.set _ZL40rocblas_trsm_block_backward_substitutionIddPKPKdPKPdLb0ELb1ELb1EEv18rocblas_operation_llT0_T1_lllT2_lllib.numbered_sgpr, 28
	.set _ZL40rocblas_trsm_block_backward_substitutionIddPKPKdPKPdLb0ELb1ELb1EEv18rocblas_operation_llT0_T1_lllT2_lllib.num_named_barrier, 0
	.set _ZL40rocblas_trsm_block_backward_substitutionIddPKPKdPKPdLb0ELb1ELb1EEv18rocblas_operation_llT0_T1_lllT2_lllib.private_seg_size, 0
	.set _ZL40rocblas_trsm_block_backward_substitutionIddPKPKdPKPdLb0ELb1ELb1EEv18rocblas_operation_llT0_T1_lllT2_lllib.uses_vcc, 1
	.set _ZL40rocblas_trsm_block_backward_substitutionIddPKPKdPKPdLb0ELb1ELb1EEv18rocblas_operation_llT0_T1_lllT2_lllib.uses_flat_scratch, 0
	.set _ZL40rocblas_trsm_block_backward_substitutionIddPKPKdPKPdLb0ELb1ELb1EEv18rocblas_operation_llT0_T1_lllT2_lllib.has_dyn_sized_stack, 0
	.set _ZL40rocblas_trsm_block_backward_substitutionIddPKPKdPKPdLb0ELb1ELb1EEv18rocblas_operation_llT0_T1_lllT2_lllib.has_recursion, 0
	.set _ZL40rocblas_trsm_block_backward_substitutionIddPKPKdPKPdLb0ELb1ELb1EEv18rocblas_operation_llT0_T1_lllT2_lllib.has_indirect_call, 0
	.section	.AMDGPU.csdata,"",@progbits
; Kernel info:
; codeLenInByte = 776
; TotalNumSgprs: 34
; NumVgprs: 14
; NumAgprs: 0
; TotalNumVgprs: 14
; ScratchSize: 0
; MemoryBound: 0
; FloatMode: 240
; IeeeMode: 1
; LDSByteSize: 0 bytes/workgroup (compile time only)
; SGPRBlocks: 4
; VGPRBlocks: 1
; NumSGPRsForWavesPerEU: 34
; NumVGPRsForWavesPerEU: 14
; AccumOffset: 16
; Occupancy: 8
; WaveLimiterHint : 1
; COMPUTE_PGM_RSRC2:SCRATCH_EN: 0
; COMPUTE_PGM_RSRC2:USER_SGPR: 2
; COMPUTE_PGM_RSRC2:TRAP_HANDLER: 0
; COMPUTE_PGM_RSRC2:TGID_X_EN: 1
; COMPUTE_PGM_RSRC2:TGID_Y_EN: 1
; COMPUTE_PGM_RSRC2:TGID_Z_EN: 1
; COMPUTE_PGM_RSRC2:TIDIG_COMP_CNT: 1
; COMPUTE_PGM_RSRC3_GFX90A:ACCUM_OFFSET: 3
; COMPUTE_PGM_RSRC3_GFX90A:TG_SPLIT: 0
	.section	.text._ZL39rocblas_trsm_block_forward_substitutionIddPKPKdPKPdLb1ELb1ELb0EEv18rocblas_operation_llT0_T1_lllT2_lllib,"axG",@progbits,_ZL39rocblas_trsm_block_forward_substitutionIddPKPKdPKPdLb1ELb1ELb0EEv18rocblas_operation_llT0_T1_lllT2_lllib,comdat
	.globl	_ZL39rocblas_trsm_block_forward_substitutionIddPKPKdPKPdLb1ELb1ELb0EEv18rocblas_operation_llT0_T1_lllT2_lllib ; -- Begin function _ZL39rocblas_trsm_block_forward_substitutionIddPKPKdPKPdLb1ELb1ELb0EEv18rocblas_operation_llT0_T1_lllT2_lllib
	.p2align	8
	.type	_ZL39rocblas_trsm_block_forward_substitutionIddPKPKdPKPdLb1ELb1ELb0EEv18rocblas_operation_llT0_T1_lllT2_lllib,@function
_ZL39rocblas_trsm_block_forward_substitutionIddPKPKdPKPdLb1ELb1ELb0EEv18rocblas_operation_llT0_T1_lllT2_lllib: ; @_ZL39rocblas_trsm_block_forward_substitutionIddPKPKdPKPdLb1ELb1ELb0EEv18rocblas_operation_llT0_T1_lllT2_lllib
; %bb.0:
	s_load_dword s28, s[0:1], 0x64
	s_load_dwordx8 s[8:15], s[0:1], 0x8
	s_load_dwordx4 s[20:23], s[0:1], 0x28
	s_load_dword s2, s[0:1], 0x74
	s_mov_b32 s5, 0
	s_waitcnt lgkmcnt(0)
	s_bitcmp1_b32 s28, 0
	s_cselect_b64 s[6:7], -1, 0
	s_lshl_b64 s[24:25], s[4:5], 3
	s_add_u32 s4, s14, s24
	s_addc_u32 s5, s15, s25
	s_load_dwordx2 s[26:27], s[4:5], 0x0
	s_load_dwordx4 s[16:19], s[0:1], 0x40
	s_load_dwordx2 s[14:15], s[0:1], 0x50
	s_lshl_b64 s[4:5], s[20:21], 3
	v_and_b32_e32 v2, 0x3ff, v0
	s_waitcnt lgkmcnt(0)
	s_add_u32 s4, s26, s4
	s_addc_u32 s5, s27, s5
	s_add_u32 s16, s16, s24
	s_addc_u32 s17, s17, s25
	s_load_dwordx2 s[16:17], s[16:17], 0x0
	s_add_u32 s24, s0, 0x68
	s_addc_u32 s25, s1, 0
	s_lshr_b32 s2, s2, 16
	v_bfe_u32 v10, v0, 10, 10
	s_bitcmp0_b32 s28, 0
	s_mov_b64 s[20:21], 1
	s_cbranch_scc1 .LBB120_12
; %bb.1:
	s_lshl_b32 s0, s2, 3
	v_cmp_lt_i64_e64 s[20:21], s[8:9], 1
	s_add_i32 s26, s0, 0
	s_mov_b64 s[0:1], 1
	s_and_b64 vcc, exec, s[20:21]
	s_cbranch_vccnz .LBB120_13
; %bb.2:
	v_mad_u64_u32 v[0:1], s[20:21], s22, v2, 0
	v_mov_b32_e32 v6, v1
	v_mad_u64_u32 v[6:7], s[20:21], s23, v2, v[6:7]
	v_mov_b32_e32 v3, 0
	v_mov_b32_e32 v1, v6
	v_lshlrev_b32_e32 v4, 3, v2
	v_cmp_le_u64_e32 vcc, s[8:9], v[2:3]
	v_lshl_add_u64 v[0:1], v[0:1], 3, s[4:5]
	v_mov_b32_e32 v5, v3
	v_add_u32_e32 v11, s26, v4
	v_lshl_add_u64 v[4:5], v[0:1], 0, v[4:5]
	s_xor_b64 s[4:5], vcc, -1
	s_mov_b32 s27, s2
	v_mov_b32_e32 v6, v10
	s_branch .LBB120_4
.LBB120_3:                              ;   in Loop: Header=BB120_4 Depth=1
	s_or_b64 exec, exec, s[22:23]
	s_ashr_i32 s20, s27, 31
	s_waitcnt vmcnt(0) lgkmcnt(0)
	v_mov_b32_e32 v8, s27
	v_mov_b32_e32 v9, s20
	v_cmp_le_i64_e32 vcc, s[8:9], v[8:9]
	v_add_u32_e32 v6, s2, v6
	s_add_i32 s27, s27, s2
	s_cbranch_vccnz .LBB120_13
.LBB120_4:                              ; =>This Inner Loop Header: Depth=1
	v_cmp_gt_i32_e32 vcc, v2, v6
	s_and_b64 s[22:23], s[4:5], vcc
	s_mov_b64 s[20:21], 0
                                        ; implicit-def: $vgpr8_vgpr9
	s_and_saveexec_b64 s[28:29], s[22:23]
	s_xor_b64 s[22:23], exec, s[28:29]
	s_cbranch_execnz .LBB120_7
; %bb.5:                                ;   in Loop: Header=BB120_4 Depth=1
	s_or_saveexec_b64 s[22:23], s[22:23]
	v_mov_b32_e32 v3, v6
	s_xor_b64 exec, exec, s[22:23]
	s_cbranch_execnz .LBB120_8
.LBB120_6:                              ;   in Loop: Header=BB120_4 Depth=1
	s_or_b64 exec, exec, s[22:23]
	s_and_saveexec_b64 s[22:23], s[20:21]
	s_cbranch_execz .LBB120_3
	s_branch .LBB120_11
.LBB120_7:                              ;   in Loop: Header=BB120_4 Depth=1
	v_ashrrev_i32_e32 v7, 31, v6
	v_lshl_add_u64 v[8:9], v[6:7], 3, v[0:1]
	flat_load_dwordx2 v[8:9], v[8:9]
	s_mov_b64 s[20:21], exec
	s_or_saveexec_b64 s[22:23], s[22:23]
	v_mov_b32_e32 v3, v6
	s_xor_b64 exec, exec, s[22:23]
	s_cbranch_execz .LBB120_6
.LBB120_8:                              ;   in Loop: Header=BB120_4 Depth=1
	v_cmp_eq_u32_e32 vcc, v2, v6
	s_and_b64 s[34:35], s[4:5], vcc
	s_mov_b64 s[30:31], s[20:21]
                                        ; implicit-def: $vgpr8_vgpr9
	s_and_saveexec_b64 s[28:29], s[34:35]
	s_cbranch_execz .LBB120_10
; %bb.9:                                ;   in Loop: Header=BB120_4 Depth=1
	s_waitcnt vmcnt(0) lgkmcnt(0)
	flat_load_dwordx2 v[8:9], v[4:5]
	s_waitcnt vmcnt(0) lgkmcnt(0)
	v_div_scale_f64 v[12:13], s[30:31], v[8:9], v[8:9], 1.0
	v_rcp_f64_e32 v[14:15], v[12:13]
	v_div_scale_f64 v[16:17], vcc, 1.0, v[8:9], 1.0
	s_or_b64 s[30:31], s[20:21], exec
	v_fma_f64 v[18:19], -v[12:13], v[14:15], 1.0
	v_fmac_f64_e32 v[14:15], v[14:15], v[18:19]
	v_fma_f64 v[18:19], -v[12:13], v[14:15], 1.0
	v_fmac_f64_e32 v[14:15], v[14:15], v[18:19]
	v_mul_f64 v[18:19], v[16:17], v[14:15]
	v_fma_f64 v[12:13], -v[12:13], v[18:19], v[16:17]
	v_div_fmas_f64 v[12:13], v[12:13], v[14:15], v[18:19]
	v_div_fixup_f64 v[8:9], v[12:13], v[8:9], 1.0
.LBB120_10:                             ;   in Loop: Header=BB120_4 Depth=1
	s_or_b64 exec, exec, s[28:29]
	s_andn2_b64 s[20:21], s[20:21], exec
	s_and_b64 s[28:29], s[30:31], exec
	s_or_b64 s[20:21], s[20:21], s[28:29]
	v_mov_b32_e32 v3, v2
	s_or_b64 exec, exec, s[22:23]
	s_and_saveexec_b64 s[22:23], s[20:21]
	s_cbranch_execz .LBB120_3
.LBB120_11:                             ;   in Loop: Header=BB120_4 Depth=1
	s_load_dword s20, s[24:25], 0xc
	s_waitcnt lgkmcnt(0)
	s_and_b32 s20, s20, 0xffff
	v_mul_lo_u32 v3, v3, s20
	v_lshl_add_u32 v3, v3, 3, v11
	s_waitcnt vmcnt(0)
	ds_write_b64 v3, v[8:9]
	s_branch .LBB120_3
.LBB120_12:
	s_mov_b64 s[0:1], s[22:23]
	s_branch .LBB120_14
.LBB120_13:
	s_mov_b64 s[4:5], src_shared_base
	s_load_dword s4, s[24:25], 0xc
	s_mov_b32 s27, s5
	s_mov_b32 s21, 0
	s_waitcnt lgkmcnt(0)
	s_and_b32 s20, s4, 0xffff
	s_mov_b64 s[4:5], s[26:27]
.LBB120_14:
	s_mul_i32 s3, s3, s2
	v_add_u32_e32 v0, s3, v10
	v_mov_b32_e32 v1, 0
	v_cmp_gt_i64_e32 vcc, s[10:11], v[0:1]
	s_and_saveexec_b64 s[2:3], vcc
	s_cbranch_execz .LBB120_26
; %bb.15:
	v_mov_b32_e32 v3, v1
	v_cmp_gt_i64_e32 vcc, s[8:9], v[2:3]
	s_and_b64 exec, exec, vcc
	s_cbranch_execz .LBB120_26
; %bb.16:
	v_mad_u64_u32 v[4:5], s[10:11], s14, v2, 0
	s_lshl_b64 s[2:3], s[18:19], 3
	v_mov_b32_e32 v6, v5
	s_waitcnt lgkmcnt(0)
	s_add_u32 s2, s16, s2
	v_mad_u64_u32 v[6:7], s[10:11], s15, v2, v[6:7]
	s_addc_u32 s3, s17, s3
	v_mov_b32_e32 v5, v6
	v_lshl_add_u64 v[4:5], v[4:5], 3, s[2:3]
	v_lshl_add_u64 v[0:1], v[0:1], 3, v[4:5]
	flat_load_dwordx2 v[4:5], v[0:1]
	v_cmp_lt_u64_e64 s[10:11], s[8:9], 2
	s_add_u32 s2, s8, -1
	s_addc_u32 s3, s9, -1
	s_and_b64 vcc, exec, s[10:11]
	s_waitcnt vmcnt(0) lgkmcnt(0)
	v_mul_f64 v[4:5], s[12:13], v[4:5]
	s_cbranch_vccnz .LBB120_23
; %bb.17:
	s_add_u32 s8, s20, s0
	v_mad_u64_u32 v[6:7], s[8:9], s8, v2, 0
	s_addc_u32 s10, s21, s1
	v_mov_b32_e32 v8, v7
	v_mad_u64_u32 v[8:9], s[8:9], s10, v2, v[8:9]
	v_mov_b32_e32 v7, v8
	v_mad_u64_u32 v[8:9], s[10:11], s0, v2, 0
	;; [unrolled: 2-line block ×3, first 2 shown]
	v_mov_b32_e32 v9, v12
	v_lshl_add_u64 v[6:7], v[6:7], 3, s[4:5]
	s_mov_b32 s9, 0
	v_lshl_add_u32 v10, v10, 3, 0
	v_lshl_add_u64 v[8:9], v[8:9], 3, s[4:5]
	s_lshl_b32 s8, s20, 3
	s_mov_b64 s[10:11], 0
	s_branch .LBB120_19
.LBB120_18:                             ;   in Loop: Header=BB120_19 Depth=1
	s_or_b64 exec, exec, s[12:13]
	s_add_u32 s10, s10, 1
	s_addc_u32 s11, s11, 0
	s_cmp_eq_u64 s[2:3], s[10:11]
	v_lshl_add_u64 v[8:9], v[8:9], 0, s[8:9]
	s_cbranch_scc1 .LBB120_23
.LBB120_19:                             ; =>This Inner Loop Header: Depth=1
	v_cmp_eq_u64_e32 vcc, s[10:11], v[2:3]
	s_barrier
	s_and_saveexec_b64 s[12:13], vcc
	s_cbranch_execz .LBB120_21
; %bb.20:                               ;   in Loop: Header=BB120_19 Depth=1
	flat_load_dwordx2 v[12:13], v[6:7]
	s_waitcnt vmcnt(0) lgkmcnt(0)
	v_div_scale_f64 v[14:15], s[14:15], v[12:13], v[12:13], 1.0
	v_rcp_f64_e32 v[16:17], v[14:15]
	v_div_scale_f64 v[18:19], vcc, 1.0, v[12:13], 1.0
	v_fma_f64 v[20:21], -v[14:15], v[16:17], 1.0
	v_fmac_f64_e32 v[16:17], v[16:17], v[20:21]
	v_fma_f64 v[20:21], -v[14:15], v[16:17], 1.0
	v_fmac_f64_e32 v[16:17], v[16:17], v[20:21]
	v_mul_f64 v[20:21], v[18:19], v[16:17]
	v_fma_f64 v[14:15], -v[14:15], v[20:21], v[18:19]
	v_div_fmas_f64 v[14:15], v[14:15], v[16:17], v[20:21]
	v_div_fixup_f64 v[14:15], v[14:15], v[12:13], 1.0
	v_cndmask_b32_e64 v13, v15, v13, s[6:7]
	v_cndmask_b32_e64 v12, v14, v12, s[6:7]
	v_mul_f64 v[4:5], v[4:5], v[12:13]
	ds_write_b64 v10, v[4:5]
.LBB120_21:                             ;   in Loop: Header=BB120_19 Depth=1
	s_or_b64 exec, exec, s[12:13]
	v_cmp_lt_u64_e32 vcc, s[10:11], v[2:3]
	s_waitcnt lgkmcnt(0)
	s_barrier
	s_and_saveexec_b64 s[12:13], vcc
	s_cbranch_execz .LBB120_18
; %bb.22:                               ;   in Loop: Header=BB120_19 Depth=1
	flat_load_dwordx2 v[12:13], v[8:9]
	ds_read_b64 v[14:15], v10
	s_waitcnt vmcnt(0) lgkmcnt(0)
	v_fma_f64 v[4:5], -v[12:13], v[14:15], v[4:5]
	s_branch .LBB120_18
.LBB120_23:
	v_cmp_eq_u64_e32 vcc, s[2:3], v[2:3]
	s_and_saveexec_b64 s[2:3], vcc
	s_cbranch_execz .LBB120_25
; %bb.24:
	s_add_u32 s0, s20, s0
	s_addc_u32 s8, s21, s1
	v_mad_u64_u32 v[6:7], s[0:1], s0, v2, 0
	v_mov_b32_e32 v8, v7
	v_mad_u64_u32 v[2:3], s[0:1], s8, v2, v[8:9]
	v_mov_b32_e32 v7, v2
	v_lshl_add_u64 v[2:3], v[6:7], 3, s[4:5]
	flat_load_dwordx2 v[2:3], v[2:3]
	s_waitcnt vmcnt(0) lgkmcnt(0)
	v_div_scale_f64 v[6:7], s[0:1], v[2:3], v[2:3], 1.0
	v_rcp_f64_e32 v[8:9], v[6:7]
	v_div_scale_f64 v[10:11], vcc, 1.0, v[2:3], 1.0
	v_fma_f64 v[12:13], -v[6:7], v[8:9], 1.0
	v_fmac_f64_e32 v[8:9], v[8:9], v[12:13]
	v_fma_f64 v[12:13], -v[6:7], v[8:9], 1.0
	v_fmac_f64_e32 v[8:9], v[8:9], v[12:13]
	v_mul_f64 v[12:13], v[10:11], v[8:9]
	v_fma_f64 v[6:7], -v[6:7], v[12:13], v[10:11]
	v_div_fmas_f64 v[6:7], v[6:7], v[8:9], v[12:13]
	v_div_fixup_f64 v[6:7], v[6:7], v[2:3], 1.0
	v_cndmask_b32_e64 v3, v7, v3, s[6:7]
	v_cndmask_b32_e64 v2, v6, v2, s[6:7]
	v_mul_f64 v[4:5], v[4:5], v[2:3]
.LBB120_25:
	s_or_b64 exec, exec, s[2:3]
	flat_store_dwordx2 v[0:1], v[4:5]
.LBB120_26:
	s_endpgm
	.section	.rodata,"a",@progbits
	.p2align	6, 0x0
	.amdhsa_kernel _ZL39rocblas_trsm_block_forward_substitutionIddPKPKdPKPdLb1ELb1ELb0EEv18rocblas_operation_llT0_T1_lllT2_lllib
		.amdhsa_group_segment_fixed_size 0
		.amdhsa_private_segment_fixed_size 0
		.amdhsa_kernarg_size 360
		.amdhsa_user_sgpr_count 2
		.amdhsa_user_sgpr_dispatch_ptr 0
		.amdhsa_user_sgpr_queue_ptr 0
		.amdhsa_user_sgpr_kernarg_segment_ptr 1
		.amdhsa_user_sgpr_dispatch_id 0
		.amdhsa_user_sgpr_kernarg_preload_length 0
		.amdhsa_user_sgpr_kernarg_preload_offset 0
		.amdhsa_user_sgpr_private_segment_size 0
		.amdhsa_uses_dynamic_stack 0
		.amdhsa_enable_private_segment 0
		.amdhsa_system_sgpr_workgroup_id_x 1
		.amdhsa_system_sgpr_workgroup_id_y 1
		.amdhsa_system_sgpr_workgroup_id_z 1
		.amdhsa_system_sgpr_workgroup_info 0
		.amdhsa_system_vgpr_workitem_id 1
		.amdhsa_next_free_vgpr 22
		.amdhsa_next_free_sgpr 36
		.amdhsa_accum_offset 24
		.amdhsa_reserve_vcc 1
		.amdhsa_float_round_mode_32 0
		.amdhsa_float_round_mode_16_64 0
		.amdhsa_float_denorm_mode_32 3
		.amdhsa_float_denorm_mode_16_64 3
		.amdhsa_dx10_clamp 1
		.amdhsa_ieee_mode 1
		.amdhsa_fp16_overflow 0
		.amdhsa_tg_split 0
		.amdhsa_exception_fp_ieee_invalid_op 0
		.amdhsa_exception_fp_denorm_src 0
		.amdhsa_exception_fp_ieee_div_zero 0
		.amdhsa_exception_fp_ieee_overflow 0
		.amdhsa_exception_fp_ieee_underflow 0
		.amdhsa_exception_fp_ieee_inexact 0
		.amdhsa_exception_int_div_zero 0
	.end_amdhsa_kernel
	.section	.text._ZL39rocblas_trsm_block_forward_substitutionIddPKPKdPKPdLb1ELb1ELb0EEv18rocblas_operation_llT0_T1_lllT2_lllib,"axG",@progbits,_ZL39rocblas_trsm_block_forward_substitutionIddPKPKdPKPdLb1ELb1ELb0EEv18rocblas_operation_llT0_T1_lllT2_lllib,comdat
.Lfunc_end120:
	.size	_ZL39rocblas_trsm_block_forward_substitutionIddPKPKdPKPdLb1ELb1ELb0EEv18rocblas_operation_llT0_T1_lllT2_lllib, .Lfunc_end120-_ZL39rocblas_trsm_block_forward_substitutionIddPKPKdPKPdLb1ELb1ELb0EEv18rocblas_operation_llT0_T1_lllT2_lllib
                                        ; -- End function
	.set _ZL39rocblas_trsm_block_forward_substitutionIddPKPKdPKPdLb1ELb1ELb0EEv18rocblas_operation_llT0_T1_lllT2_lllib.num_vgpr, 22
	.set _ZL39rocblas_trsm_block_forward_substitutionIddPKPKdPKPdLb1ELb1ELb0EEv18rocblas_operation_llT0_T1_lllT2_lllib.num_agpr, 0
	.set _ZL39rocblas_trsm_block_forward_substitutionIddPKPKdPKPdLb1ELb1ELb0EEv18rocblas_operation_llT0_T1_lllT2_lllib.numbered_sgpr, 36
	.set _ZL39rocblas_trsm_block_forward_substitutionIddPKPKdPKPdLb1ELb1ELb0EEv18rocblas_operation_llT0_T1_lllT2_lllib.num_named_barrier, 0
	.set _ZL39rocblas_trsm_block_forward_substitutionIddPKPKdPKPdLb1ELb1ELb0EEv18rocblas_operation_llT0_T1_lllT2_lllib.private_seg_size, 0
	.set _ZL39rocblas_trsm_block_forward_substitutionIddPKPKdPKPdLb1ELb1ELb0EEv18rocblas_operation_llT0_T1_lllT2_lllib.uses_vcc, 1
	.set _ZL39rocblas_trsm_block_forward_substitutionIddPKPKdPKPdLb1ELb1ELb0EEv18rocblas_operation_llT0_T1_lllT2_lllib.uses_flat_scratch, 0
	.set _ZL39rocblas_trsm_block_forward_substitutionIddPKPKdPKPdLb1ELb1ELb0EEv18rocblas_operation_llT0_T1_lllT2_lllib.has_dyn_sized_stack, 0
	.set _ZL39rocblas_trsm_block_forward_substitutionIddPKPKdPKPdLb1ELb1ELb0EEv18rocblas_operation_llT0_T1_lllT2_lllib.has_recursion, 0
	.set _ZL39rocblas_trsm_block_forward_substitutionIddPKPKdPKPdLb1ELb1ELb0EEv18rocblas_operation_llT0_T1_lllT2_lllib.has_indirect_call, 0
	.section	.AMDGPU.csdata,"",@progbits
; Kernel info:
; codeLenInByte = 1276
; TotalNumSgprs: 42
; NumVgprs: 22
; NumAgprs: 0
; TotalNumVgprs: 22
; ScratchSize: 0
; MemoryBound: 1
; FloatMode: 240
; IeeeMode: 1
; LDSByteSize: 0 bytes/workgroup (compile time only)
; SGPRBlocks: 5
; VGPRBlocks: 2
; NumSGPRsForWavesPerEU: 42
; NumVGPRsForWavesPerEU: 22
; AccumOffset: 24
; Occupancy: 8
; WaveLimiterHint : 1
; COMPUTE_PGM_RSRC2:SCRATCH_EN: 0
; COMPUTE_PGM_RSRC2:USER_SGPR: 2
; COMPUTE_PGM_RSRC2:TRAP_HANDLER: 0
; COMPUTE_PGM_RSRC2:TGID_X_EN: 1
; COMPUTE_PGM_RSRC2:TGID_Y_EN: 1
; COMPUTE_PGM_RSRC2:TGID_Z_EN: 1
; COMPUTE_PGM_RSRC2:TIDIG_COMP_CNT: 1
; COMPUTE_PGM_RSRC3_GFX90A:ACCUM_OFFSET: 5
; COMPUTE_PGM_RSRC3_GFX90A:TG_SPLIT: 0
	.section	.text._ZL40rocblas_trsm_block_backward_substitutionIddPKPKdPKPdLb1ELb1ELb0EEv18rocblas_operation_llT0_T1_lllT2_lllib,"axG",@progbits,_ZL40rocblas_trsm_block_backward_substitutionIddPKPKdPKPdLb1ELb1ELb0EEv18rocblas_operation_llT0_T1_lllT2_lllib,comdat
	.globl	_ZL40rocblas_trsm_block_backward_substitutionIddPKPKdPKPdLb1ELb1ELb0EEv18rocblas_operation_llT0_T1_lllT2_lllib ; -- Begin function _ZL40rocblas_trsm_block_backward_substitutionIddPKPKdPKPdLb1ELb1ELb0EEv18rocblas_operation_llT0_T1_lllT2_lllib
	.p2align	8
	.type	_ZL40rocblas_trsm_block_backward_substitutionIddPKPKdPKPdLb1ELb1ELb0EEv18rocblas_operation_llT0_T1_lllT2_lllib,@function
_ZL40rocblas_trsm_block_backward_substitutionIddPKPKdPKPdLb1ELb1ELb0EEv18rocblas_operation_llT0_T1_lllT2_lllib: ; @_ZL40rocblas_trsm_block_backward_substitutionIddPKPKdPKPdLb1ELb1ELb0EEv18rocblas_operation_llT0_T1_lllT2_lllib
; %bb.0:
	s_load_dword s28, s[0:1], 0x64
	s_load_dwordx8 s[8:15], s[0:1], 0x8
	s_load_dwordx4 s[16:19], s[0:1], 0x28
	s_load_dword s2, s[0:1], 0x74
	s_mov_b32 s5, 0
	s_waitcnt lgkmcnt(0)
	s_bitcmp1_b32 s28, 0
	s_cselect_b64 s[6:7], -1, 0
	s_lshl_b64 s[4:5], s[4:5], 3
	s_add_u32 s24, s14, s4
	s_addc_u32 s25, s15, s5
	s_load_dwordx2 s[26:27], s[24:25], 0x0
	s_load_dwordx4 s[20:23], s[0:1], 0x40
	s_load_dwordx2 s[14:15], s[0:1], 0x50
	s_lshl_b64 s[16:17], s[16:17], 3
	v_and_b32_e32 v2, 0x3ff, v0
	s_waitcnt lgkmcnt(0)
	s_add_u32 s24, s26, s16
	s_addc_u32 s25, s27, s17
	s_add_u32 s4, s20, s4
	s_addc_u32 s5, s21, s5
	s_load_dwordx2 s[16:17], s[4:5], 0x0
	s_add_u32 s20, s0, 0x68
	s_addc_u32 s21, s1, 0
	s_lshr_b32 s2, s2, 16
	s_bitcmp0_b32 s28, 0
	v_bfe_u32 v10, v0, 10, 10
	s_cbranch_scc1 .LBB121_15
; %bb.1:
	s_lshl_b32 s0, s2, 3
	s_add_i32 s26, s0, 0
	v_cmp_lt_i64_e64 s[0:1], s[8:9], 1
	s_and_b64 vcc, exec, s[0:1]
	s_cbranch_vccnz .LBB121_14
; %bb.2:
	v_mad_u64_u32 v[4:5], s[0:1], s18, v2, 0
	v_mov_b32_e32 v3, 0
	v_mov_b32_e32 v6, v5
	v_lshlrev_b32_e32 v0, 3, v2
	v_mov_b32_e32 v1, v3
	v_mad_u64_u32 v[6:7], s[0:1], s19, v2, v[6:7]
	v_add_u32_e32 v11, s26, v0
	v_cmp_le_u64_e64 s[28:29], s[8:9], v[2:3]
	v_lshl_add_u64 v[0:1], s[24:25], 0, v[0:1]
	v_mov_b32_e32 v5, v6
	v_cmp_gt_u64_e64 s[4:5], s[8:9], v[2:3]
	v_lshl_add_u64 v[4:5], v[4:5], 3, v[0:1]
	s_xor_b64 s[24:25], s[28:29], -1
	s_mov_b32 s27, s2
	v_mov_b32_e32 v6, v10
	s_branch .LBB121_4
.LBB121_3:                              ;   in Loop: Header=BB121_4 Depth=1
	s_or_b64 exec, exec, s[30:31]
	s_ashr_i32 s0, s27, 31
	s_waitcnt vmcnt(0) lgkmcnt(0)
	v_mov_b32_e32 v8, s27
	v_mov_b32_e32 v9, s0
	v_cmp_le_i64_e32 vcc, s[8:9], v[8:9]
	v_add_u32_e32 v6, s2, v6
	s_add_i32 s27, s27, s2
	s_cbranch_vccnz .LBB121_14
.LBB121_4:                              ; =>This Inner Loop Header: Depth=1
	s_mov_b64 s[0:1], 0
	s_mov_b64 s[34:35], s[28:29]
                                        ; implicit-def: $vgpr8_vgpr9
	s_and_saveexec_b64 s[30:31], s[4:5]
	s_cbranch_execnz .LBB121_7
; %bb.5:                                ;   in Loop: Header=BB121_4 Depth=1
	s_or_b64 exec, exec, s[30:31]
	v_mov_b32_e32 v3, v6
	s_and_saveexec_b64 s[30:31], s[34:35]
	s_cbranch_execnz .LBB121_10
.LBB121_6:                              ;   in Loop: Header=BB121_4 Depth=1
	s_or_b64 exec, exec, s[30:31]
	s_and_saveexec_b64 s[30:31], s[0:1]
	s_cbranch_execz .LBB121_3
	s_branch .LBB121_13
.LBB121_7:                              ;   in Loop: Header=BB121_4 Depth=1
	v_ashrrev_i32_e32 v7, 31, v6
	v_cmp_gt_i64_e32 vcc, s[8:9], v[6:7]
	v_cmp_lt_i32_e64 s[0:1], v2, v6
	s_and_b64 s[38:39], s[0:1], vcc
	s_mov_b64 s[34:35], -1
	s_mov_b64 s[0:1], 0
                                        ; implicit-def: $vgpr8_vgpr9
	s_and_saveexec_b64 s[36:37], s[38:39]
	s_cbranch_execz .LBB121_9
; %bb.8:                                ;   in Loop: Header=BB121_4 Depth=1
	v_mul_lo_u32 v3, s19, v6
	v_mul_lo_u32 v7, s18, v7
	v_mad_u64_u32 v[8:9], s[34:35], s18, v6, 0
	v_add3_u32 v9, v9, v7, v3
	v_lshl_add_u64 v[8:9], v[8:9], 3, v[0:1]
	flat_load_dwordx2 v[8:9], v[8:9]
	s_mov_b64 s[0:1], exec
	s_xor_b64 s[34:35], exec, -1
.LBB121_9:                              ;   in Loop: Header=BB121_4 Depth=1
	s_or_b64 exec, exec, s[36:37]
	s_andn2_b64 s[36:37], s[28:29], exec
	s_and_b64 s[34:35], s[34:35], exec
	s_and_b64 s[0:1], s[0:1], exec
	s_or_b64 s[34:35], s[36:37], s[34:35]
	s_or_b64 exec, exec, s[30:31]
	v_mov_b32_e32 v3, v6
	s_and_saveexec_b64 s[30:31], s[34:35]
	s_cbranch_execz .LBB121_6
.LBB121_10:                             ;   in Loop: Header=BB121_4 Depth=1
	v_cmp_eq_u32_e32 vcc, v2, v6
	s_and_b64 s[38:39], s[24:25], vcc
	s_mov_b64 s[36:37], s[0:1]
                                        ; implicit-def: $vgpr8_vgpr9
	s_and_saveexec_b64 s[34:35], s[38:39]
	s_cbranch_execz .LBB121_12
; %bb.11:                               ;   in Loop: Header=BB121_4 Depth=1
	s_waitcnt vmcnt(0) lgkmcnt(0)
	flat_load_dwordx2 v[8:9], v[4:5]
	s_waitcnt vmcnt(0) lgkmcnt(0)
	v_div_scale_f64 v[12:13], s[36:37], v[8:9], v[8:9], 1.0
	v_rcp_f64_e32 v[14:15], v[12:13]
	v_div_scale_f64 v[16:17], vcc, 1.0, v[8:9], 1.0
	s_or_b64 s[36:37], s[0:1], exec
	v_fma_f64 v[18:19], -v[12:13], v[14:15], 1.0
	v_fmac_f64_e32 v[14:15], v[14:15], v[18:19]
	v_fma_f64 v[18:19], -v[12:13], v[14:15], 1.0
	v_fmac_f64_e32 v[14:15], v[14:15], v[18:19]
	v_mul_f64 v[18:19], v[16:17], v[14:15]
	v_fma_f64 v[12:13], -v[12:13], v[18:19], v[16:17]
	v_div_fmas_f64 v[12:13], v[12:13], v[14:15], v[18:19]
	v_div_fixup_f64 v[8:9], v[12:13], v[8:9], 1.0
.LBB121_12:                             ;   in Loop: Header=BB121_4 Depth=1
	s_or_b64 exec, exec, s[34:35]
	s_andn2_b64 s[0:1], s[0:1], exec
	s_and_b64 s[34:35], s[36:37], exec
	s_or_b64 s[0:1], s[0:1], s[34:35]
	v_mov_b32_e32 v3, v2
	s_or_b64 exec, exec, s[30:31]
	s_and_saveexec_b64 s[30:31], s[0:1]
	s_cbranch_execz .LBB121_3
.LBB121_13:                             ;   in Loop: Header=BB121_4 Depth=1
	s_load_dword s0, s[20:21], 0xc
	s_waitcnt lgkmcnt(0)
	s_and_b32 s0, s0, 0xffff
	v_mul_lo_u32 v3, v3, s0
	v_lshl_add_u32 v3, v3, 3, v11
	s_waitcnt vmcnt(0)
	ds_write_b64 v3, v[8:9]
	s_branch .LBB121_3
.LBB121_14:
	s_mov_b64 s[0:1], src_shared_base
	s_load_dword s0, s[20:21], 0xc
	s_mov_b32 s27, s1
	s_mov_b32 s19, 0
	s_mov_b64 s[24:25], s[26:27]
	s_waitcnt lgkmcnt(0)
	s_and_b32 s18, s0, 0xffff
.LBB121_15:
	s_mul_i32 s3, s3, s2
	v_add_u32_e32 v0, s3, v10
	v_mov_b32_e32 v1, 0
	v_cmp_gt_i64_e32 vcc, s[10:11], v[0:1]
	s_and_saveexec_b64 s[0:1], vcc
	s_cbranch_execz .LBB121_28
; %bb.16:
	v_mov_b32_e32 v3, v1
	v_cmp_gt_i64_e32 vcc, s[8:9], v[2:3]
	s_and_b64 exec, exec, vcc
	s_cbranch_execz .LBB121_28
; %bb.17:
	v_mad_u64_u32 v[4:5], s[2:3], s14, v0, 0
	s_lshl_b64 s[0:1], s[22:23], 3
	v_mov_b32_e32 v6, v5
	s_waitcnt lgkmcnt(0)
	s_add_u32 s0, s16, s0
	v_mad_u64_u32 v[0:1], s[2:3], s15, v0, v[6:7]
	s_addc_u32 s1, s17, s1
	v_mov_b32_e32 v5, v0
	v_lshl_add_u64 v[0:1], v[4:5], 3, s[0:1]
	v_lshlrev_b32_e32 v8, 3, v2
	v_mov_b32_e32 v9, 0
	v_lshl_add_u64 v[0:1], v[0:1], 0, v[8:9]
	flat_load_dwordx2 v[4:5], v[0:1]
	v_cmp_lt_u64_e64 s[0:1], s[8:9], 2
	s_and_b64 vcc, exec, s[0:1]
	s_waitcnt vmcnt(0) lgkmcnt(0)
	v_mul_f64 v[4:5], s[12:13], v[4:5]
	s_cbranch_vccnz .LBB121_25
; %bb.18:
	v_mad_u64_u32 v[6:7], s[0:1], v2, s18, v[2:3]
	v_mov_b32_e32 v12, v7
	v_mad_u64_u32 v[12:13], s[0:1], v2, s19, v[12:13]
	s_add_u32 s0, s8, -1
	s_addc_u32 s1, s9, -1
	s_mul_i32 s2, s18, s1
	s_mul_hi_u32 s3, s18, s0
	s_add_i32 s2, s3, s2
	s_mul_i32 s3, s19, s0
	s_add_i32 s3, s2, s3
	s_mul_i32 s2, s18, s0
	s_lshl_b64 s[2:3], s[2:3], 3
	s_add_u32 s2, s24, s2
	s_addc_u32 s3, s25, s3
	v_lshl_add_u64 v[8:9], s[2:3], 0, v[8:9]
	s_lshl_b64 s[2:3], s[18:19], 3
	v_mov_b32_e32 v7, v12
	s_sub_u32 s2, 0, s2
	v_lshl_add_u64 v[6:7], v[6:7], 3, s[24:25]
	v_lshl_add_u32 v10, v10, 3, 0
	s_subb_u32 s3, 0, s3
.LBB121_19:                             ; =>This Inner Loop Header: Depth=1
	v_cmp_eq_u64_e32 vcc, s[0:1], v[2:3]
	s_barrier
	s_and_saveexec_b64 s[4:5], vcc
	s_cbranch_execz .LBB121_21
; %bb.20:                               ;   in Loop: Header=BB121_19 Depth=1
	flat_load_dwordx2 v[12:13], v[6:7]
	s_waitcnt vmcnt(0) lgkmcnt(0)
	v_div_scale_f64 v[14:15], s[8:9], v[12:13], v[12:13], 1.0
	v_rcp_f64_e32 v[16:17], v[14:15]
	v_div_scale_f64 v[18:19], vcc, 1.0, v[12:13], 1.0
	v_fma_f64 v[20:21], -v[14:15], v[16:17], 1.0
	v_fmac_f64_e32 v[16:17], v[16:17], v[20:21]
	v_fma_f64 v[20:21], -v[14:15], v[16:17], 1.0
	v_fmac_f64_e32 v[16:17], v[16:17], v[20:21]
	v_mul_f64 v[20:21], v[18:19], v[16:17]
	v_fma_f64 v[14:15], -v[14:15], v[20:21], v[18:19]
	v_div_fmas_f64 v[14:15], v[14:15], v[16:17], v[20:21]
	v_div_fixup_f64 v[14:15], v[14:15], v[12:13], 1.0
	v_cndmask_b32_e64 v13, v15, v13, s[6:7]
	v_cndmask_b32_e64 v12, v14, v12, s[6:7]
	v_mul_f64 v[4:5], v[4:5], v[12:13]
	ds_write_b64 v10, v[4:5]
.LBB121_21:                             ;   in Loop: Header=BB121_19 Depth=1
	s_or_b64 exec, exec, s[4:5]
	v_cmp_gt_i64_e32 vcc, s[0:1], v[2:3]
	s_waitcnt lgkmcnt(0)
	s_barrier
	s_and_saveexec_b64 s[4:5], vcc
	s_cbranch_execz .LBB121_23
; %bb.22:                               ;   in Loop: Header=BB121_19 Depth=1
	flat_load_dwordx2 v[12:13], v[8:9]
	ds_read_b64 v[14:15], v10
	s_waitcnt vmcnt(0) lgkmcnt(0)
	v_fma_f64 v[4:5], -v[12:13], v[14:15], v[4:5]
.LBB121_23:                             ;   in Loop: Header=BB121_19 Depth=1
	s_or_b64 exec, exec, s[4:5]
	s_add_u32 s4, s0, -1
	s_addc_u32 s5, s1, -1
	s_add_u32 s0, s0, 1
	s_addc_u32 s1, s1, 0
	v_cmp_lt_u64_e64 s[0:1], s[0:1], 3
	v_lshl_add_u64 v[8:9], v[8:9], 0, s[2:3]
	s_and_b64 vcc, exec, s[0:1]
	s_cbranch_vccnz .LBB121_25
; %bb.24:                               ;   in Loop: Header=BB121_19 Depth=1
	s_mov_b64 s[0:1], s[4:5]
	s_branch .LBB121_19
.LBB121_25:
	v_cmp_eq_u32_e32 vcc, 0, v2
	s_and_saveexec_b64 s[0:1], vcc
	s_cbranch_execz .LBB121_27
; %bb.26:
	v_mad_u64_u32 v[6:7], s[2:3], v2, s18, v[2:3]
	v_mov_b32_e32 v8, v7
	v_mad_u64_u32 v[2:3], s[2:3], v2, s19, v[8:9]
	v_mov_b32_e32 v7, v2
	v_lshl_add_u64 v[2:3], v[6:7], 3, s[24:25]
	flat_load_dwordx2 v[2:3], v[2:3]
	s_waitcnt vmcnt(0) lgkmcnt(0)
	v_div_scale_f64 v[6:7], s[2:3], v[2:3], v[2:3], 1.0
	v_rcp_f64_e32 v[8:9], v[6:7]
	v_div_scale_f64 v[10:11], vcc, 1.0, v[2:3], 1.0
	v_fma_f64 v[12:13], -v[6:7], v[8:9], 1.0
	v_fmac_f64_e32 v[8:9], v[8:9], v[12:13]
	v_fma_f64 v[12:13], -v[6:7], v[8:9], 1.0
	v_fmac_f64_e32 v[8:9], v[8:9], v[12:13]
	v_mul_f64 v[12:13], v[10:11], v[8:9]
	v_fma_f64 v[6:7], -v[6:7], v[12:13], v[10:11]
	v_div_fmas_f64 v[6:7], v[6:7], v[8:9], v[12:13]
	v_div_fixup_f64 v[6:7], v[6:7], v[2:3], 1.0
	v_cndmask_b32_e64 v3, v7, v3, s[6:7]
	v_cndmask_b32_e64 v2, v6, v2, s[6:7]
	v_mul_f64 v[4:5], v[4:5], v[2:3]
.LBB121_27:
	s_or_b64 exec, exec, s[0:1]
	flat_store_dwordx2 v[0:1], v[4:5]
.LBB121_28:
	s_endpgm
	.section	.rodata,"a",@progbits
	.p2align	6, 0x0
	.amdhsa_kernel _ZL40rocblas_trsm_block_backward_substitutionIddPKPKdPKPdLb1ELb1ELb0EEv18rocblas_operation_llT0_T1_lllT2_lllib
		.amdhsa_group_segment_fixed_size 0
		.amdhsa_private_segment_fixed_size 0
		.amdhsa_kernarg_size 360
		.amdhsa_user_sgpr_count 2
		.amdhsa_user_sgpr_dispatch_ptr 0
		.amdhsa_user_sgpr_queue_ptr 0
		.amdhsa_user_sgpr_kernarg_segment_ptr 1
		.amdhsa_user_sgpr_dispatch_id 0
		.amdhsa_user_sgpr_kernarg_preload_length 0
		.amdhsa_user_sgpr_kernarg_preload_offset 0
		.amdhsa_user_sgpr_private_segment_size 0
		.amdhsa_uses_dynamic_stack 0
		.amdhsa_enable_private_segment 0
		.amdhsa_system_sgpr_workgroup_id_x 1
		.amdhsa_system_sgpr_workgroup_id_y 1
		.amdhsa_system_sgpr_workgroup_id_z 1
		.amdhsa_system_sgpr_workgroup_info 0
		.amdhsa_system_vgpr_workitem_id 1
		.amdhsa_next_free_vgpr 22
		.amdhsa_next_free_sgpr 40
		.amdhsa_accum_offset 24
		.amdhsa_reserve_vcc 1
		.amdhsa_float_round_mode_32 0
		.amdhsa_float_round_mode_16_64 0
		.amdhsa_float_denorm_mode_32 3
		.amdhsa_float_denorm_mode_16_64 3
		.amdhsa_dx10_clamp 1
		.amdhsa_ieee_mode 1
		.amdhsa_fp16_overflow 0
		.amdhsa_tg_split 0
		.amdhsa_exception_fp_ieee_invalid_op 0
		.amdhsa_exception_fp_denorm_src 0
		.amdhsa_exception_fp_ieee_div_zero 0
		.amdhsa_exception_fp_ieee_overflow 0
		.amdhsa_exception_fp_ieee_underflow 0
		.amdhsa_exception_fp_ieee_inexact 0
		.amdhsa_exception_int_div_zero 0
	.end_amdhsa_kernel
	.section	.text._ZL40rocblas_trsm_block_backward_substitutionIddPKPKdPKPdLb1ELb1ELb0EEv18rocblas_operation_llT0_T1_lllT2_lllib,"axG",@progbits,_ZL40rocblas_trsm_block_backward_substitutionIddPKPKdPKPdLb1ELb1ELb0EEv18rocblas_operation_llT0_T1_lllT2_lllib,comdat
.Lfunc_end121:
	.size	_ZL40rocblas_trsm_block_backward_substitutionIddPKPKdPKPdLb1ELb1ELb0EEv18rocblas_operation_llT0_T1_lllT2_lllib, .Lfunc_end121-_ZL40rocblas_trsm_block_backward_substitutionIddPKPKdPKPdLb1ELb1ELb0EEv18rocblas_operation_llT0_T1_lllT2_lllib
                                        ; -- End function
	.set _ZL40rocblas_trsm_block_backward_substitutionIddPKPKdPKPdLb1ELb1ELb0EEv18rocblas_operation_llT0_T1_lllT2_lllib.num_vgpr, 22
	.set _ZL40rocblas_trsm_block_backward_substitutionIddPKPKdPKPdLb1ELb1ELb0EEv18rocblas_operation_llT0_T1_lllT2_lllib.num_agpr, 0
	.set _ZL40rocblas_trsm_block_backward_substitutionIddPKPKdPKPdLb1ELb1ELb0EEv18rocblas_operation_llT0_T1_lllT2_lllib.numbered_sgpr, 40
	.set _ZL40rocblas_trsm_block_backward_substitutionIddPKPKdPKPdLb1ELb1ELb0EEv18rocblas_operation_llT0_T1_lllT2_lllib.num_named_barrier, 0
	.set _ZL40rocblas_trsm_block_backward_substitutionIddPKPKdPKPdLb1ELb1ELb0EEv18rocblas_operation_llT0_T1_lllT2_lllib.private_seg_size, 0
	.set _ZL40rocblas_trsm_block_backward_substitutionIddPKPKdPKPdLb1ELb1ELb0EEv18rocblas_operation_llT0_T1_lllT2_lllib.uses_vcc, 1
	.set _ZL40rocblas_trsm_block_backward_substitutionIddPKPKdPKPdLb1ELb1ELb0EEv18rocblas_operation_llT0_T1_lllT2_lllib.uses_flat_scratch, 0
	.set _ZL40rocblas_trsm_block_backward_substitutionIddPKPKdPKPdLb1ELb1ELb0EEv18rocblas_operation_llT0_T1_lllT2_lllib.has_dyn_sized_stack, 0
	.set _ZL40rocblas_trsm_block_backward_substitutionIddPKPKdPKPdLb1ELb1ELb0EEv18rocblas_operation_llT0_T1_lllT2_lllib.has_recursion, 0
	.set _ZL40rocblas_trsm_block_backward_substitutionIddPKPKdPKPdLb1ELb1ELb0EEv18rocblas_operation_llT0_T1_lllT2_lllib.has_indirect_call, 0
	.section	.AMDGPU.csdata,"",@progbits
; Kernel info:
; codeLenInByte = 1372
; TotalNumSgprs: 46
; NumVgprs: 22
; NumAgprs: 0
; TotalNumVgprs: 22
; ScratchSize: 0
; MemoryBound: 1
; FloatMode: 240
; IeeeMode: 1
; LDSByteSize: 0 bytes/workgroup (compile time only)
; SGPRBlocks: 5
; VGPRBlocks: 2
; NumSGPRsForWavesPerEU: 46
; NumVGPRsForWavesPerEU: 22
; AccumOffset: 24
; Occupancy: 8
; WaveLimiterHint : 1
; COMPUTE_PGM_RSRC2:SCRATCH_EN: 0
; COMPUTE_PGM_RSRC2:USER_SGPR: 2
; COMPUTE_PGM_RSRC2:TRAP_HANDLER: 0
; COMPUTE_PGM_RSRC2:TGID_X_EN: 1
; COMPUTE_PGM_RSRC2:TGID_Y_EN: 1
; COMPUTE_PGM_RSRC2:TGID_Z_EN: 1
; COMPUTE_PGM_RSRC2:TIDIG_COMP_CNT: 1
; COMPUTE_PGM_RSRC3_GFX90A:ACCUM_OFFSET: 5
; COMPUTE_PGM_RSRC3_GFX90A:TG_SPLIT: 0
	.section	.text._ZL39rocblas_trsm_block_forward_substitutionIddPKPKdPKPdLb1ELb1ELb1EEv18rocblas_operation_llT0_T1_lllT2_lllib,"axG",@progbits,_ZL39rocblas_trsm_block_forward_substitutionIddPKPKdPKPdLb1ELb1ELb1EEv18rocblas_operation_llT0_T1_lllT2_lllib,comdat
	.globl	_ZL39rocblas_trsm_block_forward_substitutionIddPKPKdPKPdLb1ELb1ELb1EEv18rocblas_operation_llT0_T1_lllT2_lllib ; -- Begin function _ZL39rocblas_trsm_block_forward_substitutionIddPKPKdPKPdLb1ELb1ELb1EEv18rocblas_operation_llT0_T1_lllT2_lllib
	.p2align	8
	.type	_ZL39rocblas_trsm_block_forward_substitutionIddPKPKdPKPdLb1ELb1ELb1EEv18rocblas_operation_llT0_T1_lllT2_lllib,@function
_ZL39rocblas_trsm_block_forward_substitutionIddPKPKdPKPdLb1ELb1ELb1EEv18rocblas_operation_llT0_T1_lllT2_lllib: ; @_ZL39rocblas_trsm_block_forward_substitutionIddPKPKdPKPdLb1ELb1ELb1EEv18rocblas_operation_llT0_T1_lllT2_lllib
; %bb.0:
	s_load_dwordx8 s[8:15], s[0:1], 0x8
	s_load_dwordx4 s[16:19], s[0:1], 0x28
	s_mov_b32 s5, 0
	s_lshl_b64 s[22:23], s[4:5], 3
	v_and_b32_e32 v2, 0x3ff, v0
	s_waitcnt lgkmcnt(0)
	s_add_u32 s14, s14, s22
	s_addc_u32 s15, s15, s23
	s_load_dwordx2 s[20:21], s[14:15], 0x0
	s_load_dwordx4 s[4:7], s[0:1], 0x40
	s_lshl_b64 s[14:15], s[16:17], 3
	v_bfe_u32 v6, v0, 10, 10
	s_waitcnt lgkmcnt(0)
	s_add_u32 s20, s20, s14
	s_addc_u32 s21, s21, s15
	s_add_u32 s16, s4, s22
	s_addc_u32 s17, s5, s23
	s_load_dwordx2 s[14:15], s[16:17], 0x0
	s_load_dwordx2 s[4:5], s[0:1], 0x50
	s_load_dword s24, s[0:1], 0x64
	s_load_dword s2, s[0:1], 0x74
	s_add_u32 s22, s0, 0x68
	s_addc_u32 s23, s1, 0
	s_mov_b64 s[0:1], 1
	s_waitcnt lgkmcnt(0)
	s_lshr_b32 s2, s2, 16
	s_bitcmp0_b32 s24, 0
	s_cbranch_scc1 .LBB122_6
; %bb.1:
	s_lshl_b32 s0, s2, 3
	s_add_i32 s24, s0, 0
	v_cmp_lt_i64_e64 s[0:1], s[8:9], 1
	s_mov_b64 s[16:17], 1
	s_and_b64 vcc, exec, s[0:1]
	s_cbranch_vccnz .LBB122_7
; %bb.2:
	v_mad_u64_u32 v[0:1], s[26:27], s18, v2, 0
	v_mov_b32_e32 v4, v1
	v_mad_u64_u32 v[4:5], s[18:19], s19, v2, v[4:5]
	v_mov_b32_e32 v3, 0
	v_mov_b32_e32 v1, v4
	v_lshl_add_u32 v7, v2, 3, s24
	v_cmp_gt_u64_e64 s[0:1], s[8:9], v[2:3]
	v_lshl_add_u64 v[0:1], v[0:1], 3, s[20:21]
	s_mov_b32 s20, 0
	s_branch .LBB122_4
.LBB122_3:                              ;   in Loop: Header=BB122_4 Depth=1
	s_or_b64 exec, exec, s[18:19]
	s_add_i32 s20, s20, s2
	s_ashr_i32 s18, s20, 31
	v_mov_b32_e32 v4, s20
	v_mov_b32_e32 v5, s18
	v_cmp_le_i64_e32 vcc, s[8:9], v[4:5]
	s_cbranch_vccnz .LBB122_7
.LBB122_4:                              ; =>This Inner Loop Header: Depth=1
	v_add_u32_e32 v4, s20, v6
	v_cmp_gt_i32_e32 vcc, v2, v4
	s_and_b64 s[26:27], s[0:1], vcc
	s_and_saveexec_b64 s[18:19], s[26:27]
	s_cbranch_execz .LBB122_3
; %bb.5:                                ;   in Loop: Header=BB122_4 Depth=1
	v_ashrrev_i32_e32 v5, 31, v4
	v_lshl_add_u64 v[8:9], v[4:5], 3, v[0:1]
	flat_load_dwordx2 v[8:9], v[8:9]
	s_load_dword s21, s[22:23], 0xc
	s_waitcnt lgkmcnt(0)
	s_and_b32 s21, s21, 0xffff
	v_mul_lo_u32 v3, v4, s21
	v_lshl_add_u32 v3, v3, 3, v7
	s_waitcnt vmcnt(0)
	ds_write_b64 v3, v[8:9]
	s_branch .LBB122_3
.LBB122_6:
	s_mov_b64 s[16:17], s[18:19]
	s_branch .LBB122_8
.LBB122_7:
	s_mov_b64 s[0:1], src_shared_base
	s_load_dword s0, s[22:23], 0xc
	s_mov_b32 s25, s1
	s_mov_b64 s[20:21], s[24:25]
	s_waitcnt lgkmcnt(0)
	s_and_b32 s0, s0, 0xffff
.LBB122_8:
	s_mul_i32 s3, s3, s2
	v_add_u32_e32 v0, s3, v6
	v_mov_b32_e32 v1, 0
	v_cmp_gt_i64_e32 vcc, s[10:11], v[0:1]
	s_and_saveexec_b64 s[2:3], vcc
	s_cbranch_execz .LBB122_18
; %bb.9:
	v_mov_b32_e32 v3, v1
	v_cmp_gt_i64_e32 vcc, s[8:9], v[2:3]
	s_and_b64 exec, exec, vcc
	s_cbranch_execz .LBB122_18
; %bb.10:
	s_lshl_b64 s[2:3], s[6:7], 3
	v_mad_u64_u32 v[4:5], s[6:7], s4, v2, 0
	v_mov_b32_e32 v8, v5
	s_add_u32 s2, s14, s2
	v_mad_u64_u32 v[8:9], s[4:5], s5, v2, v[8:9]
	s_addc_u32 s3, s15, s3
	v_mov_b32_e32 v5, v8
	v_lshl_add_u64 v[4:5], v[4:5], 3, s[2:3]
	v_lshl_add_u64 v[0:1], v[0:1], 3, v[4:5]
	flat_load_dwordx2 v[4:5], v[0:1]
	v_cmp_lt_u64_e64 s[2:3], s[8:9], 2
	s_and_b64 vcc, exec, s[2:3]
	s_waitcnt vmcnt(0) lgkmcnt(0)
	v_mul_f64 v[4:5], s[12:13], v[4:5]
	s_cbranch_vccnz .LBB122_17
; %bb.11:
	v_lshl_add_u32 v8, v6, 3, 0
	v_mad_u64_u32 v[6:7], s[2:3], s16, v2, 0
	v_mov_b32_e32 v10, v7
	v_mad_u64_u32 v[10:11], s[2:3], s17, v2, v[10:11]
	v_mov_b32_e32 v7, v10
	s_add_u32 s2, s8, -1
	s_mov_b32 s1, 0
	v_lshl_add_u64 v[6:7], v[6:7], 3, s[20:21]
	s_addc_u32 s3, s9, -1
	s_lshl_b32 s0, s0, 3
	s_mov_b64 s[4:5], 0
	s_branch .LBB122_13
.LBB122_12:                             ;   in Loop: Header=BB122_13 Depth=1
	s_or_b64 exec, exec, s[6:7]
	s_add_u32 s4, s4, 1
	s_addc_u32 s5, s5, 0
	s_cmp_eq_u64 s[2:3], s[4:5]
	v_lshl_add_u64 v[6:7], v[6:7], 0, s[0:1]
	s_cbranch_scc1 .LBB122_17
.LBB122_13:                             ; =>This Inner Loop Header: Depth=1
	v_cmp_eq_u64_e32 vcc, s[4:5], v[2:3]
	s_barrier
	s_and_saveexec_b64 s[6:7], vcc
; %bb.14:                               ;   in Loop: Header=BB122_13 Depth=1
	ds_write_b64 v8, v[4:5]
; %bb.15:                               ;   in Loop: Header=BB122_13 Depth=1
	s_or_b64 exec, exec, s[6:7]
	v_cmp_lt_u64_e32 vcc, s[4:5], v[2:3]
	s_waitcnt lgkmcnt(0)
	s_barrier
	s_and_saveexec_b64 s[6:7], vcc
	s_cbranch_execz .LBB122_12
; %bb.16:                               ;   in Loop: Header=BB122_13 Depth=1
	flat_load_dwordx2 v[10:11], v[6:7]
	ds_read_b64 v[12:13], v8
	s_waitcnt vmcnt(0) lgkmcnt(0)
	v_fma_f64 v[4:5], -v[10:11], v[12:13], v[4:5]
	s_branch .LBB122_12
.LBB122_17:
	flat_store_dwordx2 v[0:1], v[4:5]
.LBB122_18:
	s_endpgm
	.section	.rodata,"a",@progbits
	.p2align	6, 0x0
	.amdhsa_kernel _ZL39rocblas_trsm_block_forward_substitutionIddPKPKdPKPdLb1ELb1ELb1EEv18rocblas_operation_llT0_T1_lllT2_lllib
		.amdhsa_group_segment_fixed_size 0
		.amdhsa_private_segment_fixed_size 0
		.amdhsa_kernarg_size 360
		.amdhsa_user_sgpr_count 2
		.amdhsa_user_sgpr_dispatch_ptr 0
		.amdhsa_user_sgpr_queue_ptr 0
		.amdhsa_user_sgpr_kernarg_segment_ptr 1
		.amdhsa_user_sgpr_dispatch_id 0
		.amdhsa_user_sgpr_kernarg_preload_length 0
		.amdhsa_user_sgpr_kernarg_preload_offset 0
		.amdhsa_user_sgpr_private_segment_size 0
		.amdhsa_uses_dynamic_stack 0
		.amdhsa_enable_private_segment 0
		.amdhsa_system_sgpr_workgroup_id_x 1
		.amdhsa_system_sgpr_workgroup_id_y 1
		.amdhsa_system_sgpr_workgroup_id_z 1
		.amdhsa_system_sgpr_workgroup_info 0
		.amdhsa_system_vgpr_workitem_id 1
		.amdhsa_next_free_vgpr 14
		.amdhsa_next_free_sgpr 28
		.amdhsa_accum_offset 16
		.amdhsa_reserve_vcc 1
		.amdhsa_float_round_mode_32 0
		.amdhsa_float_round_mode_16_64 0
		.amdhsa_float_denorm_mode_32 3
		.amdhsa_float_denorm_mode_16_64 3
		.amdhsa_dx10_clamp 1
		.amdhsa_ieee_mode 1
		.amdhsa_fp16_overflow 0
		.amdhsa_tg_split 0
		.amdhsa_exception_fp_ieee_invalid_op 0
		.amdhsa_exception_fp_denorm_src 0
		.amdhsa_exception_fp_ieee_div_zero 0
		.amdhsa_exception_fp_ieee_overflow 0
		.amdhsa_exception_fp_ieee_underflow 0
		.amdhsa_exception_fp_ieee_inexact 0
		.amdhsa_exception_int_div_zero 0
	.end_amdhsa_kernel
	.section	.text._ZL39rocblas_trsm_block_forward_substitutionIddPKPKdPKPdLb1ELb1ELb1EEv18rocblas_operation_llT0_T1_lllT2_lllib,"axG",@progbits,_ZL39rocblas_trsm_block_forward_substitutionIddPKPKdPKPdLb1ELb1ELb1EEv18rocblas_operation_llT0_T1_lllT2_lllib,comdat
.Lfunc_end122:
	.size	_ZL39rocblas_trsm_block_forward_substitutionIddPKPKdPKPdLb1ELb1ELb1EEv18rocblas_operation_llT0_T1_lllT2_lllib, .Lfunc_end122-_ZL39rocblas_trsm_block_forward_substitutionIddPKPKdPKPdLb1ELb1ELb1EEv18rocblas_operation_llT0_T1_lllT2_lllib
                                        ; -- End function
	.set _ZL39rocblas_trsm_block_forward_substitutionIddPKPKdPKPdLb1ELb1ELb1EEv18rocblas_operation_llT0_T1_lllT2_lllib.num_vgpr, 14
	.set _ZL39rocblas_trsm_block_forward_substitutionIddPKPKdPKPdLb1ELb1ELb1EEv18rocblas_operation_llT0_T1_lllT2_lllib.num_agpr, 0
	.set _ZL39rocblas_trsm_block_forward_substitutionIddPKPKdPKPdLb1ELb1ELb1EEv18rocblas_operation_llT0_T1_lllT2_lllib.numbered_sgpr, 28
	.set _ZL39rocblas_trsm_block_forward_substitutionIddPKPKdPKPdLb1ELb1ELb1EEv18rocblas_operation_llT0_T1_lllT2_lllib.num_named_barrier, 0
	.set _ZL39rocblas_trsm_block_forward_substitutionIddPKPKdPKPdLb1ELb1ELb1EEv18rocblas_operation_llT0_T1_lllT2_lllib.private_seg_size, 0
	.set _ZL39rocblas_trsm_block_forward_substitutionIddPKPKdPKPdLb1ELb1ELb1EEv18rocblas_operation_llT0_T1_lllT2_lllib.uses_vcc, 1
	.set _ZL39rocblas_trsm_block_forward_substitutionIddPKPKdPKPdLb1ELb1ELb1EEv18rocblas_operation_llT0_T1_lllT2_lllib.uses_flat_scratch, 0
	.set _ZL39rocblas_trsm_block_forward_substitutionIddPKPKdPKPdLb1ELb1ELb1EEv18rocblas_operation_llT0_T1_lllT2_lllib.has_dyn_sized_stack, 0
	.set _ZL39rocblas_trsm_block_forward_substitutionIddPKPKdPKPdLb1ELb1ELb1EEv18rocblas_operation_llT0_T1_lllT2_lllib.has_recursion, 0
	.set _ZL39rocblas_trsm_block_forward_substitutionIddPKPKdPKPdLb1ELb1ELb1EEv18rocblas_operation_llT0_T1_lllT2_lllib.has_indirect_call, 0
	.section	.AMDGPU.csdata,"",@progbits
; Kernel info:
; codeLenInByte = 712
; TotalNumSgprs: 34
; NumVgprs: 14
; NumAgprs: 0
; TotalNumVgprs: 14
; ScratchSize: 0
; MemoryBound: 0
; FloatMode: 240
; IeeeMode: 1
; LDSByteSize: 0 bytes/workgroup (compile time only)
; SGPRBlocks: 4
; VGPRBlocks: 1
; NumSGPRsForWavesPerEU: 34
; NumVGPRsForWavesPerEU: 14
; AccumOffset: 16
; Occupancy: 8
; WaveLimiterHint : 1
; COMPUTE_PGM_RSRC2:SCRATCH_EN: 0
; COMPUTE_PGM_RSRC2:USER_SGPR: 2
; COMPUTE_PGM_RSRC2:TRAP_HANDLER: 0
; COMPUTE_PGM_RSRC2:TGID_X_EN: 1
; COMPUTE_PGM_RSRC2:TGID_Y_EN: 1
; COMPUTE_PGM_RSRC2:TGID_Z_EN: 1
; COMPUTE_PGM_RSRC2:TIDIG_COMP_CNT: 1
; COMPUTE_PGM_RSRC3_GFX90A:ACCUM_OFFSET: 3
; COMPUTE_PGM_RSRC3_GFX90A:TG_SPLIT: 0
	.section	.text._ZL40rocblas_trsm_block_backward_substitutionIddPKPKdPKPdLb1ELb1ELb1EEv18rocblas_operation_llT0_T1_lllT2_lllib,"axG",@progbits,_ZL40rocblas_trsm_block_backward_substitutionIddPKPKdPKPdLb1ELb1ELb1EEv18rocblas_operation_llT0_T1_lllT2_lllib,comdat
	.globl	_ZL40rocblas_trsm_block_backward_substitutionIddPKPKdPKPdLb1ELb1ELb1EEv18rocblas_operation_llT0_T1_lllT2_lllib ; -- Begin function _ZL40rocblas_trsm_block_backward_substitutionIddPKPKdPKPdLb1ELb1ELb1EEv18rocblas_operation_llT0_T1_lllT2_lllib
	.p2align	8
	.type	_ZL40rocblas_trsm_block_backward_substitutionIddPKPKdPKPdLb1ELb1ELb1EEv18rocblas_operation_llT0_T1_lllT2_lllib,@function
_ZL40rocblas_trsm_block_backward_substitutionIddPKPKdPKPdLb1ELb1ELb1EEv18rocblas_operation_llT0_T1_lllT2_lllib: ; @_ZL40rocblas_trsm_block_backward_substitutionIddPKPKdPKPdLb1ELb1ELb1EEv18rocblas_operation_llT0_T1_lllT2_lllib
; %bb.0:
	s_load_dwordx8 s[8:15], s[0:1], 0x8
	s_load_dwordx4 s[16:19], s[0:1], 0x28
	s_mov_b32 s5, 0
	s_lshl_b64 s[22:23], s[4:5], 3
	v_and_b32_e32 v2, 0x3ff, v0
	s_waitcnt lgkmcnt(0)
	s_add_u32 s14, s14, s22
	s_addc_u32 s15, s15, s23
	s_load_dwordx2 s[20:21], s[14:15], 0x0
	s_load_dwordx4 s[4:7], s[0:1], 0x40
	s_lshl_b64 s[14:15], s[16:17], 3
	v_bfe_u32 v8, v0, 10, 10
	s_waitcnt lgkmcnt(0)
	s_add_u32 s20, s20, s14
	s_addc_u32 s21, s21, s15
	s_add_u32 s4, s4, s22
	s_addc_u32 s5, s5, s23
	s_load_dwordx2 s[14:15], s[0:1], 0x50
	s_load_dword s24, s[0:1], 0x64
	s_load_dword s2, s[0:1], 0x74
	s_load_dwordx2 s[16:17], s[4:5], 0x0
	s_add_u32 s22, s0, 0x68
	s_addc_u32 s23, s1, 0
	s_waitcnt lgkmcnt(0)
	s_lshr_b32 s2, s2, 16
	s_bitcmp0_b32 s24, 0
	s_cbranch_scc1 .LBB123_7
; %bb.1:
	s_lshl_b32 s0, s2, 3
	s_add_i32 s24, s0, 0
	v_cmp_lt_i64_e64 s[0:1], s[8:9], 1
	s_and_b64 vcc, exec, s[0:1]
	s_cbranch_vccnz .LBB123_6
; %bb.2:
	v_mov_b32_e32 v3, 0
	v_lshlrev_b32_e32 v0, 3, v2
	v_mov_b32_e32 v1, v3
	v_add_u32_e32 v6, s24, v0
	v_cmp_gt_u64_e64 s[0:1], s[8:9], v[2:3]
	v_lshl_add_u64 v[0:1], s[20:21], 0, v[0:1]
	s_mov_b32 s20, 0
	s_branch .LBB123_4
.LBB123_3:                              ;   in Loop: Header=BB123_4 Depth=1
	s_or_b64 exec, exec, s[4:5]
	s_add_i32 s20, s20, s2
	s_ashr_i32 s4, s20, 31
	v_mov_b32_e32 v4, s20
	v_mov_b32_e32 v5, s4
	v_cmp_le_i64_e32 vcc, s[8:9], v[4:5]
	s_cbranch_vccnz .LBB123_6
.LBB123_4:                              ; =>This Inner Loop Header: Depth=1
	v_add_u32_e32 v4, s20, v8
	v_ashrrev_i32_e32 v5, 31, v4
	v_cmp_gt_i64_e32 vcc, s[8:9], v[4:5]
	v_cmp_lt_i32_e64 s[4:5], v2, v4
	s_and_b64 s[4:5], s[4:5], vcc
	s_and_b64 s[26:27], s[0:1], s[4:5]
	s_and_saveexec_b64 s[4:5], s[26:27]
	s_cbranch_execz .LBB123_3
; %bb.5:                                ;   in Loop: Header=BB123_4 Depth=1
	v_mul_lo_u32 v3, s19, v4
	v_mul_lo_u32 v5, s18, v5
	v_mad_u64_u32 v[10:11], s[26:27], s18, v4, 0
	v_add3_u32 v11, v11, v5, v3
	v_lshl_add_u64 v[10:11], v[10:11], 3, v[0:1]
	flat_load_dwordx2 v[10:11], v[10:11]
	s_load_dword s21, s[22:23], 0xc
	s_waitcnt lgkmcnt(0)
	s_and_b32 s21, s21, 0xffff
	v_mul_lo_u32 v3, v4, s21
	v_lshl_add_u32 v3, v3, 3, v6
	s_waitcnt vmcnt(0)
	ds_write_b64 v3, v[10:11]
	s_branch .LBB123_3
.LBB123_6:
	s_mov_b64 s[0:1], src_shared_base
	s_load_dword s0, s[22:23], 0xc
	s_mov_b32 s25, s1
	s_mov_b32 s19, 0
	s_mov_b64 s[20:21], s[24:25]
	s_waitcnt lgkmcnt(0)
	s_and_b32 s18, s0, 0xffff
.LBB123_7:
	s_mul_i32 s3, s3, s2
	v_add_u32_e32 v0, s3, v8
	v_mov_b32_e32 v1, 0
	v_cmp_gt_i64_e32 vcc, s[10:11], v[0:1]
	s_and_saveexec_b64 s[0:1], vcc
	s_cbranch_execz .LBB123_18
; %bb.8:
	v_mov_b32_e32 v3, v1
	v_cmp_gt_i64_e32 vcc, s[8:9], v[2:3]
	s_and_b64 exec, exec, vcc
	s_cbranch_execz .LBB123_18
; %bb.9:
	v_mad_u64_u32 v[4:5], s[2:3], s14, v0, 0
	s_lshl_b64 s[0:1], s[6:7], 3
	v_mov_b32_e32 v6, v5
	s_add_u32 s0, s16, s0
	v_mad_u64_u32 v[0:1], s[2:3], s15, v0, v[6:7]
	s_addc_u32 s1, s17, s1
	v_mov_b32_e32 v5, v0
	v_lshl_add_u64 v[0:1], v[4:5], 3, s[0:1]
	v_lshlrev_b32_e32 v6, 3, v2
	v_mov_b32_e32 v7, 0
	v_lshl_add_u64 v[0:1], v[0:1], 0, v[6:7]
	flat_load_dwordx2 v[4:5], v[0:1]
	v_cmp_lt_u64_e64 s[0:1], s[8:9], 2
	s_and_b64 vcc, exec, s[0:1]
	s_waitcnt vmcnt(0) lgkmcnt(0)
	v_mul_f64 v[4:5], s[12:13], v[4:5]
	s_cbranch_vccnz .LBB123_17
; %bb.10:
	s_add_u32 s0, s8, -1
	s_addc_u32 s1, s9, -1
	s_mul_i32 s2, s18, s1
	s_mul_hi_u32 s3, s18, s0
	s_add_i32 s2, s3, s2
	s_mul_i32 s3, s19, s0
	s_add_i32 s3, s2, s3
	s_mul_i32 s2, s18, s0
	s_lshl_b64 s[2:3], s[2:3], 3
	s_add_u32 s2, s20, s2
	s_addc_u32 s3, s21, s3
	v_lshl_add_u64 v[6:7], s[2:3], 0, v[6:7]
	s_lshl_b64 s[2:3], s[18:19], 3
	s_sub_u32 s2, 0, s2
	v_lshl_add_u32 v8, v8, 3, 0
	s_subb_u32 s3, 0, s3
.LBB123_11:                             ; =>This Inner Loop Header: Depth=1
	v_cmp_eq_u64_e32 vcc, s[0:1], v[2:3]
	s_barrier
	s_and_saveexec_b64 s[4:5], vcc
; %bb.12:                               ;   in Loop: Header=BB123_11 Depth=1
	ds_write_b64 v8, v[4:5]
; %bb.13:                               ;   in Loop: Header=BB123_11 Depth=1
	s_or_b64 exec, exec, s[4:5]
	v_cmp_gt_i64_e32 vcc, s[0:1], v[2:3]
	s_waitcnt lgkmcnt(0)
	s_barrier
	s_and_saveexec_b64 s[4:5], vcc
	s_cbranch_execz .LBB123_15
; %bb.14:                               ;   in Loop: Header=BB123_11 Depth=1
	flat_load_dwordx2 v[10:11], v[6:7]
	ds_read_b64 v[12:13], v8
	s_waitcnt vmcnt(0) lgkmcnt(0)
	v_fma_f64 v[4:5], -v[10:11], v[12:13], v[4:5]
.LBB123_15:                             ;   in Loop: Header=BB123_11 Depth=1
	s_or_b64 exec, exec, s[4:5]
	s_add_u32 s4, s0, -1
	s_addc_u32 s5, s1, -1
	s_add_u32 s0, s0, 1
	s_addc_u32 s1, s1, 0
	v_cmp_lt_u64_e64 s[0:1], s[0:1], 3
	v_lshl_add_u64 v[6:7], v[6:7], 0, s[2:3]
	s_and_b64 vcc, exec, s[0:1]
	s_cbranch_vccnz .LBB123_17
; %bb.16:                               ;   in Loop: Header=BB123_11 Depth=1
	s_mov_b64 s[0:1], s[4:5]
	s_branch .LBB123_11
.LBB123_17:
	flat_store_dwordx2 v[0:1], v[4:5]
.LBB123_18:
	s_endpgm
	.section	.rodata,"a",@progbits
	.p2align	6, 0x0
	.amdhsa_kernel _ZL40rocblas_trsm_block_backward_substitutionIddPKPKdPKPdLb1ELb1ELb1EEv18rocblas_operation_llT0_T1_lllT2_lllib
		.amdhsa_group_segment_fixed_size 0
		.amdhsa_private_segment_fixed_size 0
		.amdhsa_kernarg_size 360
		.amdhsa_user_sgpr_count 2
		.amdhsa_user_sgpr_dispatch_ptr 0
		.amdhsa_user_sgpr_queue_ptr 0
		.amdhsa_user_sgpr_kernarg_segment_ptr 1
		.amdhsa_user_sgpr_dispatch_id 0
		.amdhsa_user_sgpr_kernarg_preload_length 0
		.amdhsa_user_sgpr_kernarg_preload_offset 0
		.amdhsa_user_sgpr_private_segment_size 0
		.amdhsa_uses_dynamic_stack 0
		.amdhsa_enable_private_segment 0
		.amdhsa_system_sgpr_workgroup_id_x 1
		.amdhsa_system_sgpr_workgroup_id_y 1
		.amdhsa_system_sgpr_workgroup_id_z 1
		.amdhsa_system_sgpr_workgroup_info 0
		.amdhsa_system_vgpr_workitem_id 1
		.amdhsa_next_free_vgpr 14
		.amdhsa_next_free_sgpr 28
		.amdhsa_accum_offset 16
		.amdhsa_reserve_vcc 1
		.amdhsa_float_round_mode_32 0
		.amdhsa_float_round_mode_16_64 0
		.amdhsa_float_denorm_mode_32 3
		.amdhsa_float_denorm_mode_16_64 3
		.amdhsa_dx10_clamp 1
		.amdhsa_ieee_mode 1
		.amdhsa_fp16_overflow 0
		.amdhsa_tg_split 0
		.amdhsa_exception_fp_ieee_invalid_op 0
		.amdhsa_exception_fp_denorm_src 0
		.amdhsa_exception_fp_ieee_div_zero 0
		.amdhsa_exception_fp_ieee_overflow 0
		.amdhsa_exception_fp_ieee_underflow 0
		.amdhsa_exception_fp_ieee_inexact 0
		.amdhsa_exception_int_div_zero 0
	.end_amdhsa_kernel
	.section	.text._ZL40rocblas_trsm_block_backward_substitutionIddPKPKdPKPdLb1ELb1ELb1EEv18rocblas_operation_llT0_T1_lllT2_lllib,"axG",@progbits,_ZL40rocblas_trsm_block_backward_substitutionIddPKPKdPKPdLb1ELb1ELb1EEv18rocblas_operation_llT0_T1_lllT2_lllib,comdat
.Lfunc_end123:
	.size	_ZL40rocblas_trsm_block_backward_substitutionIddPKPKdPKPdLb1ELb1ELb1EEv18rocblas_operation_llT0_T1_lllT2_lllib, .Lfunc_end123-_ZL40rocblas_trsm_block_backward_substitutionIddPKPKdPKPdLb1ELb1ELb1EEv18rocblas_operation_llT0_T1_lllT2_lllib
                                        ; -- End function
	.set _ZL40rocblas_trsm_block_backward_substitutionIddPKPKdPKPdLb1ELb1ELb1EEv18rocblas_operation_llT0_T1_lllT2_lllib.num_vgpr, 14
	.set _ZL40rocblas_trsm_block_backward_substitutionIddPKPKdPKPdLb1ELb1ELb1EEv18rocblas_operation_llT0_T1_lllT2_lllib.num_agpr, 0
	.set _ZL40rocblas_trsm_block_backward_substitutionIddPKPKdPKPdLb1ELb1ELb1EEv18rocblas_operation_llT0_T1_lllT2_lllib.numbered_sgpr, 28
	.set _ZL40rocblas_trsm_block_backward_substitutionIddPKPKdPKPdLb1ELb1ELb1EEv18rocblas_operation_llT0_T1_lllT2_lllib.num_named_barrier, 0
	.set _ZL40rocblas_trsm_block_backward_substitutionIddPKPKdPKPdLb1ELb1ELb1EEv18rocblas_operation_llT0_T1_lllT2_lllib.private_seg_size, 0
	.set _ZL40rocblas_trsm_block_backward_substitutionIddPKPKdPKPdLb1ELb1ELb1EEv18rocblas_operation_llT0_T1_lllT2_lllib.uses_vcc, 1
	.set _ZL40rocblas_trsm_block_backward_substitutionIddPKPKdPKPdLb1ELb1ELb1EEv18rocblas_operation_llT0_T1_lllT2_lllib.uses_flat_scratch, 0
	.set _ZL40rocblas_trsm_block_backward_substitutionIddPKPKdPKPdLb1ELb1ELb1EEv18rocblas_operation_llT0_T1_lllT2_lllib.has_dyn_sized_stack, 0
	.set _ZL40rocblas_trsm_block_backward_substitutionIddPKPKdPKPdLb1ELb1ELb1EEv18rocblas_operation_llT0_T1_lllT2_lllib.has_recursion, 0
	.set _ZL40rocblas_trsm_block_backward_substitutionIddPKPKdPKPdLb1ELb1ELb1EEv18rocblas_operation_llT0_T1_lllT2_lllib.has_indirect_call, 0
	.section	.AMDGPU.csdata,"",@progbits
; Kernel info:
; codeLenInByte = 760
; TotalNumSgprs: 34
; NumVgprs: 14
; NumAgprs: 0
; TotalNumVgprs: 14
; ScratchSize: 0
; MemoryBound: 0
; FloatMode: 240
; IeeeMode: 1
; LDSByteSize: 0 bytes/workgroup (compile time only)
; SGPRBlocks: 4
; VGPRBlocks: 1
; NumSGPRsForWavesPerEU: 34
; NumVGPRsForWavesPerEU: 14
; AccumOffset: 16
; Occupancy: 8
; WaveLimiterHint : 1
; COMPUTE_PGM_RSRC2:SCRATCH_EN: 0
; COMPUTE_PGM_RSRC2:USER_SGPR: 2
; COMPUTE_PGM_RSRC2:TRAP_HANDLER: 0
; COMPUTE_PGM_RSRC2:TGID_X_EN: 1
; COMPUTE_PGM_RSRC2:TGID_Y_EN: 1
; COMPUTE_PGM_RSRC2:TGID_Z_EN: 1
; COMPUTE_PGM_RSRC2:TIDIG_COMP_CNT: 1
; COMPUTE_PGM_RSRC3_GFX90A:ACCUM_OFFSET: 3
; COMPUTE_PGM_RSRC3_GFX90A:TG_SPLIT: 0
	.section	.text._ZL39rocblas_trsm_block_forward_substitutionIddPKPKdPKPdLb1ELb0ELb0EEv18rocblas_operation_llT0_T1_lllT2_lllib,"axG",@progbits,_ZL39rocblas_trsm_block_forward_substitutionIddPKPKdPKPdLb1ELb0ELb0EEv18rocblas_operation_llT0_T1_lllT2_lllib,comdat
	.globl	_ZL39rocblas_trsm_block_forward_substitutionIddPKPKdPKPdLb1ELb0ELb0EEv18rocblas_operation_llT0_T1_lllT2_lllib ; -- Begin function _ZL39rocblas_trsm_block_forward_substitutionIddPKPKdPKPdLb1ELb0ELb0EEv18rocblas_operation_llT0_T1_lllT2_lllib
	.p2align	8
	.type	_ZL39rocblas_trsm_block_forward_substitutionIddPKPKdPKPdLb1ELb0ELb0EEv18rocblas_operation_llT0_T1_lllT2_lllib,@function
_ZL39rocblas_trsm_block_forward_substitutionIddPKPKdPKPdLb1ELb0ELb0EEv18rocblas_operation_llT0_T1_lllT2_lllib: ; @_ZL39rocblas_trsm_block_forward_substitutionIddPKPKdPKPdLb1ELb0ELb0EEv18rocblas_operation_llT0_T1_lllT2_lllib
; %bb.0:
	s_load_dword s28, s[0:1], 0x64
	s_load_dwordx8 s[8:15], s[0:1], 0x8
	s_load_dwordx4 s[20:23], s[0:1], 0x28
	s_load_dword s2, s[0:1], 0x74
	s_mov_b32 s5, 0
	s_waitcnt lgkmcnt(0)
	s_bitcmp1_b32 s28, 0
	s_cselect_b64 s[6:7], -1, 0
	s_lshl_b64 s[24:25], s[4:5], 3
	s_add_u32 s4, s14, s24
	s_addc_u32 s5, s15, s25
	s_load_dwordx2 s[26:27], s[4:5], 0x0
	s_load_dwordx4 s[16:19], s[0:1], 0x40
	s_load_dwordx2 s[14:15], s[0:1], 0x50
	s_lshl_b64 s[4:5], s[20:21], 3
	v_and_b32_e32 v2, 0x3ff, v0
	s_waitcnt lgkmcnt(0)
	s_add_u32 s4, s26, s4
	s_addc_u32 s5, s27, s5
	s_add_u32 s16, s16, s24
	s_addc_u32 s17, s17, s25
	s_load_dwordx2 s[16:17], s[16:17], 0x0
	s_add_u32 s24, s0, 0x68
	s_addc_u32 s25, s1, 0
	s_lshr_b32 s2, s2, 16
	v_bfe_u32 v10, v0, 10, 10
	s_bitcmp0_b32 s28, 0
	s_mov_b64 s[20:21], 1
	s_cbranch_scc1 .LBB124_12
; %bb.1:
	s_lshl_b32 s0, s2, 3
	v_cmp_lt_i64_e64 s[20:21], s[8:9], 1
	s_add_i32 s26, s0, 0
	s_mov_b64 s[0:1], 1
	s_and_b64 vcc, exec, s[20:21]
	s_cbranch_vccnz .LBB124_13
; %bb.2:
	v_mad_u64_u32 v[0:1], s[20:21], s22, v2, 0
	v_mov_b32_e32 v6, v1
	v_mad_u64_u32 v[6:7], s[20:21], s23, v2, v[6:7]
	v_mov_b32_e32 v3, 0
	v_mov_b32_e32 v1, v6
	v_lshlrev_b32_e32 v4, 3, v2
	v_cmp_le_u64_e32 vcc, s[8:9], v[2:3]
	v_lshl_add_u64 v[0:1], v[0:1], 3, s[4:5]
	v_mov_b32_e32 v5, v3
	v_add_u32_e32 v11, s26, v4
	v_lshl_add_u64 v[4:5], v[0:1], 0, v[4:5]
	s_xor_b64 s[4:5], vcc, -1
	s_mov_b32 s27, s2
	v_mov_b32_e32 v6, v10
	s_branch .LBB124_4
.LBB124_3:                              ;   in Loop: Header=BB124_4 Depth=1
	s_or_b64 exec, exec, s[22:23]
	s_ashr_i32 s20, s27, 31
	s_waitcnt vmcnt(0) lgkmcnt(0)
	v_mov_b32_e32 v8, s27
	v_mov_b32_e32 v9, s20
	v_cmp_le_i64_e32 vcc, s[8:9], v[8:9]
	v_add_u32_e32 v6, s2, v6
	s_add_i32 s27, s27, s2
	s_cbranch_vccnz .LBB124_13
.LBB124_4:                              ; =>This Inner Loop Header: Depth=1
	v_cmp_gt_i32_e32 vcc, v2, v6
	s_and_b64 s[22:23], s[4:5], vcc
	s_mov_b64 s[20:21], 0
                                        ; implicit-def: $vgpr8_vgpr9
	s_and_saveexec_b64 s[28:29], s[22:23]
	s_xor_b64 s[22:23], exec, s[28:29]
	s_cbranch_execnz .LBB124_7
; %bb.5:                                ;   in Loop: Header=BB124_4 Depth=1
	s_or_saveexec_b64 s[22:23], s[22:23]
	v_mov_b32_e32 v3, v6
	s_xor_b64 exec, exec, s[22:23]
	s_cbranch_execnz .LBB124_8
.LBB124_6:                              ;   in Loop: Header=BB124_4 Depth=1
	s_or_b64 exec, exec, s[22:23]
	s_and_saveexec_b64 s[22:23], s[20:21]
	s_cbranch_execz .LBB124_3
	s_branch .LBB124_11
.LBB124_7:                              ;   in Loop: Header=BB124_4 Depth=1
	v_ashrrev_i32_e32 v7, 31, v6
	v_lshl_add_u64 v[8:9], v[6:7], 3, v[0:1]
	flat_load_dwordx2 v[8:9], v[8:9]
	s_mov_b64 s[20:21], exec
	s_or_saveexec_b64 s[22:23], s[22:23]
	v_mov_b32_e32 v3, v6
	s_xor_b64 exec, exec, s[22:23]
	s_cbranch_execz .LBB124_6
.LBB124_8:                              ;   in Loop: Header=BB124_4 Depth=1
	v_cmp_eq_u32_e32 vcc, v2, v6
	s_and_b64 s[34:35], s[4:5], vcc
	s_mov_b64 s[30:31], s[20:21]
                                        ; implicit-def: $vgpr8_vgpr9
	s_and_saveexec_b64 s[28:29], s[34:35]
	s_cbranch_execz .LBB124_10
; %bb.9:                                ;   in Loop: Header=BB124_4 Depth=1
	s_waitcnt vmcnt(0) lgkmcnt(0)
	flat_load_dwordx2 v[8:9], v[4:5]
	s_waitcnt vmcnt(0) lgkmcnt(0)
	v_div_scale_f64 v[12:13], s[30:31], v[8:9], v[8:9], 1.0
	v_rcp_f64_e32 v[14:15], v[12:13]
	v_div_scale_f64 v[16:17], vcc, 1.0, v[8:9], 1.0
	s_or_b64 s[30:31], s[20:21], exec
	v_fma_f64 v[18:19], -v[12:13], v[14:15], 1.0
	v_fmac_f64_e32 v[14:15], v[14:15], v[18:19]
	v_fma_f64 v[18:19], -v[12:13], v[14:15], 1.0
	v_fmac_f64_e32 v[14:15], v[14:15], v[18:19]
	v_mul_f64 v[18:19], v[16:17], v[14:15]
	v_fma_f64 v[12:13], -v[12:13], v[18:19], v[16:17]
	v_div_fmas_f64 v[12:13], v[12:13], v[14:15], v[18:19]
	v_div_fixup_f64 v[8:9], v[12:13], v[8:9], 1.0
.LBB124_10:                             ;   in Loop: Header=BB124_4 Depth=1
	s_or_b64 exec, exec, s[28:29]
	s_andn2_b64 s[20:21], s[20:21], exec
	s_and_b64 s[28:29], s[30:31], exec
	s_or_b64 s[20:21], s[20:21], s[28:29]
	v_mov_b32_e32 v3, v2
	s_or_b64 exec, exec, s[22:23]
	s_and_saveexec_b64 s[22:23], s[20:21]
	s_cbranch_execz .LBB124_3
.LBB124_11:                             ;   in Loop: Header=BB124_4 Depth=1
	s_load_dword s20, s[24:25], 0xc
	s_waitcnt lgkmcnt(0)
	s_and_b32 s20, s20, 0xffff
	v_mul_lo_u32 v3, v3, s20
	v_lshl_add_u32 v3, v3, 3, v11
	s_waitcnt vmcnt(0)
	ds_write_b64 v3, v[8:9]
	s_branch .LBB124_3
.LBB124_12:
	s_mov_b64 s[0:1], s[22:23]
	s_branch .LBB124_14
.LBB124_13:
	s_mov_b64 s[4:5], src_shared_base
	s_load_dword s4, s[24:25], 0xc
	s_mov_b32 s27, s5
	s_mov_b32 s21, 0
	s_waitcnt lgkmcnt(0)
	s_and_b32 s20, s4, 0xffff
	s_mov_b64 s[4:5], s[26:27]
.LBB124_14:
	s_mul_i32 s3, s3, s2
	v_add_u32_e32 v0, s3, v10
	v_mov_b32_e32 v1, 0
	v_cmp_gt_i64_e32 vcc, s[10:11], v[0:1]
	s_and_saveexec_b64 s[2:3], vcc
	s_cbranch_execz .LBB124_26
; %bb.15:
	v_mov_b32_e32 v3, v1
	v_cmp_gt_i64_e32 vcc, s[8:9], v[2:3]
	s_and_b64 exec, exec, vcc
	s_cbranch_execz .LBB124_26
; %bb.16:
	v_mad_u64_u32 v[4:5], s[10:11], s14, v0, 0
	s_lshl_b64 s[2:3], s[18:19], 3
	v_mov_b32_e32 v6, v5
	s_waitcnt lgkmcnt(0)
	s_add_u32 s2, s16, s2
	v_mad_u64_u32 v[0:1], s[10:11], s15, v0, v[6:7]
	s_addc_u32 s3, s17, s3
	v_mov_b32_e32 v5, v0
	v_lshl_add_u64 v[0:1], v[4:5], 3, s[2:3]
	v_lshlrev_b32_e32 v4, 3, v2
	v_mov_b32_e32 v5, 0
	v_lshl_add_u64 v[0:1], v[0:1], 0, v[4:5]
	flat_load_dwordx2 v[4:5], v[0:1]
	v_cmp_lt_u64_e64 s[10:11], s[8:9], 2
	s_add_u32 s2, s8, -1
	s_addc_u32 s3, s9, -1
	s_and_b64 vcc, exec, s[10:11]
	s_waitcnt vmcnt(0) lgkmcnt(0)
	v_mul_f64 v[4:5], s[12:13], v[4:5]
	s_cbranch_vccnz .LBB124_23
; %bb.17:
	s_add_u32 s8, s20, s0
	v_mad_u64_u32 v[6:7], s[8:9], s8, v2, 0
	s_addc_u32 s10, s21, s1
	v_mov_b32_e32 v8, v7
	v_mad_u64_u32 v[8:9], s[8:9], s10, v2, v[8:9]
	v_mov_b32_e32 v7, v8
	v_mad_u64_u32 v[8:9], s[10:11], s0, v2, 0
	v_mov_b32_e32 v12, v9
	v_mad_u64_u32 v[12:13], s[10:11], s1, v2, v[12:13]
	v_mov_b32_e32 v9, v12
	v_lshl_add_u64 v[6:7], v[6:7], 3, s[4:5]
	s_mov_b32 s9, 0
	v_lshl_add_u32 v10, v10, 3, 0
	v_lshl_add_u64 v[8:9], v[8:9], 3, s[4:5]
	s_lshl_b32 s8, s20, 3
	s_mov_b64 s[10:11], 0
	s_branch .LBB124_19
.LBB124_18:                             ;   in Loop: Header=BB124_19 Depth=1
	s_or_b64 exec, exec, s[12:13]
	s_add_u32 s10, s10, 1
	s_addc_u32 s11, s11, 0
	s_cmp_eq_u64 s[2:3], s[10:11]
	v_lshl_add_u64 v[8:9], v[8:9], 0, s[8:9]
	s_cbranch_scc1 .LBB124_23
.LBB124_19:                             ; =>This Inner Loop Header: Depth=1
	v_cmp_eq_u64_e32 vcc, s[10:11], v[2:3]
	s_barrier
	s_and_saveexec_b64 s[12:13], vcc
	s_cbranch_execz .LBB124_21
; %bb.20:                               ;   in Loop: Header=BB124_19 Depth=1
	flat_load_dwordx2 v[12:13], v[6:7]
	s_waitcnt vmcnt(0) lgkmcnt(0)
	v_div_scale_f64 v[14:15], s[14:15], v[12:13], v[12:13], 1.0
	v_rcp_f64_e32 v[16:17], v[14:15]
	v_div_scale_f64 v[18:19], vcc, 1.0, v[12:13], 1.0
	v_fma_f64 v[20:21], -v[14:15], v[16:17], 1.0
	v_fmac_f64_e32 v[16:17], v[16:17], v[20:21]
	v_fma_f64 v[20:21], -v[14:15], v[16:17], 1.0
	v_fmac_f64_e32 v[16:17], v[16:17], v[20:21]
	v_mul_f64 v[20:21], v[18:19], v[16:17]
	v_fma_f64 v[14:15], -v[14:15], v[20:21], v[18:19]
	v_div_fmas_f64 v[14:15], v[14:15], v[16:17], v[20:21]
	v_div_fixup_f64 v[14:15], v[14:15], v[12:13], 1.0
	v_cndmask_b32_e64 v13, v15, v13, s[6:7]
	v_cndmask_b32_e64 v12, v14, v12, s[6:7]
	v_mul_f64 v[4:5], v[4:5], v[12:13]
	ds_write_b64 v10, v[4:5]
.LBB124_21:                             ;   in Loop: Header=BB124_19 Depth=1
	s_or_b64 exec, exec, s[12:13]
	v_cmp_lt_u64_e32 vcc, s[10:11], v[2:3]
	s_waitcnt lgkmcnt(0)
	s_barrier
	s_and_saveexec_b64 s[12:13], vcc
	s_cbranch_execz .LBB124_18
; %bb.22:                               ;   in Loop: Header=BB124_19 Depth=1
	flat_load_dwordx2 v[12:13], v[8:9]
	ds_read_b64 v[14:15], v10
	s_waitcnt vmcnt(0) lgkmcnt(0)
	v_fma_f64 v[4:5], -v[12:13], v[14:15], v[4:5]
	s_branch .LBB124_18
.LBB124_23:
	v_cmp_eq_u64_e32 vcc, s[2:3], v[2:3]
	s_and_saveexec_b64 s[2:3], vcc
	s_cbranch_execz .LBB124_25
; %bb.24:
	s_add_u32 s0, s20, s0
	s_addc_u32 s8, s21, s1
	v_mad_u64_u32 v[6:7], s[0:1], s0, v2, 0
	v_mov_b32_e32 v8, v7
	v_mad_u64_u32 v[2:3], s[0:1], s8, v2, v[8:9]
	v_mov_b32_e32 v7, v2
	v_lshl_add_u64 v[2:3], v[6:7], 3, s[4:5]
	flat_load_dwordx2 v[2:3], v[2:3]
	s_waitcnt vmcnt(0) lgkmcnt(0)
	v_div_scale_f64 v[6:7], s[0:1], v[2:3], v[2:3], 1.0
	v_rcp_f64_e32 v[8:9], v[6:7]
	v_div_scale_f64 v[10:11], vcc, 1.0, v[2:3], 1.0
	v_fma_f64 v[12:13], -v[6:7], v[8:9], 1.0
	v_fmac_f64_e32 v[8:9], v[8:9], v[12:13]
	v_fma_f64 v[12:13], -v[6:7], v[8:9], 1.0
	v_fmac_f64_e32 v[8:9], v[8:9], v[12:13]
	v_mul_f64 v[12:13], v[10:11], v[8:9]
	v_fma_f64 v[6:7], -v[6:7], v[12:13], v[10:11]
	v_div_fmas_f64 v[6:7], v[6:7], v[8:9], v[12:13]
	v_div_fixup_f64 v[6:7], v[6:7], v[2:3], 1.0
	v_cndmask_b32_e64 v3, v7, v3, s[6:7]
	v_cndmask_b32_e64 v2, v6, v2, s[6:7]
	v_mul_f64 v[4:5], v[4:5], v[2:3]
.LBB124_25:
	s_or_b64 exec, exec, s[2:3]
	flat_store_dwordx2 v[0:1], v[4:5]
.LBB124_26:
	s_endpgm
	.section	.rodata,"a",@progbits
	.p2align	6, 0x0
	.amdhsa_kernel _ZL39rocblas_trsm_block_forward_substitutionIddPKPKdPKPdLb1ELb0ELb0EEv18rocblas_operation_llT0_T1_lllT2_lllib
		.amdhsa_group_segment_fixed_size 0
		.amdhsa_private_segment_fixed_size 0
		.amdhsa_kernarg_size 360
		.amdhsa_user_sgpr_count 2
		.amdhsa_user_sgpr_dispatch_ptr 0
		.amdhsa_user_sgpr_queue_ptr 0
		.amdhsa_user_sgpr_kernarg_segment_ptr 1
		.amdhsa_user_sgpr_dispatch_id 0
		.amdhsa_user_sgpr_kernarg_preload_length 0
		.amdhsa_user_sgpr_kernarg_preload_offset 0
		.amdhsa_user_sgpr_private_segment_size 0
		.amdhsa_uses_dynamic_stack 0
		.amdhsa_enable_private_segment 0
		.amdhsa_system_sgpr_workgroup_id_x 1
		.amdhsa_system_sgpr_workgroup_id_y 1
		.amdhsa_system_sgpr_workgroup_id_z 1
		.amdhsa_system_sgpr_workgroup_info 0
		.amdhsa_system_vgpr_workitem_id 1
		.amdhsa_next_free_vgpr 22
		.amdhsa_next_free_sgpr 36
		.amdhsa_accum_offset 24
		.amdhsa_reserve_vcc 1
		.amdhsa_float_round_mode_32 0
		.amdhsa_float_round_mode_16_64 0
		.amdhsa_float_denorm_mode_32 3
		.amdhsa_float_denorm_mode_16_64 3
		.amdhsa_dx10_clamp 1
		.amdhsa_ieee_mode 1
		.amdhsa_fp16_overflow 0
		.amdhsa_tg_split 0
		.amdhsa_exception_fp_ieee_invalid_op 0
		.amdhsa_exception_fp_denorm_src 0
		.amdhsa_exception_fp_ieee_div_zero 0
		.amdhsa_exception_fp_ieee_overflow 0
		.amdhsa_exception_fp_ieee_underflow 0
		.amdhsa_exception_fp_ieee_inexact 0
		.amdhsa_exception_int_div_zero 0
	.end_amdhsa_kernel
	.section	.text._ZL39rocblas_trsm_block_forward_substitutionIddPKPKdPKPdLb1ELb0ELb0EEv18rocblas_operation_llT0_T1_lllT2_lllib,"axG",@progbits,_ZL39rocblas_trsm_block_forward_substitutionIddPKPKdPKPdLb1ELb0ELb0EEv18rocblas_operation_llT0_T1_lllT2_lllib,comdat
.Lfunc_end124:
	.size	_ZL39rocblas_trsm_block_forward_substitutionIddPKPKdPKPdLb1ELb0ELb0EEv18rocblas_operation_llT0_T1_lllT2_lllib, .Lfunc_end124-_ZL39rocblas_trsm_block_forward_substitutionIddPKPKdPKPdLb1ELb0ELb0EEv18rocblas_operation_llT0_T1_lllT2_lllib
                                        ; -- End function
	.set _ZL39rocblas_trsm_block_forward_substitutionIddPKPKdPKPdLb1ELb0ELb0EEv18rocblas_operation_llT0_T1_lllT2_lllib.num_vgpr, 22
	.set _ZL39rocblas_trsm_block_forward_substitutionIddPKPKdPKPdLb1ELb0ELb0EEv18rocblas_operation_llT0_T1_lllT2_lllib.num_agpr, 0
	.set _ZL39rocblas_trsm_block_forward_substitutionIddPKPKdPKPdLb1ELb0ELb0EEv18rocblas_operation_llT0_T1_lllT2_lllib.numbered_sgpr, 36
	.set _ZL39rocblas_trsm_block_forward_substitutionIddPKPKdPKPdLb1ELb0ELb0EEv18rocblas_operation_llT0_T1_lllT2_lllib.num_named_barrier, 0
	.set _ZL39rocblas_trsm_block_forward_substitutionIddPKPKdPKPdLb1ELb0ELb0EEv18rocblas_operation_llT0_T1_lllT2_lllib.private_seg_size, 0
	.set _ZL39rocblas_trsm_block_forward_substitutionIddPKPKdPKPdLb1ELb0ELb0EEv18rocblas_operation_llT0_T1_lllT2_lllib.uses_vcc, 1
	.set _ZL39rocblas_trsm_block_forward_substitutionIddPKPKdPKPdLb1ELb0ELb0EEv18rocblas_operation_llT0_T1_lllT2_lllib.uses_flat_scratch, 0
	.set _ZL39rocblas_trsm_block_forward_substitutionIddPKPKdPKPdLb1ELb0ELb0EEv18rocblas_operation_llT0_T1_lllT2_lllib.has_dyn_sized_stack, 0
	.set _ZL39rocblas_trsm_block_forward_substitutionIddPKPKdPKPdLb1ELb0ELb0EEv18rocblas_operation_llT0_T1_lllT2_lllib.has_recursion, 0
	.set _ZL39rocblas_trsm_block_forward_substitutionIddPKPKdPKPdLb1ELb0ELb0EEv18rocblas_operation_llT0_T1_lllT2_lllib.has_indirect_call, 0
	.section	.AMDGPU.csdata,"",@progbits
; Kernel info:
; codeLenInByte = 1284
; TotalNumSgprs: 42
; NumVgprs: 22
; NumAgprs: 0
; TotalNumVgprs: 22
; ScratchSize: 0
; MemoryBound: 1
; FloatMode: 240
; IeeeMode: 1
; LDSByteSize: 0 bytes/workgroup (compile time only)
; SGPRBlocks: 5
; VGPRBlocks: 2
; NumSGPRsForWavesPerEU: 42
; NumVGPRsForWavesPerEU: 22
; AccumOffset: 24
; Occupancy: 8
; WaveLimiterHint : 1
; COMPUTE_PGM_RSRC2:SCRATCH_EN: 0
; COMPUTE_PGM_RSRC2:USER_SGPR: 2
; COMPUTE_PGM_RSRC2:TRAP_HANDLER: 0
; COMPUTE_PGM_RSRC2:TGID_X_EN: 1
; COMPUTE_PGM_RSRC2:TGID_Y_EN: 1
; COMPUTE_PGM_RSRC2:TGID_Z_EN: 1
; COMPUTE_PGM_RSRC2:TIDIG_COMP_CNT: 1
; COMPUTE_PGM_RSRC3_GFX90A:ACCUM_OFFSET: 5
; COMPUTE_PGM_RSRC3_GFX90A:TG_SPLIT: 0
	.section	.text._ZL40rocblas_trsm_block_backward_substitutionIddPKPKdPKPdLb1ELb0ELb0EEv18rocblas_operation_llT0_T1_lllT2_lllib,"axG",@progbits,_ZL40rocblas_trsm_block_backward_substitutionIddPKPKdPKPdLb1ELb0ELb0EEv18rocblas_operation_llT0_T1_lllT2_lllib,comdat
	.globl	_ZL40rocblas_trsm_block_backward_substitutionIddPKPKdPKPdLb1ELb0ELb0EEv18rocblas_operation_llT0_T1_lllT2_lllib ; -- Begin function _ZL40rocblas_trsm_block_backward_substitutionIddPKPKdPKPdLb1ELb0ELb0EEv18rocblas_operation_llT0_T1_lllT2_lllib
	.p2align	8
	.type	_ZL40rocblas_trsm_block_backward_substitutionIddPKPKdPKPdLb1ELb0ELb0EEv18rocblas_operation_llT0_T1_lllT2_lllib,@function
_ZL40rocblas_trsm_block_backward_substitutionIddPKPKdPKPdLb1ELb0ELb0EEv18rocblas_operation_llT0_T1_lllT2_lllib: ; @_ZL40rocblas_trsm_block_backward_substitutionIddPKPKdPKPdLb1ELb0ELb0EEv18rocblas_operation_llT0_T1_lllT2_lllib
; %bb.0:
	s_load_dword s28, s[0:1], 0x64
	s_load_dwordx8 s[8:15], s[0:1], 0x8
	s_load_dwordx4 s[16:19], s[0:1], 0x28
	s_load_dword s2, s[0:1], 0x74
	s_mov_b32 s5, 0
	s_waitcnt lgkmcnt(0)
	s_bitcmp1_b32 s28, 0
	s_cselect_b64 s[6:7], -1, 0
	s_lshl_b64 s[4:5], s[4:5], 3
	s_add_u32 s24, s14, s4
	s_addc_u32 s25, s15, s5
	s_load_dwordx2 s[26:27], s[24:25], 0x0
	s_load_dwordx4 s[20:23], s[0:1], 0x40
	s_load_dwordx2 s[14:15], s[0:1], 0x50
	s_lshl_b64 s[16:17], s[16:17], 3
	v_and_b32_e32 v2, 0x3ff, v0
	s_waitcnt lgkmcnt(0)
	s_add_u32 s24, s26, s16
	s_addc_u32 s25, s27, s17
	s_add_u32 s4, s20, s4
	s_addc_u32 s5, s21, s5
	s_load_dwordx2 s[16:17], s[4:5], 0x0
	s_add_u32 s20, s0, 0x68
	s_addc_u32 s21, s1, 0
	s_lshr_b32 s2, s2, 16
	s_bitcmp0_b32 s28, 0
	v_bfe_u32 v10, v0, 10, 10
	s_cbranch_scc1 .LBB125_15
; %bb.1:
	s_lshl_b32 s0, s2, 3
	s_add_i32 s26, s0, 0
	v_cmp_lt_i64_e64 s[0:1], s[8:9], 1
	s_and_b64 vcc, exec, s[0:1]
	s_cbranch_vccnz .LBB125_14
; %bb.2:
	v_mad_u64_u32 v[4:5], s[0:1], s18, v2, 0
	v_mov_b32_e32 v3, 0
	v_mov_b32_e32 v6, v5
	v_lshlrev_b32_e32 v0, 3, v2
	v_mov_b32_e32 v1, v3
	v_mad_u64_u32 v[6:7], s[0:1], s19, v2, v[6:7]
	v_add_u32_e32 v11, s26, v0
	v_cmp_le_u64_e64 s[28:29], s[8:9], v[2:3]
	v_lshl_add_u64 v[0:1], s[24:25], 0, v[0:1]
	v_mov_b32_e32 v5, v6
	v_cmp_gt_u64_e64 s[4:5], s[8:9], v[2:3]
	v_lshl_add_u64 v[4:5], v[4:5], 3, v[0:1]
	s_xor_b64 s[24:25], s[28:29], -1
	s_mov_b32 s27, s2
	v_mov_b32_e32 v6, v10
	s_branch .LBB125_4
.LBB125_3:                              ;   in Loop: Header=BB125_4 Depth=1
	s_or_b64 exec, exec, s[30:31]
	s_ashr_i32 s0, s27, 31
	s_waitcnt vmcnt(0) lgkmcnt(0)
	v_mov_b32_e32 v8, s27
	v_mov_b32_e32 v9, s0
	v_cmp_le_i64_e32 vcc, s[8:9], v[8:9]
	v_add_u32_e32 v6, s2, v6
	s_add_i32 s27, s27, s2
	s_cbranch_vccnz .LBB125_14
.LBB125_4:                              ; =>This Inner Loop Header: Depth=1
	s_mov_b64 s[0:1], 0
	s_mov_b64 s[34:35], s[28:29]
                                        ; implicit-def: $vgpr8_vgpr9
	s_and_saveexec_b64 s[30:31], s[4:5]
	s_cbranch_execnz .LBB125_7
; %bb.5:                                ;   in Loop: Header=BB125_4 Depth=1
	s_or_b64 exec, exec, s[30:31]
	v_mov_b32_e32 v3, v6
	s_and_saveexec_b64 s[30:31], s[34:35]
	s_cbranch_execnz .LBB125_10
.LBB125_6:                              ;   in Loop: Header=BB125_4 Depth=1
	s_or_b64 exec, exec, s[30:31]
	s_and_saveexec_b64 s[30:31], s[0:1]
	s_cbranch_execz .LBB125_3
	s_branch .LBB125_13
.LBB125_7:                              ;   in Loop: Header=BB125_4 Depth=1
	v_ashrrev_i32_e32 v7, 31, v6
	v_cmp_gt_i64_e32 vcc, s[8:9], v[6:7]
	v_cmp_lt_i32_e64 s[0:1], v2, v6
	s_and_b64 s[38:39], s[0:1], vcc
	s_mov_b64 s[34:35], -1
	s_mov_b64 s[0:1], 0
                                        ; implicit-def: $vgpr8_vgpr9
	s_and_saveexec_b64 s[36:37], s[38:39]
	s_cbranch_execz .LBB125_9
; %bb.8:                                ;   in Loop: Header=BB125_4 Depth=1
	v_mul_lo_u32 v3, s19, v6
	v_mul_lo_u32 v7, s18, v7
	v_mad_u64_u32 v[8:9], s[34:35], s18, v6, 0
	v_add3_u32 v9, v9, v7, v3
	v_lshl_add_u64 v[8:9], v[8:9], 3, v[0:1]
	flat_load_dwordx2 v[8:9], v[8:9]
	s_mov_b64 s[0:1], exec
	s_xor_b64 s[34:35], exec, -1
.LBB125_9:                              ;   in Loop: Header=BB125_4 Depth=1
	s_or_b64 exec, exec, s[36:37]
	s_andn2_b64 s[36:37], s[28:29], exec
	s_and_b64 s[34:35], s[34:35], exec
	s_and_b64 s[0:1], s[0:1], exec
	s_or_b64 s[34:35], s[36:37], s[34:35]
	s_or_b64 exec, exec, s[30:31]
	v_mov_b32_e32 v3, v6
	s_and_saveexec_b64 s[30:31], s[34:35]
	s_cbranch_execz .LBB125_6
.LBB125_10:                             ;   in Loop: Header=BB125_4 Depth=1
	v_cmp_eq_u32_e32 vcc, v2, v6
	s_and_b64 s[38:39], s[24:25], vcc
	s_mov_b64 s[36:37], s[0:1]
                                        ; implicit-def: $vgpr8_vgpr9
	s_and_saveexec_b64 s[34:35], s[38:39]
	s_cbranch_execz .LBB125_12
; %bb.11:                               ;   in Loop: Header=BB125_4 Depth=1
	s_waitcnt vmcnt(0) lgkmcnt(0)
	flat_load_dwordx2 v[8:9], v[4:5]
	s_waitcnt vmcnt(0) lgkmcnt(0)
	v_div_scale_f64 v[12:13], s[36:37], v[8:9], v[8:9], 1.0
	v_rcp_f64_e32 v[14:15], v[12:13]
	v_div_scale_f64 v[16:17], vcc, 1.0, v[8:9], 1.0
	s_or_b64 s[36:37], s[0:1], exec
	v_fma_f64 v[18:19], -v[12:13], v[14:15], 1.0
	v_fmac_f64_e32 v[14:15], v[14:15], v[18:19]
	v_fma_f64 v[18:19], -v[12:13], v[14:15], 1.0
	v_fmac_f64_e32 v[14:15], v[14:15], v[18:19]
	v_mul_f64 v[18:19], v[16:17], v[14:15]
	v_fma_f64 v[12:13], -v[12:13], v[18:19], v[16:17]
	v_div_fmas_f64 v[12:13], v[12:13], v[14:15], v[18:19]
	v_div_fixup_f64 v[8:9], v[12:13], v[8:9], 1.0
.LBB125_12:                             ;   in Loop: Header=BB125_4 Depth=1
	s_or_b64 exec, exec, s[34:35]
	s_andn2_b64 s[0:1], s[0:1], exec
	s_and_b64 s[34:35], s[36:37], exec
	s_or_b64 s[0:1], s[0:1], s[34:35]
	v_mov_b32_e32 v3, v2
	s_or_b64 exec, exec, s[30:31]
	s_and_saveexec_b64 s[30:31], s[0:1]
	s_cbranch_execz .LBB125_3
.LBB125_13:                             ;   in Loop: Header=BB125_4 Depth=1
	s_load_dword s0, s[20:21], 0xc
	s_waitcnt lgkmcnt(0)
	s_and_b32 s0, s0, 0xffff
	v_mul_lo_u32 v3, v3, s0
	v_lshl_add_u32 v3, v3, 3, v11
	s_waitcnt vmcnt(0)
	ds_write_b64 v3, v[8:9]
	s_branch .LBB125_3
.LBB125_14:
	s_mov_b64 s[0:1], src_shared_base
	s_load_dword s0, s[20:21], 0xc
	s_mov_b32 s27, s1
	s_mov_b32 s19, 0
	s_mov_b64 s[24:25], s[26:27]
	s_waitcnt lgkmcnt(0)
	s_and_b32 s18, s0, 0xffff
.LBB125_15:
	s_mul_i32 s3, s3, s2
	v_add_u32_e32 v0, s3, v10
	v_mov_b32_e32 v1, 0
	v_cmp_gt_i64_e32 vcc, s[10:11], v[0:1]
	s_and_saveexec_b64 s[0:1], vcc
	s_cbranch_execz .LBB125_28
; %bb.16:
	v_mov_b32_e32 v3, v1
	v_cmp_gt_i64_e32 vcc, s[8:9], v[2:3]
	s_and_b64 exec, exec, vcc
	s_cbranch_execz .LBB125_28
; %bb.17:
	v_mad_u64_u32 v[4:5], s[2:3], s14, v2, 0
	s_lshl_b64 s[0:1], s[22:23], 3
	v_mov_b32_e32 v6, v5
	s_waitcnt lgkmcnt(0)
	s_add_u32 s0, s16, s0
	v_mad_u64_u32 v[6:7], s[2:3], s15, v2, v[6:7]
	s_addc_u32 s1, s17, s1
	v_mov_b32_e32 v5, v6
	v_lshl_add_u64 v[4:5], v[4:5], 3, s[0:1]
	v_lshl_add_u64 v[0:1], v[0:1], 3, v[4:5]
	flat_load_dwordx2 v[4:5], v[0:1]
	v_cmp_lt_u64_e64 s[0:1], s[8:9], 2
	s_and_b64 vcc, exec, s[0:1]
	s_waitcnt vmcnt(0) lgkmcnt(0)
	v_mul_f64 v[4:5], s[12:13], v[4:5]
	s_cbranch_vccnz .LBB125_25
; %bb.18:
	v_mad_u64_u32 v[6:7], s[0:1], v2, s18, v[2:3]
	v_mov_b32_e32 v8, v7
	v_mad_u64_u32 v[8:9], s[0:1], v2, s19, v[8:9]
	s_add_u32 s0, s8, -1
	s_addc_u32 s1, s9, -1
	s_mul_i32 s2, s18, s1
	s_mul_hi_u32 s3, s18, s0
	s_add_i32 s2, s3, s2
	s_mul_i32 s3, s19, s0
	s_add_i32 s3, s2, s3
	s_mul_i32 s2, s18, s0
	s_lshl_b64 s[2:3], s[2:3], 3
	s_add_u32 s2, s24, s2
	v_mov_b32_e32 v7, v8
	v_lshlrev_b32_e32 v8, 3, v2
	v_mov_b32_e32 v9, 0
	s_addc_u32 s3, s25, s3
	v_lshl_add_u64 v[8:9], s[2:3], 0, v[8:9]
	s_lshl_b64 s[2:3], s[18:19], 3
	s_sub_u32 s2, 0, s2
	v_lshl_add_u64 v[6:7], v[6:7], 3, s[24:25]
	v_lshl_add_u32 v10, v10, 3, 0
	s_subb_u32 s3, 0, s3
.LBB125_19:                             ; =>This Inner Loop Header: Depth=1
	v_cmp_eq_u64_e32 vcc, s[0:1], v[2:3]
	s_barrier
	s_and_saveexec_b64 s[4:5], vcc
	s_cbranch_execz .LBB125_21
; %bb.20:                               ;   in Loop: Header=BB125_19 Depth=1
	flat_load_dwordx2 v[12:13], v[6:7]
	s_waitcnt vmcnt(0) lgkmcnt(0)
	v_div_scale_f64 v[14:15], s[8:9], v[12:13], v[12:13], 1.0
	v_rcp_f64_e32 v[16:17], v[14:15]
	v_div_scale_f64 v[18:19], vcc, 1.0, v[12:13], 1.0
	v_fma_f64 v[20:21], -v[14:15], v[16:17], 1.0
	v_fmac_f64_e32 v[16:17], v[16:17], v[20:21]
	v_fma_f64 v[20:21], -v[14:15], v[16:17], 1.0
	v_fmac_f64_e32 v[16:17], v[16:17], v[20:21]
	v_mul_f64 v[20:21], v[18:19], v[16:17]
	v_fma_f64 v[14:15], -v[14:15], v[20:21], v[18:19]
	v_div_fmas_f64 v[14:15], v[14:15], v[16:17], v[20:21]
	v_div_fixup_f64 v[14:15], v[14:15], v[12:13], 1.0
	v_cndmask_b32_e64 v13, v15, v13, s[6:7]
	v_cndmask_b32_e64 v12, v14, v12, s[6:7]
	v_mul_f64 v[4:5], v[4:5], v[12:13]
	ds_write_b64 v10, v[4:5]
.LBB125_21:                             ;   in Loop: Header=BB125_19 Depth=1
	s_or_b64 exec, exec, s[4:5]
	v_cmp_gt_i64_e32 vcc, s[0:1], v[2:3]
	s_waitcnt lgkmcnt(0)
	s_barrier
	s_and_saveexec_b64 s[4:5], vcc
	s_cbranch_execz .LBB125_23
; %bb.22:                               ;   in Loop: Header=BB125_19 Depth=1
	flat_load_dwordx2 v[12:13], v[8:9]
	ds_read_b64 v[14:15], v10
	s_waitcnt vmcnt(0) lgkmcnt(0)
	v_fma_f64 v[4:5], -v[12:13], v[14:15], v[4:5]
.LBB125_23:                             ;   in Loop: Header=BB125_19 Depth=1
	s_or_b64 exec, exec, s[4:5]
	s_add_u32 s4, s0, -1
	s_addc_u32 s5, s1, -1
	s_add_u32 s0, s0, 1
	s_addc_u32 s1, s1, 0
	v_cmp_lt_u64_e64 s[0:1], s[0:1], 3
	v_lshl_add_u64 v[8:9], v[8:9], 0, s[2:3]
	s_and_b64 vcc, exec, s[0:1]
	s_cbranch_vccnz .LBB125_25
; %bb.24:                               ;   in Loop: Header=BB125_19 Depth=1
	s_mov_b64 s[0:1], s[4:5]
	s_branch .LBB125_19
.LBB125_25:
	v_cmp_eq_u32_e32 vcc, 0, v2
	s_and_saveexec_b64 s[0:1], vcc
	s_cbranch_execz .LBB125_27
; %bb.26:
	v_mad_u64_u32 v[6:7], s[2:3], v2, s18, v[2:3]
	v_mov_b32_e32 v8, v7
	v_mad_u64_u32 v[2:3], s[2:3], v2, s19, v[8:9]
	v_mov_b32_e32 v7, v2
	v_lshl_add_u64 v[2:3], v[6:7], 3, s[24:25]
	flat_load_dwordx2 v[2:3], v[2:3]
	s_waitcnt vmcnt(0) lgkmcnt(0)
	v_div_scale_f64 v[6:7], s[2:3], v[2:3], v[2:3], 1.0
	v_rcp_f64_e32 v[8:9], v[6:7]
	v_div_scale_f64 v[10:11], vcc, 1.0, v[2:3], 1.0
	v_fma_f64 v[12:13], -v[6:7], v[8:9], 1.0
	v_fmac_f64_e32 v[8:9], v[8:9], v[12:13]
	v_fma_f64 v[12:13], -v[6:7], v[8:9], 1.0
	v_fmac_f64_e32 v[8:9], v[8:9], v[12:13]
	v_mul_f64 v[12:13], v[10:11], v[8:9]
	v_fma_f64 v[6:7], -v[6:7], v[12:13], v[10:11]
	v_div_fmas_f64 v[6:7], v[6:7], v[8:9], v[12:13]
	v_div_fixup_f64 v[6:7], v[6:7], v[2:3], 1.0
	v_cndmask_b32_e64 v3, v7, v3, s[6:7]
	v_cndmask_b32_e64 v2, v6, v2, s[6:7]
	v_mul_f64 v[4:5], v[4:5], v[2:3]
.LBB125_27:
	s_or_b64 exec, exec, s[0:1]
	flat_store_dwordx2 v[0:1], v[4:5]
.LBB125_28:
	s_endpgm
	.section	.rodata,"a",@progbits
	.p2align	6, 0x0
	.amdhsa_kernel _ZL40rocblas_trsm_block_backward_substitutionIddPKPKdPKPdLb1ELb0ELb0EEv18rocblas_operation_llT0_T1_lllT2_lllib
		.amdhsa_group_segment_fixed_size 0
		.amdhsa_private_segment_fixed_size 0
		.amdhsa_kernarg_size 360
		.amdhsa_user_sgpr_count 2
		.amdhsa_user_sgpr_dispatch_ptr 0
		.amdhsa_user_sgpr_queue_ptr 0
		.amdhsa_user_sgpr_kernarg_segment_ptr 1
		.amdhsa_user_sgpr_dispatch_id 0
		.amdhsa_user_sgpr_kernarg_preload_length 0
		.amdhsa_user_sgpr_kernarg_preload_offset 0
		.amdhsa_user_sgpr_private_segment_size 0
		.amdhsa_uses_dynamic_stack 0
		.amdhsa_enable_private_segment 0
		.amdhsa_system_sgpr_workgroup_id_x 1
		.amdhsa_system_sgpr_workgroup_id_y 1
		.amdhsa_system_sgpr_workgroup_id_z 1
		.amdhsa_system_sgpr_workgroup_info 0
		.amdhsa_system_vgpr_workitem_id 1
		.amdhsa_next_free_vgpr 22
		.amdhsa_next_free_sgpr 40
		.amdhsa_accum_offset 24
		.amdhsa_reserve_vcc 1
		.amdhsa_float_round_mode_32 0
		.amdhsa_float_round_mode_16_64 0
		.amdhsa_float_denorm_mode_32 3
		.amdhsa_float_denorm_mode_16_64 3
		.amdhsa_dx10_clamp 1
		.amdhsa_ieee_mode 1
		.amdhsa_fp16_overflow 0
		.amdhsa_tg_split 0
		.amdhsa_exception_fp_ieee_invalid_op 0
		.amdhsa_exception_fp_denorm_src 0
		.amdhsa_exception_fp_ieee_div_zero 0
		.amdhsa_exception_fp_ieee_overflow 0
		.amdhsa_exception_fp_ieee_underflow 0
		.amdhsa_exception_fp_ieee_inexact 0
		.amdhsa_exception_int_div_zero 0
	.end_amdhsa_kernel
	.section	.text._ZL40rocblas_trsm_block_backward_substitutionIddPKPKdPKPdLb1ELb0ELb0EEv18rocblas_operation_llT0_T1_lllT2_lllib,"axG",@progbits,_ZL40rocblas_trsm_block_backward_substitutionIddPKPKdPKPdLb1ELb0ELb0EEv18rocblas_operation_llT0_T1_lllT2_lllib,comdat
.Lfunc_end125:
	.size	_ZL40rocblas_trsm_block_backward_substitutionIddPKPKdPKPdLb1ELb0ELb0EEv18rocblas_operation_llT0_T1_lllT2_lllib, .Lfunc_end125-_ZL40rocblas_trsm_block_backward_substitutionIddPKPKdPKPdLb1ELb0ELb0EEv18rocblas_operation_llT0_T1_lllT2_lllib
                                        ; -- End function
	.set _ZL40rocblas_trsm_block_backward_substitutionIddPKPKdPKPdLb1ELb0ELb0EEv18rocblas_operation_llT0_T1_lllT2_lllib.num_vgpr, 22
	.set _ZL40rocblas_trsm_block_backward_substitutionIddPKPKdPKPdLb1ELb0ELb0EEv18rocblas_operation_llT0_T1_lllT2_lllib.num_agpr, 0
	.set _ZL40rocblas_trsm_block_backward_substitutionIddPKPKdPKPdLb1ELb0ELb0EEv18rocblas_operation_llT0_T1_lllT2_lllib.numbered_sgpr, 40
	.set _ZL40rocblas_trsm_block_backward_substitutionIddPKPKdPKPdLb1ELb0ELb0EEv18rocblas_operation_llT0_T1_lllT2_lllib.num_named_barrier, 0
	.set _ZL40rocblas_trsm_block_backward_substitutionIddPKPKdPKPdLb1ELb0ELb0EEv18rocblas_operation_llT0_T1_lllT2_lllib.private_seg_size, 0
	.set _ZL40rocblas_trsm_block_backward_substitutionIddPKPKdPKPdLb1ELb0ELb0EEv18rocblas_operation_llT0_T1_lllT2_lllib.uses_vcc, 1
	.set _ZL40rocblas_trsm_block_backward_substitutionIddPKPKdPKPdLb1ELb0ELb0EEv18rocblas_operation_llT0_T1_lllT2_lllib.uses_flat_scratch, 0
	.set _ZL40rocblas_trsm_block_backward_substitutionIddPKPKdPKPdLb1ELb0ELb0EEv18rocblas_operation_llT0_T1_lllT2_lllib.has_dyn_sized_stack, 0
	.set _ZL40rocblas_trsm_block_backward_substitutionIddPKPKdPKPdLb1ELb0ELb0EEv18rocblas_operation_llT0_T1_lllT2_lllib.has_recursion, 0
	.set _ZL40rocblas_trsm_block_backward_substitutionIddPKPKdPKPdLb1ELb0ELb0EEv18rocblas_operation_llT0_T1_lllT2_lllib.has_indirect_call, 0
	.section	.AMDGPU.csdata,"",@progbits
; Kernel info:
; codeLenInByte = 1372
; TotalNumSgprs: 46
; NumVgprs: 22
; NumAgprs: 0
; TotalNumVgprs: 22
; ScratchSize: 0
; MemoryBound: 1
; FloatMode: 240
; IeeeMode: 1
; LDSByteSize: 0 bytes/workgroup (compile time only)
; SGPRBlocks: 5
; VGPRBlocks: 2
; NumSGPRsForWavesPerEU: 46
; NumVGPRsForWavesPerEU: 22
; AccumOffset: 24
; Occupancy: 8
; WaveLimiterHint : 1
; COMPUTE_PGM_RSRC2:SCRATCH_EN: 0
; COMPUTE_PGM_RSRC2:USER_SGPR: 2
; COMPUTE_PGM_RSRC2:TRAP_HANDLER: 0
; COMPUTE_PGM_RSRC2:TGID_X_EN: 1
; COMPUTE_PGM_RSRC2:TGID_Y_EN: 1
; COMPUTE_PGM_RSRC2:TGID_Z_EN: 1
; COMPUTE_PGM_RSRC2:TIDIG_COMP_CNT: 1
; COMPUTE_PGM_RSRC3_GFX90A:ACCUM_OFFSET: 5
; COMPUTE_PGM_RSRC3_GFX90A:TG_SPLIT: 0
	.section	.text._ZL39rocblas_trsm_block_forward_substitutionIddPKPKdPKPdLb1ELb0ELb1EEv18rocblas_operation_llT0_T1_lllT2_lllib,"axG",@progbits,_ZL39rocblas_trsm_block_forward_substitutionIddPKPKdPKPdLb1ELb0ELb1EEv18rocblas_operation_llT0_T1_lllT2_lllib,comdat
	.globl	_ZL39rocblas_trsm_block_forward_substitutionIddPKPKdPKPdLb1ELb0ELb1EEv18rocblas_operation_llT0_T1_lllT2_lllib ; -- Begin function _ZL39rocblas_trsm_block_forward_substitutionIddPKPKdPKPdLb1ELb0ELb1EEv18rocblas_operation_llT0_T1_lllT2_lllib
	.p2align	8
	.type	_ZL39rocblas_trsm_block_forward_substitutionIddPKPKdPKPdLb1ELb0ELb1EEv18rocblas_operation_llT0_T1_lllT2_lllib,@function
_ZL39rocblas_trsm_block_forward_substitutionIddPKPKdPKPdLb1ELb0ELb1EEv18rocblas_operation_llT0_T1_lllT2_lllib: ; @_ZL39rocblas_trsm_block_forward_substitutionIddPKPKdPKPdLb1ELb0ELb1EEv18rocblas_operation_llT0_T1_lllT2_lllib
; %bb.0:
	s_load_dwordx8 s[8:15], s[0:1], 0x8
	s_load_dwordx4 s[16:19], s[0:1], 0x28
	s_mov_b32 s5, 0
	s_lshl_b64 s[22:23], s[4:5], 3
	v_and_b32_e32 v2, 0x3ff, v0
	s_waitcnt lgkmcnt(0)
	s_add_u32 s14, s14, s22
	s_addc_u32 s15, s15, s23
	s_load_dwordx2 s[20:21], s[14:15], 0x0
	s_load_dwordx4 s[4:7], s[0:1], 0x40
	s_lshl_b64 s[14:15], s[16:17], 3
	v_bfe_u32 v6, v0, 10, 10
	s_waitcnt lgkmcnt(0)
	s_add_u32 s20, s20, s14
	s_addc_u32 s21, s21, s15
	s_add_u32 s14, s4, s22
	s_addc_u32 s15, s5, s23
	s_load_dwordx2 s[16:17], s[14:15], 0x0
	s_load_dwordx2 s[4:5], s[0:1], 0x50
	s_load_dword s24, s[0:1], 0x64
	s_load_dword s2, s[0:1], 0x74
	s_add_u32 s22, s0, 0x68
	s_addc_u32 s23, s1, 0
	s_mov_b64 s[0:1], 1
	s_waitcnt lgkmcnt(0)
	s_lshr_b32 s2, s2, 16
	s_bitcmp0_b32 s24, 0
	s_cbranch_scc1 .LBB126_6
; %bb.1:
	s_lshl_b32 s0, s2, 3
	s_add_i32 s24, s0, 0
	v_cmp_lt_i64_e64 s[0:1], s[8:9], 1
	s_mov_b64 s[14:15], 1
	s_and_b64 vcc, exec, s[0:1]
	s_cbranch_vccnz .LBB126_7
; %bb.2:
	v_mad_u64_u32 v[0:1], s[26:27], s18, v2, 0
	v_mov_b32_e32 v4, v1
	v_mad_u64_u32 v[4:5], s[18:19], s19, v2, v[4:5]
	v_mov_b32_e32 v3, 0
	v_mov_b32_e32 v1, v4
	v_lshl_add_u32 v7, v2, 3, s24
	v_cmp_gt_u64_e64 s[0:1], s[8:9], v[2:3]
	v_lshl_add_u64 v[0:1], v[0:1], 3, s[20:21]
	s_mov_b32 s20, 0
	s_branch .LBB126_4
.LBB126_3:                              ;   in Loop: Header=BB126_4 Depth=1
	s_or_b64 exec, exec, s[18:19]
	s_add_i32 s20, s20, s2
	s_ashr_i32 s18, s20, 31
	v_mov_b32_e32 v4, s20
	v_mov_b32_e32 v5, s18
	v_cmp_le_i64_e32 vcc, s[8:9], v[4:5]
	s_cbranch_vccnz .LBB126_7
.LBB126_4:                              ; =>This Inner Loop Header: Depth=1
	v_add_u32_e32 v4, s20, v6
	v_cmp_gt_i32_e32 vcc, v2, v4
	s_and_b64 s[26:27], s[0:1], vcc
	s_and_saveexec_b64 s[18:19], s[26:27]
	s_cbranch_execz .LBB126_3
; %bb.5:                                ;   in Loop: Header=BB126_4 Depth=1
	v_ashrrev_i32_e32 v5, 31, v4
	v_lshl_add_u64 v[8:9], v[4:5], 3, v[0:1]
	flat_load_dwordx2 v[8:9], v[8:9]
	s_load_dword s21, s[22:23], 0xc
	s_waitcnt lgkmcnt(0)
	s_and_b32 s21, s21, 0xffff
	v_mul_lo_u32 v3, v4, s21
	v_lshl_add_u32 v3, v3, 3, v7
	s_waitcnt vmcnt(0)
	ds_write_b64 v3, v[8:9]
	s_branch .LBB126_3
.LBB126_6:
	s_mov_b64 s[14:15], s[18:19]
	s_branch .LBB126_8
.LBB126_7:
	s_mov_b64 s[0:1], src_shared_base
	s_load_dword s0, s[22:23], 0xc
	s_mov_b32 s25, s1
	s_mov_b64 s[20:21], s[24:25]
	s_waitcnt lgkmcnt(0)
	s_and_b32 s0, s0, 0xffff
.LBB126_8:
	s_mul_i32 s3, s3, s2
	v_add_u32_e32 v0, s3, v6
	v_mov_b32_e32 v1, 0
	v_cmp_gt_i64_e32 vcc, s[10:11], v[0:1]
	s_and_saveexec_b64 s[2:3], vcc
	s_cbranch_execz .LBB126_18
; %bb.9:
	v_mov_b32_e32 v3, v1
	v_cmp_gt_i64_e32 vcc, s[8:9], v[2:3]
	s_and_b64 exec, exec, vcc
	s_cbranch_execz .LBB126_18
; %bb.10:
	s_lshl_b64 s[2:3], s[6:7], 3
	v_mad_u64_u32 v[4:5], s[6:7], s4, v0, 0
	v_mov_b32_e32 v8, v5
	s_add_u32 s2, s16, s2
	v_mad_u64_u32 v[0:1], s[4:5], s5, v0, v[8:9]
	s_addc_u32 s3, s17, s3
	v_mov_b32_e32 v5, v0
	v_lshl_add_u64 v[0:1], v[4:5], 3, s[2:3]
	v_lshlrev_b32_e32 v4, 3, v2
	v_mov_b32_e32 v5, 0
	v_lshl_add_u64 v[0:1], v[0:1], 0, v[4:5]
	flat_load_dwordx2 v[4:5], v[0:1]
	v_cmp_lt_u64_e64 s[2:3], s[8:9], 2
	s_and_b64 vcc, exec, s[2:3]
	s_waitcnt vmcnt(0) lgkmcnt(0)
	v_mul_f64 v[4:5], s[12:13], v[4:5]
	s_cbranch_vccnz .LBB126_17
; %bb.11:
	v_lshl_add_u32 v8, v6, 3, 0
	v_mad_u64_u32 v[6:7], s[2:3], s14, v2, 0
	v_mov_b32_e32 v10, v7
	v_mad_u64_u32 v[10:11], s[2:3], s15, v2, v[10:11]
	v_mov_b32_e32 v7, v10
	s_add_u32 s2, s8, -1
	s_mov_b32 s1, 0
	v_lshl_add_u64 v[6:7], v[6:7], 3, s[20:21]
	s_addc_u32 s3, s9, -1
	s_lshl_b32 s0, s0, 3
	s_mov_b64 s[4:5], 0
	s_branch .LBB126_13
.LBB126_12:                             ;   in Loop: Header=BB126_13 Depth=1
	s_or_b64 exec, exec, s[6:7]
	s_add_u32 s4, s4, 1
	s_addc_u32 s5, s5, 0
	s_cmp_eq_u64 s[2:3], s[4:5]
	v_lshl_add_u64 v[6:7], v[6:7], 0, s[0:1]
	s_cbranch_scc1 .LBB126_17
.LBB126_13:                             ; =>This Inner Loop Header: Depth=1
	v_cmp_eq_u64_e32 vcc, s[4:5], v[2:3]
	s_barrier
	s_and_saveexec_b64 s[6:7], vcc
; %bb.14:                               ;   in Loop: Header=BB126_13 Depth=1
	ds_write_b64 v8, v[4:5]
; %bb.15:                               ;   in Loop: Header=BB126_13 Depth=1
	s_or_b64 exec, exec, s[6:7]
	v_cmp_lt_u64_e32 vcc, s[4:5], v[2:3]
	s_waitcnt lgkmcnt(0)
	s_barrier
	s_and_saveexec_b64 s[6:7], vcc
	s_cbranch_execz .LBB126_12
; %bb.16:                               ;   in Loop: Header=BB126_13 Depth=1
	flat_load_dwordx2 v[10:11], v[6:7]
	ds_read_b64 v[12:13], v8
	s_waitcnt vmcnt(0) lgkmcnt(0)
	v_fma_f64 v[4:5], -v[10:11], v[12:13], v[4:5]
	s_branch .LBB126_12
.LBB126_17:
	flat_store_dwordx2 v[0:1], v[4:5]
.LBB126_18:
	s_endpgm
	.section	.rodata,"a",@progbits
	.p2align	6, 0x0
	.amdhsa_kernel _ZL39rocblas_trsm_block_forward_substitutionIddPKPKdPKPdLb1ELb0ELb1EEv18rocblas_operation_llT0_T1_lllT2_lllib
		.amdhsa_group_segment_fixed_size 0
		.amdhsa_private_segment_fixed_size 0
		.amdhsa_kernarg_size 360
		.amdhsa_user_sgpr_count 2
		.amdhsa_user_sgpr_dispatch_ptr 0
		.amdhsa_user_sgpr_queue_ptr 0
		.amdhsa_user_sgpr_kernarg_segment_ptr 1
		.amdhsa_user_sgpr_dispatch_id 0
		.amdhsa_user_sgpr_kernarg_preload_length 0
		.amdhsa_user_sgpr_kernarg_preload_offset 0
		.amdhsa_user_sgpr_private_segment_size 0
		.amdhsa_uses_dynamic_stack 0
		.amdhsa_enable_private_segment 0
		.amdhsa_system_sgpr_workgroup_id_x 1
		.amdhsa_system_sgpr_workgroup_id_y 1
		.amdhsa_system_sgpr_workgroup_id_z 1
		.amdhsa_system_sgpr_workgroup_info 0
		.amdhsa_system_vgpr_workitem_id 1
		.amdhsa_next_free_vgpr 14
		.amdhsa_next_free_sgpr 28
		.amdhsa_accum_offset 16
		.amdhsa_reserve_vcc 1
		.amdhsa_float_round_mode_32 0
		.amdhsa_float_round_mode_16_64 0
		.amdhsa_float_denorm_mode_32 3
		.amdhsa_float_denorm_mode_16_64 3
		.amdhsa_dx10_clamp 1
		.amdhsa_ieee_mode 1
		.amdhsa_fp16_overflow 0
		.amdhsa_tg_split 0
		.amdhsa_exception_fp_ieee_invalid_op 0
		.amdhsa_exception_fp_denorm_src 0
		.amdhsa_exception_fp_ieee_div_zero 0
		.amdhsa_exception_fp_ieee_overflow 0
		.amdhsa_exception_fp_ieee_underflow 0
		.amdhsa_exception_fp_ieee_inexact 0
		.amdhsa_exception_int_div_zero 0
	.end_amdhsa_kernel
	.section	.text._ZL39rocblas_trsm_block_forward_substitutionIddPKPKdPKPdLb1ELb0ELb1EEv18rocblas_operation_llT0_T1_lllT2_lllib,"axG",@progbits,_ZL39rocblas_trsm_block_forward_substitutionIddPKPKdPKPdLb1ELb0ELb1EEv18rocblas_operation_llT0_T1_lllT2_lllib,comdat
.Lfunc_end126:
	.size	_ZL39rocblas_trsm_block_forward_substitutionIddPKPKdPKPdLb1ELb0ELb1EEv18rocblas_operation_llT0_T1_lllT2_lllib, .Lfunc_end126-_ZL39rocblas_trsm_block_forward_substitutionIddPKPKdPKPdLb1ELb0ELb1EEv18rocblas_operation_llT0_T1_lllT2_lllib
                                        ; -- End function
	.set _ZL39rocblas_trsm_block_forward_substitutionIddPKPKdPKPdLb1ELb0ELb1EEv18rocblas_operation_llT0_T1_lllT2_lllib.num_vgpr, 14
	.set _ZL39rocblas_trsm_block_forward_substitutionIddPKPKdPKPdLb1ELb0ELb1EEv18rocblas_operation_llT0_T1_lllT2_lllib.num_agpr, 0
	.set _ZL39rocblas_trsm_block_forward_substitutionIddPKPKdPKPdLb1ELb0ELb1EEv18rocblas_operation_llT0_T1_lllT2_lllib.numbered_sgpr, 28
	.set _ZL39rocblas_trsm_block_forward_substitutionIddPKPKdPKPdLb1ELb0ELb1EEv18rocblas_operation_llT0_T1_lllT2_lllib.num_named_barrier, 0
	.set _ZL39rocblas_trsm_block_forward_substitutionIddPKPKdPKPdLb1ELb0ELb1EEv18rocblas_operation_llT0_T1_lllT2_lllib.private_seg_size, 0
	.set _ZL39rocblas_trsm_block_forward_substitutionIddPKPKdPKPdLb1ELb0ELb1EEv18rocblas_operation_llT0_T1_lllT2_lllib.uses_vcc, 1
	.set _ZL39rocblas_trsm_block_forward_substitutionIddPKPKdPKPdLb1ELb0ELb1EEv18rocblas_operation_llT0_T1_lllT2_lllib.uses_flat_scratch, 0
	.set _ZL39rocblas_trsm_block_forward_substitutionIddPKPKdPKPdLb1ELb0ELb1EEv18rocblas_operation_llT0_T1_lllT2_lllib.has_dyn_sized_stack, 0
	.set _ZL39rocblas_trsm_block_forward_substitutionIddPKPKdPKPdLb1ELb0ELb1EEv18rocblas_operation_llT0_T1_lllT2_lllib.has_recursion, 0
	.set _ZL39rocblas_trsm_block_forward_substitutionIddPKPKdPKPdLb1ELb0ELb1EEv18rocblas_operation_llT0_T1_lllT2_lllib.has_indirect_call, 0
	.section	.AMDGPU.csdata,"",@progbits
; Kernel info:
; codeLenInByte = 720
; TotalNumSgprs: 34
; NumVgprs: 14
; NumAgprs: 0
; TotalNumVgprs: 14
; ScratchSize: 0
; MemoryBound: 0
; FloatMode: 240
; IeeeMode: 1
; LDSByteSize: 0 bytes/workgroup (compile time only)
; SGPRBlocks: 4
; VGPRBlocks: 1
; NumSGPRsForWavesPerEU: 34
; NumVGPRsForWavesPerEU: 14
; AccumOffset: 16
; Occupancy: 8
; WaveLimiterHint : 1
; COMPUTE_PGM_RSRC2:SCRATCH_EN: 0
; COMPUTE_PGM_RSRC2:USER_SGPR: 2
; COMPUTE_PGM_RSRC2:TRAP_HANDLER: 0
; COMPUTE_PGM_RSRC2:TGID_X_EN: 1
; COMPUTE_PGM_RSRC2:TGID_Y_EN: 1
; COMPUTE_PGM_RSRC2:TGID_Z_EN: 1
; COMPUTE_PGM_RSRC2:TIDIG_COMP_CNT: 1
; COMPUTE_PGM_RSRC3_GFX90A:ACCUM_OFFSET: 3
; COMPUTE_PGM_RSRC3_GFX90A:TG_SPLIT: 0
	.section	.text._ZL40rocblas_trsm_block_backward_substitutionIddPKPKdPKPdLb1ELb0ELb1EEv18rocblas_operation_llT0_T1_lllT2_lllib,"axG",@progbits,_ZL40rocblas_trsm_block_backward_substitutionIddPKPKdPKPdLb1ELb0ELb1EEv18rocblas_operation_llT0_T1_lllT2_lllib,comdat
	.globl	_ZL40rocblas_trsm_block_backward_substitutionIddPKPKdPKPdLb1ELb0ELb1EEv18rocblas_operation_llT0_T1_lllT2_lllib ; -- Begin function _ZL40rocblas_trsm_block_backward_substitutionIddPKPKdPKPdLb1ELb0ELb1EEv18rocblas_operation_llT0_T1_lllT2_lllib
	.p2align	8
	.type	_ZL40rocblas_trsm_block_backward_substitutionIddPKPKdPKPdLb1ELb0ELb1EEv18rocblas_operation_llT0_T1_lllT2_lllib,@function
_ZL40rocblas_trsm_block_backward_substitutionIddPKPKdPKPdLb1ELb0ELb1EEv18rocblas_operation_llT0_T1_lllT2_lllib: ; @_ZL40rocblas_trsm_block_backward_substitutionIddPKPKdPKPdLb1ELb0ELb1EEv18rocblas_operation_llT0_T1_lllT2_lllib
; %bb.0:
	s_load_dwordx8 s[8:15], s[0:1], 0x8
	s_load_dwordx4 s[16:19], s[0:1], 0x28
	s_mov_b32 s5, 0
	s_lshl_b64 s[22:23], s[4:5], 3
	v_and_b32_e32 v2, 0x3ff, v0
	s_waitcnt lgkmcnt(0)
	s_add_u32 s14, s14, s22
	s_addc_u32 s15, s15, s23
	s_load_dwordx2 s[20:21], s[14:15], 0x0
	s_load_dwordx4 s[4:7], s[0:1], 0x40
	s_lshl_b64 s[14:15], s[16:17], 3
	v_bfe_u32 v6, v0, 10, 10
	s_waitcnt lgkmcnt(0)
	s_add_u32 s20, s20, s14
	s_addc_u32 s21, s21, s15
	s_add_u32 s4, s4, s22
	s_addc_u32 s5, s5, s23
	s_load_dwordx2 s[14:15], s[0:1], 0x50
	s_load_dword s24, s[0:1], 0x64
	s_load_dword s2, s[0:1], 0x74
	s_load_dwordx2 s[16:17], s[4:5], 0x0
	s_add_u32 s22, s0, 0x68
	s_addc_u32 s23, s1, 0
	s_waitcnt lgkmcnt(0)
	s_lshr_b32 s2, s2, 16
	s_bitcmp0_b32 s24, 0
	s_cbranch_scc1 .LBB127_7
; %bb.1:
	s_lshl_b32 s0, s2, 3
	s_add_i32 s24, s0, 0
	v_cmp_lt_i64_e64 s[0:1], s[8:9], 1
	s_and_b64 vcc, exec, s[0:1]
	s_cbranch_vccnz .LBB127_6
; %bb.2:
	v_mov_b32_e32 v3, 0
	v_lshlrev_b32_e32 v0, 3, v2
	v_mov_b32_e32 v1, v3
	v_add_u32_e32 v7, s24, v0
	v_cmp_gt_u64_e64 s[0:1], s[8:9], v[2:3]
	v_lshl_add_u64 v[0:1], s[20:21], 0, v[0:1]
	s_mov_b32 s20, 0
	s_branch .LBB127_4
.LBB127_3:                              ;   in Loop: Header=BB127_4 Depth=1
	s_or_b64 exec, exec, s[4:5]
	s_add_i32 s20, s20, s2
	s_ashr_i32 s4, s20, 31
	v_mov_b32_e32 v4, s20
	v_mov_b32_e32 v5, s4
	v_cmp_le_i64_e32 vcc, s[8:9], v[4:5]
	s_cbranch_vccnz .LBB127_6
.LBB127_4:                              ; =>This Inner Loop Header: Depth=1
	v_add_u32_e32 v4, s20, v6
	v_ashrrev_i32_e32 v5, 31, v4
	v_cmp_gt_i64_e32 vcc, s[8:9], v[4:5]
	v_cmp_lt_i32_e64 s[4:5], v2, v4
	s_and_b64 s[4:5], s[4:5], vcc
	s_and_b64 s[26:27], s[0:1], s[4:5]
	s_and_saveexec_b64 s[4:5], s[26:27]
	s_cbranch_execz .LBB127_3
; %bb.5:                                ;   in Loop: Header=BB127_4 Depth=1
	v_mul_lo_u32 v3, s19, v4
	v_mul_lo_u32 v5, s18, v5
	v_mad_u64_u32 v[8:9], s[26:27], s18, v4, 0
	v_add3_u32 v9, v9, v5, v3
	v_lshl_add_u64 v[8:9], v[8:9], 3, v[0:1]
	flat_load_dwordx2 v[8:9], v[8:9]
	s_load_dword s21, s[22:23], 0xc
	s_waitcnt lgkmcnt(0)
	s_and_b32 s21, s21, 0xffff
	v_mul_lo_u32 v3, v4, s21
	v_lshl_add_u32 v3, v3, 3, v7
	s_waitcnt vmcnt(0)
	ds_write_b64 v3, v[8:9]
	s_branch .LBB127_3
.LBB127_6:
	s_mov_b64 s[0:1], src_shared_base
	s_load_dword s0, s[22:23], 0xc
	s_mov_b32 s25, s1
	s_mov_b32 s19, 0
	s_mov_b64 s[20:21], s[24:25]
	s_waitcnt lgkmcnt(0)
	s_and_b32 s18, s0, 0xffff
.LBB127_7:
	s_mul_i32 s3, s3, s2
	v_add_u32_e32 v0, s3, v6
	v_mov_b32_e32 v1, 0
	v_cmp_gt_i64_e32 vcc, s[10:11], v[0:1]
	s_and_saveexec_b64 s[0:1], vcc
	s_cbranch_execz .LBB127_18
; %bb.8:
	v_mov_b32_e32 v3, v1
	v_cmp_gt_i64_e32 vcc, s[8:9], v[2:3]
	s_and_b64 exec, exec, vcc
	s_cbranch_execz .LBB127_18
; %bb.9:
	v_mad_u64_u32 v[4:5], s[2:3], s14, v2, 0
	s_lshl_b64 s[0:1], s[6:7], 3
	v_mov_b32_e32 v8, v5
	s_add_u32 s0, s16, s0
	v_mad_u64_u32 v[8:9], s[2:3], s15, v2, v[8:9]
	s_addc_u32 s1, s17, s1
	v_mov_b32_e32 v5, v8
	v_lshl_add_u64 v[4:5], v[4:5], 3, s[0:1]
	v_lshl_add_u64 v[0:1], v[0:1], 3, v[4:5]
	flat_load_dwordx2 v[4:5], v[0:1]
	v_cmp_lt_u64_e64 s[0:1], s[8:9], 2
	s_and_b64 vcc, exec, s[0:1]
	s_waitcnt vmcnt(0) lgkmcnt(0)
	v_mul_f64 v[4:5], s[12:13], v[4:5]
	s_cbranch_vccnz .LBB127_17
; %bb.10:
	s_add_u32 s0, s8, -1
	s_addc_u32 s1, s9, -1
	s_mul_i32 s2, s18, s1
	s_mul_hi_u32 s3, s18, s0
	s_add_i32 s2, s3, s2
	s_mul_i32 s3, s19, s0
	s_add_i32 s3, s2, s3
	s_mul_i32 s2, s18, s0
	s_lshl_b64 s[2:3], s[2:3], 3
	s_add_u32 s2, s20, s2
	v_lshl_add_u32 v8, v6, 3, 0
	v_lshlrev_b32_e32 v6, 3, v2
	v_mov_b32_e32 v7, 0
	s_addc_u32 s3, s21, s3
	v_lshl_add_u64 v[6:7], s[2:3], 0, v[6:7]
	s_lshl_b64 s[2:3], s[18:19], 3
	s_sub_u32 s2, 0, s2
	s_subb_u32 s3, 0, s3
.LBB127_11:                             ; =>This Inner Loop Header: Depth=1
	v_cmp_eq_u64_e32 vcc, s[0:1], v[2:3]
	s_barrier
	s_and_saveexec_b64 s[4:5], vcc
; %bb.12:                               ;   in Loop: Header=BB127_11 Depth=1
	ds_write_b64 v8, v[4:5]
; %bb.13:                               ;   in Loop: Header=BB127_11 Depth=1
	s_or_b64 exec, exec, s[4:5]
	v_cmp_gt_i64_e32 vcc, s[0:1], v[2:3]
	s_waitcnt lgkmcnt(0)
	s_barrier
	s_and_saveexec_b64 s[4:5], vcc
	s_cbranch_execz .LBB127_15
; %bb.14:                               ;   in Loop: Header=BB127_11 Depth=1
	flat_load_dwordx2 v[10:11], v[6:7]
	ds_read_b64 v[12:13], v8
	s_waitcnt vmcnt(0) lgkmcnt(0)
	v_fma_f64 v[4:5], -v[10:11], v[12:13], v[4:5]
.LBB127_15:                             ;   in Loop: Header=BB127_11 Depth=1
	s_or_b64 exec, exec, s[4:5]
	s_add_u32 s4, s0, -1
	s_addc_u32 s5, s1, -1
	s_add_u32 s0, s0, 1
	s_addc_u32 s1, s1, 0
	v_cmp_lt_u64_e64 s[0:1], s[0:1], 3
	v_lshl_add_u64 v[6:7], v[6:7], 0, s[2:3]
	s_and_b64 vcc, exec, s[0:1]
	s_cbranch_vccnz .LBB127_17
; %bb.16:                               ;   in Loop: Header=BB127_11 Depth=1
	s_mov_b64 s[0:1], s[4:5]
	s_branch .LBB127_11
.LBB127_17:
	flat_store_dwordx2 v[0:1], v[4:5]
.LBB127_18:
	s_endpgm
	.section	.rodata,"a",@progbits
	.p2align	6, 0x0
	.amdhsa_kernel _ZL40rocblas_trsm_block_backward_substitutionIddPKPKdPKPdLb1ELb0ELb1EEv18rocblas_operation_llT0_T1_lllT2_lllib
		.amdhsa_group_segment_fixed_size 0
		.amdhsa_private_segment_fixed_size 0
		.amdhsa_kernarg_size 360
		.amdhsa_user_sgpr_count 2
		.amdhsa_user_sgpr_dispatch_ptr 0
		.amdhsa_user_sgpr_queue_ptr 0
		.amdhsa_user_sgpr_kernarg_segment_ptr 1
		.amdhsa_user_sgpr_dispatch_id 0
		.amdhsa_user_sgpr_kernarg_preload_length 0
		.amdhsa_user_sgpr_kernarg_preload_offset 0
		.amdhsa_user_sgpr_private_segment_size 0
		.amdhsa_uses_dynamic_stack 0
		.amdhsa_enable_private_segment 0
		.amdhsa_system_sgpr_workgroup_id_x 1
		.amdhsa_system_sgpr_workgroup_id_y 1
		.amdhsa_system_sgpr_workgroup_id_z 1
		.amdhsa_system_sgpr_workgroup_info 0
		.amdhsa_system_vgpr_workitem_id 1
		.amdhsa_next_free_vgpr 14
		.amdhsa_next_free_sgpr 28
		.amdhsa_accum_offset 16
		.amdhsa_reserve_vcc 1
		.amdhsa_float_round_mode_32 0
		.amdhsa_float_round_mode_16_64 0
		.amdhsa_float_denorm_mode_32 3
		.amdhsa_float_denorm_mode_16_64 3
		.amdhsa_dx10_clamp 1
		.amdhsa_ieee_mode 1
		.amdhsa_fp16_overflow 0
		.amdhsa_tg_split 0
		.amdhsa_exception_fp_ieee_invalid_op 0
		.amdhsa_exception_fp_denorm_src 0
		.amdhsa_exception_fp_ieee_div_zero 0
		.amdhsa_exception_fp_ieee_overflow 0
		.amdhsa_exception_fp_ieee_underflow 0
		.amdhsa_exception_fp_ieee_inexact 0
		.amdhsa_exception_int_div_zero 0
	.end_amdhsa_kernel
	.section	.text._ZL40rocblas_trsm_block_backward_substitutionIddPKPKdPKPdLb1ELb0ELb1EEv18rocblas_operation_llT0_T1_lllT2_lllib,"axG",@progbits,_ZL40rocblas_trsm_block_backward_substitutionIddPKPKdPKPdLb1ELb0ELb1EEv18rocblas_operation_llT0_T1_lllT2_lllib,comdat
.Lfunc_end127:
	.size	_ZL40rocblas_trsm_block_backward_substitutionIddPKPKdPKPdLb1ELb0ELb1EEv18rocblas_operation_llT0_T1_lllT2_lllib, .Lfunc_end127-_ZL40rocblas_trsm_block_backward_substitutionIddPKPKdPKPdLb1ELb0ELb1EEv18rocblas_operation_llT0_T1_lllT2_lllib
                                        ; -- End function
	.set _ZL40rocblas_trsm_block_backward_substitutionIddPKPKdPKPdLb1ELb0ELb1EEv18rocblas_operation_llT0_T1_lllT2_lllib.num_vgpr, 14
	.set _ZL40rocblas_trsm_block_backward_substitutionIddPKPKdPKPdLb1ELb0ELb1EEv18rocblas_operation_llT0_T1_lllT2_lllib.num_agpr, 0
	.set _ZL40rocblas_trsm_block_backward_substitutionIddPKPKdPKPdLb1ELb0ELb1EEv18rocblas_operation_llT0_T1_lllT2_lllib.numbered_sgpr, 28
	.set _ZL40rocblas_trsm_block_backward_substitutionIddPKPKdPKPdLb1ELb0ELb1EEv18rocblas_operation_llT0_T1_lllT2_lllib.num_named_barrier, 0
	.set _ZL40rocblas_trsm_block_backward_substitutionIddPKPKdPKPdLb1ELb0ELb1EEv18rocblas_operation_llT0_T1_lllT2_lllib.private_seg_size, 0
	.set _ZL40rocblas_trsm_block_backward_substitutionIddPKPKdPKPdLb1ELb0ELb1EEv18rocblas_operation_llT0_T1_lllT2_lllib.uses_vcc, 1
	.set _ZL40rocblas_trsm_block_backward_substitutionIddPKPKdPKPdLb1ELb0ELb1EEv18rocblas_operation_llT0_T1_lllT2_lllib.uses_flat_scratch, 0
	.set _ZL40rocblas_trsm_block_backward_substitutionIddPKPKdPKPdLb1ELb0ELb1EEv18rocblas_operation_llT0_T1_lllT2_lllib.has_dyn_sized_stack, 0
	.set _ZL40rocblas_trsm_block_backward_substitutionIddPKPKdPKPdLb1ELb0ELb1EEv18rocblas_operation_llT0_T1_lllT2_lllib.has_recursion, 0
	.set _ZL40rocblas_trsm_block_backward_substitutionIddPKPKdPKPdLb1ELb0ELb1EEv18rocblas_operation_llT0_T1_lllT2_lllib.has_indirect_call, 0
	.section	.AMDGPU.csdata,"",@progbits
; Kernel info:
; codeLenInByte = 760
; TotalNumSgprs: 34
; NumVgprs: 14
; NumAgprs: 0
; TotalNumVgprs: 14
; ScratchSize: 0
; MemoryBound: 0
; FloatMode: 240
; IeeeMode: 1
; LDSByteSize: 0 bytes/workgroup (compile time only)
; SGPRBlocks: 4
; VGPRBlocks: 1
; NumSGPRsForWavesPerEU: 34
; NumVGPRsForWavesPerEU: 14
; AccumOffset: 16
; Occupancy: 8
; WaveLimiterHint : 1
; COMPUTE_PGM_RSRC2:SCRATCH_EN: 0
; COMPUTE_PGM_RSRC2:USER_SGPR: 2
; COMPUTE_PGM_RSRC2:TRAP_HANDLER: 0
; COMPUTE_PGM_RSRC2:TGID_X_EN: 1
; COMPUTE_PGM_RSRC2:TGID_Y_EN: 1
; COMPUTE_PGM_RSRC2:TGID_Z_EN: 1
; COMPUTE_PGM_RSRC2:TIDIG_COMP_CNT: 1
; COMPUTE_PGM_RSRC3_GFX90A:ACCUM_OFFSET: 3
; COMPUTE_PGM_RSRC3_GFX90A:TG_SPLIT: 0
	.section	.text._ZL26setup_batched_array_kernelILi128EdEvPT0_lPS1_,"axG",@progbits,_ZL26setup_batched_array_kernelILi128EdEvPT0_lPS1_,comdat
	.globl	_ZL26setup_batched_array_kernelILi128EdEvPT0_lPS1_ ; -- Begin function _ZL26setup_batched_array_kernelILi128EdEvPT0_lPS1_
	.p2align	8
	.type	_ZL26setup_batched_array_kernelILi128EdEvPT0_lPS1_,@function
_ZL26setup_batched_array_kernelILi128EdEvPT0_lPS1_: ; @_ZL26setup_batched_array_kernelILi128EdEvPT0_lPS1_
; %bb.0:
	s_load_dwordx4 s[4:7], s[0:1], 0x0
	s_mov_b32 s3, 0
	s_load_dwordx2 s[0:1], s[0:1], 0x10
	v_mov_b32_e32 v0, 0
	s_waitcnt lgkmcnt(0)
	s_mul_i32 s7, s7, s2
	s_mul_hi_u32 s8, s6, s2
	s_add_i32 s7, s8, s7
	s_mul_i32 s6, s6, s2
	s_lshl_b64 s[6:7], s[6:7], 3
	s_add_u32 s4, s4, s6
	s_addc_u32 s5, s5, s7
	s_lshl_b64 s[2:3], s[2:3], 3
	s_add_u32 s0, s0, s2
	s_addc_u32 s1, s1, s3
	v_mov_b64_e32 v[2:3], s[4:5]
	global_store_dwordx2 v0, v[2:3], s[0:1]
	s_endpgm
	.section	.rodata,"a",@progbits
	.p2align	6, 0x0
	.amdhsa_kernel _ZL26setup_batched_array_kernelILi128EdEvPT0_lPS1_
		.amdhsa_group_segment_fixed_size 0
		.amdhsa_private_segment_fixed_size 0
		.amdhsa_kernarg_size 24
		.amdhsa_user_sgpr_count 2
		.amdhsa_user_sgpr_dispatch_ptr 0
		.amdhsa_user_sgpr_queue_ptr 0
		.amdhsa_user_sgpr_kernarg_segment_ptr 1
		.amdhsa_user_sgpr_dispatch_id 0
		.amdhsa_user_sgpr_kernarg_preload_length 0
		.amdhsa_user_sgpr_kernarg_preload_offset 0
		.amdhsa_user_sgpr_private_segment_size 0
		.amdhsa_uses_dynamic_stack 0
		.amdhsa_enable_private_segment 0
		.amdhsa_system_sgpr_workgroup_id_x 1
		.amdhsa_system_sgpr_workgroup_id_y 0
		.amdhsa_system_sgpr_workgroup_id_z 0
		.amdhsa_system_sgpr_workgroup_info 0
		.amdhsa_system_vgpr_workitem_id 0
		.amdhsa_next_free_vgpr 4
		.amdhsa_next_free_sgpr 9
		.amdhsa_accum_offset 4
		.amdhsa_reserve_vcc 0
		.amdhsa_float_round_mode_32 0
		.amdhsa_float_round_mode_16_64 0
		.amdhsa_float_denorm_mode_32 3
		.amdhsa_float_denorm_mode_16_64 3
		.amdhsa_dx10_clamp 1
		.amdhsa_ieee_mode 1
		.amdhsa_fp16_overflow 0
		.amdhsa_tg_split 0
		.amdhsa_exception_fp_ieee_invalid_op 0
		.amdhsa_exception_fp_denorm_src 0
		.amdhsa_exception_fp_ieee_div_zero 0
		.amdhsa_exception_fp_ieee_overflow 0
		.amdhsa_exception_fp_ieee_underflow 0
		.amdhsa_exception_fp_ieee_inexact 0
		.amdhsa_exception_int_div_zero 0
	.end_amdhsa_kernel
	.section	.text._ZL26setup_batched_array_kernelILi128EdEvPT0_lPS1_,"axG",@progbits,_ZL26setup_batched_array_kernelILi128EdEvPT0_lPS1_,comdat
.Lfunc_end128:
	.size	_ZL26setup_batched_array_kernelILi128EdEvPT0_lPS1_, .Lfunc_end128-_ZL26setup_batched_array_kernelILi128EdEvPT0_lPS1_
                                        ; -- End function
	.set _ZL26setup_batched_array_kernelILi128EdEvPT0_lPS1_.num_vgpr, 4
	.set _ZL26setup_batched_array_kernelILi128EdEvPT0_lPS1_.num_agpr, 0
	.set _ZL26setup_batched_array_kernelILi128EdEvPT0_lPS1_.numbered_sgpr, 9
	.set _ZL26setup_batched_array_kernelILi128EdEvPT0_lPS1_.num_named_barrier, 0
	.set _ZL26setup_batched_array_kernelILi128EdEvPT0_lPS1_.private_seg_size, 0
	.set _ZL26setup_batched_array_kernelILi128EdEvPT0_lPS1_.uses_vcc, 0
	.set _ZL26setup_batched_array_kernelILi128EdEvPT0_lPS1_.uses_flat_scratch, 0
	.set _ZL26setup_batched_array_kernelILi128EdEvPT0_lPS1_.has_dyn_sized_stack, 0
	.set _ZL26setup_batched_array_kernelILi128EdEvPT0_lPS1_.has_recursion, 0
	.set _ZL26setup_batched_array_kernelILi128EdEvPT0_lPS1_.has_indirect_call, 0
	.section	.AMDGPU.csdata,"",@progbits
; Kernel info:
; codeLenInByte = 84
; TotalNumSgprs: 15
; NumVgprs: 4
; NumAgprs: 0
; TotalNumVgprs: 4
; ScratchSize: 0
; MemoryBound: 0
; FloatMode: 240
; IeeeMode: 1
; LDSByteSize: 0 bytes/workgroup (compile time only)
; SGPRBlocks: 1
; VGPRBlocks: 0
; NumSGPRsForWavesPerEU: 15
; NumVGPRsForWavesPerEU: 4
; AccumOffset: 4
; Occupancy: 8
; WaveLimiterHint : 0
; COMPUTE_PGM_RSRC2:SCRATCH_EN: 0
; COMPUTE_PGM_RSRC2:USER_SGPR: 2
; COMPUTE_PGM_RSRC2:TRAP_HANDLER: 0
; COMPUTE_PGM_RSRC2:TGID_X_EN: 1
; COMPUTE_PGM_RSRC2:TGID_Y_EN: 0
; COMPUTE_PGM_RSRC2:TGID_Z_EN: 0
; COMPUTE_PGM_RSRC2:TIDIG_COMP_CNT: 0
; COMPUTE_PGM_RSRC3_GFX90A:ACCUM_OFFSET: 0
; COMPUTE_PGM_RSRC3_GFX90A:TG_SPLIT: 0
	.section	.text._ZL25rocblas_trtri_trsm_kernelILi128ELi16ELi8EdPKPKdPKPdEv13rocblas_fill_17rocblas_diagonal_T3_lilT4_lli,"axG",@progbits,_ZL25rocblas_trtri_trsm_kernelILi128ELi16ELi8EdPKPKdPKPdEv13rocblas_fill_17rocblas_diagonal_T3_lilT4_lli,comdat
	.globl	_ZL25rocblas_trtri_trsm_kernelILi128ELi16ELi8EdPKPKdPKPdEv13rocblas_fill_17rocblas_diagonal_T3_lilT4_lli ; -- Begin function _ZL25rocblas_trtri_trsm_kernelILi128ELi16ELi8EdPKPKdPKPdEv13rocblas_fill_17rocblas_diagonal_T3_lilT4_lli
	.p2align	8
	.type	_ZL25rocblas_trtri_trsm_kernelILi128ELi16ELi8EdPKPKdPKPdEv13rocblas_fill_17rocblas_diagonal_T3_lilT4_lli,@function
_ZL25rocblas_trtri_trsm_kernelILi128ELi16ELi8EdPKPKdPKPdEv13rocblas_fill_17rocblas_diagonal_T3_lilT4_lli: ; @_ZL25rocblas_trtri_trsm_kernelILi128ELi16ELi8EdPKPKdPKPdEv13rocblas_fill_17rocblas_diagonal_T3_lilT4_lli
; %bb.0:
	s_load_dwordx4 s[12:15], s[0:1], 0x8
	s_load_dwordx4 s[8:11], s[0:1], 0x28
	s_mov_b32 s4, s3
	s_mov_b32 s5, 0
	s_lshl_b64 s[4:5], s[4:5], 3
	s_waitcnt lgkmcnt(0)
	s_add_u32 s6, s12, s4
	s_addc_u32 s7, s13, s5
	s_add_u32 s4, s8, s4
	s_addc_u32 s5, s9, s5
	s_load_dwordx2 s[20:21], s[6:7], 0x0
	s_load_dwordx2 s[12:13], s[4:5], 0x0
	v_cmp_gt_u32_e64 s[6:7], 16, v0
	v_cmp_lt_u32_e64 s[4:5], 15, v0
	v_cmp_gt_u32_e64 s[8:9], 32, v0
	v_cmp_lt_u32_e32 vcc, 31, v0
	v_mov_b32_e32 v2, v0
	s_and_saveexec_b64 s[16:17], s[4:5]
	s_cbranch_execz .LBB129_6
; %bb.1:
                                        ; implicit-def: $vgpr2
	s_and_saveexec_b64 s[4:5], vcc
	s_xor_b64 s[4:5], exec, s[4:5]
; %bb.2:
	v_subrev_u32_e32 v2, 32, v0
; %bb.3:
	s_andn2_saveexec_b64 s[4:5], s[4:5]
; %bb.4:
	v_add_u32_e32 v2, -16, v0
; %bb.5:
	s_or_b64 exec, exec, s[4:5]
.LBB129_6:
	s_or_b64 exec, exec, s[16:17]
	s_load_dword s16, s[0:1], 0x18
	s_load_dwordx2 s[4:5], s[0:1], 0x0
	s_lshl_b32 s3, s2, 1
	v_mov_b32_e32 v1, 0x1800
	v_cndmask_b32_e64 v1, 0, v1, s[8:9]
	s_waitcnt lgkmcnt(0)
	s_ashr_i32 s17, s16, 31
	s_lshl_b64 s[18:19], s[16:17], 4
	s_add_u32 s24, s18, 16
	s_addc_u32 s25, s19, 0
	s_mul_hi_u32 s1, s24, s3
	s_mul_i32 s22, s25, s3
	s_mul_i32 s0, s24, s3
	s_add_i32 s1, s1, s22
	s_lshl_b64 s[0:1], s[0:1], 3
	s_add_u32 s20, s20, s0
	s_addc_u32 s21, s21, s1
	s_lshl_b64 s[0:1], s[14:15], 3
	s_add_u32 s14, s20, s0
	s_addc_u32 s15, s21, s1
	v_mov_b32_e32 v4, 0x1000
	s_and_saveexec_b64 s[0:1], vcc
	s_xor_b64 s[0:1], exec, s[0:1]
	s_cbranch_execz .LBB129_13
; %bb.7:
	v_cmp_gt_u32_e32 vcc, 48, v0
	s_and_saveexec_b64 s[20:21], vcc
	s_cbranch_execz .LBB129_12
; %bb.8:
	s_cmpk_eq_i32 s4, 0x7a
	v_mov_b32_e32 v3, 0
	s_mov_b64 s[22:23], -1
	s_cbranch_scc1 .LBB129_10
; %bb.9:
	s_lshl_b64 s[22:23], s[16:17], 7
	s_add_u32 s22, s14, s22
	s_addc_u32 s23, s15, s23
	v_lshl_add_u64 v[6:7], v[2:3], 3, s[22:23]
	v_mov_b32_e32 v5, 0x78
	v_mad_i64_i32 v[8:9], s[22:23], s16, v5, v[6:7]
	flat_load_dwordx2 v[10:11], v[8:9]
	s_lshl_b64 s[22:23], s[16:17], 3
	s_sub_u32 s22, 0, s22
	v_lshlrev_b32_e32 v5, 3, v2
	s_subb_u32 s23, 0, s23
	v_lshl_add_u64 v[8:9], v[8:9], 0, s[22:23]
	s_waitcnt vmcnt(0) lgkmcnt(0)
	ds_write_b64 v5, v[10:11] offset:1920
	flat_load_dwordx2 v[10:11], v[8:9]
	v_lshl_add_u64 v[8:9], v[8:9], 0, s[22:23]
	s_waitcnt vmcnt(0) lgkmcnt(0)
	ds_write_b64 v5, v[10:11] offset:1792
	flat_load_dwordx2 v[10:11], v[8:9]
	;; [unrolled: 4-line block ×13, first 2 shown]
	v_lshl_add_u64 v[8:9], v[8:9], 0, s[22:23]
	s_mov_b64 s[22:23], 0
	s_waitcnt vmcnt(0) lgkmcnt(0)
	ds_write_b64 v5, v[10:11] offset:256
	flat_load_dwordx2 v[8:9], v[8:9]
	s_waitcnt vmcnt(0) lgkmcnt(0)
	ds_write_b64 v5, v[8:9] offset:128
	flat_load_dwordx2 v[6:7], v[6:7]
	s_waitcnt vmcnt(0) lgkmcnt(0)
	ds_write_b64 v5, v[6:7]
.LBB129_10:
	s_andn2_b64 vcc, exec, s[22:23]
	s_cbranch_vccnz .LBB129_12
; %bb.11:
	v_lshl_add_u64 v[6:7], v[2:3], 3, s[14:15]
	flat_load_dwordx2 v[8:9], v[6:7] offset:128
	v_lshlrev_b32_e32 v3, 3, v2
	s_lshl_b64 s[22:23], s[16:17], 3
	v_lshl_add_u64 v[6:7], v[6:7], 0, s[22:23]
	s_waitcnt vmcnt(0) lgkmcnt(0)
	ds_write_b64 v3, v[8:9]
	flat_load_dwordx2 v[8:9], v[6:7] offset:128
	v_lshl_add_u64 v[6:7], v[6:7], 0, s[22:23]
	s_waitcnt vmcnt(0) lgkmcnt(0)
	ds_write_b64 v3, v[8:9] offset:128
	flat_load_dwordx2 v[8:9], v[6:7] offset:128
	v_lshl_add_u64 v[6:7], v[6:7], 0, s[22:23]
	s_waitcnt vmcnt(0) lgkmcnt(0)
	ds_write_b64 v3, v[8:9] offset:256
	;; [unrolled: 4-line block ×14, first 2 shown]
	flat_load_dwordx2 v[6:7], v[6:7] offset:128
	s_waitcnt vmcnt(0) lgkmcnt(0)
	ds_write_b64 v3, v[6:7] offset:1920
.LBB129_12:
	s_or_b64 exec, exec, s[20:21]
.LBB129_13:
	s_or_saveexec_b64 s[0:1], s[0:1]
	v_cndmask_b32_e64 v8, v1, v4, s[6:7]
	s_xor_b64 exec, exec, s[0:1]
	s_cbranch_execz .LBB129_80
; %bb.14:
	v_mov_b32_e32 v1, s25
	v_cndmask_b32_e64 v5, v1, 0, s[6:7]
	v_mov_b32_e32 v1, s24
	v_cndmask_b32_e64 v4, v1, 0, s[6:7]
	s_mov_b64 s[20:21], -1
	s_cmpk_eq_i32 s4, 0x7a
	v_lshl_add_u64 v[4:5], v[4:5], 3, s[14:15]
	s_cbranch_scc1 .LBB129_48
; %bb.15:
	v_mov_b32_e32 v3, 0
	v_lshl_add_u64 v[6:7], v[2:3], 3, v[4:5]
	v_cmp_gt_u32_e32 vcc, 16, v2
	v_mov_b64_e32 v[10:11], 0
	v_mov_b64_e32 v[12:13], 0
	s_and_saveexec_b64 s[14:15], vcc
	s_cbranch_execz .LBB129_17
; %bb.16:
	v_mov_b32_e32 v1, 0x78
	v_mad_i64_i32 v[12:13], s[20:21], s16, v1, v[6:7]
	flat_load_dwordx2 v[12:13], v[12:13]
.LBB129_17:
	s_or_b64 exec, exec, s[14:15]
	v_sub_u32_e32 v1, 0xffffff10, v2
	v_lshl_add_u32 v1, v1, 3, v8
	v_cmp_gt_u32_e32 vcc, 15, v2
	s_waitcnt vmcnt(0) lgkmcnt(0)
	ds_write_b64 v1, v[12:13] offset:2040
	s_and_saveexec_b64 s[14:15], vcc
	s_cbranch_execz .LBB129_19
; %bb.18:
	v_mov_b32_e32 v1, 0x70
	v_mad_i64_i32 v[10:11], s[20:21], s16, v1, v[6:7]
	flat_load_dwordx2 v[10:11], v[10:11]
.LBB129_19:
	s_or_b64 exec, exec, s[14:15]
	v_sub_u32_e32 v1, 0xffffff20, v2
	v_lshl_add_u32 v1, v1, 3, v8
	s_waitcnt vmcnt(0) lgkmcnt(0)
	ds_write_b64 v1, v[10:11] offset:2040
	v_cmp_gt_u32_e32 vcc, 14, v2
	v_mov_b64_e32 v[10:11], 0
	v_mov_b64_e32 v[12:13], 0
	s_and_saveexec_b64 s[14:15], vcc
	s_cbranch_execz .LBB129_21
; %bb.20:
	v_mov_b32_e32 v1, 0x68
	v_mad_i64_i32 v[12:13], s[20:21], s16, v1, v[6:7]
	flat_load_dwordx2 v[12:13], v[12:13]
.LBB129_21:
	s_or_b64 exec, exec, s[14:15]
	v_sub_u32_e32 v1, 0xffffff30, v2
	v_lshl_add_u32 v1, v1, 3, v8
	v_cmp_gt_u32_e32 vcc, 13, v2
	s_waitcnt vmcnt(0) lgkmcnt(0)
	ds_write_b64 v1, v[12:13] offset:2040
	s_and_saveexec_b64 s[14:15], vcc
	s_cbranch_execz .LBB129_23
; %bb.22:
	v_mov_b32_e32 v1, 0x60
	v_mad_i64_i32 v[10:11], s[20:21], s16, v1, v[6:7]
	flat_load_dwordx2 v[10:11], v[10:11]
.LBB129_23:
	s_or_b64 exec, exec, s[14:15]
	v_sub_u32_e32 v1, 0xffffff40, v2
	v_lshl_add_u32 v1, v1, 3, v8
	s_waitcnt vmcnt(0) lgkmcnt(0)
	ds_write_b64 v1, v[10:11] offset:2040
	;; [unrolled: 28-line block ×3, first 2 shown]
	v_cmp_gt_u32_e32 vcc, 10, v2
	v_mov_b64_e32 v[10:11], 0
	v_mov_b64_e32 v[12:13], 0
	s_and_saveexec_b64 s[14:15], vcc
	s_cbranch_execz .LBB129_29
; %bb.28:
	v_mov_b32_e32 v1, 0x48
	v_mad_i64_i32 v[12:13], s[20:21], s16, v1, v[6:7]
	flat_load_dwordx2 v[12:13], v[12:13]
.LBB129_29:
	s_or_b64 exec, exec, s[14:15]
	v_sub_u32_e32 v1, 0xffffff70, v2
	v_lshl_add_u32 v1, v1, 3, v8
	v_cmp_gt_u32_e32 vcc, 9, v2
	s_waitcnt vmcnt(0) lgkmcnt(0)
	ds_write_b64 v1, v[12:13] offset:2040
	s_and_saveexec_b64 s[14:15], vcc
	s_cbranch_execz .LBB129_31
; %bb.30:
	s_lshl_b64 s[20:21], s[16:17], 6
	v_lshl_add_u64 v[10:11], v[6:7], 0, s[20:21]
	flat_load_dwordx2 v[10:11], v[10:11]
.LBB129_31:
	s_or_b64 exec, exec, s[14:15]
	v_sub_u32_e32 v1, 0xffffff80, v2
	v_lshl_add_u32 v1, v1, 3, v8
	s_waitcnt vmcnt(0) lgkmcnt(0)
	ds_write_b64 v1, v[10:11] offset:2040
	v_cmp_gt_u32_e32 vcc, 8, v2
	v_mov_b64_e32 v[10:11], 0
	v_mov_b64_e32 v[12:13], 0
	s_and_saveexec_b64 s[14:15], vcc
	s_cbranch_execz .LBB129_33
; %bb.32:
	v_mad_i64_i32 v[12:13], s[20:21], s16, 56, v[6:7]
	flat_load_dwordx2 v[12:13], v[12:13]
.LBB129_33:
	s_or_b64 exec, exec, s[14:15]
	v_sub_u32_e32 v1, 0xffffff90, v2
	v_lshl_add_u32 v1, v1, 3, v8
	v_cmp_gt_u32_e32 vcc, 7, v2
	s_waitcnt vmcnt(0) lgkmcnt(0)
	ds_write_b64 v1, v[12:13] offset:2040
	s_and_saveexec_b64 s[14:15], vcc
	s_cbranch_execz .LBB129_35
; %bb.34:
	v_mad_i64_i32 v[10:11], s[20:21], s16, 48, v[6:7]
	flat_load_dwordx2 v[10:11], v[10:11]
.LBB129_35:
	s_or_b64 exec, exec, s[14:15]
	v_sub_u32_e32 v1, 0xffffffa0, v2
	v_lshl_add_u32 v1, v1, 3, v8
	s_waitcnt vmcnt(0) lgkmcnt(0)
	ds_write_b64 v1, v[10:11] offset:2040
	v_cmp_gt_u32_e32 vcc, 6, v2
	v_mov_b64_e32 v[10:11], 0
	v_mov_b64_e32 v[12:13], 0
	s_and_saveexec_b64 s[14:15], vcc
	s_cbranch_execz .LBB129_37
; %bb.36:
	v_mad_i64_i32 v[12:13], s[20:21], s16, 40, v[6:7]
	flat_load_dwordx2 v[12:13], v[12:13]
.LBB129_37:
	s_or_b64 exec, exec, s[14:15]
	v_sub_u32_e32 v1, 0xffffffb0, v2
	v_lshl_add_u32 v1, v1, 3, v8
	v_cmp_gt_u32_e32 vcc, 5, v2
	s_waitcnt vmcnt(0) lgkmcnt(0)
	ds_write_b64 v1, v[12:13] offset:2040
	s_and_saveexec_b64 s[14:15], vcc
	s_cbranch_execz .LBB129_39
; %bb.38:
	s_lshl_b64 s[20:21], s[16:17], 5
	v_lshl_add_u64 v[10:11], v[6:7], 0, s[20:21]
	flat_load_dwordx2 v[10:11], v[10:11]
.LBB129_39:
	s_or_b64 exec, exec, s[14:15]
	v_sub_u32_e32 v1, 0xffffffc0, v2
	v_lshl_add_u32 v1, v1, 3, v8
	s_waitcnt vmcnt(0) lgkmcnt(0)
	ds_write_b64 v1, v[10:11] offset:2040
	v_cmp_gt_u32_e32 vcc, 4, v2
	v_mov_b64_e32 v[10:11], 0
	v_mov_b64_e32 v[12:13], 0
	s_and_saveexec_b64 s[14:15], vcc
	s_cbranch_execz .LBB129_41
; %bb.40:
	v_mad_i64_i32 v[12:13], s[20:21], s16, 24, v[6:7]
	flat_load_dwordx2 v[12:13], v[12:13]
.LBB129_41:
	s_or_b64 exec, exec, s[14:15]
	v_sub_u32_e32 v1, 0xffffffd0, v2
	v_lshl_add_u32 v1, v1, 3, v8
	v_cmp_gt_u32_e32 vcc, 3, v2
	s_waitcnt vmcnt(0) lgkmcnt(0)
	ds_write_b64 v1, v[12:13] offset:2040
	s_and_saveexec_b64 s[14:15], vcc
	s_cbranch_execz .LBB129_43
; %bb.42:
	v_lshl_add_u64 v[10:11], v[6:7], 0, s[18:19]
	flat_load_dwordx2 v[10:11], v[10:11]
.LBB129_43:
	s_or_b64 exec, exec, s[14:15]
	v_sub_u32_e32 v1, 0xffffffe0, v2
	v_lshl_add_u32 v1, v1, 3, v8
	s_waitcnt vmcnt(0) lgkmcnt(0)
	ds_write_b64 v1, v[10:11] offset:2040
	v_cmp_gt_u32_e32 vcc, 2, v2
	v_mov_b64_e32 v[10:11], 0
	v_mov_b64_e32 v[12:13], 0
	s_and_saveexec_b64 s[14:15], vcc
	s_cbranch_execz .LBB129_45
; %bb.44:
	v_lshl_add_u64 v[12:13], s[16:17], 3, v[6:7]
	flat_load_dwordx2 v[12:13], v[12:13]
.LBB129_45:
	s_or_b64 exec, exec, s[14:15]
	v_sub_u32_e32 v1, -16, v2
	v_lshl_add_u32 v1, v1, 3, v8
	v_cmp_eq_u32_e32 vcc, 0, v2
	s_waitcnt vmcnt(0) lgkmcnt(0)
	ds_write_b64 v1, v[12:13] offset:2040
	s_and_saveexec_b64 s[14:15], vcc
	s_cbranch_execz .LBB129_47
; %bb.46:
	flat_load_dwordx2 v[10:11], v[6:7]
.LBB129_47:
	s_or_b64 exec, exec, s[14:15]
	v_lshlrev_b32_e32 v1, 3, v2
	v_sub_u32_e32 v1, v8, v1
	s_mov_b64 s[20:21], 0
	s_waitcnt vmcnt(0) lgkmcnt(0)
	ds_write_b64 v1, v[10:11] offset:2040
.LBB129_48:
	s_and_b64 vcc, exec, s[20:21]
	s_cbranch_vccz .LBB129_80
; %bb.49:
	v_mov_b32_e32 v3, 0
	v_lshl_add_u64 v[4:5], v[2:3], 3, v[4:5]
	flat_load_dwordx2 v[10:11], v[4:5]
	v_lshl_add_u32 v1, v2, 3, v8
	v_cmp_ne_u32_e32 vcc, 0, v2
	v_mov_b64_e32 v[6:7], 0
	s_waitcnt vmcnt(0) lgkmcnt(0)
	ds_write_b64 v1, v[10:11]
	v_mov_b64_e32 v[10:11], 0
	s_and_saveexec_b64 s[14:15], vcc
	s_cbranch_execz .LBB129_51
; %bb.50:
	v_lshl_add_u64 v[10:11], s[16:17], 3, v[4:5]
	flat_load_dwordx2 v[10:11], v[10:11]
.LBB129_51:
	s_or_b64 exec, exec, s[14:15]
	v_cmp_lt_u32_e32 vcc, 1, v2
	s_waitcnt vmcnt(0) lgkmcnt(0)
	ds_write_b64 v1, v[10:11] offset:128
	s_and_saveexec_b64 s[14:15], vcc
	s_cbranch_execz .LBB129_53
; %bb.52:
	v_lshl_add_u64 v[6:7], v[4:5], 0, s[18:19]
	flat_load_dwordx2 v[6:7], v[6:7]
.LBB129_53:
	s_or_b64 exec, exec, s[14:15]
	s_waitcnt vmcnt(0) lgkmcnt(0)
	ds_write_b64 v1, v[6:7] offset:256
	v_cmp_lt_u32_e32 vcc, 2, v2
	v_mov_b64_e32 v[6:7], 0
	v_mov_b64_e32 v[10:11], 0
	s_and_saveexec_b64 s[14:15], vcc
	s_cbranch_execz .LBB129_55
; %bb.54:
	v_mad_i64_i32 v[10:11], s[18:19], s16, 24, v[4:5]
	flat_load_dwordx2 v[10:11], v[10:11]
.LBB129_55:
	s_or_b64 exec, exec, s[14:15]
	v_cmp_lt_u32_e32 vcc, 3, v2
	s_waitcnt vmcnt(0) lgkmcnt(0)
	ds_write_b64 v1, v[10:11] offset:384
	s_and_saveexec_b64 s[14:15], vcc
	s_cbranch_execz .LBB129_57
; %bb.56:
	s_lshl_b64 s[18:19], s[16:17], 5
	v_lshl_add_u64 v[6:7], v[4:5], 0, s[18:19]
	flat_load_dwordx2 v[6:7], v[6:7]
.LBB129_57:
	s_or_b64 exec, exec, s[14:15]
	s_waitcnt vmcnt(0) lgkmcnt(0)
	ds_write_b64 v1, v[6:7] offset:512
	v_cmp_lt_u32_e32 vcc, 4, v2
	v_mov_b64_e32 v[6:7], 0
	v_mov_b64_e32 v[10:11], 0
	s_and_saveexec_b64 s[14:15], vcc
	s_cbranch_execz .LBB129_59
; %bb.58:
	v_mad_i64_i32 v[10:11], s[18:19], s16, 40, v[4:5]
	flat_load_dwordx2 v[10:11], v[10:11]
.LBB129_59:
	s_or_b64 exec, exec, s[14:15]
	v_cmp_lt_u32_e32 vcc, 5, v2
	s_waitcnt vmcnt(0) lgkmcnt(0)
	ds_write_b64 v1, v[10:11] offset:640
	s_and_saveexec_b64 s[14:15], vcc
	s_cbranch_execz .LBB129_61
; %bb.60:
	v_mad_i64_i32 v[6:7], s[18:19], s16, 48, v[4:5]
	flat_load_dwordx2 v[6:7], v[6:7]
.LBB129_61:
	s_or_b64 exec, exec, s[14:15]
	s_waitcnt vmcnt(0) lgkmcnt(0)
	ds_write_b64 v1, v[6:7] offset:768
	v_cmp_lt_u32_e32 vcc, 6, v2
	v_mov_b64_e32 v[6:7], 0
	v_mov_b64_e32 v[10:11], 0
	s_and_saveexec_b64 s[14:15], vcc
	s_cbranch_execz .LBB129_63
; %bb.62:
	v_mad_i64_i32 v[10:11], s[18:19], s16, 56, v[4:5]
	flat_load_dwordx2 v[10:11], v[10:11]
.LBB129_63:
	s_or_b64 exec, exec, s[14:15]
	v_cmp_lt_u32_e32 vcc, 7, v2
	s_waitcnt vmcnt(0) lgkmcnt(0)
	ds_write_b64 v1, v[10:11] offset:896
	s_and_saveexec_b64 s[14:15], vcc
	s_cbranch_execz .LBB129_65
; %bb.64:
	s_lshl_b64 s[18:19], s[16:17], 6
	v_lshl_add_u64 v[6:7], v[4:5], 0, s[18:19]
	flat_load_dwordx2 v[6:7], v[6:7]
.LBB129_65:
	s_or_b64 exec, exec, s[14:15]
	s_waitcnt vmcnt(0) lgkmcnt(0)
	ds_write_b64 v1, v[6:7] offset:1024
	v_cmp_lt_u32_e32 vcc, 8, v2
	v_mov_b64_e32 v[6:7], 0
	v_mov_b64_e32 v[10:11], 0
	s_and_saveexec_b64 s[14:15], vcc
	s_cbranch_execz .LBB129_67
; %bb.66:
	v_mov_b32_e32 v3, 0x48
	v_mad_i64_i32 v[10:11], s[18:19], s16, v3, v[4:5]
	flat_load_dwordx2 v[10:11], v[10:11]
.LBB129_67:
	s_or_b64 exec, exec, s[14:15]
	v_cmp_lt_u32_e32 vcc, 9, v2
	s_waitcnt vmcnt(0) lgkmcnt(0)
	ds_write_b64 v1, v[10:11] offset:1152
	s_and_saveexec_b64 s[14:15], vcc
	s_cbranch_execz .LBB129_69
; %bb.68:
	v_mov_b32_e32 v3, 0x50
	v_mad_i64_i32 v[6:7], s[18:19], s16, v3, v[4:5]
	flat_load_dwordx2 v[6:7], v[6:7]
.LBB129_69:
	s_or_b64 exec, exec, s[14:15]
	s_waitcnt vmcnt(0) lgkmcnt(0)
	ds_write_b64 v1, v[6:7] offset:1280
	v_cmp_lt_u32_e32 vcc, 10, v2
	v_mov_b64_e32 v[6:7], 0
	v_mov_b64_e32 v[10:11], 0
	s_and_saveexec_b64 s[14:15], vcc
	s_cbranch_execz .LBB129_71
; %bb.70:
	v_mov_b32_e32 v3, 0x58
	v_mad_i64_i32 v[10:11], s[18:19], s16, v3, v[4:5]
	flat_load_dwordx2 v[10:11], v[10:11]
.LBB129_71:
	s_or_b64 exec, exec, s[14:15]
	v_cmp_lt_u32_e32 vcc, 11, v2
	s_waitcnt vmcnt(0) lgkmcnt(0)
	ds_write_b64 v1, v[10:11] offset:1408
	s_and_saveexec_b64 s[14:15], vcc
	s_cbranch_execz .LBB129_73
; %bb.72:
	v_mov_b32_e32 v3, 0x60
	v_mad_i64_i32 v[6:7], s[18:19], s16, v3, v[4:5]
	flat_load_dwordx2 v[6:7], v[6:7]
.LBB129_73:
	;; [unrolled: 24-line block ×3, first 2 shown]
	s_or_b64 exec, exec, s[14:15]
	s_waitcnt vmcnt(0) lgkmcnt(0)
	ds_write_b64 v1, v[6:7] offset:1792
	v_cmp_lt_u32_e32 vcc, 14, v2
	v_mov_b64_e32 v[6:7], 0
	s_and_saveexec_b64 s[14:15], vcc
	s_cbranch_execz .LBB129_79
; %bb.78:
	v_mov_b32_e32 v3, 0x78
	v_mad_i64_i32 v[4:5], s[16:17], s16, v3, v[4:5]
	flat_load_dwordx2 v[6:7], v[4:5]
.LBB129_79:
	s_or_b64 exec, exec, s[14:15]
	s_waitcnt vmcnt(0) lgkmcnt(0)
	ds_write_b64 v1, v[6:7] offset:1920
.LBB129_80:
	s_or_b64 exec, exec, s[0:1]
	s_waitcnt lgkmcnt(0)
	s_barrier
	s_and_saveexec_b64 s[0:1], s[8:9]
	s_cbranch_execz .LBB129_86
; %bb.81:
	v_mul_i32_i24_e32 v1, 0x88, v2
	s_cmpk_eq_i32 s5, 0x84
	v_mov_b64_e32 v[6:7], 1.0
	v_add_u32_e32 v1, v8, v1
	s_cbranch_scc1 .LBB129_85
; %bb.82:
	ds_read_b64 v[4:5], v1
	v_mov_b64_e32 v[6:7], 1.0
	s_waitcnt lgkmcnt(0)
	v_cmp_neq_f64_e32 vcc, 0, v[4:5]
	s_and_saveexec_b64 s[14:15], vcc
	s_cbranch_execz .LBB129_84
; %bb.83:
	v_div_scale_f64 v[6:7], s[16:17], v[4:5], v[4:5], 1.0
	v_rcp_f64_e32 v[10:11], v[6:7]
	v_div_scale_f64 v[12:13], vcc, 1.0, v[4:5], 1.0
	v_fma_f64 v[14:15], -v[6:7], v[10:11], 1.0
	v_fmac_f64_e32 v[10:11], v[10:11], v[14:15]
	v_fma_f64 v[14:15], -v[6:7], v[10:11], 1.0
	v_fmac_f64_e32 v[10:11], v[10:11], v[14:15]
	v_mul_f64 v[14:15], v[12:13], v[10:11]
	v_fma_f64 v[6:7], -v[6:7], v[14:15], v[12:13]
	v_div_fmas_f64 v[6:7], v[6:7], v[10:11], v[14:15]
	v_div_fixup_f64 v[6:7], v[6:7], v[4:5], 1.0
.LBB129_84:
	s_or_b64 exec, exec, s[14:15]
.LBB129_85:
	ds_write_b64 v1, v[6:7]
.LBB129_86:
	s_or_b64 exec, exec, s[0:1]
	s_waitcnt lgkmcnt(0)
	s_barrier
	s_and_saveexec_b64 s[0:1], s[8:9]
	s_cbranch_execz .LBB129_108
; %bb.87:
	v_lshl_add_u32 v1, v2, 3, v8
	v_mul_i32_i24_e32 v4, 0x88, v2
	v_add_u32_e32 v3, 0x80, v1
	v_add_u32_e32 v6, 8, v8
	;; [unrolled: 1-line block ×4, first 2 shown]
	s_mov_b32 s5, 0
	v_add_u32_e32 v10, v8, v4
	s_branch .LBB129_89
.LBB129_88:                             ;   in Loop: Header=BB129_89 Depth=1
	v_add_u32_e32 v3, 0x100, v3
	v_add_u32_e32 v6, 0x110, v6
	;; [unrolled: 1-line block ×3, first 2 shown]
	s_cmp_eq_u32 s5, 16
	v_add_u32_e32 v9, 0x100, v9
	s_cbranch_scc1 .LBB129_108
.LBB129_89:                             ; =>This Loop Header: Depth=1
                                        ;     Child Loop BB129_95 Depth 2
                                        ;     Child Loop BB129_104 Depth 2
	v_cmp_ge_i32_e32 vcc, s5, v2
                                        ; implicit-def: $sgpr16
	s_and_saveexec_b64 s[14:15], vcc
	s_xor_b64 s[14:15], exec, s[14:15]
; %bb.90:                               ;   in Loop: Header=BB129_89 Depth=1
	s_lshl_b32 s16, s5, 7
; %bb.91:                               ;   in Loop: Header=BB129_89 Depth=1
	s_or_saveexec_b64 s[14:15], s[14:15]
	v_mov_b64_e32 v[4:5], 0
	v_mov_b32_e32 v11, s16
	s_xor_b64 exec, exec, s[14:15]
	s_cbranch_execz .LBB129_93
; %bb.92:                               ;   in Loop: Header=BB129_89 Depth=1
	s_mul_i32 s16, s5, 0x88
	v_add_u32_e32 v11, s16, v8
	s_lshl_b32 s16, s5, 7
	v_add_u32_e32 v4, s16, v1
	ds_read_b64 v[4:5], v4
	ds_read_b64 v[12:13], v11
	v_mov_b32_e32 v11, s16
	s_waitcnt lgkmcnt(0)
	v_fma_f64 v[4:5], v[4:5], v[12:13], 0
.LBB129_93:                             ;   in Loop: Header=BB129_89 Depth=1
	s_or_b64 exec, exec, s[14:15]
	s_or_b32 s16, s5, 1
	v_add_u32_e32 v11, v1, v11
	v_mov_b32_e32 v12, v6
	v_mov_b32_e32 v13, v3
	s_mov_b32 s17, s16
	s_branch .LBB129_95
.LBB129_94:                             ;   in Loop: Header=BB129_95 Depth=2
	s_or_b64 exec, exec, s[14:15]
	s_add_i32 s17, s17, 1
	v_add_u32_e32 v13, 0x80, v13
	s_cmp_eq_u32 s17, 16
	v_add_u32_e32 v12, 8, v12
	s_cbranch_scc1 .LBB129_99
.LBB129_95:                             ;   Parent Loop BB129_89 Depth=1
                                        ; =>  This Inner Loop Header: Depth=2
	v_cmp_eq_u32_e32 vcc, s17, v2
	s_and_saveexec_b64 s[14:15], vcc
	s_cbranch_execz .LBB129_97
; %bb.96:                               ;   in Loop: Header=BB129_95 Depth=2
	ds_read_b64 v[14:15], v10
	v_add_f64 v[16:17], -v[4:5], 0
	s_waitcnt lgkmcnt(0)
	v_mul_f64 v[14:15], v[16:17], v[14:15]
	ds_write_b64 v11, v[14:15]
.LBB129_97:                             ;   in Loop: Header=BB129_95 Depth=2
	s_or_b64 exec, exec, s[14:15]
	v_cmp_lt_i32_e32 vcc, s17, v2
	s_and_saveexec_b64 s[14:15], vcc
	s_cbranch_execz .LBB129_94
; %bb.98:                               ;   in Loop: Header=BB129_95 Depth=2
	ds_read_b64 v[14:15], v13
	ds_read_b64 v[16:17], v12
	s_waitcnt lgkmcnt(0)
	v_fmac_f64_e32 v[4:5], v[14:15], v[16:17]
	s_branch .LBB129_94
.LBB129_99:                             ;   in Loop: Header=BB129_89 Depth=1
	v_cmp_lt_i32_e32 vcc, s16, v2
	v_mov_b64_e32 v[4:5], 0
	s_and_saveexec_b64 s[14:15], vcc
	s_cbranch_execz .LBB129_101
; %bb.100:                              ;   in Loop: Header=BB129_89 Depth=1
	s_mul_i32 s17, s16, 0x88
	v_lshl_add_u32 v4, s16, 7, v1
	v_add_u32_e32 v11, s17, v8
	ds_read_b64 v[4:5], v4
	ds_read_b64 v[12:13], v11
	s_waitcnt lgkmcnt(0)
	v_fma_f64 v[4:5], v[4:5], v[12:13], 0
.LBB129_101:                            ;   in Loop: Header=BB129_89 Depth=1
	s_or_b64 exec, exec, s[14:15]
	s_add_i32 s5, s5, 2
	s_cmp_gt_u32 s16, 14
	s_cbranch_scc1 .LBB129_88
; %bb.102:                              ;   in Loop: Header=BB129_89 Depth=1
	s_lshl_b32 s14, s16, 7
	v_add_u32_e32 v11, s14, v1
	v_mov_b32_e32 v12, v9
	v_mov_b32_e32 v13, v7
	s_mov_b32 s16, s5
	s_branch .LBB129_104
.LBB129_103:                            ;   in Loop: Header=BB129_104 Depth=2
	s_or_b64 exec, exec, s[14:15]
	s_add_i32 s16, s16, 1
	v_add_u32_e32 v13, 8, v13
	s_cmp_lg_u32 s16, 16
	v_add_u32_e32 v12, 0x80, v12
	s_cbranch_scc0 .LBB129_88
.LBB129_104:                            ;   Parent Loop BB129_89 Depth=1
                                        ; =>  This Inner Loop Header: Depth=2
	v_cmp_eq_u32_e32 vcc, s16, v2
	s_and_saveexec_b64 s[14:15], vcc
	s_cbranch_execz .LBB129_106
; %bb.105:                              ;   in Loop: Header=BB129_104 Depth=2
	ds_read_b64 v[14:15], v10
	v_add_f64 v[16:17], -v[4:5], 0
	s_waitcnt lgkmcnt(0)
	v_mul_f64 v[14:15], v[16:17], v[14:15]
	ds_write_b64 v11, v[14:15]
.LBB129_106:                            ;   in Loop: Header=BB129_104 Depth=2
	s_or_b64 exec, exec, s[14:15]
	v_cmp_lt_i32_e32 vcc, s16, v2
	s_and_saveexec_b64 s[14:15], vcc
	s_cbranch_execz .LBB129_103
; %bb.107:                              ;   in Loop: Header=BB129_104 Depth=2
	ds_read_b64 v[14:15], v12
	ds_read_b64 v[16:17], v13
	s_waitcnt lgkmcnt(0)
	v_fmac_f64_e32 v[4:5], v[14:15], v[16:17]
	s_branch .LBB129_103
.LBB129_108:
	s_or_b64 exec, exec, s[0:1]
	s_cmpk_lg_i32 s4, 0x7a
	s_cselect_b64 s[0:1], -1, 0
	s_movk_i32 s4, 0x100
	v_and_b32_e32 v1, 15, v0
	v_lshrrev_b32_e32 v3, 4, v0
	v_cmp_gt_u32_e64 s[4:5], s4, v0
	s_and_b64 vcc, exec, s[0:1]
	s_waitcnt lgkmcnt(0)
	s_barrier
	s_cbranch_vccz .LBB129_113
; %bb.109:
	s_mov_b64 s[16:17], 0
	s_mov_b64 s[14:15], 0
                                        ; implicit-def: $vgpr4_vgpr5
	s_and_saveexec_b64 s[18:19], s[4:5]
	s_cbranch_execz .LBB129_114
; %bb.110:
	s_movk_i32 s14, 0xf0
	v_bitop3_b32 v4, v0, s14, v0 bitop3:0xc
	v_mov_b32_e32 v5, 0x1878
	v_lshlrev_b32_e32 v6, 3, v1
	v_add_u32_e32 v7, 1, v3
	v_lshl_or_b32 v9, v4, 3, v5
	v_mov_b64_e32 v[4:5], 0
	s_mov_b64 s[14:15], 0
.LBB129_111:                            ; =>This Inner Loop Header: Depth=1
	ds_read_b64 v[10:11], v6
	ds_read_b64 v[12:13], v9
	v_add_u32_e32 v7, -1, v7
	v_cmp_eq_u32_e32 vcc, 0, v7
	v_add_u32_e32 v9, -8, v9
	v_add_u32_e32 v6, 0x80, v6
	s_or_b64 s[14:15], vcc, s[14:15]
	s_waitcnt lgkmcnt(0)
	v_fmac_f64_e32 v[4:5], v[10:11], v[12:13]
	s_andn2_b64 exec, exec, s[14:15]
	s_cbranch_execnz .LBB129_111
; %bb.112:
	s_or_b64 exec, exec, s[14:15]
	s_mov_b64 s[14:15], exec
	s_or_b64 exec, exec, s[18:19]
	s_and_b64 vcc, exec, s[16:17]
	s_cbranch_vccnz .LBB129_115
	s_branch .LBB129_120
.LBB129_113:
	s_mov_b64 s[14:15], 0
                                        ; implicit-def: $vgpr4_vgpr5
	s_cbranch_execnz .LBB129_115
	s_branch .LBB129_120
.LBB129_114:
	s_or_b64 exec, exec, s[18:19]
	s_and_b64 vcc, exec, s[16:17]
	s_cbranch_vccz .LBB129_120
.LBB129_115:
                                        ; implicit-def: $vgpr4_vgpr5
	s_and_saveexec_b64 s[16:17], s[4:5]
	s_cbranch_execz .LBB129_119
; %bb.116:
	v_lshlrev_b32_e32 v4, 3, v0
	v_and_b32_e32 v4, 0x780, v4
	v_lshlrev_b32_e32 v5, 3, v3
	s_movk_i32 s18, 0x1000
	v_or3_b32 v7, v4, v5, s18
	v_lshlrev_b32_e32 v4, 3, v1
	v_add_u32_e32 v6, -1, v3
	v_lshl_or_b32 v9, v3, 7, v4
	v_mov_b64_e32 v[4:5], 0
	s_mov_b64 s[18:19], 0
.LBB129_117:                            ; =>This Inner Loop Header: Depth=1
	ds_read_b64 v[10:11], v9
	ds_read_b64 v[12:13], v7
	v_add_u32_e32 v6, 1, v6
	v_cmp_lt_u32_e32 vcc, 14, v6
	v_add_u32_e32 v7, 8, v7
	v_add_u32_e32 v9, 0x80, v9
	s_or_b64 s[18:19], vcc, s[18:19]
	s_waitcnt lgkmcnt(0)
	v_fmac_f64_e32 v[4:5], v[10:11], v[12:13]
	s_andn2_b64 exec, exec, s[18:19]
	s_cbranch_execnz .LBB129_117
; %bb.118:
	s_or_b64 exec, exec, s[18:19]
	s_or_b64 s[14:15], s[14:15], exec
.LBB129_119:
	s_or_b64 exec, exec, s[16:17]
.LBB129_120:
	s_and_saveexec_b64 s[16:17], s[14:15]
; %bb.121:
	v_lshlrev_b32_e32 v6, 3, v0
	ds_write_b64 v6, v[4:5] offset:2048
; %bb.122:
	s_or_b64 exec, exec, s[16:17]
	s_bfe_u32 s14, s2, 0x1d0002
	s_mov_b32 s15, 0
	s_and_b32 s16, s3, 6
	s_lshl_b64 s[2:3], s[14:15], 17
	s_add_u32 s2, s12, s2
	s_addc_u32 s3, s13, s3
	s_mulk_i32 s16, 0x4080
	s_add_u32 s12, s2, s16
	s_addc_u32 s13, s3, 0
	s_lshl_b64 s[2:3], s[10:11], 3
	s_add_u32 s2, s12, s2
	s_addc_u32 s3, s13, s3
	s_and_b64 vcc, exec, s[0:1]
	s_waitcnt lgkmcnt(0)
	s_barrier
	s_cbranch_vccz .LBB129_128
; %bb.123:
	s_mov_b64 s[12:13], 0
	s_mov_b64 s[10:11], 0
                                        ; implicit-def: $vgpr4_vgpr5
	s_and_saveexec_b64 s[14:15], s[4:5]
	s_cbranch_execz .LBB129_127
; %bb.124:
	v_lshlrev_b32_e32 v5, 3, v0
	v_xor_b32_e32 v4, 15, v1
	v_and_b32_e32 v5, 0x780, v5
	v_lshlrev_b32_e32 v7, 3, v1
	s_movk_i32 s10, 0x800
	v_or3_b32 v7, v5, v7, s10
	v_lshlrev_b32_e32 v4, 3, v4
	v_lshlrev_b32_e32 v5, 7, v1
	v_sub_u32_e32 v4, v4, v5
	v_add_u32_e32 v6, -1, v1
	v_add_u32_e32 v9, 0x1780, v4
	v_mov_b64_e32 v[4:5], 0
	s_mov_b64 s[10:11], 0
.LBB129_125:                            ; =>This Inner Loop Header: Depth=1
	ds_read_b64 v[10:11], v9
	ds_read_b64 v[12:13], v7
	v_add_u32_e32 v6, 1, v6
	v_cmp_lt_u32_e32 vcc, 14, v6
	v_add_u32_e32 v7, 8, v7
	v_add_u32_e32 v9, 0xffffff80, v9
	s_or_b64 s[10:11], vcc, s[10:11]
	s_waitcnt lgkmcnt(0)
	v_fma_f64 v[4:5], -v[10:11], v[12:13], v[4:5]
	s_andn2_b64 exec, exec, s[10:11]
	s_cbranch_execnz .LBB129_125
; %bb.126:
	s_or_b64 exec, exec, s[10:11]
	s_mov_b64 s[10:11], exec
.LBB129_127:
	s_or_b64 exec, exec, s[14:15]
	s_mov_b64 s[14:15], 0x4000
	s_and_b64 vcc, exec, s[12:13]
	s_cbranch_vccnz .LBB129_129
	s_branch .LBB129_134
.LBB129_128:
	s_mov_b64 s[10:11], 0
                                        ; implicit-def: $vgpr4_vgpr5
	s_mov_b64 s[14:15], 0x4000
	s_cbranch_execz .LBB129_134
.LBB129_129:
                                        ; implicit-def: $vgpr4_vgpr5
	s_and_saveexec_b64 s[12:13], s[4:5]
	s_cbranch_execz .LBB129_133
; %bb.130:
	v_mov_b32_e32 v4, 0x1800
	v_lshl_or_b32 v6, v1, 3, v4
	v_and_b32_e32 v0, 0xf0, v0
	v_mov_b32_e32 v4, 0x800
	v_lshl_or_b32 v0, v0, 3, v4
	v_add_u32_e32 v7, 1, v1
	v_mov_b64_e32 v[4:5], 0
	s_mov_b64 s[4:5], 0
.LBB129_131:                            ; =>This Inner Loop Header: Depth=1
	ds_read_b64 v[10:11], v6
	ds_read_b64 v[12:13], v0
	v_add_u32_e32 v7, -1, v7
	v_cmp_eq_u32_e32 vcc, 0, v7
	v_add_u32_e32 v0, 8, v0
	v_add_u32_e32 v6, 0x80, v6
	s_or_b64 s[4:5], vcc, s[4:5]
	s_waitcnt lgkmcnt(0)
	v_fma_f64 v[4:5], -v[10:11], v[12:13], v[4:5]
	s_andn2_b64 exec, exec, s[4:5]
	s_cbranch_execnz .LBB129_131
; %bb.132:
	s_or_b64 exec, exec, s[4:5]
	s_or_b64 s[10:11], s[10:11], exec
.LBB129_133:
	s_or_b64 exec, exec, s[12:13]
	s_mov_b64 s[14:15], 0x80
.LBB129_134:
	s_and_saveexec_b64 s[4:5], s[10:11]
	s_cbranch_execnz .LBB129_136
; %bb.135:
	s_or_b64 exec, exec, s[4:5]
	s_and_saveexec_b64 s[4:5], s[8:9]
	s_cbranch_execnz .LBB129_137
	s_branch .LBB129_146
.LBB129_136:
	v_lshlrev_b32_e32 v0, 3, v1
	v_lshl_or_b32 v0, v3, 10, v0
	v_mov_b32_e32 v1, 0
	v_lshl_add_u64 v[0:1], s[2:3], 0, v[0:1]
	v_lshl_add_u64 v[0:1], v[0:1], 0, s[14:15]
	flat_store_dwordx2 v[0:1], v[4:5]
	s_or_b64 exec, exec, s[4:5]
	s_and_saveexec_b64 s[4:5], s[8:9]
	s_cbranch_execz .LBB129_146
.LBB129_137:
	v_mov_b32_e32 v0, 0x810
	v_cndmask_b32_e64 v4, v0, 0, s[6:7]
	s_andn2_b64 vcc, exec, s[0:1]
	s_mov_b64 s[0:1], -1
	s_cbranch_vccnz .LBB129_142
; %bb.138:
	s_mov_b32 s0, 16
	v_cmp_gt_i32_e32 vcc, 16, v2
	s_and_saveexec_b64 s[4:5], vcc
	s_cbranch_execz .LBB129_141
; %bb.139:
	v_mov_b32_e32 v3, 0
	v_lshlrev_b32_e32 v0, 3, v4
	v_mov_b32_e32 v1, v3
	v_lshl_add_u64 v[0:1], s[2:3], 0, v[0:1]
	v_lshl_add_u64 v[0:1], v[2:3], 3, v[0:1]
	v_lshlrev_b32_e32 v3, 3, v2
	v_sub_u32_e32 v3, v8, v3
	v_add_u32_e32 v3, 0x78, v3
	s_mov_b64 s[6:7], 0
	s_mov_b32 s1, 0
.LBB129_140:                            ; =>This Inner Loop Header: Depth=1
	ds_read_b64 v[6:7], v3
	s_add_i32 s0, s0, -1
	s_lshl_b64 s[8:9], s[0:1], 10
	v_cmp_le_i32_e32 vcc, s0, v2
	v_add_u32_e32 v3, 0x80, v3
	v_lshl_add_u64 v[10:11], v[0:1], 0, s[8:9]
	s_or_b64 s[6:7], vcc, s[6:7]
	s_waitcnt lgkmcnt(0)
	flat_store_dwordx2 v[10:11], v[6:7]
	s_andn2_b64 exec, exec, s[6:7]
	s_cbranch_execnz .LBB129_140
.LBB129_141:
	s_or_b64 exec, exec, s[4:5]
	s_mov_b64 s[0:1], 0
.LBB129_142:
	s_andn2_b64 vcc, exec, s[0:1]
	s_cbranch_vccnz .LBB129_146
; %bb.143:
	v_cmp_lt_i32_e32 vcc, -1, v2
	s_and_b64 exec, exec, vcc
	s_cbranch_execz .LBB129_146
; %bb.144:
	v_mov_b32_e32 v3, 0
	v_lshlrev_b32_e32 v0, 3, v4
	v_mov_b32_e32 v1, v3
	v_lshl_add_u64 v[0:1], s[2:3], 0, v[0:1]
	v_lshl_add_u32 v5, v2, 3, v8
	v_lshl_add_u64 v[0:1], v[2:3], 3, v[0:1]
	v_add_u32_e32 v2, 1, v2
	s_mov_b64 s[0:1], 0
	s_mov_b64 s[2:3], 0x400
.LBB129_145:                            ; =>This Inner Loop Header: Depth=1
	ds_read_b64 v[6:7], v5
	v_add_u32_e32 v2, -1, v2
	v_cmp_eq_u32_e32 vcc, 0, v2
	v_add_u32_e32 v5, 0x80, v5
	s_or_b64 s[0:1], vcc, s[0:1]
	s_waitcnt lgkmcnt(0)
	flat_store_dwordx2 v[0:1], v[6:7]
	v_lshl_add_u64 v[0:1], v[0:1], 0, s[2:3]
	s_andn2_b64 exec, exec, s[0:1]
	s_cbranch_execnz .LBB129_145
.LBB129_146:
	s_endpgm
	.section	.rodata,"a",@progbits
	.p2align	6, 0x0
	.amdhsa_kernel _ZL25rocblas_trtri_trsm_kernelILi128ELi16ELi8EdPKPKdPKPdEv13rocblas_fill_17rocblas_diagonal_T3_lilT4_lli
		.amdhsa_group_segment_fixed_size 8192
		.amdhsa_private_segment_fixed_size 0
		.amdhsa_kernarg_size 68
		.amdhsa_user_sgpr_count 2
		.amdhsa_user_sgpr_dispatch_ptr 0
		.amdhsa_user_sgpr_queue_ptr 0
		.amdhsa_user_sgpr_kernarg_segment_ptr 1
		.amdhsa_user_sgpr_dispatch_id 0
		.amdhsa_user_sgpr_kernarg_preload_length 0
		.amdhsa_user_sgpr_kernarg_preload_offset 0
		.amdhsa_user_sgpr_private_segment_size 0
		.amdhsa_uses_dynamic_stack 0
		.amdhsa_enable_private_segment 0
		.amdhsa_system_sgpr_workgroup_id_x 1
		.amdhsa_system_sgpr_workgroup_id_y 0
		.amdhsa_system_sgpr_workgroup_id_z 1
		.amdhsa_system_sgpr_workgroup_info 0
		.amdhsa_system_vgpr_workitem_id 0
		.amdhsa_next_free_vgpr 18
		.amdhsa_next_free_sgpr 26
		.amdhsa_accum_offset 20
		.amdhsa_reserve_vcc 1
		.amdhsa_float_round_mode_32 0
		.amdhsa_float_round_mode_16_64 0
		.amdhsa_float_denorm_mode_32 3
		.amdhsa_float_denorm_mode_16_64 3
		.amdhsa_dx10_clamp 1
		.amdhsa_ieee_mode 1
		.amdhsa_fp16_overflow 0
		.amdhsa_tg_split 0
		.amdhsa_exception_fp_ieee_invalid_op 0
		.amdhsa_exception_fp_denorm_src 0
		.amdhsa_exception_fp_ieee_div_zero 0
		.amdhsa_exception_fp_ieee_overflow 0
		.amdhsa_exception_fp_ieee_underflow 0
		.amdhsa_exception_fp_ieee_inexact 0
		.amdhsa_exception_int_div_zero 0
	.end_amdhsa_kernel
	.section	.text._ZL25rocblas_trtri_trsm_kernelILi128ELi16ELi8EdPKPKdPKPdEv13rocblas_fill_17rocblas_diagonal_T3_lilT4_lli,"axG",@progbits,_ZL25rocblas_trtri_trsm_kernelILi128ELi16ELi8EdPKPKdPKPdEv13rocblas_fill_17rocblas_diagonal_T3_lilT4_lli,comdat
.Lfunc_end129:
	.size	_ZL25rocblas_trtri_trsm_kernelILi128ELi16ELi8EdPKPKdPKPdEv13rocblas_fill_17rocblas_diagonal_T3_lilT4_lli, .Lfunc_end129-_ZL25rocblas_trtri_trsm_kernelILi128ELi16ELi8EdPKPKdPKPdEv13rocblas_fill_17rocblas_diagonal_T3_lilT4_lli
                                        ; -- End function
	.set _ZL25rocblas_trtri_trsm_kernelILi128ELi16ELi8EdPKPKdPKPdEv13rocblas_fill_17rocblas_diagonal_T3_lilT4_lli.num_vgpr, 18
	.set _ZL25rocblas_trtri_trsm_kernelILi128ELi16ELi8EdPKPKdPKPdEv13rocblas_fill_17rocblas_diagonal_T3_lilT4_lli.num_agpr, 0
	.set _ZL25rocblas_trtri_trsm_kernelILi128ELi16ELi8EdPKPKdPKPdEv13rocblas_fill_17rocblas_diagonal_T3_lilT4_lli.numbered_sgpr, 26
	.set _ZL25rocblas_trtri_trsm_kernelILi128ELi16ELi8EdPKPKdPKPdEv13rocblas_fill_17rocblas_diagonal_T3_lilT4_lli.num_named_barrier, 0
	.set _ZL25rocblas_trtri_trsm_kernelILi128ELi16ELi8EdPKPKdPKPdEv13rocblas_fill_17rocblas_diagonal_T3_lilT4_lli.private_seg_size, 0
	.set _ZL25rocblas_trtri_trsm_kernelILi128ELi16ELi8EdPKPKdPKPdEv13rocblas_fill_17rocblas_diagonal_T3_lilT4_lli.uses_vcc, 1
	.set _ZL25rocblas_trtri_trsm_kernelILi128ELi16ELi8EdPKPKdPKPdEv13rocblas_fill_17rocblas_diagonal_T3_lilT4_lli.uses_flat_scratch, 0
	.set _ZL25rocblas_trtri_trsm_kernelILi128ELi16ELi8EdPKPKdPKPdEv13rocblas_fill_17rocblas_diagonal_T3_lilT4_lli.has_dyn_sized_stack, 0
	.set _ZL25rocblas_trtri_trsm_kernelILi128ELi16ELi8EdPKPKdPKPdEv13rocblas_fill_17rocblas_diagonal_T3_lilT4_lli.has_recursion, 0
	.set _ZL25rocblas_trtri_trsm_kernelILi128ELi16ELi8EdPKPKdPKPdEv13rocblas_fill_17rocblas_diagonal_T3_lilT4_lli.has_indirect_call, 0
	.section	.AMDGPU.csdata,"",@progbits
; Kernel info:
; codeLenInByte = 5076
; TotalNumSgprs: 32
; NumVgprs: 18
; NumAgprs: 0
; TotalNumVgprs: 18
; ScratchSize: 0
; MemoryBound: 0
; FloatMode: 240
; IeeeMode: 1
; LDSByteSize: 8192 bytes/workgroup (compile time only)
; SGPRBlocks: 3
; VGPRBlocks: 2
; NumSGPRsForWavesPerEU: 32
; NumVGPRsForWavesPerEU: 18
; AccumOffset: 20
; Occupancy: 8
; WaveLimiterHint : 1
; COMPUTE_PGM_RSRC2:SCRATCH_EN: 0
; COMPUTE_PGM_RSRC2:USER_SGPR: 2
; COMPUTE_PGM_RSRC2:TRAP_HANDLER: 0
; COMPUTE_PGM_RSRC2:TGID_X_EN: 1
; COMPUTE_PGM_RSRC2:TGID_Y_EN: 0
; COMPUTE_PGM_RSRC2:TGID_Z_EN: 1
; COMPUTE_PGM_RSRC2:TIDIG_COMP_CNT: 0
; COMPUTE_PGM_RSRC3_GFX90A:ACCUM_OFFSET: 4
; COMPUTE_PGM_RSRC3_GFX90A:TG_SPLIT: 0
	.section	.text._ZL18rocblas_trtri_fillILi128EdPKPdEvP15_rocblas_handle13rocblas_fill_ililT1_llii,"axG",@progbits,_ZL18rocblas_trtri_fillILi128EdPKPdEvP15_rocblas_handle13rocblas_fill_ililT1_llii,comdat
	.globl	_ZL18rocblas_trtri_fillILi128EdPKPdEvP15_rocblas_handle13rocblas_fill_ililT1_llii ; -- Begin function _ZL18rocblas_trtri_fillILi128EdPKPdEvP15_rocblas_handle13rocblas_fill_ililT1_llii
	.p2align	8
	.type	_ZL18rocblas_trtri_fillILi128EdPKPdEvP15_rocblas_handle13rocblas_fill_ililT1_llii,@function
_ZL18rocblas_trtri_fillILi128EdPKPdEvP15_rocblas_handle13rocblas_fill_ililT1_llii: ; @_ZL18rocblas_trtri_fillILi128EdPKPdEvP15_rocblas_handle13rocblas_fill_ililT1_llii
; %bb.0:
	s_mov_b32 s12, s3
	s_load_dword s3, s[0:1], 0x40
	s_load_dwordx2 s[8:9], s[0:1], 0x10
	s_waitcnt lgkmcnt(0)
	s_ashr_i32 s4, s3, 31
	s_mul_hi_u32 s5, s8, s3
	s_mul_i32 s4, s8, s4
	s_add_i32 s4, s5, s4
	s_mul_i32 s5, s9, s3
	s_mul_i32 s10, s8, s3
	s_mov_b32 s3, 0
	s_add_i32 s11, s4, s5
	s_lshl_b64 s[4:5], s[2:3], 7
	v_or_b32_e32 v0, s4, v0
	v_mov_b32_e32 v1, s5
	v_cmp_gt_u64_e32 vcc, s[10:11], v[0:1]
	s_and_saveexec_b64 s[4:5], vcc
	s_cbranch_execz .LBB130_14
; %bb.1:
	s_load_dword s2, s[0:1], 0x18
	s_load_dwordx4 s[4:7], s[0:1], 0x20
	s_load_dwordx2 s[14:15], s[0:1], 0x30
	s_mov_b32 s13, s3
	s_lshl_b64 s[12:13], s[12:13], 3
	s_waitcnt lgkmcnt(0)
	s_ashr_i32 s3, s2, 31
	s_add_u32 s12, s6, s12
	v_cvt_f32_u32_e32 v4, s8
	v_cvt_f32_u32_e32 v5, s9
	s_addc_u32 s13, s7, s13
	s_load_dwordx2 s[16:17], s[12:13], 0x0
	s_load_dwordx2 s[6:7], s[0:1], 0x8
	s_lshl_b64 s[12:13], s[14:15], 3
	v_fmamk_f32 v4, v5, 0x4f800000, v4
	v_rcp_f32_e32 v5, v4
	v_cvt_f32_u32_e32 v6, s8
	s_waitcnt lgkmcnt(0)
	s_add_u32 s12, s16, s12
	s_addc_u32 s13, s17, s13
	s_add_i32 s14, s7, -2
	v_cvt_f64_i32_e32 v[2:3], s14
	s_add_i32 s14, s7, -1
	s_mul_hi_i32 s15, s14, s7
	s_mul_i32 s14, s14, s7
	v_mul_f32_e32 v5, 0x5f7ffffc, v5
	v_rcp_iflag_f32_e32 v6, v6
	s_ashr_i32 s24, s7, 31
	s_lshl_b64 s[16:17], s[14:15], 2
	v_mul_f32_e32 v7, 0x2f800000, v5
	s_mov_b32 s25, s7
	s_add_u32 s7, s16, -7
	s_load_dword s16, s[0:1], 0x48
	s_load_dword s18, s[0:1], 0x54
	v_trunc_f32_e32 v7, v7
	v_fmamk_f32 v5, v7, 0xcf800000, v5
	v_cvt_u32_f32_e32 v12, v5
	v_mul_f32_e32 v5, 0x4f7ffffe, v6
	v_cvt_u32_f32_e32 v13, v7
	v_cvt_u32_f32_e32 v14, v5
	s_addc_u32 s26, s17, -1
	s_waitcnt lgkmcnt(0)
	s_and_b32 s0, s18, 0xffff
	v_mov_b32_e32 v4, 0
	s_mov_b32 s20, 0
	s_lshr_b64 s[14:15], s[14:15], 1
	s_mul_hi_u32 s17, s0, s16
	s_mul_i32 s16, s0, s16
	s_mov_b64 s[18:19], 0
	s_brev_b32 s21, 8
	v_mov_b32_e32 v15, 0x260
	s_movk_i32 s27, 0xffe0
	v_mov_b32_e32 v16, 0x100
	v_mov_b32_e32 v17, 0xffffff80
	;; [unrolled: 1-line block ×4, first 2 shown]
	s_branch .LBB130_3
.LBB130_2:                              ;   in Loop: Header=BB130_3 Depth=1
	v_lshl_add_u64 v[0:1], v[0:1], 0, s[16:17]
	v_cmp_le_u64_e32 vcc, s[10:11], v[0:1]
	s_or_b64 s[18:19], vcc, s[18:19]
	s_andn2_b64 exec, exec, s[18:19]
	s_cbranch_execz .LBB130_14
.LBB130_3:                              ; =>This Inner Loop Header: Depth=1
	v_or_b32_e32 v5, s9, v1
	v_cmp_ne_u64_e32 vcc, 0, v[4:5]
                                        ; implicit-def: $vgpr8_vgpr9
	s_and_saveexec_b64 s[0:1], vcc
	s_xor_b64 s[22:23], exec, s[0:1]
	s_cbranch_execz .LBB130_5
; %bb.4:                                ;   in Loop: Header=BB130_3 Depth=1
	s_sub_u32 s28, 0, s8
	v_readfirstlane_b32 s0, v12
	v_readfirstlane_b32 s31, v13
	s_subb_u32 s29, 0, s9
	s_mul_hi_u32 s30, s28, s0
	s_mul_i32 s33, s28, s31
	s_mul_i32 s1, s29, s0
	s_add_i32 s30, s30, s33
	s_add_i32 s30, s30, s1
	s_mul_i32 s34, s28, s0
	s_mul_i32 s33, s0, s30
	s_mul_hi_u32 s35, s0, s34
	s_mul_hi_u32 s1, s0, s30
	s_add_u32 s33, s35, s33
	s_addc_u32 s1, 0, s1
	s_mul_hi_u32 s36, s31, s34
	s_mul_i32 s34, s31, s34
	s_add_u32 s33, s33, s34
	s_mul_hi_u32 s35, s31, s30
	s_addc_u32 s1, s1, s36
	s_addc_u32 s33, s35, 0
	s_mul_i32 s30, s31, s30
	s_add_u32 s1, s1, s30
	s_addc_u32 s30, 0, s33
	s_add_u32 s33, s0, s1
	s_cselect_b64 s[0:1], -1, 0
	s_cmp_lg_u64 s[0:1], 0
	s_addc_u32 s30, s31, s30
	s_mul_i32 s0, s28, s30
	s_mul_hi_u32 s1, s28, s33
	s_add_i32 s0, s1, s0
	s_mul_i32 s29, s29, s33
	s_add_i32 s0, s0, s29
	s_mul_i32 s28, s28, s33
	s_mul_hi_u32 s29, s30, s28
	s_mul_i32 s31, s30, s28
	s_mul_i32 s35, s33, s0
	s_mul_hi_u32 s28, s33, s28
	s_mul_hi_u32 s34, s33, s0
	s_add_u32 s28, s28, s35
	s_addc_u32 s34, 0, s34
	s_add_u32 s28, s28, s31
	s_mul_hi_u32 s1, s30, s0
	s_addc_u32 s28, s34, s29
	s_addc_u32 s1, s1, 0
	s_mul_i32 s0, s30, s0
	s_add_u32 s0, s28, s0
	s_addc_u32 s28, 0, s1
	s_add_u32 s29, s33, s0
	s_cselect_b64 s[0:1], -1, 0
	s_cmp_lg_u64 s[0:1], 0
	s_addc_u32 s28, s30, s28
	v_mad_u64_u32 v[8:9], s[0:1], v0, s28, 0
	v_mul_hi_u32 v10, v0, s29
	v_mov_b32_e32 v11, v4
	v_lshl_add_u64 v[8:9], v[10:11], 0, v[8:9]
	v_mad_u64_u32 v[18:19], s[0:1], v1, s29, 0
	v_add_co_u32_e32 v5, vcc, v8, v18
	v_mad_u64_u32 v[10:11], s[0:1], v1, s28, 0
	s_nop 0
	v_addc_co_u32_e32 v8, vcc, v9, v19, vcc
	v_mov_b32_e32 v9, v4
	s_nop 0
	v_addc_co_u32_e32 v11, vcc, 0, v11, vcc
	v_lshl_add_u64 v[8:9], v[8:9], 0, v[10:11]
	v_mul_lo_u32 v5, s9, v8
	v_mul_lo_u32 v18, s8, v9
	v_mad_u64_u32 v[10:11], s[0:1], s8, v8, 0
	v_add3_u32 v5, v11, v18, v5
	v_sub_u32_e32 v11, v1, v5
	v_mov_b32_e32 v18, s9
	v_sub_co_u32_e32 v20, vcc, v0, v10
	s_nop 1
	v_subb_co_u32_e64 v10, s[0:1], v11, v18, vcc
	v_subrev_co_u32_e64 v11, s[0:1], s8, v20
	v_subb_co_u32_e32 v5, vcc, v1, v5, vcc
	s_nop 0
	v_subbrev_co_u32_e64 v10, s[0:1], 0, v10, s[0:1]
	v_cmp_le_u32_e64 s[0:1], s9, v10
	v_cmp_le_u32_e32 vcc, s9, v5
	s_nop 0
	v_cndmask_b32_e64 v18, 0, -1, s[0:1]
	v_cmp_le_u32_e64 s[0:1], s8, v11
	s_nop 1
	v_cndmask_b32_e64 v11, 0, -1, s[0:1]
	v_cmp_eq_u32_e64 s[0:1], s9, v10
	s_nop 1
	v_cndmask_b32_e64 v21, v18, v11, s[0:1]
	v_lshl_add_u64 v[10:11], v[8:9], 0, 2
	v_lshl_add_u64 v[18:19], v[8:9], 0, 1
	v_cmp_ne_u32_e64 s[0:1], 0, v21
	s_nop 1
	v_cndmask_b32_e64 v11, v19, v11, s[0:1]
	v_cndmask_b32_e64 v19, 0, -1, vcc
	v_cmp_le_u32_e32 vcc, s8, v20
	s_nop 1
	v_cndmask_b32_e64 v20, 0, -1, vcc
	v_cmp_eq_u32_e32 vcc, s9, v5
	s_nop 1
	v_cndmask_b32_e32 v5, v19, v20, vcc
	v_cmp_ne_u32_e32 vcc, 0, v5
	v_cndmask_b32_e64 v5, v18, v10, s[0:1]
	s_nop 0
	v_cndmask_b32_e32 v9, v9, v11, vcc
	v_cndmask_b32_e32 v8, v8, v5, vcc
.LBB130_5:                              ;   in Loop: Header=BB130_3 Depth=1
	s_andn2_saveexec_b64 s[0:1], s[22:23]
	s_cbranch_execz .LBB130_7
; %bb.6:                                ;   in Loop: Header=BB130_3 Depth=1
	s_sub_i32 s22, 0, s8
	v_mul_lo_u32 v5, s22, v14
	v_mul_hi_u32 v5, v14, v5
	v_add_u32_e32 v5, v14, v5
	v_mul_hi_u32 v5, v0, v5
	v_mul_lo_u32 v8, v5, s8
	v_sub_u32_e32 v8, v0, v8
	v_subrev_u32_e32 v9, s8, v8
	v_cmp_le_u32_e32 vcc, s8, v8
	s_nop 1
	v_cndmask_b32_e32 v8, v8, v9, vcc
	v_add_u32_e32 v9, 1, v5
	v_cndmask_b32_e32 v5, v5, v9, vcc
	v_add_u32_e32 v9, 1, v5
	v_cmp_le_u32_e32 vcc, s8, v8
	s_nop 1
	v_cndmask_b32_e32 v8, v5, v9, vcc
	v_mov_b32_e32 v9, v4
.LBB130_7:                              ;   in Loop: Header=BB130_3 Depth=1
	s_or_b64 exec, exec, s[0:1]
	v_mul_lo_u32 v5, v9, s8
	v_mul_lo_u32 v18, v8, s9
	v_mad_u64_u32 v[10:11], s[0:1], v8, s8, 0
	v_add3_u32 v5, v11, v18, v5
	v_sub_co_u32_e32 v10, vcc, v0, v10
	s_cmpk_lt_i32 s6, 0x7a
	s_nop 0
	v_subb_co_u32_e32 v11, vcc, v1, v5, vcc
	s_mov_b64 s[0:1], -1
	s_cbranch_scc1 .LBB130_11
; %bb.8:                                ;   in Loop: Header=BB130_3 Depth=1
	s_cmpk_eq_i32 s6, 0x7a
	s_cbranch_scc0 .LBB130_10
; %bb.9:                                ;   in Loop: Header=BB130_3 Depth=1
	v_lshlrev_b64 v[18:19], 3, v[10:11]
	v_mov_b32_e32 v5, s26
	v_sub_co_u32_e32 v20, vcc, s7, v18
	v_cvt_f64_u32_e32 v[20:21], v20
	s_nop 0
	v_subb_co_u32_e32 v5, vcc, v5, v19, vcc
	v_cvt_f64_u32_e32 v[18:19], v5
	v_ldexp_f64 v[18:19], v[18:19], 32
	v_add_f64 v[18:19], v[18:19], v[20:21]
	v_cmp_gt_f64_e32 vcc, s[20:21], v[18:19]
	s_nop 1
	v_cndmask_b32_e32 v5, 0, v16, vcc
	v_ldexp_f64 v[18:19], v[18:19], v5
	v_rsq_f64_e32 v[20:21], v[18:19]
	v_cndmask_b32_e32 v5, 0, v17, vcc
	v_cmp_class_f64_e32 vcc, v[18:19], v15
	v_mul_f64 v[22:23], v[18:19], v[20:21]
	v_mul_f64 v[20:21], v[20:21], 0.5
	v_fma_f64 v[24:25], -v[20:21], v[22:23], 0.5
	v_fmac_f64_e32 v[22:23], v[22:23], v[24:25]
	v_fma_f64 v[26:27], -v[22:23], v[22:23], v[18:19]
	v_fmac_f64_e32 v[20:21], v[20:21], v[24:25]
	v_fmac_f64_e32 v[22:23], v[26:27], v[20:21]
	v_fma_f64 v[24:25], -v[22:23], v[22:23], v[18:19]
	v_fmac_f64_e32 v[22:23], v[24:25], v[20:21]
	v_ldexp_f64 v[20:21], v[22:23], v5
	v_cndmask_b32_e32 v19, v21, v19, vcc
	v_cndmask_b32_e32 v18, v20, v18, vcc
	v_fma_f64 v[18:19], v[18:19], 0.5, -0.5
	v_floor_f64_e32 v[18:19], v[18:19]
	v_add_f64 v[18:19], v[2:3], -v[18:19]
	v_trunc_f64_e32 v[18:19], v[18:19]
	v_ldexp_f64 v[20:21], v[18:19], s27
	v_floor_f64_e32 v[20:21], v[20:21]
	v_fmac_f64_e32 v[18:19], 0xc1f00000, v[20:21]
	v_cvt_u32_f64_e32 v18, v[18:19]
	v_cvt_u32_f64_e32 v19, v[20:21]
	v_mov_b32_e32 v5, s15
	v_subrev_co_u32_e32 v20, vcc, s14, v10
	v_mul_lo_u32 v26, v8, s5
	s_nop 0
	v_subb_co_u32_e32 v21, vcc, v11, v5, vcc
	v_mov_b32_e32 v5, s24
	v_sub_co_u32_e32 v22, vcc, s25, v18
	v_mul_lo_u32 v28, v19, s2
	s_nop 0
	v_subb_co_u32_e32 v23, vcc, v5, v19, vcc
	v_lshl_add_u64 v[24:25], v[22:23], 0, -1
	v_mul_lo_u32 v5, v25, v22
	v_mul_lo_u32 v25, v24, v23
	v_mad_u64_u32 v[22:23], s[0:1], v24, v22, 0
	v_add3_u32 v23, v23, v25, v5
	v_mul_lo_u32 v5, v9, s4
	v_mad_u64_u32 v[24:25], s[0:1], v8, s4, 0
	v_add3_u32 v25, v25, v26, v5
	;; [unrolled: 3-line block ×3, first 2 shown]
	v_lshl_add_u64 v[24:25], v[24:25], 3, s[12:13]
	v_lshl_add_u64 v[24:25], v[26:27], 3, v[24:25]
	v_lshl_add_u64 v[20:21], v[20:21], 3, v[24:25]
	v_lshl_add_u64 v[18:19], v[18:19], 3, v[20:21]
	v_lshlrev_b64 v[20:21], 2, v[22:23]
	v_and_b32_e32 v20, -8, v20
	v_lshl_add_u64 v[18:19], v[18:19], 0, v[20:21]
	flat_store_dwordx2 v[18:19], v[6:7] offset:8
.LBB130_10:                             ;   in Loop: Header=BB130_3 Depth=1
	s_mov_b64 s[0:1], 0
.LBB130_11:                             ;   in Loop: Header=BB130_3 Depth=1
	s_andn2_b64 vcc, exec, s[0:1]
	s_cbranch_vccnz .LBB130_2
; %bb.12:                               ;   in Loop: Header=BB130_3 Depth=1
	s_cmpk_lg_i32 s6, 0x79
	s_cbranch_scc1 .LBB130_2
; %bb.13:                               ;   in Loop: Header=BB130_3 Depth=1
	v_lshlrev_b64 v[18:19], 3, v[10:11]
	v_or_b32_e32 v5, 1, v18
	v_cvt_f64_u32_e32 v[18:19], v19
	v_ldexp_f64 v[18:19], v[18:19], 32
	v_cvt_f64_u32_e32 v[20:21], v5
	v_add_f64 v[18:19], v[18:19], v[20:21]
	v_cmp_gt_f64_e32 vcc, s[20:21], v[18:19]
	s_nop 1
	v_cndmask_b32_e32 v5, 0, v16, vcc
	v_ldexp_f64 v[18:19], v[18:19], v5
	v_rsq_f64_e32 v[20:21], v[18:19]
	v_cndmask_b32_e32 v5, 0, v17, vcc
	v_cmp_class_f64_e32 vcc, v[18:19], v15
	v_mul_f64 v[22:23], v[18:19], v[20:21]
	v_mul_f64 v[20:21], v[20:21], 0.5
	v_fma_f64 v[24:25], -v[20:21], v[22:23], 0.5
	v_fmac_f64_e32 v[22:23], v[22:23], v[24:25]
	v_fma_f64 v[26:27], -v[22:23], v[22:23], v[18:19]
	v_fmac_f64_e32 v[20:21], v[20:21], v[24:25]
	v_fmac_f64_e32 v[22:23], v[26:27], v[20:21]
	v_fma_f64 v[24:25], -v[22:23], v[22:23], v[18:19]
	v_fmac_f64_e32 v[22:23], v[24:25], v[20:21]
	v_ldexp_f64 v[20:21], v[22:23], v5
	v_cndmask_b32_e32 v19, v21, v19, vcc
	v_cndmask_b32_e32 v18, v20, v18, vcc
	v_add_f64 v[18:19], v[18:19], -1.0
	v_mul_f64 v[18:19], v[18:19], 0.5
	v_trunc_f64_e32 v[18:19], v[18:19]
	v_ldexp_f64 v[20:21], v[18:19], s27
	v_floor_f64_e32 v[20:21], v[20:21]
	v_fmac_f64_e32 v[18:19], 0xc1f00000, v[20:21]
	v_cvt_u32_f64_e32 v18, v[18:19]
	v_cvt_u32_f64_e32 v19, v[20:21]
	v_mad_u64_u32 v[20:21], s[0:1], v18, v18, v[18:19]
	v_mul_lo_u32 v5, v18, v19
	v_add3_u32 v21, v5, v21, v5
	v_lshrrev_b64 v[20:21], 1, v[20:21]
	v_sub_co_u32_e32 v10, vcc, v10, v20
	v_mul_lo_u32 v5, v9, s4
	v_mul_lo_u32 v20, v8, s5
	v_mad_u64_u32 v[8:9], s[0:1], v8, s4, 0
	v_subb_co_u32_e32 v11, vcc, v11, v21, vcc
	v_add3_u32 v9, v9, v20, v5
	v_mov_b64_e32 v[20:21], s[2:3]
	v_mul_lo_u32 v5, s3, v18
	v_mad_u64_u32 v[20:21], s[0:1], s2, v18, v[20:21]
	v_mul_lo_u32 v18, s2, v19
	v_add3_u32 v21, v5, v21, v18
	v_lshl_add_u64 v[8:9], v[8:9], 3, s[12:13]
	v_lshl_add_u64 v[8:9], v[20:21], 3, v[8:9]
	;; [unrolled: 1-line block ×3, first 2 shown]
	flat_store_dwordx2 v[8:9], v[6:7]
	s_branch .LBB130_2
.LBB130_14:
	s_endpgm
	.section	.rodata,"a",@progbits
	.p2align	6, 0x0
	.amdhsa_kernel _ZL18rocblas_trtri_fillILi128EdPKPdEvP15_rocblas_handle13rocblas_fill_ililT1_llii
		.amdhsa_group_segment_fixed_size 0
		.amdhsa_private_segment_fixed_size 0
		.amdhsa_kernarg_size 328
		.amdhsa_user_sgpr_count 2
		.amdhsa_user_sgpr_dispatch_ptr 0
		.amdhsa_user_sgpr_queue_ptr 0
		.amdhsa_user_sgpr_kernarg_segment_ptr 1
		.amdhsa_user_sgpr_dispatch_id 0
		.amdhsa_user_sgpr_kernarg_preload_length 0
		.amdhsa_user_sgpr_kernarg_preload_offset 0
		.amdhsa_user_sgpr_private_segment_size 0
		.amdhsa_uses_dynamic_stack 0
		.amdhsa_enable_private_segment 0
		.amdhsa_system_sgpr_workgroup_id_x 1
		.amdhsa_system_sgpr_workgroup_id_y 0
		.amdhsa_system_sgpr_workgroup_id_z 1
		.amdhsa_system_sgpr_workgroup_info 0
		.amdhsa_system_vgpr_workitem_id 0
		.amdhsa_next_free_vgpr 29
		.amdhsa_next_free_sgpr 37
		.amdhsa_accum_offset 32
		.amdhsa_reserve_vcc 1
		.amdhsa_float_round_mode_32 0
		.amdhsa_float_round_mode_16_64 0
		.amdhsa_float_denorm_mode_32 3
		.amdhsa_float_denorm_mode_16_64 3
		.amdhsa_dx10_clamp 1
		.amdhsa_ieee_mode 1
		.amdhsa_fp16_overflow 0
		.amdhsa_tg_split 0
		.amdhsa_exception_fp_ieee_invalid_op 0
		.amdhsa_exception_fp_denorm_src 0
		.amdhsa_exception_fp_ieee_div_zero 0
		.amdhsa_exception_fp_ieee_overflow 0
		.amdhsa_exception_fp_ieee_underflow 0
		.amdhsa_exception_fp_ieee_inexact 0
		.amdhsa_exception_int_div_zero 0
	.end_amdhsa_kernel
	.section	.text._ZL18rocblas_trtri_fillILi128EdPKPdEvP15_rocblas_handle13rocblas_fill_ililT1_llii,"axG",@progbits,_ZL18rocblas_trtri_fillILi128EdPKPdEvP15_rocblas_handle13rocblas_fill_ililT1_llii,comdat
.Lfunc_end130:
	.size	_ZL18rocblas_trtri_fillILi128EdPKPdEvP15_rocblas_handle13rocblas_fill_ililT1_llii, .Lfunc_end130-_ZL18rocblas_trtri_fillILi128EdPKPdEvP15_rocblas_handle13rocblas_fill_ililT1_llii
                                        ; -- End function
	.set _ZL18rocblas_trtri_fillILi128EdPKPdEvP15_rocblas_handle13rocblas_fill_ililT1_llii.num_vgpr, 29
	.set _ZL18rocblas_trtri_fillILi128EdPKPdEvP15_rocblas_handle13rocblas_fill_ililT1_llii.num_agpr, 0
	.set _ZL18rocblas_trtri_fillILi128EdPKPdEvP15_rocblas_handle13rocblas_fill_ililT1_llii.numbered_sgpr, 37
	.set _ZL18rocblas_trtri_fillILi128EdPKPdEvP15_rocblas_handle13rocblas_fill_ililT1_llii.num_named_barrier, 0
	.set _ZL18rocblas_trtri_fillILi128EdPKPdEvP15_rocblas_handle13rocblas_fill_ililT1_llii.private_seg_size, 0
	.set _ZL18rocblas_trtri_fillILi128EdPKPdEvP15_rocblas_handle13rocblas_fill_ililT1_llii.uses_vcc, 1
	.set _ZL18rocblas_trtri_fillILi128EdPKPdEvP15_rocblas_handle13rocblas_fill_ililT1_llii.uses_flat_scratch, 0
	.set _ZL18rocblas_trtri_fillILi128EdPKPdEvP15_rocblas_handle13rocblas_fill_ililT1_llii.has_dyn_sized_stack, 0
	.set _ZL18rocblas_trtri_fillILi128EdPKPdEvP15_rocblas_handle13rocblas_fill_ililT1_llii.has_recursion, 0
	.set _ZL18rocblas_trtri_fillILi128EdPKPdEvP15_rocblas_handle13rocblas_fill_ililT1_llii.has_indirect_call, 0
	.section	.AMDGPU.csdata,"",@progbits
; Kernel info:
; codeLenInByte = 1860
; TotalNumSgprs: 43
; NumVgprs: 29
; NumAgprs: 0
; TotalNumVgprs: 29
; ScratchSize: 0
; MemoryBound: 0
; FloatMode: 240
; IeeeMode: 1
; LDSByteSize: 0 bytes/workgroup (compile time only)
; SGPRBlocks: 5
; VGPRBlocks: 3
; NumSGPRsForWavesPerEU: 43
; NumVGPRsForWavesPerEU: 29
; AccumOffset: 32
; Occupancy: 8
; WaveLimiterHint : 1
; COMPUTE_PGM_RSRC2:SCRATCH_EN: 0
; COMPUTE_PGM_RSRC2:USER_SGPR: 2
; COMPUTE_PGM_RSRC2:TRAP_HANDLER: 0
; COMPUTE_PGM_RSRC2:TGID_X_EN: 1
; COMPUTE_PGM_RSRC2:TGID_Y_EN: 0
; COMPUTE_PGM_RSRC2:TGID_Z_EN: 1
; COMPUTE_PGM_RSRC2:TIDIG_COMP_CNT: 0
; COMPUTE_PGM_RSRC3_GFX90A:ACCUM_OFFSET: 7
; COMPUTE_PGM_RSRC3_GFX90A:TG_SPLIT: 0
	.section	.text._ZL24rocblas_copy_matrix_trsmILi128ELi8EdPKPKdPKPdEviiiT2_ilT3_illli,"axG",@progbits,_ZL24rocblas_copy_matrix_trsmILi128ELi8EdPKPKdPKPdEviiiT2_ilT3_illli,comdat
	.globl	_ZL24rocblas_copy_matrix_trsmILi128ELi8EdPKPKdPKPdEviiiT2_ilT3_illli ; -- Begin function _ZL24rocblas_copy_matrix_trsmILi128ELi8EdPKPKdPKPdEviiiT2_ilT3_illli
	.p2align	8
	.type	_ZL24rocblas_copy_matrix_trsmILi128ELi8EdPKPKdPKPdEviiiT2_ilT3_illli,@function
_ZL24rocblas_copy_matrix_trsmILi128ELi8EdPKPKdPKPdEviiiT2_ilT3_illli: ; @_ZL24rocblas_copy_matrix_trsmILi128ELi8EdPKPKdPKPdEviiiT2_ilT3_illli
; %bb.0:
	s_load_dwordx2 s[8:9], s[0:1], 0x0
	v_and_b32_e32 v1, 0x3ff, v0
	v_mov_b32_e32 v3, 0
	v_bfe_u32 v0, v0, 10, 10
	v_lshl_add_u32 v2, s2, 7, v1
	v_lshl_add_u32 v0, s3, 3, v0
	v_mov_b32_e32 v1, v3
	s_waitcnt lgkmcnt(0)
	s_ashr_i32 s7, s9, 31
	s_mov_b32 s6, s9
	s_ashr_i32 s9, s8, 31
	v_cmp_gt_u64_e32 vcc, s[8:9], v[2:3]
	v_cmp_gt_u64_e64 s[2:3], s[6:7], v[0:1]
	s_and_b64 s[2:3], vcc, s[2:3]
	s_and_saveexec_b64 s[8:9], s[2:3]
	s_cbranch_execz .LBB131_3
; %bb.1:
	s_load_dword s18, s[0:1], 0x18
	s_load_dword s19, s[0:1], 0x30
	s_load_dwordx2 s[2:3], s[0:1], 0x10
	s_load_dwordx2 s[12:13], s[0:1], 0x28
	s_mov_b32 s5, 0
	s_waitcnt lgkmcnt(0)
	s_ashr_i32 s20, s18, 31
	s_ashr_i32 s21, s19, 31
	s_lshl_b64 s[14:15], s[4:5], 3
	s_add_u32 s2, s2, s14
	s_addc_u32 s3, s3, s15
	s_load_dwordx4 s[8:11], s[0:1], 0x40
	s_load_dword s4, s[0:1], 0x5c
	s_load_dwordx2 s[16:17], s[2:3], 0x0
	v_mad_u64_u32 v[4:5], s[2:3], s19, v0, 0
	v_mov_b32_e32 v6, v5
	s_add_u32 s0, s12, s14
	v_mad_u64_u32 v[6:7], s[2:3], s21, v0, v[6:7]
	s_addc_u32 s1, s13, s15
	v_mov_b32_e32 v5, v6
	s_waitcnt lgkmcnt(0)
	s_lshl_b64 s[2:3], s[10:11], 3
	s_load_dwordx2 s[0:1], s[0:1], 0x0
	v_lshl_add_u64 v[4:5], v[4:5], 3, s[2:3]
	v_lshlrev_b64 v[6:7], 3, v[2:3]
	v_lshl_add_u64 v[2:3], v[4:5], 0, v[6:7]
	v_mad_u64_u32 v[4:5], s[2:3], s18, v0, 0
	v_mov_b32_e32 v8, v5
	v_mad_u64_u32 v[8:9], s[2:3], s20, v0, v[8:9]
	s_lshl_b32 s4, s4, 3
	v_mov_b32_e32 v5, v8
	s_lshl_b64 s[2:3], s[8:9], 3
	s_waitcnt lgkmcnt(0)
	v_lshl_add_u64 v[2:3], s[0:1], 0, v[2:3]
	s_mul_i32 s21, s21, s4
	s_mul_hi_u32 s0, s19, s4
	v_lshl_add_u64 v[4:5], v[4:5], 3, s[2:3]
	s_mul_i32 s20, s20, s4
	s_mul_hi_u32 s2, s18, s4
	s_add_i32 s1, s0, s21
	s_mul_i32 s0, s19, s4
	v_lshl_add_u64 v[4:5], v[4:5], 0, v[6:7]
	s_add_i32 s3, s2, s20
	s_mul_i32 s2, s18, s4
	s_lshl_b64 s[0:1], s[0:1], 3
	v_lshl_add_u64 v[4:5], s[16:17], 0, v[4:5]
	s_lshl_b64 s[2:3], s[2:3], 3
	s_mov_b64 s[8:9], 0
.LBB131_2:                              ; =>This Inner Loop Header: Depth=1
	flat_load_dwordx2 v[6:7], v[4:5]
	v_lshl_add_u64 v[0:1], v[0:1], 0, s[4:5]
	v_cmp_le_u64_e32 vcc, s[6:7], v[0:1]
	v_lshl_add_u64 v[4:5], v[4:5], 0, s[2:3]
	s_or_b64 s[8:9], vcc, s[8:9]
	s_waitcnt vmcnt(0) lgkmcnt(0)
	flat_store_dwordx2 v[2:3], v[6:7]
	v_lshl_add_u64 v[2:3], v[2:3], 0, s[0:1]
	s_andn2_b64 exec, exec, s[8:9]
	s_cbranch_execnz .LBB131_2
.LBB131_3:
	s_endpgm
	.section	.rodata,"a",@progbits
	.p2align	6, 0x0
	.amdhsa_kernel _ZL24rocblas_copy_matrix_trsmILi128ELi8EdPKPKdPKPdEviiiT2_ilT3_illli
		.amdhsa_group_segment_fixed_size 0
		.amdhsa_private_segment_fixed_size 0
		.amdhsa_kernarg_size 344
		.amdhsa_user_sgpr_count 2
		.amdhsa_user_sgpr_dispatch_ptr 0
		.amdhsa_user_sgpr_queue_ptr 0
		.amdhsa_user_sgpr_kernarg_segment_ptr 1
		.amdhsa_user_sgpr_dispatch_id 0
		.amdhsa_user_sgpr_kernarg_preload_length 0
		.amdhsa_user_sgpr_kernarg_preload_offset 0
		.amdhsa_user_sgpr_private_segment_size 0
		.amdhsa_uses_dynamic_stack 0
		.amdhsa_enable_private_segment 0
		.amdhsa_system_sgpr_workgroup_id_x 1
		.amdhsa_system_sgpr_workgroup_id_y 1
		.amdhsa_system_sgpr_workgroup_id_z 1
		.amdhsa_system_sgpr_workgroup_info 0
		.amdhsa_system_vgpr_workitem_id 1
		.amdhsa_next_free_vgpr 10
		.amdhsa_next_free_sgpr 22
		.amdhsa_accum_offset 12
		.amdhsa_reserve_vcc 1
		.amdhsa_float_round_mode_32 0
		.amdhsa_float_round_mode_16_64 0
		.amdhsa_float_denorm_mode_32 3
		.amdhsa_float_denorm_mode_16_64 3
		.amdhsa_dx10_clamp 1
		.amdhsa_ieee_mode 1
		.amdhsa_fp16_overflow 0
		.amdhsa_tg_split 0
		.amdhsa_exception_fp_ieee_invalid_op 0
		.amdhsa_exception_fp_denorm_src 0
		.amdhsa_exception_fp_ieee_div_zero 0
		.amdhsa_exception_fp_ieee_overflow 0
		.amdhsa_exception_fp_ieee_underflow 0
		.amdhsa_exception_fp_ieee_inexact 0
		.amdhsa_exception_int_div_zero 0
	.end_amdhsa_kernel
	.section	.text._ZL24rocblas_copy_matrix_trsmILi128ELi8EdPKPKdPKPdEviiiT2_ilT3_illli,"axG",@progbits,_ZL24rocblas_copy_matrix_trsmILi128ELi8EdPKPKdPKPdEviiiT2_ilT3_illli,comdat
.Lfunc_end131:
	.size	_ZL24rocblas_copy_matrix_trsmILi128ELi8EdPKPKdPKPdEviiiT2_ilT3_illli, .Lfunc_end131-_ZL24rocblas_copy_matrix_trsmILi128ELi8EdPKPKdPKPdEviiiT2_ilT3_illli
                                        ; -- End function
	.set _ZL24rocblas_copy_matrix_trsmILi128ELi8EdPKPKdPKPdEviiiT2_ilT3_illli.num_vgpr, 10
	.set _ZL24rocblas_copy_matrix_trsmILi128ELi8EdPKPKdPKPdEviiiT2_ilT3_illli.num_agpr, 0
	.set _ZL24rocblas_copy_matrix_trsmILi128ELi8EdPKPKdPKPdEviiiT2_ilT3_illli.numbered_sgpr, 22
	.set _ZL24rocblas_copy_matrix_trsmILi128ELi8EdPKPKdPKPdEviiiT2_ilT3_illli.num_named_barrier, 0
	.set _ZL24rocblas_copy_matrix_trsmILi128ELi8EdPKPKdPKPdEviiiT2_ilT3_illli.private_seg_size, 0
	.set _ZL24rocblas_copy_matrix_trsmILi128ELi8EdPKPKdPKPdEviiiT2_ilT3_illli.uses_vcc, 1
	.set _ZL24rocblas_copy_matrix_trsmILi128ELi8EdPKPKdPKPdEviiiT2_ilT3_illli.uses_flat_scratch, 0
	.set _ZL24rocblas_copy_matrix_trsmILi128ELi8EdPKPKdPKPdEviiiT2_ilT3_illli.has_dyn_sized_stack, 0
	.set _ZL24rocblas_copy_matrix_trsmILi128ELi8EdPKPKdPKPdEviiiT2_ilT3_illli.has_recursion, 0
	.set _ZL24rocblas_copy_matrix_trsmILi128ELi8EdPKPKdPKPdEviiiT2_ilT3_illli.has_indirect_call, 0
	.section	.AMDGPU.csdata,"",@progbits
; Kernel info:
; codeLenInByte = 420
; TotalNumSgprs: 28
; NumVgprs: 10
; NumAgprs: 0
; TotalNumVgprs: 10
; ScratchSize: 0
; MemoryBound: 0
; FloatMode: 240
; IeeeMode: 1
; LDSByteSize: 0 bytes/workgroup (compile time only)
; SGPRBlocks: 3
; VGPRBlocks: 1
; NumSGPRsForWavesPerEU: 28
; NumVGPRsForWavesPerEU: 10
; AccumOffset: 12
; Occupancy: 8
; WaveLimiterHint : 0
; COMPUTE_PGM_RSRC2:SCRATCH_EN: 0
; COMPUTE_PGM_RSRC2:USER_SGPR: 2
; COMPUTE_PGM_RSRC2:TRAP_HANDLER: 0
; COMPUTE_PGM_RSRC2:TGID_X_EN: 1
; COMPUTE_PGM_RSRC2:TGID_Y_EN: 1
; COMPUTE_PGM_RSRC2:TGID_Z_EN: 1
; COMPUTE_PGM_RSRC2:TIDIG_COMP_CNT: 1
; COMPUTE_PGM_RSRC3_GFX90A:ACCUM_OFFSET: 2
; COMPUTE_PGM_RSRC3_GFX90A:TG_SPLIT: 0
	.section	.text._ZL23rocblas_set_matrix_trsmILi128ELi8E19rocblas_complex_numIfEPKPS1_EvlliT2_llT1_li,"axG",@progbits,_ZL23rocblas_set_matrix_trsmILi128ELi8E19rocblas_complex_numIfEPKPS1_EvlliT2_llT1_li,comdat
	.globl	_ZL23rocblas_set_matrix_trsmILi128ELi8E19rocblas_complex_numIfEPKPS1_EvlliT2_llT1_li ; -- Begin function _ZL23rocblas_set_matrix_trsmILi128ELi8E19rocblas_complex_numIfEPKPS1_EvlliT2_llT1_li
	.p2align	8
	.type	_ZL23rocblas_set_matrix_trsmILi128ELi8E19rocblas_complex_numIfEPKPS1_EvlliT2_llT1_li,@function
_ZL23rocblas_set_matrix_trsmILi128ELi8E19rocblas_complex_numIfEPKPS1_EvlliT2_llT1_li: ; @_ZL23rocblas_set_matrix_trsmILi128ELi8E19rocblas_complex_numIfEPKPS1_EvlliT2_llT1_li
; %bb.0:
	s_load_dwordx4 s[8:11], s[0:1], 0x0
	v_and_b32_e32 v1, 0x3ff, v0
	v_mov_b32_e32 v3, 0
	v_bfe_u32 v0, v0, 10, 10
	v_lshl_add_u32 v2, s2, 7, v1
	v_lshl_add_u32 v0, s3, 3, v0
	v_mov_b32_e32 v1, v3
	s_waitcnt lgkmcnt(0)
	v_cmp_gt_u64_e32 vcc, s[8:9], v[2:3]
	v_cmp_gt_u64_e64 s[2:3], s[10:11], v[0:1]
	s_and_b64 s[2:3], vcc, s[2:3]
	s_and_saveexec_b64 s[6:7], s[2:3]
	s_cbranch_execz .LBB132_2
; %bb.1:
	s_load_dwordx4 s[8:11], s[0:1], 0x18
	s_load_dwordx2 s[2:3], s[0:1], 0x38
	s_mov_b32 s5, 0
	s_lshl_b64 s[0:1], s[4:5], 3
	s_waitcnt lgkmcnt(0)
	s_add_u32 s0, s8, s0
	s_addc_u32 s1, s9, s1
	s_load_dwordx2 s[0:1], s[0:1], 0x0
	v_mad_u64_u32 v[4:5], s[4:5], s10, v0, 0
	s_lshl_b64 s[2:3], s[2:3], 3
	v_mov_b32_e32 v6, v5
	s_waitcnt lgkmcnt(0)
	s_add_u32 s0, s0, s2
	s_addc_u32 s1, s1, s3
	v_mad_u64_u32 v[0:1], s[2:3], s11, v0, v[6:7]
	v_mov_b32_e32 v5, v0
	v_lshl_add_u64 v[0:1], v[4:5], 3, s[0:1]
	v_lshl_add_u64 v[0:1], v[2:3], 3, v[0:1]
	v_mov_b32_e32 v2, v3
	flat_store_dwordx2 v[0:1], v[2:3]
.LBB132_2:
	s_endpgm
	.section	.rodata,"a",@progbits
	.p2align	6, 0x0
	.amdhsa_kernel _ZL23rocblas_set_matrix_trsmILi128ELi8E19rocblas_complex_numIfEPKPS1_EvlliT2_llT1_li
		.amdhsa_group_segment_fixed_size 0
		.amdhsa_private_segment_fixed_size 0
		.amdhsa_kernarg_size 68
		.amdhsa_user_sgpr_count 2
		.amdhsa_user_sgpr_dispatch_ptr 0
		.amdhsa_user_sgpr_queue_ptr 0
		.amdhsa_user_sgpr_kernarg_segment_ptr 1
		.amdhsa_user_sgpr_dispatch_id 0
		.amdhsa_user_sgpr_kernarg_preload_length 0
		.amdhsa_user_sgpr_kernarg_preload_offset 0
		.amdhsa_user_sgpr_private_segment_size 0
		.amdhsa_uses_dynamic_stack 0
		.amdhsa_enable_private_segment 0
		.amdhsa_system_sgpr_workgroup_id_x 1
		.amdhsa_system_sgpr_workgroup_id_y 1
		.amdhsa_system_sgpr_workgroup_id_z 1
		.amdhsa_system_sgpr_workgroup_info 0
		.amdhsa_system_vgpr_workitem_id 1
		.amdhsa_next_free_vgpr 8
		.amdhsa_next_free_sgpr 12
		.amdhsa_accum_offset 8
		.amdhsa_reserve_vcc 1
		.amdhsa_float_round_mode_32 0
		.amdhsa_float_round_mode_16_64 0
		.amdhsa_float_denorm_mode_32 3
		.amdhsa_float_denorm_mode_16_64 3
		.amdhsa_dx10_clamp 1
		.amdhsa_ieee_mode 1
		.amdhsa_fp16_overflow 0
		.amdhsa_tg_split 0
		.amdhsa_exception_fp_ieee_invalid_op 0
		.amdhsa_exception_fp_denorm_src 0
		.amdhsa_exception_fp_ieee_div_zero 0
		.amdhsa_exception_fp_ieee_overflow 0
		.amdhsa_exception_fp_ieee_underflow 0
		.amdhsa_exception_fp_ieee_inexact 0
		.amdhsa_exception_int_div_zero 0
	.end_amdhsa_kernel
	.section	.text._ZL23rocblas_set_matrix_trsmILi128ELi8E19rocblas_complex_numIfEPKPS1_EvlliT2_llT1_li,"axG",@progbits,_ZL23rocblas_set_matrix_trsmILi128ELi8E19rocblas_complex_numIfEPKPS1_EvlliT2_llT1_li,comdat
.Lfunc_end132:
	.size	_ZL23rocblas_set_matrix_trsmILi128ELi8E19rocblas_complex_numIfEPKPS1_EvlliT2_llT1_li, .Lfunc_end132-_ZL23rocblas_set_matrix_trsmILi128ELi8E19rocblas_complex_numIfEPKPS1_EvlliT2_llT1_li
                                        ; -- End function
	.set _ZL23rocblas_set_matrix_trsmILi128ELi8E19rocblas_complex_numIfEPKPS1_EvlliT2_llT1_li.num_vgpr, 8
	.set _ZL23rocblas_set_matrix_trsmILi128ELi8E19rocblas_complex_numIfEPKPS1_EvlliT2_llT1_li.num_agpr, 0
	.set _ZL23rocblas_set_matrix_trsmILi128ELi8E19rocblas_complex_numIfEPKPS1_EvlliT2_llT1_li.numbered_sgpr, 12
	.set _ZL23rocblas_set_matrix_trsmILi128ELi8E19rocblas_complex_numIfEPKPS1_EvlliT2_llT1_li.num_named_barrier, 0
	.set _ZL23rocblas_set_matrix_trsmILi128ELi8E19rocblas_complex_numIfEPKPS1_EvlliT2_llT1_li.private_seg_size, 0
	.set _ZL23rocblas_set_matrix_trsmILi128ELi8E19rocblas_complex_numIfEPKPS1_EvlliT2_llT1_li.uses_vcc, 1
	.set _ZL23rocblas_set_matrix_trsmILi128ELi8E19rocblas_complex_numIfEPKPS1_EvlliT2_llT1_li.uses_flat_scratch, 0
	.set _ZL23rocblas_set_matrix_trsmILi128ELi8E19rocblas_complex_numIfEPKPS1_EvlliT2_llT1_li.has_dyn_sized_stack, 0
	.set _ZL23rocblas_set_matrix_trsmILi128ELi8E19rocblas_complex_numIfEPKPS1_EvlliT2_llT1_li.has_recursion, 0
	.set _ZL23rocblas_set_matrix_trsmILi128ELi8E19rocblas_complex_numIfEPKPS1_EvlliT2_llT1_li.has_indirect_call, 0
	.section	.AMDGPU.csdata,"",@progbits
; Kernel info:
; codeLenInByte = 192
; TotalNumSgprs: 18
; NumVgprs: 8
; NumAgprs: 0
; TotalNumVgprs: 8
; ScratchSize: 0
; MemoryBound: 0
; FloatMode: 240
; IeeeMode: 1
; LDSByteSize: 0 bytes/workgroup (compile time only)
; SGPRBlocks: 2
; VGPRBlocks: 0
; NumSGPRsForWavesPerEU: 18
; NumVGPRsForWavesPerEU: 8
; AccumOffset: 8
; Occupancy: 8
; WaveLimiterHint : 1
; COMPUTE_PGM_RSRC2:SCRATCH_EN: 0
; COMPUTE_PGM_RSRC2:USER_SGPR: 2
; COMPUTE_PGM_RSRC2:TRAP_HANDLER: 0
; COMPUTE_PGM_RSRC2:TGID_X_EN: 1
; COMPUTE_PGM_RSRC2:TGID_Y_EN: 1
; COMPUTE_PGM_RSRC2:TGID_Z_EN: 1
; COMPUTE_PGM_RSRC2:TIDIG_COMP_CNT: 1
; COMPUTE_PGM_RSRC3_GFX90A:ACCUM_OFFSET: 1
; COMPUTE_PGM_RSRC3_GFX90A:TG_SPLIT: 0
	.section	.text._ZL38rocblas_trsm_small_left_device_sharedBILi4ELi4ELb0E19rocblas_complex_numIfES1_PKPKS1_PKPS1_Ev13rocblas_fill_18rocblas_operation_17rocblas_diagonal_iiT3_T4_lilT5_lili,"axG",@progbits,_ZL38rocblas_trsm_small_left_device_sharedBILi4ELi4ELb0E19rocblas_complex_numIfES1_PKPKS1_PKPS1_Ev13rocblas_fill_18rocblas_operation_17rocblas_diagonal_iiT3_T4_lilT5_lili,comdat
	.globl	_ZL38rocblas_trsm_small_left_device_sharedBILi4ELi4ELb0E19rocblas_complex_numIfES1_PKPKS1_PKPS1_Ev13rocblas_fill_18rocblas_operation_17rocblas_diagonal_iiT3_T4_lilT5_lili ; -- Begin function _ZL38rocblas_trsm_small_left_device_sharedBILi4ELi4ELb0E19rocblas_complex_numIfES1_PKPKS1_PKPS1_Ev13rocblas_fill_18rocblas_operation_17rocblas_diagonal_iiT3_T4_lilT5_lili
	.p2align	8
	.type	_ZL38rocblas_trsm_small_left_device_sharedBILi4ELi4ELb0E19rocblas_complex_numIfES1_PKPKS1_PKPS1_Ev13rocblas_fill_18rocblas_operation_17rocblas_diagonal_iiT3_T4_lilT5_lili,@function
_ZL38rocblas_trsm_small_left_device_sharedBILi4ELi4ELb0E19rocblas_complex_numIfES1_PKPKS1_PKPS1_Ev13rocblas_fill_18rocblas_operation_17rocblas_diagonal_iiT3_T4_lilT5_lili: ; @_ZL38rocblas_trsm_small_left_device_sharedBILi4ELi4ELb0E19rocblas_complex_numIfES1_PKPKS1_PKPS1_Ev13rocblas_fill_18rocblas_operation_17rocblas_diagonal_iiT3_T4_lilT5_lili
; %bb.0:
	s_load_dwordx4 s[8:11], s[0:1], 0x40
	s_load_dwordx4 s[4:7], s[0:1], 0x4
	s_load_dwordx2 s[12:13], s[0:1], 0x14
	s_mov_b32 s14, s3
	s_mov_b32 s15, 0
	s_lshl_b64 s[18:19], s[14:15], 3
	s_waitcnt lgkmcnt(0)
	s_add_u32 s8, s8, s18
	s_addc_u32 s9, s9, s19
	s_load_dword s3, s[0:1], 0x68
	s_min_i32 s22, s6, 4
	s_load_dwordx2 s[8:9], s[8:9], 0x0
	v_cmp_gt_i32_e32 vcc, s22, v0
	s_and_saveexec_b64 s[14:15], vcc
	s_cbranch_execz .LBB133_15
; %bb.1:
	s_load_dword s20, s[0:1], 0x30
	s_load_dwordx4 s[24:27], s[0:1], 0x20
	v_lshlrev_b32_e32 v2, 3, v0
	v_mov_b32_e32 v3, 0
	v_mov_b32_e32 v1, v2
	s_waitcnt lgkmcnt(0)
	s_ashr_i32 s21, s20, 31
	s_cmpk_lg_i32 s4, 0x71
	s_cselect_b64 s[16:17], -1, 0
	s_add_u32 s18, s24, s18
	s_addc_u32 s19, s25, s19
	s_load_dwordx2 s[18:19], s[18:19], 0x0
	s_lshl_b64 s[24:25], s[26:27], 3
	s_mov_b32 s23, s22
	s_waitcnt lgkmcnt(0)
	s_add_u32 s24, s18, s24
	s_addc_u32 s25, s19, s25
	s_lshl_b64 s[18:19], s[20:21], 3
	v_lshl_add_u64 v[4:5], s[24:25], 0, v[2:3]
	s_branch .LBB133_3
.LBB133_2:                              ;   in Loop: Header=BB133_3 Depth=1
	flat_load_dword v6, v[4:5]
	s_add_i32 s23, s23, -1
	v_lshl_add_u64 v[4:5], v[4:5], 0, s[18:19]
	s_cmp_eq_u32 s23, 0
	s_waitcnt vmcnt(0) lgkmcnt(0)
	ds_write_b64 v1, v[6:7]
	v_add_u32_e32 v1, 32, v1
	s_cbranch_scc1 .LBB133_7
.LBB133_3:                              ; =>This Inner Loop Header: Depth=1
	s_mov_b64 s[20:21], -1
	s_and_b64 vcc, exec, s[16:17]
                                        ; implicit-def: $vgpr7
	s_cbranch_vccz .LBB133_5
; %bb.4:                                ;   in Loop: Header=BB133_3 Depth=1
	flat_load_dword v7, v[4:5] offset:4
	s_mov_b64 s[20:21], 0
.LBB133_5:                              ;   in Loop: Header=BB133_3 Depth=1
	s_andn2_b64 vcc, exec, s[20:21]
	s_cbranch_vccnz .LBB133_2
; %bb.6:                                ;   in Loop: Header=BB133_3 Depth=1
	flat_load_dword v3, v[4:5] offset:4
	s_waitcnt vmcnt(0) lgkmcnt(0)
	v_xor_b32_e32 v7, 0x80000000, v3
	s_branch .LBB133_2
.LBB133_7:
	s_cmpk_lg_i32 s5, 0x84
	v_lshlrev_b32_e32 v1, 5, v0
	s_mov_b64 s[16:17], -1
	s_cbranch_scc0 .LBB133_13
; %bb.8:
	v_add_u32_e32 v3, v2, v1
	ds_read_b64 v[4:5], v3
                                        ; implicit-def: $vgpr6_vgpr7
	s_waitcnt lgkmcnt(0)
	v_cmp_ngt_f32_e64 s[16:17], |v4|, |v5|
	s_and_saveexec_b64 s[18:19], s[16:17]
	s_xor_b64 s[16:17], exec, s[18:19]
	s_cbranch_execz .LBB133_10
; %bb.9:
	v_div_scale_f32 v6, s[18:19], v5, v5, v4
	v_rcp_f32_e32 v7, v6
	v_div_scale_f32 v8, vcc, v4, v5, v4
	v_fma_f32 v9, -v6, v7, 1.0
	v_fmac_f32_e32 v7, v9, v7
	v_mul_f32_e32 v9, v8, v7
	v_fma_f32 v10, -v6, v9, v8
	v_fmac_f32_e32 v9, v10, v7
	v_fma_f32 v6, -v6, v9, v8
	v_div_fmas_f32 v6, v6, v7, v9
	v_div_fixup_f32 v6, v6, v5, v4
	v_fmac_f32_e32 v5, v4, v6
	v_div_scale_f32 v4, s[18:19], v5, v5, 1.0
	v_rcp_f32_e32 v7, v4
	s_mov_b32 s18, 0
	s_mov_b32 s19, -1.0
	v_fma_f32 v8, -v4, v7, 1.0
	v_fmac_f32_e32 v7, v8, v7
	v_div_scale_f32 v8, vcc, 1.0, v5, 1.0
	v_mul_f32_e32 v9, v8, v7
	v_fma_f32 v10, -v4, v9, v8
	v_fmac_f32_e32 v9, v10, v7
	v_fma_f32 v4, -v4, v9, v8
	v_div_fmas_f32 v4, v4, v7, v9
	v_mul_f32_e32 v7, 0, v6
	v_div_fixup_f32 v4, v4, v5, 1.0
	v_pk_add_f32 v[6:7], v[6:7], s[18:19]
	s_nop 0
	v_pk_mul_f32 v[6:7], v[6:7], v[4:5] op_sel_hi:[1,0]
                                        ; implicit-def: $vgpr4_vgpr5
.LBB133_10:
	s_andn2_saveexec_b64 s[16:17], s[16:17]
	s_cbranch_execz .LBB133_12
; %bb.11:
	v_div_scale_f32 v6, s[18:19], v4, v4, v5
	v_rcp_f32_e32 v7, v6
	v_div_scale_f32 v8, vcc, v5, v4, v5
	v_fma_f32 v9, -v6, v7, 1.0
	v_fmac_f32_e32 v7, v9, v7
	v_mul_f32_e32 v9, v8, v7
	v_fma_f32 v10, -v6, v9, v8
	v_fmac_f32_e32 v9, v10, v7
	v_fma_f32 v6, -v6, v9, v8
	v_div_fmas_f32 v6, v6, v7, v9
	v_div_fixup_f32 v7, v6, v4, v5
	v_fmac_f32_e32 v4, v5, v7
	v_div_scale_f32 v5, s[18:19], v4, v4, 1.0
	v_rcp_f32_e32 v6, v5
	s_nop 0
	v_fma_f32 v8, -v5, v6, 1.0
	v_fmac_f32_e32 v6, v8, v6
	v_div_scale_f32 v8, vcc, 1.0, v4, 1.0
	v_mul_f32_e32 v9, v8, v6
	v_fma_f32 v10, -v5, v9, v8
	v_fmac_f32_e32 v9, v10, v6
	v_fma_f32 v5, -v5, v9, v8
	v_div_fmas_f32 v5, v5, v6, v9
	v_div_fixup_f32 v4, v5, v4, 1.0
	v_mul_f32_e32 v5, 0, v7
	v_add_f32_e32 v6, 1.0, v5
	v_sub_f32_e32 v7, 0, v7
	v_pk_mul_f32 v[6:7], v[6:7], v[4:5] op_sel_hi:[1,0]
.LBB133_12:
	s_or_b64 exec, exec, s[16:17]
	s_mov_b64 s[16:17], 0
	ds_write_b64 v3, v[6:7]
.LBB133_13:
	s_and_b64 vcc, exec, s[16:17]
	s_cbranch_vccz .LBB133_15
; %bb.14:
	v_add_u32_e32 v1, v2, v1
	v_mov_b32_e32 v2, 1.0
	v_mov_b32_e32 v3, 0
	ds_write_b64 v1, v[2:3]
.LBB133_15:
	s_or_b64 exec, exec, s[14:15]
	s_load_dword s16, s[0:1], 0x50
	s_lshl_b64 s[0:1], s[10:11], 3
	s_waitcnt lgkmcnt(0)
	s_add_u32 s5, s8, s0
	s_addc_u32 s8, s9, s1
	s_lshl_b32 s0, s2, 2
	s_add_i32 s3, s3, -1
	s_sub_i32 s1, s7, s0
	s_cmp_ge_u32 s2, s3
	s_cselect_b32 s7, s1, 4
	s_mul_hi_i32 s1, s16, s0
	s_mul_i32 s0, s16, s0
	s_lshl_b64 s[0:1], s[0:1], 3
	s_add_u32 s2, s5, s0
	s_addc_u32 s3, s8, s1
	s_cmp_gt_i32 s6, 0
	v_cmp_gt_i32_e64 s[0:1], s7, v0
	s_cselect_b64 s[8:9], -1, 0
	s_and_b64 s[14:15], s[0:1], s[8:9]
	s_and_saveexec_b64 s[10:11], s[14:15]
	s_cbranch_execz .LBB133_18
; %bb.16:
	v_mad_i64_i32 v[2:3], s[14:15], s16, v0, 0
	v_mov_b32_e32 v1, 0x80
	v_lshl_add_u64 v[2:3], v[2:3], 3, s[2:3]
	v_lshl_or_b32 v1, v0, 3, v1
	s_mov_b32 s14, s13
	s_mov_b32 s15, s12
	;; [unrolled: 1-line block ×3, first 2 shown]
.LBB133_17:                             ; =>This Inner Loop Header: Depth=1
	flat_load_dwordx2 v[4:5], v[2:3]
	s_add_i32 s5, s5, -1
	v_lshl_add_u64 v[2:3], v[2:3], 0, 8
	s_cmp_lg_u32 s5, 0
	s_waitcnt vmcnt(0) lgkmcnt(0)
	v_pk_mul_f32 v[6:7], s[14:15], v[4:5] op_sel:[0,1]
	s_nop 0
	v_pk_fma_f32 v[8:9], s[12:13], v[4:5], v[6:7] neg_lo:[0,0,1] neg_hi:[0,0,1]
	v_pk_fma_f32 v[4:5], s[12:13], v[4:5], v[6:7] op_sel_hi:[1,0,1]
	s_nop 0
	v_mov_b32_e32 v9, v5
	ds_write_b64 v1, v[8:9]
	v_add_u32_e32 v1, 32, v1
	s_cbranch_scc1 .LBB133_17
.LBB133_18:
	s_or_b64 exec, exec, s[10:11]
	v_mov_b32_e32 v1, 0x80
	s_cmpk_eq_i32 s4, 0x6f
	v_lshl_or_b32 v1, v0, 3, v1
	s_mov_b64 s[4:5], -1
	s_waitcnt lgkmcnt(0)
	; wave barrier
	s_cbranch_scc1 .LBB133_27
; %bb.19:
	s_cmp_gt_i32 s6, 3
	s_mov_b32 s4, 0
	s_cbranch_scc0 .LBB133_21
; %bb.20:
	ds_read2_b64 v[2:5], v1 offset1:4
	v_mov_b32_e32 v26, 0
	ds_read2_b64 v[6:9], v26 offset1:10
	ds_read2_b64 v[10:13], v1 offset0:8 offset1:12
	ds_read_b128 v[14:17], v26 offset:32
	s_mov_b32 s4, 4
	s_waitcnt lgkmcnt(2)
	v_pk_mul_f32 v[18:19], v[6:7], v[2:3] op_sel:[1,1] op_sel_hi:[0,1]
	v_pk_fma_f32 v[22:23], v[6:7], v[2:3], v[18:19] op_sel_hi:[1,0,1] neg_lo:[0,0,1] neg_hi:[0,0,1]
	v_pk_fma_f32 v[24:25], v[6:7], v[2:3], v[18:19] op_sel_hi:[1,0,1]
	ds_read_b128 v[18:21], v26 offset:64
	s_waitcnt lgkmcnt(1)
	v_mul_f32_e32 v2, v15, v25
	v_mul_f32_e32 v3, v14, v25
	v_fma_f32 v2, v14, v22, -v2
	v_fmac_f32_e32 v3, v15, v22
	v_sub_f32_e32 v2, v4, v2
	v_sub_f32_e32 v4, v5, v3
	v_pk_mul_f32 v[4:5], v[16:17], v[4:5] op_sel:[1,0] op_sel_hi:[0,0]
	v_pk_fma_f32 v[14:15], v[16:17], v[2:3], v[4:5] op_sel_hi:[1,0,1] neg_lo:[0,0,1] neg_hi:[0,0,1]
	v_pk_fma_f32 v[16:17], v[16:17], v[2:3], v[4:5] op_sel_hi:[1,0,1]
	s_waitcnt lgkmcnt(0)
	v_mul_f32_e32 v2, v19, v25
	v_mul_f32_e32 v3, v18, v25
	v_fma_f32 v2, v18, v22, -v2
	v_fmac_f32_e32 v3, v19, v22
	v_mul_f32_e32 v4, v21, v17
	v_mul_f32_e32 v5, v20, v17
	v_sub_f32_e32 v2, v10, v2
	v_sub_f32_e32 v3, v11, v3
	v_fma_f32 v4, v20, v14, -v4
	v_fmac_f32_e32 v5, v21, v14
	v_sub_f32_e32 v6, v2, v4
	v_sub_f32_e32 v2, v3, v5
	v_pk_mul_f32 v[10:11], v[8:9], v[2:3] op_sel:[1,0] op_sel_hi:[0,0]
	ds_read_b128 v[2:5], v26 offset:96
	v_pk_fma_f32 v[18:19], v[8:9], v[6:7], v[10:11] op_sel_hi:[1,0,1] neg_lo:[0,0,1] neg_hi:[0,0,1]
	v_pk_fma_f32 v[10:11], v[8:9], v[6:7], v[10:11] op_sel_hi:[1,0,1]
	ds_read_b128 v[6:9], v26 offset:112
	v_mov_b32_e32 v23, v25
	s_waitcnt lgkmcnt(1)
	v_mul_f32_e32 v10, v3, v25
	v_fma_f32 v10, v2, v22, -v10
	v_mul_f32_e32 v2, v2, v25
	v_fmac_f32_e32 v2, v3, v22
	v_sub_f32_e32 v3, v12, v10
	v_mul_f32_e32 v10, v5, v17
	v_fma_f32 v10, v4, v14, -v10
	v_mul_f32_e32 v4, v4, v17
	v_sub_f32_e32 v2, v13, v2
	v_fmac_f32_e32 v4, v5, v14
	s_waitcnt lgkmcnt(0)
	v_mul_f32_e32 v5, v6, v11
	v_sub_f32_e32 v4, v2, v4
	v_mul_f32_e32 v2, v7, v11
	v_fmac_f32_e32 v5, v7, v18
	v_sub_f32_e32 v3, v3, v10
	v_fma_f32 v2, v6, v18, -v2
	v_sub_f32_e32 v4, v4, v5
	v_sub_f32_e32 v2, v3, v2
	v_pk_mul_f32 v[4:5], v[8:9], v[4:5] op_sel:[1,0] op_sel_hi:[0,0]
	v_pk_fma_f32 v[6:7], v[8:9], v[2:3], v[4:5] neg_lo:[0,0,1] neg_hi:[0,0,1]
	v_pk_fma_f32 v[2:3], v[8:9], v[2:3], v[4:5] op_sel_hi:[1,0,1]
	v_mov_b32_e32 v15, v17
	v_mov_b32_e32 v19, v11
	;; [unrolled: 1-line block ×3, first 2 shown]
	ds_write2_b64 v1, v[22:23], v[14:15] offset1:4
	ds_write2_b64 v1, v[18:19], v[6:7] offset0:8 offset1:12
.LBB133_21:
	s_cmp_ge_i32 s4, s22
	s_cbranch_scc1 .LBB133_26
; %bb.22:
	v_mov_b32_e32 v2, 0x80
	s_lshl_b32 s5, s4, 5
	v_lshl_or_b32 v4, v0, 3, v2
	s_branch .LBB133_24
.LBB133_23:                             ;   in Loop: Header=BB133_24 Depth=1
	s_mul_i32 s7, s4, 40
	v_mov_b32_e32 v6, s7
	ds_read_b64 v[6:7], v6
	s_add_i32 s4, s4, 1
	s_add_i32 s5, s5, 32
	s_cmp_ge_i32 s4, s22
	s_waitcnt lgkmcnt(0)
	v_pk_mul_f32 v[8:9], v[6:7], v[2:3] op_sel:[1,1] op_sel_hi:[0,1]
	v_pk_fma_f32 v[10:11], v[6:7], v[2:3], v[8:9] op_sel_hi:[1,0,1] neg_lo:[0,0,1] neg_hi:[0,0,1]
	v_pk_fma_f32 v[2:3], v[6:7], v[2:3], v[8:9] op_sel_hi:[1,0,1]
	s_nop 0
	v_mov_b32_e32 v11, v3
	ds_write_b64 v5, v[10:11]
	s_cbranch_scc1 .LBB133_26
.LBB133_24:                             ; =>This Loop Header: Depth=1
                                        ;     Child Loop BB133_25 Depth 2
	s_lshl_b32 s7, s4, 5
	v_add_u32_e32 v5, s7, v1
	ds_read_b64 v[2:3], v5
	s_cmp_eq_u32 s4, 0
	v_mov_b32_e32 v6, v4
	s_mov_b32 s7, s4
	s_mov_b32 s10, s5
	s_cbranch_scc1 .LBB133_23
.LBB133_25:                             ;   Parent Loop BB133_24 Depth=1
                                        ; =>  This Inner Loop Header: Depth=2
	v_mov_b32_e32 v7, s10
	ds_read_b64 v[8:9], v6
	ds_read_b64 v[10:11], v7
	s_add_i32 s10, s10, 8
	s_add_i32 s7, s7, -1
	v_add_u32_e32 v6, 32, v6
	s_cmp_lg_u32 s7, 0
	s_waitcnt lgkmcnt(0)
	v_pk_mul_f32 v[12:13], v[10:11], v[8:9] op_sel:[1,1] op_sel_hi:[0,1]
	v_pk_fma_f32 v[14:15], v[10:11], v[8:9], v[12:13] neg_lo:[0,0,1] neg_hi:[0,0,1]
	v_pk_fma_f32 v[8:9], v[10:11], v[8:9], v[12:13] op_sel_hi:[1,0,1]
	s_nop 0
	v_mov_b32_e32 v15, v9
	v_pk_add_f32 v[2:3], v[2:3], v[14:15] neg_lo:[0,1] neg_hi:[0,1]
	s_cbranch_scc1 .LBB133_25
	s_branch .LBB133_23
.LBB133_26:
	s_mov_b64 s[4:5], 0
.LBB133_27:
	s_and_b64 vcc, exec, s[4:5]
	s_cbranch_vccz .LBB133_43
; %bb.28:
	s_add_i32 s4, s22, -1
	s_cmp_gt_i32 s6, 3
	s_mov_b32 s6, s4
	s_cbranch_scc0 .LBB133_30
; %bb.29:
	ds_read2_b64 v[2:5], v1 offset0:8 offset1:12
	v_mov_b32_e32 v28, 0
	ds_read_b128 v[6:9], v28 offset:112
	ds_read2_b64 v[10:13], v1 offset1:4
	ds_read_b128 v[14:17], v28 offset:96
	s_mov_b32 s6, -1
	s_waitcnt lgkmcnt(2)
	v_pk_mul_f32 v[18:19], v[8:9], v[4:5] op_sel:[1,1] op_sel_hi:[0,1]
	v_pk_fma_f32 v[22:23], v[8:9], v[4:5], v[18:19] op_sel_hi:[1,0,1] neg_lo:[0,0,1] neg_hi:[0,0,1]
	v_pk_fma_f32 v[24:25], v[8:9], v[4:5], v[18:19] op_sel_hi:[1,0,1]
	ds_read2_b64 v[18:21], v28 offset1:10
	v_mul_f32_e32 v4, v7, v25
	v_mul_f32_e32 v5, v6, v25
	v_fma_f32 v4, v6, v22, -v4
	v_fmac_f32_e32 v5, v7, v22
	v_sub_f32_e32 v2, v2, v4
	v_sub_f32_e32 v4, v3, v5
	s_waitcnt lgkmcnt(0)
	v_pk_mul_f32 v[4:5], v[20:21], v[4:5] op_sel:[1,0] op_sel_hi:[0,0]
	v_pk_fma_f32 v[26:27], v[20:21], v[2:3], v[4:5] op_sel_hi:[1,0,1] neg_lo:[0,0,1] neg_hi:[0,0,1]
	v_pk_fma_f32 v[20:21], v[20:21], v[2:3], v[4:5] op_sel_hi:[1,0,1]
	v_mul_f32_e32 v2, v17, v25
	v_fma_f32 v6, v16, v22, -v2
	ds_read_b128 v[2:5], v28 offset:64
	v_mul_f32_e32 v7, v16, v25
	v_fmac_f32_e32 v7, v17, v22
	v_sub_f32_e32 v12, v12, v6
	v_sub_f32_e32 v13, v13, v7
	ds_read_b128 v[6:9], v28 offset:32
	s_waitcnt lgkmcnt(1)
	v_mul_f32_e32 v16, v5, v21
	v_mul_f32_e32 v17, v4, v21
	v_fma_f32 v16, v4, v26, -v16
	v_fmac_f32_e32 v17, v5, v26
	v_sub_f32_e32 v4, v12, v16
	v_sub_f32_e32 v12, v13, v17
	s_waitcnt lgkmcnt(0)
	v_pk_mul_f32 v[12:13], v[8:9], v[12:13] op_sel:[1,0] op_sel_hi:[0,0]
	v_pk_fma_f32 v[16:17], v[8:9], v[4:5], v[12:13] op_sel_hi:[1,0,1] neg_lo:[0,0,1] neg_hi:[0,0,1]
	v_pk_fma_f32 v[4:5], v[8:9], v[4:5], v[12:13] op_sel_hi:[1,0,1]
	v_mul_f32_e32 v8, v14, v25
	v_mul_f32_e32 v4, v15, v25
	;; [unrolled: 1-line block ×3, first 2 shown]
	v_fma_f32 v4, v14, v22, -v4
	v_fmac_f32_e32 v8, v15, v22
	v_fma_f32 v9, v2, v26, -v9
	v_mul_f32_e32 v2, v2, v21
	v_sub_f32_e32 v4, v10, v4
	v_sub_f32_e32 v8, v11, v8
	v_fmac_f32_e32 v2, v3, v26
	v_mov_b32_e32 v17, v5
	v_sub_f32_e32 v3, v4, v9
	v_sub_f32_e32 v4, v8, v2
	v_mul_f32_e32 v2, v7, v5
	v_mul_f32_e32 v5, v6, v5
	v_fmac_f32_e32 v5, v7, v16
	v_fma_f32 v2, v6, v16, -v2
	v_sub_f32_e32 v4, v4, v5
	v_sub_f32_e32 v2, v3, v2
	v_pk_mul_f32 v[4:5], v[18:19], v[4:5] op_sel:[1,0] op_sel_hi:[0,0]
	v_pk_fma_f32 v[6:7], v[18:19], v[2:3], v[4:5] neg_lo:[0,0,1] neg_hi:[0,0,1]
	v_pk_fma_f32 v[2:3], v[18:19], v[2:3], v[4:5] op_sel_hi:[1,0,1]
	v_mov_b32_e32 v23, v25
	v_mov_b32_e32 v27, v21
	;; [unrolled: 1-line block ×3, first 2 shown]
	ds_write2_b64 v1, v[26:27], v[22:23] offset0:8 offset1:12
	ds_write2_b64 v1, v[6:7], v[16:17] offset1:4
.LBB133_30:
	s_cmp_gt_i32 s6, -1
	s_cbranch_scc0 .LBB133_43
; %bb.31:
	s_bitcmp1_b32 s6, 0
	s_cselect_b64 s[10:11], -1, 0
	s_and_b64 vcc, exec, s[10:11]
	s_mov_b32 s5, s6
	s_cbranch_vccnz .LBB133_36
; %bb.32:
	s_lshl_b32 s5, s6, 5
	v_add_u32_e32 v4, s5, v1
	ds_read_b64 v[2:3], v4
	s_cmp_le_i32 s4, s6
	s_cbranch_scc1 .LBB133_35
; %bb.33:
	s_lshl_b32 s7, s22, 5
	s_lshl_b32 s5, s6, 3
	s_add_i32 s5, s7, s5
	v_lshl_or_b32 v5, v0, 3, s7
	s_sub_i32 s5, s5, 32
	v_add_u32_e32 v5, 0x60, v5
	s_mov_b32 s7, s4
.LBB133_34:                             ; =>This Inner Loop Header: Depth=1
	v_mov_b32_e32 v8, s5
	ds_read_b64 v[6:7], v5
	ds_read_b64 v[8:9], v8
	s_add_i32 s7, s7, -1
	s_sub_i32 s5, s5, 32
	v_subrev_u32_e32 v5, 32, v5
	s_cmp_gt_i32 s7, s6
	s_waitcnt lgkmcnt(0)
	v_pk_mul_f32 v[10:11], v[8:9], v[6:7] op_sel:[1,1] op_sel_hi:[0,1]
	v_pk_fma_f32 v[12:13], v[8:9], v[6:7], v[10:11] neg_lo:[0,0,1] neg_hi:[0,0,1]
	v_pk_fma_f32 v[6:7], v[8:9], v[6:7], v[10:11] op_sel_hi:[1,0,1]
	s_nop 0
	v_mov_b32_e32 v13, v7
	v_pk_add_f32 v[2:3], v[2:3], v[12:13] neg_lo:[0,1] neg_hi:[0,1]
	s_cbranch_scc1 .LBB133_34
.LBB133_35:
	s_mul_i32 s5, s6, 40
	v_mov_b32_e32 v5, s5
	ds_read_b64 v[6:7], v5
	s_add_i32 s5, s6, -1
	s_waitcnt lgkmcnt(0)
	v_pk_mul_f32 v[8:9], v[6:7], v[2:3] op_sel:[1,1] op_sel_hi:[0,1]
	v_pk_fma_f32 v[10:11], v[6:7], v[2:3], v[8:9] op_sel_hi:[1,0,1] neg_lo:[0,0,1] neg_hi:[0,0,1]
	v_pk_fma_f32 v[2:3], v[6:7], v[2:3], v[8:9] op_sel_hi:[1,0,1]
	s_nop 0
	v_mov_b32_e32 v11, v3
	ds_write_b64 v4, v[10:11]
.LBB133_36:
	s_cmp_eq_u32 s6, 0
	s_cbranch_scc1 .LBB133_43
; %bb.37:
	s_lshl_b32 s7, s22, 5
	s_lshl_b32 s6, s5, 3
	s_add_i32 s10, s7, s6
	v_lshl_or_b32 v2, v0, 3, s7
	s_sub_i32 s6, s10, 32
	v_add_u32_e32 v6, 0x60, v2
	s_sub_i32 s7, s10, 40
	s_branch .LBB133_39
.LBB133_38:                             ;   in Loop: Header=BB133_39 Depth=1
	s_sub_i32 s10, s10, 40
	v_mov_b32_e32 v4, s10
	ds_read_b64 v[4:5], v4
	s_add_i32 s10, s5, -2
	s_add_i32 s6, s6, -16
	;; [unrolled: 1-line block ×3, first 2 shown]
	s_cmp_lt_i32 s5, 2
	s_waitcnt lgkmcnt(0)
	v_pk_mul_f32 v[8:9], v[4:5], v[2:3] op_sel:[1,1] op_sel_hi:[0,1]
	v_pk_fma_f32 v[10:11], v[4:5], v[2:3], v[8:9] op_sel_hi:[1,0,1] neg_lo:[0,0,1] neg_hi:[0,0,1]
	v_pk_fma_f32 v[2:3], v[4:5], v[2:3], v[8:9] op_sel_hi:[1,0,1]
	s_mov_b32 s5, s10
	v_mov_b32_e32 v11, v3
	ds_write_b64 v7, v[10:11]
	s_cbranch_scc1 .LBB133_43
.LBB133_39:                             ; =>This Loop Header: Depth=1
                                        ;     Child Loop BB133_40 Depth 2
                                        ;     Child Loop BB133_42 Depth 2
	s_lshl_b32 s11, s5, 5
	v_add_u32_e32 v8, s11, v1
	ds_read_b64 v[4:5], v8
	s_cmp_le_i32 s4, s5
	v_mov_b32_e32 v2, v6
	s_mov_b32 s10, s6
	s_mov_b32 s12, s4
	s_cbranch_scc1 .LBB133_41
.LBB133_40:                             ;   Parent Loop BB133_39 Depth=1
                                        ; =>  This Inner Loop Header: Depth=2
	v_mov_b32_e32 v3, s10
	ds_read_b64 v[10:11], v2
	ds_read_b64 v[12:13], v3
	s_add_i32 s12, s12, -1
	s_sub_i32 s10, s10, 32
	v_subrev_u32_e32 v2, 32, v2
	s_cmp_gt_i32 s12, s5
	s_waitcnt lgkmcnt(0)
	v_pk_mul_f32 v[14:15], v[12:13], v[10:11] op_sel:[1,1] op_sel_hi:[0,1]
	v_pk_fma_f32 v[16:17], v[12:13], v[10:11], v[14:15] neg_lo:[0,0,1] neg_hi:[0,0,1]
	v_pk_fma_f32 v[10:11], v[12:13], v[10:11], v[14:15] op_sel_hi:[1,0,1]
	s_nop 0
	v_mov_b32_e32 v17, v11
	v_pk_add_f32 v[4:5], v[4:5], v[16:17] neg_lo:[0,1] neg_hi:[0,1]
	s_cbranch_scc1 .LBB133_40
.LBB133_41:                             ;   in Loop: Header=BB133_39 Depth=1
	s_mul_i32 s10, s5, 40
	v_mov_b32_e32 v2, s10
	ds_read_b64 v[10:11], v2
	s_sub_i32 s11, s11, 32
	v_add_u32_e32 v7, s11, v1
	ds_read_b64 v[2:3], v7
	s_cmp_le_i32 s22, s5
	s_waitcnt lgkmcnt(1)
	v_pk_mul_f32 v[12:13], v[10:11], v[4:5] op_sel:[1,1] op_sel_hi:[0,1]
	v_pk_fma_f32 v[14:15], v[10:11], v[4:5], v[12:13] op_sel_hi:[1,0,1] neg_lo:[0,0,1] neg_hi:[0,0,1]
	v_pk_fma_f32 v[4:5], v[10:11], v[4:5], v[12:13] op_sel_hi:[1,0,1]
	s_mov_b32 s11, s7
	v_mov_b32_e32 v15, v5
	v_mov_b32_e32 v4, v6
	s_mov_b32 s12, s22
	ds_write_b64 v8, v[14:15]
	s_cbranch_scc1 .LBB133_38
.LBB133_42:                             ;   Parent Loop BB133_39 Depth=1
                                        ; =>  This Inner Loop Header: Depth=2
	v_mov_b32_e32 v5, s11
	ds_read_b64 v[8:9], v4
	ds_read_b64 v[10:11], v5
	s_add_i32 s12, s12, -1
	s_sub_i32 s11, s11, 32
	v_subrev_u32_e32 v4, 32, v4
	s_cmp_gt_i32 s12, s5
	s_waitcnt lgkmcnt(0)
	v_pk_mul_f32 v[12:13], v[10:11], v[8:9] op_sel:[1,1] op_sel_hi:[0,1]
	v_pk_fma_f32 v[14:15], v[10:11], v[8:9], v[12:13] neg_lo:[0,0,1] neg_hi:[0,0,1]
	v_pk_fma_f32 v[8:9], v[10:11], v[8:9], v[12:13] op_sel_hi:[1,0,1]
	s_nop 0
	v_mov_b32_e32 v15, v9
	v_pk_add_f32 v[2:3], v[2:3], v[14:15] neg_lo:[0,1] neg_hi:[0,1]
	s_cbranch_scc1 .LBB133_42
	s_branch .LBB133_38
.LBB133_43:
	s_waitcnt lgkmcnt(0)
	; wave barrier
	s_and_saveexec_b64 s[4:5], s[0:1]
	s_cbranch_execz .LBB133_47
; %bb.44:
	s_andn2_b64 vcc, exec, s[8:9]
	s_cbranch_vccnz .LBB133_47
; %bb.45:
	v_mad_i64_i32 v[2:3], s[0:1], s16, v0, 0
	v_mov_b32_e32 v1, 0x80
	v_lshl_add_u64 v[2:3], v[2:3], 3, s[2:3]
	v_lshl_or_b32 v0, v0, 3, v1
.LBB133_46:                             ; =>This Inner Loop Header: Depth=1
	ds_read_b64 v[4:5], v0
	s_add_i32 s22, s22, -1
	v_add_u32_e32 v0, 32, v0
	s_cmp_lg_u32 s22, 0
	s_waitcnt lgkmcnt(0)
	flat_store_dwordx2 v[2:3], v[4:5]
	v_lshl_add_u64 v[2:3], v[2:3], 0, 8
	s_cbranch_scc1 .LBB133_46
.LBB133_47:
	s_endpgm
	.section	.rodata,"a",@progbits
	.p2align	6, 0x0
	.amdhsa_kernel _ZL38rocblas_trsm_small_left_device_sharedBILi4ELi4ELb0E19rocblas_complex_numIfES1_PKPKS1_PKPS1_Ev13rocblas_fill_18rocblas_operation_17rocblas_diagonal_iiT3_T4_lilT5_lili
		.amdhsa_group_segment_fixed_size 256
		.amdhsa_private_segment_fixed_size 0
		.amdhsa_kernarg_size 360
		.amdhsa_user_sgpr_count 2
		.amdhsa_user_sgpr_dispatch_ptr 0
		.amdhsa_user_sgpr_queue_ptr 0
		.amdhsa_user_sgpr_kernarg_segment_ptr 1
		.amdhsa_user_sgpr_dispatch_id 0
		.amdhsa_user_sgpr_kernarg_preload_length 0
		.amdhsa_user_sgpr_kernarg_preload_offset 0
		.amdhsa_user_sgpr_private_segment_size 0
		.amdhsa_uses_dynamic_stack 0
		.amdhsa_enable_private_segment 0
		.amdhsa_system_sgpr_workgroup_id_x 1
		.amdhsa_system_sgpr_workgroup_id_y 0
		.amdhsa_system_sgpr_workgroup_id_z 1
		.amdhsa_system_sgpr_workgroup_info 0
		.amdhsa_system_vgpr_workitem_id 0
		.amdhsa_next_free_vgpr 29
		.amdhsa_next_free_sgpr 28
		.amdhsa_accum_offset 32
		.amdhsa_reserve_vcc 1
		.amdhsa_float_round_mode_32 0
		.amdhsa_float_round_mode_16_64 0
		.amdhsa_float_denorm_mode_32 3
		.amdhsa_float_denorm_mode_16_64 3
		.amdhsa_dx10_clamp 1
		.amdhsa_ieee_mode 1
		.amdhsa_fp16_overflow 0
		.amdhsa_tg_split 0
		.amdhsa_exception_fp_ieee_invalid_op 0
		.amdhsa_exception_fp_denorm_src 0
		.amdhsa_exception_fp_ieee_div_zero 0
		.amdhsa_exception_fp_ieee_overflow 0
		.amdhsa_exception_fp_ieee_underflow 0
		.amdhsa_exception_fp_ieee_inexact 0
		.amdhsa_exception_int_div_zero 0
	.end_amdhsa_kernel
	.section	.text._ZL38rocblas_trsm_small_left_device_sharedBILi4ELi4ELb0E19rocblas_complex_numIfES1_PKPKS1_PKPS1_Ev13rocblas_fill_18rocblas_operation_17rocblas_diagonal_iiT3_T4_lilT5_lili,"axG",@progbits,_ZL38rocblas_trsm_small_left_device_sharedBILi4ELi4ELb0E19rocblas_complex_numIfES1_PKPKS1_PKPS1_Ev13rocblas_fill_18rocblas_operation_17rocblas_diagonal_iiT3_T4_lilT5_lili,comdat
.Lfunc_end133:
	.size	_ZL38rocblas_trsm_small_left_device_sharedBILi4ELi4ELb0E19rocblas_complex_numIfES1_PKPKS1_PKPS1_Ev13rocblas_fill_18rocblas_operation_17rocblas_diagonal_iiT3_T4_lilT5_lili, .Lfunc_end133-_ZL38rocblas_trsm_small_left_device_sharedBILi4ELi4ELb0E19rocblas_complex_numIfES1_PKPKS1_PKPS1_Ev13rocblas_fill_18rocblas_operation_17rocblas_diagonal_iiT3_T4_lilT5_lili
                                        ; -- End function
	.set _ZL38rocblas_trsm_small_left_device_sharedBILi4ELi4ELb0E19rocblas_complex_numIfES1_PKPKS1_PKPS1_Ev13rocblas_fill_18rocblas_operation_17rocblas_diagonal_iiT3_T4_lilT5_lili.num_vgpr, 29
	.set _ZL38rocblas_trsm_small_left_device_sharedBILi4ELi4ELb0E19rocblas_complex_numIfES1_PKPKS1_PKPS1_Ev13rocblas_fill_18rocblas_operation_17rocblas_diagonal_iiT3_T4_lilT5_lili.num_agpr, 0
	.set _ZL38rocblas_trsm_small_left_device_sharedBILi4ELi4ELb0E19rocblas_complex_numIfES1_PKPKS1_PKPS1_Ev13rocblas_fill_18rocblas_operation_17rocblas_diagonal_iiT3_T4_lilT5_lili.numbered_sgpr, 28
	.set _ZL38rocblas_trsm_small_left_device_sharedBILi4ELi4ELb0E19rocblas_complex_numIfES1_PKPKS1_PKPS1_Ev13rocblas_fill_18rocblas_operation_17rocblas_diagonal_iiT3_T4_lilT5_lili.num_named_barrier, 0
	.set _ZL38rocblas_trsm_small_left_device_sharedBILi4ELi4ELb0E19rocblas_complex_numIfES1_PKPKS1_PKPS1_Ev13rocblas_fill_18rocblas_operation_17rocblas_diagonal_iiT3_T4_lilT5_lili.private_seg_size, 0
	.set _ZL38rocblas_trsm_small_left_device_sharedBILi4ELi4ELb0E19rocblas_complex_numIfES1_PKPKS1_PKPS1_Ev13rocblas_fill_18rocblas_operation_17rocblas_diagonal_iiT3_T4_lilT5_lili.uses_vcc, 1
	.set _ZL38rocblas_trsm_small_left_device_sharedBILi4ELi4ELb0E19rocblas_complex_numIfES1_PKPKS1_PKPS1_Ev13rocblas_fill_18rocblas_operation_17rocblas_diagonal_iiT3_T4_lilT5_lili.uses_flat_scratch, 0
	.set _ZL38rocblas_trsm_small_left_device_sharedBILi4ELi4ELb0E19rocblas_complex_numIfES1_PKPKS1_PKPS1_Ev13rocblas_fill_18rocblas_operation_17rocblas_diagonal_iiT3_T4_lilT5_lili.has_dyn_sized_stack, 0
	.set _ZL38rocblas_trsm_small_left_device_sharedBILi4ELi4ELb0E19rocblas_complex_numIfES1_PKPKS1_PKPS1_Ev13rocblas_fill_18rocblas_operation_17rocblas_diagonal_iiT3_T4_lilT5_lili.has_recursion, 0
	.set _ZL38rocblas_trsm_small_left_device_sharedBILi4ELi4ELb0E19rocblas_complex_numIfES1_PKPKS1_PKPS1_Ev13rocblas_fill_18rocblas_operation_17rocblas_diagonal_iiT3_T4_lilT5_lili.has_indirect_call, 0
	.section	.AMDGPU.csdata,"",@progbits
; Kernel info:
; codeLenInByte = 2780
; TotalNumSgprs: 34
; NumVgprs: 29
; NumAgprs: 0
; TotalNumVgprs: 29
; ScratchSize: 0
; MemoryBound: 0
; FloatMode: 240
; IeeeMode: 1
; LDSByteSize: 256 bytes/workgroup (compile time only)
; SGPRBlocks: 4
; VGPRBlocks: 3
; NumSGPRsForWavesPerEU: 34
; NumVGPRsForWavesPerEU: 29
; AccumOffset: 32
; Occupancy: 8
; WaveLimiterHint : 0
; COMPUTE_PGM_RSRC2:SCRATCH_EN: 0
; COMPUTE_PGM_RSRC2:USER_SGPR: 2
; COMPUTE_PGM_RSRC2:TRAP_HANDLER: 0
; COMPUTE_PGM_RSRC2:TGID_X_EN: 1
; COMPUTE_PGM_RSRC2:TGID_Y_EN: 0
; COMPUTE_PGM_RSRC2:TGID_Z_EN: 1
; COMPUTE_PGM_RSRC2:TIDIG_COMP_CNT: 0
; COMPUTE_PGM_RSRC3_GFX90A:ACCUM_OFFSET: 7
; COMPUTE_PGM_RSRC3_GFX90A:TG_SPLIT: 0
	.section	.text._ZL30rocblas_trsm_small_left_deviceILi4ELi4ELb0E19rocblas_complex_numIfES1_PKPKS1_PKPS1_Ev13rocblas_fill_18rocblas_operation_17rocblas_diagonal_iiT3_T4_lilT5_lili,"axG",@progbits,_ZL30rocblas_trsm_small_left_deviceILi4ELi4ELb0E19rocblas_complex_numIfES1_PKPKS1_PKPS1_Ev13rocblas_fill_18rocblas_operation_17rocblas_diagonal_iiT3_T4_lilT5_lili,comdat
	.globl	_ZL30rocblas_trsm_small_left_deviceILi4ELi4ELb0E19rocblas_complex_numIfES1_PKPKS1_PKPS1_Ev13rocblas_fill_18rocblas_operation_17rocblas_diagonal_iiT3_T4_lilT5_lili ; -- Begin function _ZL30rocblas_trsm_small_left_deviceILi4ELi4ELb0E19rocblas_complex_numIfES1_PKPKS1_PKPS1_Ev13rocblas_fill_18rocblas_operation_17rocblas_diagonal_iiT3_T4_lilT5_lili
	.p2align	8
	.type	_ZL30rocblas_trsm_small_left_deviceILi4ELi4ELb0E19rocblas_complex_numIfES1_PKPKS1_PKPS1_Ev13rocblas_fill_18rocblas_operation_17rocblas_diagonal_iiT3_T4_lilT5_lili,@function
_ZL30rocblas_trsm_small_left_deviceILi4ELi4ELb0E19rocblas_complex_numIfES1_PKPKS1_PKPS1_Ev13rocblas_fill_18rocblas_operation_17rocblas_diagonal_iiT3_T4_lilT5_lili: ; @_ZL30rocblas_trsm_small_left_deviceILi4ELi4ELb0E19rocblas_complex_numIfES1_PKPKS1_PKPS1_Ev13rocblas_fill_18rocblas_operation_17rocblas_diagonal_iiT3_T4_lilT5_lili
; %bb.0:
	s_load_dwordx4 s[12:15], s[2:3], 0x40
	s_load_dwordx4 s[8:11], s[2:3], 0x4
	s_load_dwordx2 s[6:7], s[2:3], 0x14
	s_mov_b32 s16, s5
	s_mov_b32 s17, 0
	s_lshl_b64 s[20:21], s[16:17], 3
	s_waitcnt lgkmcnt(0)
	s_add_u32 s12, s12, s20
	s_addc_u32 s13, s13, s21
	s_load_dword s5, s[2:3], 0x68
	v_and_b32_e32 v1, 0x3ff, v0
	s_load_dwordx2 s[12:13], s[12:13], 0x0
	s_min_i32 s26, s10, 4
	v_cmp_gt_i32_e32 vcc, s26, v1
	s_and_saveexec_b64 s[16:17], vcc
	s_cbranch_execz .LBB134_15
; %bb.1:
	s_load_dword s22, s[2:3], 0x30
	s_load_dwordx4 s[28:31], s[2:3], 0x20
	v_lshlrev_b32_e32 v2, 3, v1
	v_mov_b32_e32 v3, 0
	v_mov_b32_e32 v8, v2
	s_waitcnt lgkmcnt(0)
	s_ashr_i32 s23, s22, 31
	s_cmpk_lg_i32 s8, 0x71
	s_cselect_b64 s[18:19], -1, 0
	s_add_u32 s20, s28, s20
	s_addc_u32 s21, s29, s21
	s_load_dwordx2 s[20:21], s[20:21], 0x0
	s_lshl_b64 s[24:25], s[30:31], 3
	s_mov_b32 s10, s26
	s_waitcnt lgkmcnt(0)
	s_add_u32 s24, s20, s24
	s_addc_u32 s25, s21, s25
	s_lshl_b64 s[20:21], s[22:23], 3
	v_lshl_add_u64 v[4:5], s[24:25], 0, v[2:3]
	s_branch .LBB134_3
.LBB134_2:                              ;   in Loop: Header=BB134_3 Depth=1
	flat_load_dword v6, v[4:5]
	s_add_i32 s10, s10, -1
	v_lshl_add_u64 v[4:5], v[4:5], 0, s[20:21]
	s_cmp_eq_u32 s10, 0
	s_waitcnt vmcnt(0) lgkmcnt(0)
	ds_write_b64 v8, v[6:7]
	v_add_u32_e32 v8, 32, v8
	s_cbranch_scc1 .LBB134_7
.LBB134_3:                              ; =>This Inner Loop Header: Depth=1
	s_mov_b64 s[22:23], -1
	s_and_b64 vcc, exec, s[18:19]
                                        ; implicit-def: $vgpr7
	s_cbranch_vccz .LBB134_5
; %bb.4:                                ;   in Loop: Header=BB134_3 Depth=1
	flat_load_dword v7, v[4:5] offset:4
	s_mov_b64 s[22:23], 0
.LBB134_5:                              ;   in Loop: Header=BB134_3 Depth=1
	s_andn2_b64 vcc, exec, s[22:23]
	s_cbranch_vccnz .LBB134_2
; %bb.6:                                ;   in Loop: Header=BB134_3 Depth=1
	flat_load_dword v3, v[4:5] offset:4
	s_waitcnt vmcnt(0) lgkmcnt(0)
	v_xor_b32_e32 v7, 0x80000000, v3
	s_branch .LBB134_2
.LBB134_7:
	s_cmpk_lg_i32 s9, 0x84
	v_lshlrev_b32_e32 v3, 5, v1
	s_mov_b64 s[18:19], -1
	s_cbranch_scc0 .LBB134_13
; %bb.8:
	v_add_u32_e32 v8, v2, v3
	ds_read_b64 v[4:5], v8
                                        ; implicit-def: $vgpr6_vgpr7
	s_waitcnt lgkmcnt(0)
	v_cmp_ngt_f32_e64 s[18:19], |v4|, |v5|
	s_and_saveexec_b64 s[20:21], s[18:19]
	s_xor_b64 s[18:19], exec, s[20:21]
	s_cbranch_execz .LBB134_10
; %bb.9:
	v_div_scale_f32 v6, s[20:21], v5, v5, v4
	v_rcp_f32_e32 v7, v6
	v_div_scale_f32 v9, vcc, v4, v5, v4
	v_fma_f32 v10, -v6, v7, 1.0
	v_fmac_f32_e32 v7, v10, v7
	v_mul_f32_e32 v10, v9, v7
	v_fma_f32 v11, -v6, v10, v9
	v_fmac_f32_e32 v10, v11, v7
	v_fma_f32 v6, -v6, v10, v9
	v_div_fmas_f32 v6, v6, v7, v10
	v_div_fixup_f32 v6, v6, v5, v4
	v_fmac_f32_e32 v5, v4, v6
	v_div_scale_f32 v4, s[20:21], v5, v5, 1.0
	v_rcp_f32_e32 v7, v4
	s_mov_b32 s20, 0
	s_mov_b32 s21, -1.0
	v_fma_f32 v9, -v4, v7, 1.0
	v_fmac_f32_e32 v7, v9, v7
	v_div_scale_f32 v9, vcc, 1.0, v5, 1.0
	v_mul_f32_e32 v10, v9, v7
	v_fma_f32 v11, -v4, v10, v9
	v_fmac_f32_e32 v10, v11, v7
	v_fma_f32 v4, -v4, v10, v9
	v_div_fmas_f32 v4, v4, v7, v10
	v_mul_f32_e32 v7, 0, v6
	v_div_fixup_f32 v4, v4, v5, 1.0
	v_pk_add_f32 v[6:7], v[6:7], s[20:21]
	s_nop 0
	v_pk_mul_f32 v[6:7], v[6:7], v[4:5] op_sel_hi:[1,0]
                                        ; implicit-def: $vgpr4_vgpr5
.LBB134_10:
	s_andn2_saveexec_b64 s[18:19], s[18:19]
	s_cbranch_execz .LBB134_12
; %bb.11:
	v_div_scale_f32 v6, s[20:21], v4, v4, v5
	v_rcp_f32_e32 v7, v6
	v_div_scale_f32 v9, vcc, v5, v4, v5
	v_fma_f32 v10, -v6, v7, 1.0
	v_fmac_f32_e32 v7, v10, v7
	v_mul_f32_e32 v10, v9, v7
	v_fma_f32 v11, -v6, v10, v9
	v_fmac_f32_e32 v10, v11, v7
	v_fma_f32 v6, -v6, v10, v9
	v_div_fmas_f32 v6, v6, v7, v10
	v_div_fixup_f32 v7, v6, v4, v5
	v_fmac_f32_e32 v4, v5, v7
	v_div_scale_f32 v5, s[20:21], v4, v4, 1.0
	v_rcp_f32_e32 v6, v5
	s_nop 0
	v_fma_f32 v9, -v5, v6, 1.0
	v_fmac_f32_e32 v6, v9, v6
	v_div_scale_f32 v9, vcc, 1.0, v4, 1.0
	v_mul_f32_e32 v10, v9, v6
	v_fma_f32 v11, -v5, v10, v9
	v_fmac_f32_e32 v10, v11, v6
	v_fma_f32 v5, -v5, v10, v9
	v_div_fmas_f32 v5, v5, v6, v10
	v_div_fixup_f32 v4, v5, v4, 1.0
	v_mul_f32_e32 v5, 0, v7
	v_add_f32_e32 v6, 1.0, v5
	v_sub_f32_e32 v7, 0, v7
	v_pk_mul_f32 v[6:7], v[6:7], v[4:5] op_sel_hi:[1,0]
.LBB134_12:
	s_or_b64 exec, exec, s[18:19]
	s_mov_b64 s[18:19], 0
	ds_write_b64 v8, v[6:7]
.LBB134_13:
	s_and_b64 vcc, exec, s[18:19]
	s_cbranch_vccz .LBB134_15
; %bb.14:
	v_add_u32_e32 v2, v2, v3
	v_mov_b32_e32 v4, 1.0
	v_mov_b32_e32 v5, 0
	ds_write_b64 v2, v[4:5]
.LBB134_15:
	s_or_b64 exec, exec, s[16:17]
	s_waitcnt lgkmcnt(0)
	s_add_i32 s9, s5, -1
	s_lshl_b32 s5, s4, 2
	s_sub_i32 s10, s11, s5
	s_cmp_ge_u32 s4, s9
	s_cselect_b32 s4, s10, 4
	v_cmp_gt_i32_e32 vcc, s4, v1
	; wave barrier
	s_and_saveexec_b64 s[10:11], vcc
	s_cbranch_execz .LBB134_83
; %bb.16:
	s_load_dwordx2 s[10:11], s[0:1], 0x4
	s_load_dword s4, s[2:3], 0x50
	v_bfe_u32 v2, v0, 10, 10
	v_bfe_u32 v0, v0, 20, 10
	s_lshl_b64 s[2:3], s[14:15], 3
	s_waitcnt lgkmcnt(0)
	s_lshr_b32 s0, s10, 16
	s_mul_i32 s0, s0, s11
	v_mul_u32_u24_e32 v2, s11, v2
	v_mul_u32_u24_e32 v3, s0, v1
	v_add3_u32 v15, v3, v2, v0
	s_add_u32 s0, s12, s2
	v_add_u32_e32 v0, s5, v1
	v_mov_b32_e32 v6, 0x80
	s_addc_u32 s1, s13, s3
	v_mad_i64_i32 v[2:3], s[4:5], s4, v0, 0
	v_lshl_add_u32 v14, v15, 5, v6
	v_lshl_add_u64 v[0:1], v[2:3], 3, s[0:1]
	s_cmpk_eq_i32 s8, 0x6f
	s_mov_b64 s[0:1], -1
	s_cbranch_scc1 .LBB134_50
; %bb.17:
	s_add_u32 s0, s12, s2
	s_addc_u32 s1, s13, s3
	s_mov_b32 s15, 0
	s_mov_b32 s4, s6
	;; [unrolled: 1-line block ×7, first 2 shown]
	v_lshl_add_u64 v[4:5], v[2:3], 3, s[0:1]
	v_lshl_add_u32 v16, v15, 5, v6
	s_mov_b32 s16, s15
	s_mov_b32 s27, s15
	s_branch .LBB134_19
.LBB134_18:                             ;   in Loop: Header=BB134_19 Depth=1
	s_cmp_ge_i32 s27, s26
	s_cselect_b64 s[0:1], -1, 0
	s_add_i32 s16, s16, 1
	s_cmp_eq_u32 s16, 3
	s_cselect_b64 s[18:19], -1, 0
	s_or_b64 s[0:1], s[0:1], s[18:19]
	s_andn2_b64 vcc, exec, s[0:1]
	s_cbranch_vccz .LBB134_49
.LBB134_19:                             ; =>This Loop Header: Depth=1
                                        ;     Child Loop BB134_22 Depth 2
                                        ;       Child Loop BB134_24 Depth 3
                                        ;       Child Loop BB134_28 Depth 3
	;; [unrolled: 1-line block ×3, first 2 shown]
                                        ;         Child Loop BB134_34 Depth 4
                                        ;         Child Loop BB134_40 Depth 4
                                        ;       Child Loop BB134_43 Depth 3
                                        ;         Child Loop BB134_45 Depth 4
	s_mov_b32 s17, s15
	s_lshl_b64 s[0:1], s[16:17], 2
	s_getpc_b64 s[18:19]
	s_add_u32 s18, s18, __const._ZL30rocblas_trsm_small_left_deviceILi4ELi4ELb0E19rocblas_complex_numIfES1_PKPKS1_PKPS1_Ev13rocblas_fill_18rocblas_operation_17rocblas_diagonal_iiT3_T4_lilT5_lili.step_sizes@rel32@lo+4
	s_addc_u32 s19, s19, __const._ZL30rocblas_trsm_small_left_deviceILi4ELi4ELb0E19rocblas_complex_numIfES1_PKPKS1_PKPS1_Ev13rocblas_fill_18rocblas_operation_17rocblas_diagonal_iiT3_T4_lilT5_lili.step_sizes@rel32@hi+12
	s_add_u32 s0, s18, s0
	s_addc_u32 s1, s19, s1
	s_load_dword s17, s[0:1], 0x0
	s_waitcnt lgkmcnt(0)
	s_add_i32 s28, s17, -1
	s_add_i32 s0, s28, s27
	s_cmp_ge_i32 s0, s26
	s_cbranch_scc1 .LBB134_18
; %bb.20:                               ;   in Loop: Header=BB134_19 Depth=1
	s_max_i32 s29, s17, 1
	s_add_i32 s0, s16, -1
	s_cmp_gt_u32 s0, 1
	s_cselect_b64 s[18:19], -1, 0
	s_and_b32 s30, s29, 0x7ffffffe
	s_cmp_lg_u32 s29, s30
	v_cndmask_b32_e64 v6, 0, 1, s[18:19]
	s_cselect_b64 s[20:21], -1, 0
	s_ashr_i32 s31, s27, 31
	s_ashr_i32 s33, s17, 31
	s_mul_i32 s34, s27, 40
	s_mul_i32 s35, s17, 40
	v_cmp_ne_u32_e64 s[0:1], 1, v6
	s_branch .LBB134_22
.LBB134_21:                             ;   in Loop: Header=BB134_22 Depth=2
	s_add_u32 s27, s27, s17
	s_addc_u32 s31, s31, s33
	s_add_i32 s14, s28, s27
	s_add_i32 s34, s34, s35
	s_cmp_ge_i32 s14, s26
	s_cbranch_scc1 .LBB134_18
.LBB134_22:                             ;   Parent Loop BB134_19 Depth=1
                                        ; =>  This Loop Header: Depth=2
                                        ;       Child Loop BB134_24 Depth 3
                                        ;       Child Loop BB134_28 Depth 3
                                        ;       Child Loop BB134_32 Depth 3
                                        ;         Child Loop BB134_34 Depth 4
                                        ;         Child Loop BB134_40 Depth 4
                                        ;       Child Loop BB134_43 Depth 3
                                        ;         Child Loop BB134_45 Depth 4
	s_and_b64 vcc, exec, s[0:1]
	s_cbranch_vccnz .LBB134_26
; %bb.23:                               ;   in Loop: Header=BB134_22 Depth=2
	s_mov_b32 s14, s27
	s_mov_b32 s24, s27
	;; [unrolled: 1-line block ×5, first 2 shown]
	v_mov_b32_e32 v6, v14
.LBB134_24:                             ;   Parent Loop BB134_19 Depth=1
                                        ;     Parent Loop BB134_22 Depth=2
                                        ; =>    This Inner Loop Header: Depth=3
	s_add_i32 s22, s36, s14
	s_add_i32 s38, s25, s24
	s_ashr_i32 s23, s22, 31
	s_ashr_i32 s39, s38, 31
	v_lshl_add_u64 v[8:9], s[22:23], 3, v[0:1]
	v_lshl_add_u64 v[10:11], s[38:39], 3, v[0:1]
	flat_load_dwordx2 v[18:19], v[8:9]
	flat_load_dwordx2 v[12:13], v[10:11]
	s_add_i32 s36, s36, 2
	s_add_i32 s25, s25, 2
	s_add_i32 s37, s37, -2
	s_mov_b32 s38, s30
	s_mov_b64 s[22:23], s[20:21]
	s_cmp_lg_u32 s37, 0
	s_waitcnt vmcnt(0) lgkmcnt(0)
	v_mov_b32_e32 v8, v18
	v_mov_b32_e32 v9, v12
	;; [unrolled: 1-line block ×3, first 2 shown]
	v_pk_mul_f32 v[10:11], v[12:13], s[8:9]
	v_pk_mul_f32 v[12:13], v[12:13], s[4:5]
	v_pk_fma_f32 v[18:19], v[8:9], s[4:5], v[10:11] neg_lo:[0,0,1] neg_hi:[0,0,1]
	v_pk_fma_f32 v[10:11], v[8:9], s[8:9], v[12:13]
	v_mov_b32_e32 v8, v18
	v_mov_b32_e32 v9, v10
	;; [unrolled: 1-line block ×3, first 2 shown]
	ds_write_b128 v6, v[8:11]
	v_add_u32_e32 v6, 16, v6
	s_cbranch_scc1 .LBB134_24
; %bb.25:                               ;   in Loop: Header=BB134_22 Depth=2
	s_and_b64 vcc, exec, s[22:23]
	s_cbranch_vccnz .LBB134_27
	s_branch .LBB134_29
.LBB134_26:                             ;   in Loop: Header=BB134_22 Depth=2
	s_mov_b32 s38, 0
	s_cbranch_execz .LBB134_29
.LBB134_27:                             ;   in Loop: Header=BB134_22 Depth=2
	s_sub_i32 s14, s29, s38
	s_add_u32 s22, s27, s38
	s_addc_u32 s23, s31, 0
	v_lshl_add_u64 v[6:7], s[22:23], 3, v[4:5]
	v_lshl_add_u32 v8, s38, 3, v16
.LBB134_28:                             ;   Parent Loop BB134_19 Depth=1
                                        ;     Parent Loop BB134_22 Depth=2
                                        ; =>    This Inner Loop Header: Depth=3
	flat_load_dwordx2 v[10:11], v[6:7]
	s_add_i32 s14, s14, -1
	v_lshl_add_u64 v[6:7], v[6:7], 0, 8
	s_cmp_eq_u32 s14, 0
	s_waitcnt vmcnt(0) lgkmcnt(0)
	v_pk_mul_f32 v[12:13], v[10:11], s[10:11] op_sel:[1,0]
	s_nop 0
	v_pk_fma_f32 v[18:19], v[10:11], s[6:7], v[12:13] neg_lo:[0,0,1] neg_hi:[0,0,1]
	v_pk_fma_f32 v[10:11], v[10:11], s[6:7], v[12:13] op_sel_hi:[0,1,1]
	v_mov_b32_e32 v19, v11
	ds_write_b64 v8, v[18:19]
	v_add_u32_e32 v8, 8, v8
	s_cbranch_scc0 .LBB134_28
.LBB134_29:                             ;   in Loop: Header=BB134_22 Depth=2
	s_cmp_lt_i32 s27, 1
	s_cbranch_scc1 .LBB134_41
; %bb.30:                               ;   in Loop: Header=BB134_22 Depth=2
	s_mov_b32 s38, 0
	s_mov_b32 s36, s27
	;; [unrolled: 1-line block ×4, first 2 shown]
	s_branch .LBB134_32
.LBB134_31:                             ;   in Loop: Header=BB134_32 Depth=3
	s_add_i32 s14, s14, 1
	s_add_i32 s38, s38, 8
	s_cmp_eq_u32 s14, s27
	s_cbranch_scc1 .LBB134_41
.LBB134_32:                             ;   Parent Loop BB134_19 Depth=1
                                        ;     Parent Loop BB134_22 Depth=2
                                        ; =>    This Loop Header: Depth=3
                                        ;         Child Loop BB134_34 Depth 4
                                        ;         Child Loop BB134_40 Depth 4
	v_lshl_add_u64 v[6:7], s[14:15], 3, v[0:1]
	flat_load_dwordx2 v[6:7], v[6:7]
	s_and_b64 vcc, exec, s[18:19]
	s_cbranch_vccz .LBB134_36
; %bb.33:                               ;   in Loop: Header=BB134_32 Depth=3
	s_lshl_b32 s22, s14, 3
	s_waitcnt vmcnt(0) lgkmcnt(0)
	v_mov_b32_e32 v10, v6
	v_mov_b32_e32 v11, v6
	;; [unrolled: 1-line block ×5, first 2 shown]
	s_mov_b32 s23, 1
	s_mov_b32 s24, 0
	;; [unrolled: 1-line block ×3, first 2 shown]
	v_mov_b32_e32 v9, v14
.LBB134_34:                             ;   Parent Loop BB134_19 Depth=1
                                        ;     Parent Loop BB134_22 Depth=2
                                        ;       Parent Loop BB134_32 Depth=3
                                        ; =>      This Inner Loop Header: Depth=4
	s_add_i32 s39, s24, s36
	s_add_i32 s40, s23, s37
	s_lshl_b32 s40, s40, 5
	s_lshl_b32 s39, s39, 5
	s_add_i32 s39, s22, s39
	s_add_i32 s40, s22, s40
	v_mov_b32_e32 v17, s39
	v_mov_b32_e32 v22, s40
	ds_read_b128 v[18:21], v9
	ds_read_b64 v[26:27], v17
	ds_read_b64 v[22:23], v22
	s_add_i32 s24, s24, 2
	s_add_i32 s23, s23, 2
	s_add_i32 s25, s25, -2
	s_waitcnt lgkmcnt(2)
	v_mov_b32_e32 v25, v20
	v_mov_b32_e32 v20, v19
	s_waitcnt lgkmcnt(0)
	v_mov_b32_e32 v19, v22
	v_mov_b32_e32 v22, v27
	;; [unrolled: 1-line block ×4, first 2 shown]
	v_pk_mul_f32 v[26:27], v[22:23], v[12:13]
	v_pk_mul_f32 v[22:23], v[22:23], v[10:11]
	v_pk_fma_f32 v[26:27], v[18:19], v[10:11], v[26:27] neg_lo:[0,0,1] neg_hi:[0,0,1]
	v_pk_fma_f32 v[18:19], v[18:19], v[12:13], v[22:23]
	v_pk_add_f32 v[22:23], v[24:25], v[26:27] neg_lo:[0,1] neg_hi:[0,1]
	v_pk_add_f32 v[20:21], v[20:21], v[18:19] neg_lo:[0,1] neg_hi:[0,1]
	v_mov_b32_e32 v18, v22
	v_mov_b32_e32 v19, v20
	;; [unrolled: 1-line block ×3, first 2 shown]
	s_cmp_lg_u32 s25, 0
	ds_write_b128 v9, v[18:21]
	v_add_u32_e32 v9, 16, v9
	s_cbranch_scc1 .LBB134_34
; %bb.35:                               ;   in Loop: Header=BB134_32 Depth=3
	s_mov_b64 s[22:23], s[20:21]
	s_mov_b32 s24, s30
	s_branch .LBB134_38
.LBB134_36:                             ;   in Loop: Header=BB134_32 Depth=3
	s_waitcnt vmcnt(0) lgkmcnt(0)
	v_mov_b32_e32 v8, v7
	s_mov_b64 s[22:23], 0
	s_mov_b32 s24, s30
	s_cbranch_execz .LBB134_38
; %bb.37:                               ;   in Loop: Header=BB134_32 Depth=3
	s_mov_b64 s[22:23], -1
	s_mov_b32 s24, 0
.LBB134_38:                             ;   in Loop: Header=BB134_32 Depth=3
	s_andn2_b64 vcc, exec, s[22:23]
	s_cbranch_vccnz .LBB134_31
; %bb.39:                               ;   in Loop: Header=BB134_32 Depth=3
	s_add_i32 s23, s27, s24
	s_lshl_b32 s23, s23, 5
	v_mov_b32_e32 v9, v7
	v_mov_b32_e32 v7, v6
	s_sub_i32 s22, s29, s24
	s_add_i32 s23, s38, s23
	v_lshl_add_u32 v10, s24, 3, v16
.LBB134_40:                             ;   Parent Loop BB134_19 Depth=1
                                        ;     Parent Loop BB134_22 Depth=2
                                        ;       Parent Loop BB134_32 Depth=3
                                        ; =>      This Inner Loop Header: Depth=4
	v_mov_b32_e32 v11, s23
	ds_read_b64 v[18:19], v11
	ds_read_b64 v[12:13], v10
	s_add_i32 s22, s22, -1
	s_add_i32 s23, s23, 32
	s_cmp_eq_u32 s22, 0
	s_waitcnt lgkmcnt(1)
	v_pk_mul_f32 v[20:21], v[18:19], v[8:9] op_sel:[1,0] op_sel_hi:[0,1]
	v_pk_fma_f32 v[22:23], v[18:19], v[6:7], v[20:21] neg_lo:[0,0,1] neg_hi:[0,0,1]
	v_pk_fma_f32 v[18:19], v[18:19], v[6:7], v[20:21]
	s_nop 0
	v_mov_b32_e32 v23, v19
	s_waitcnt lgkmcnt(0)
	v_pk_add_f32 v[12:13], v[12:13], v[22:23] neg_lo:[0,1] neg_hi:[0,1]
	ds_write_b64 v10, v[12:13]
	v_add_u32_e32 v10, 8, v10
	s_cbranch_scc0 .LBB134_40
	s_branch .LBB134_31
.LBB134_41:                             ;   in Loop: Header=BB134_22 Depth=2
	s_mov_b32 s14, 0
	s_mov_b32 s36, s34
	s_branch .LBB134_43
.LBB134_42:                             ;   in Loop: Header=BB134_43 Depth=3
	s_mul_i32 s23, s22, 40
	v_mov_b32_e32 v7, s23
	ds_read_b64 v[10:11], v7
	s_ashr_i32 s23, s22, 31
	s_add_i32 s14, s14, 1
	s_add_i32 s36, s36, 32
	v_lshl_add_u64 v[12:13], s[22:23], 3, v[0:1]
	s_waitcnt lgkmcnt(0)
	v_pk_mul_f32 v[18:19], v[10:11], v[8:9] op_sel:[1,0] op_sel_hi:[0,0]
	v_pk_fma_f32 v[20:21], v[10:11], v[6:7], v[18:19] neg_lo:[0,0,1] neg_hi:[0,0,1]
	v_pk_fma_f32 v[6:7], v[10:11], v[6:7], v[18:19] op_sel_hi:[1,0,1]
	s_cmp_eq_u32 s14, s29
	v_mov_b32_e32 v21, v7
	ds_write_b64 v9, v[20:21]
	flat_store_dwordx2 v[12:13], v[20:21]
	s_cbranch_scc1 .LBB134_21
.LBB134_43:                             ;   Parent Loop BB134_19 Depth=1
                                        ;     Parent Loop BB134_22 Depth=2
                                        ; =>    This Loop Header: Depth=3
                                        ;         Child Loop BB134_45 Depth 4
	s_cmp_lg_u32 s14, 0
	v_lshl_add_u32 v9, s14, 3, v14
	s_cbranch_scc0 .LBB134_47
; %bb.44:                               ;   in Loop: Header=BB134_43 Depth=3
	ds_read_b64 v[6:7], v9
	s_mov_b32 s22, s36
	v_mov_b32_e32 v8, v14
	s_mov_b32 s23, s14
.LBB134_45:                             ;   Parent Loop BB134_19 Depth=1
                                        ;     Parent Loop BB134_22 Depth=2
                                        ;       Parent Loop BB134_43 Depth=3
                                        ; =>      This Inner Loop Header: Depth=4
	v_mov_b32_e32 v12, s22
	ds_read_b64 v[10:11], v8
	ds_read_b64 v[12:13], v12
	s_add_i32 s23, s23, -1
	s_add_i32 s22, s22, 8
	v_add_u32_e32 v8, 8, v8
	s_cmp_eq_u32 s23, 0
	s_waitcnt lgkmcnt(0)
	v_pk_mul_f32 v[18:19], v[12:13], v[10:11] op_sel:[1,1] op_sel_hi:[0,1]
	v_pk_fma_f32 v[20:21], v[12:13], v[10:11], v[18:19] neg_lo:[0,0,1] neg_hi:[0,0,1]
	v_pk_fma_f32 v[10:11], v[12:13], v[10:11], v[18:19] op_sel_hi:[1,0,1]
	s_nop 0
	v_mov_b32_e32 v21, v11
	v_pk_add_f32 v[6:7], v[6:7], v[20:21] neg_lo:[0,1] neg_hi:[0,1]
	ds_write_b64 v9, v[6:7]
	s_cbranch_scc0 .LBB134_45
; %bb.46:                               ;   in Loop: Header=BB134_43 Depth=3
	s_add_i32 s22, s14, s27
	v_mov_b32_e32 v8, v7
	s_branch .LBB134_42
.LBB134_47:                             ;   in Loop: Header=BB134_43 Depth=3
                                        ; implicit-def: $vgpr6
                                        ; implicit-def: $vgpr8
                                        ; implicit-def: $sgpr22
	s_cbranch_execz .LBB134_42
; %bb.48:                               ;   in Loop: Header=BB134_43 Depth=3
	ds_read_b64 v[6:7], v14
	s_mov_b32 s22, s27
	s_waitcnt lgkmcnt(0)
	v_mov_b32_e32 v8, v7
	s_branch .LBB134_42
.LBB134_49:
	s_mov_b64 s[0:1], 0
.LBB134_50:
	s_and_b64 vcc, exec, s[0:1]
	s_cbranch_vccz .LBB134_83
; %bb.51:
	s_add_i32 s27, s26, -1
	s_add_u32 s0, s12, s2
	s_addc_u32 s1, s13, s3
	v_lshl_add_u64 v[2:3], v[2:3], 3, s[0:1]
	v_mov_b32_e32 v4, 0x80
	s_lshl_b32 s0, s26, 5
	s_mov_b32 s3, 0
	s_mov_b32 s4, s6
	s_mov_b32 s5, s6
	s_mov_b32 s8, s7
	s_mov_b32 s9, s7
	s_mov_b32 s10, s7
	s_mov_b32 s11, s6
	v_lshl_add_u32 v12, v15, 5, v4
	s_sub_i32 s26, s0, 32
	s_mov_b32 s12, s27
	s_mov_b32 s14, s3
	s_branch .LBB134_53
.LBB134_52:                             ;   in Loop: Header=BB134_53 Depth=1
	s_cmp_lt_i32 s12, 0
	s_cselect_b64 s[0:1], -1, 0
	s_add_i32 s14, s14, 1
	s_cmp_eq_u32 s14, 3
	s_cselect_b64 s[16:17], -1, 0
	s_or_b64 s[0:1], s[0:1], s[16:17]
	s_and_b64 vcc, exec, s[0:1]
	s_cbranch_vccnz .LBB134_83
.LBB134_53:                             ; =>This Loop Header: Depth=1
                                        ;     Child Loop BB134_56 Depth 2
                                        ;       Child Loop BB134_58 Depth 3
                                        ;       Child Loop BB134_62 Depth 3
	;; [unrolled: 1-line block ×3, first 2 shown]
                                        ;         Child Loop BB134_68 Depth 4
                                        ;         Child Loop BB134_74 Depth 4
                                        ;       Child Loop BB134_77 Depth 3
                                        ;         Child Loop BB134_79 Depth 4
	s_mov_b32 s15, s3
	s_lshl_b64 s[0:1], s[14:15], 2
	s_getpc_b64 s[16:17]
	s_add_u32 s16, s16, __const._ZL30rocblas_trsm_small_left_deviceILi4ELi4ELb0E19rocblas_complex_numIfES1_PKPKS1_PKPS1_Ev13rocblas_fill_18rocblas_operation_17rocblas_diagonal_iiT3_T4_lilT5_lili.step_sizes@rel32@lo+4
	s_addc_u32 s17, s17, __const._ZL30rocblas_trsm_small_left_deviceILi4ELi4ELb0E19rocblas_complex_numIfES1_PKPKS1_PKPS1_Ev13rocblas_fill_18rocblas_operation_17rocblas_diagonal_iiT3_T4_lilT5_lili.step_sizes@rel32@hi+12
	s_add_u32 s0, s16, s0
	s_addc_u32 s1, s17, s1
	s_load_dword s15, s[0:1], 0x0
	s_waitcnt lgkmcnt(0)
	s_add_i32 s28, s15, -1
	s_cmp_lt_i32 s12, s28
	s_cbranch_scc1 .LBB134_52
; %bb.54:                               ;   in Loop: Header=BB134_53 Depth=1
	s_max_i32 s29, s15, 1
	s_add_i32 s0, s14, -1
	s_cmp_gt_u32 s0, 1
	s_cselect_b64 s[16:17], -1, 0
	s_and_b32 s30, s29, 0x7ffffffe
	s_cmp_lg_u32 s29, s30
	s_cselect_b64 s[18:19], -1, 0
	s_lshl_b32 s0, s12, 3
	s_add_i32 s31, s26, s0
	s_lshl_b32 s0, s15, 3
	v_cndmask_b32_e64 v4, 0, 1, s[16:17]
	s_sub_i32 s33, 0, s0
	s_mul_i32 s34, s12, 40
	s_mul_i32 s35, s15, 0xffffffd8
	v_cmp_ne_u32_e64 s[0:1], 1, v4
	s_branch .LBB134_56
.LBB134_55:                             ;   in Loop: Header=BB134_56 Depth=2
	s_sub_i32 s12, s12, s15
	s_add_i32 s31, s31, s33
	s_add_i32 s34, s34, s35
	s_cmp_lt_i32 s12, s28
	s_cbranch_scc1 .LBB134_52
.LBB134_56:                             ;   Parent Loop BB134_53 Depth=1
                                        ; =>  This Loop Header: Depth=2
                                        ;       Child Loop BB134_58 Depth 3
                                        ;       Child Loop BB134_62 Depth 3
	;; [unrolled: 1-line block ×3, first 2 shown]
                                        ;         Child Loop BB134_68 Depth 4
                                        ;         Child Loop BB134_74 Depth 4
                                        ;       Child Loop BB134_77 Depth 3
                                        ;         Child Loop BB134_79 Depth 4
	s_and_b64 vcc, exec, s[0:1]
	s_cbranch_vccnz .LBB134_60
; %bb.57:                               ;   in Loop: Header=BB134_56 Depth=2
	s_mov_b32 s13, s12
	s_mov_b32 s22, 1
	;; [unrolled: 1-line block ×4, first 2 shown]
	v_mov_b32_e32 v4, v14
.LBB134_58:                             ;   Parent Loop BB134_53 Depth=1
                                        ;     Parent Loop BB134_56 Depth=2
                                        ; =>    This Inner Loop Header: Depth=3
	s_sub_i32 s20, s12, s23
	s_sub_i32 s36, s13, s22
	s_ashr_i32 s21, s20, 31
	s_ashr_i32 s37, s36, 31
	v_lshl_add_u64 v[6:7], s[20:21], 3, v[0:1]
	v_lshl_add_u64 v[8:9], s[36:37], 3, v[0:1]
	flat_load_dwordx2 v[16:17], v[6:7]
	flat_load_dwordx2 v[10:11], v[8:9]
	s_add_i32 s23, s23, 2
	s_add_i32 s22, s22, 2
	s_add_i32 s24, s24, -2
	s_mov_b32 s2, s30
	s_mov_b64 s[20:21], s[18:19]
	s_cmp_lg_u32 s24, 0
	s_waitcnt vmcnt(0) lgkmcnt(0)
	v_mov_b32_e32 v6, v16
	v_mov_b32_e32 v7, v10
	;; [unrolled: 1-line block ×3, first 2 shown]
	v_pk_mul_f32 v[8:9], v[10:11], s[8:9]
	v_pk_mul_f32 v[10:11], v[10:11], s[4:5]
	v_pk_fma_f32 v[16:17], v[6:7], s[4:5], v[8:9] neg_lo:[0,0,1] neg_hi:[0,0,1]
	v_pk_fma_f32 v[8:9], v[6:7], s[8:9], v[10:11]
	v_mov_b32_e32 v6, v16
	v_mov_b32_e32 v7, v8
	;; [unrolled: 1-line block ×3, first 2 shown]
	ds_write_b128 v4, v[6:9]
	v_add_u32_e32 v4, 16, v4
	s_cbranch_scc1 .LBB134_58
; %bb.59:                               ;   in Loop: Header=BB134_56 Depth=2
	s_ashr_i32 s13, s12, 31
	s_and_b64 vcc, exec, s[20:21]
	s_cbranch_vccnz .LBB134_61
	s_branch .LBB134_63
.LBB134_60:                             ;   in Loop: Header=BB134_56 Depth=2
	s_mov_b32 s2, 0
	s_ashr_i32 s13, s12, 31
	s_cbranch_execz .LBB134_63
.LBB134_61:                             ;   in Loop: Header=BB134_56 Depth=2
	s_lshl_b64 s[22:23], s[12:13], 3
	s_sub_i32 s20, s29, s2
	s_lshl_b64 s[24:25], s[2:3], 3
	s_sub_u32 s22, s22, s24
	s_subb_u32 s23, s23, s25
	v_lshl_add_u64 v[4:5], v[2:3], 0, s[22:23]
	v_lshl_add_u32 v6, s2, 3, v12
.LBB134_62:                             ;   Parent Loop BB134_53 Depth=1
                                        ;     Parent Loop BB134_56 Depth=2
                                        ; =>    This Inner Loop Header: Depth=3
	flat_load_dwordx2 v[8:9], v[4:5]
	s_add_i32 s20, s20, -1
	v_lshl_add_u64 v[4:5], v[4:5], 0, -8
	s_cmp_eq_u32 s20, 0
	s_waitcnt vmcnt(0) lgkmcnt(0)
	v_pk_mul_f32 v[10:11], v[8:9], s[10:11] op_sel:[1,0]
	s_nop 0
	v_pk_fma_f32 v[16:17], v[8:9], s[6:7], v[10:11] neg_lo:[0,0,1] neg_hi:[0,0,1]
	v_pk_fma_f32 v[8:9], v[8:9], s[6:7], v[10:11] op_sel_hi:[0,1,1]
	v_mov_b32_e32 v17, v9
	ds_write_b64 v6, v[16:17]
	v_add_u32_e32 v6, 8, v6
	s_cbranch_scc0 .LBB134_62
.LBB134_63:                             ;   in Loop: Header=BB134_56 Depth=2
	s_cmp_le_i32 s27, s12
	s_cbranch_scc1 .LBB134_75
; %bb.64:                               ;   in Loop: Header=BB134_56 Depth=2
	s_mov_b32 s2, s12
	s_mov_b32 s36, s12
	;; [unrolled: 1-line block ×4, first 2 shown]
	s_branch .LBB134_66
.LBB134_65:                             ;   in Loop: Header=BB134_66 Depth=3
	s_add_i32 s20, s20, -1
	s_sub_i32 s37, s37, 32
	s_cmp_le_i32 s20, s12
	s_cbranch_scc1 .LBB134_75
.LBB134_66:                             ;   Parent Loop BB134_53 Depth=1
                                        ;     Parent Loop BB134_56 Depth=2
                                        ; =>    This Loop Header: Depth=3
                                        ;         Child Loop BB134_68 Depth 4
                                        ;         Child Loop BB134_74 Depth 4
	s_ashr_i32 s21, s20, 31
	v_lshl_add_u64 v[4:5], s[20:21], 3, v[0:1]
	flat_load_dwordx2 v[4:5], v[4:5]
	s_and_b64 vcc, exec, s[16:17]
	s_cbranch_vccz .LBB134_70
; %bb.67:                               ;   in Loop: Header=BB134_66 Depth=3
	s_lshl_b32 s21, s20, 5
	s_waitcnt vmcnt(0) lgkmcnt(0)
	v_mov_b32_e32 v8, v4
	v_mov_b32_e32 v9, v4
	v_mov_b32_e32 v6, v5
	v_mov_b32_e32 v10, v5
	v_mov_b32_e32 v11, v5
	s_mov_b32 s22, 1
	s_mov_b32 s23, 0
	;; [unrolled: 1-line block ×3, first 2 shown]
	v_mov_b32_e32 v7, v14
.LBB134_68:                             ;   Parent Loop BB134_53 Depth=1
                                        ;     Parent Loop BB134_56 Depth=2
                                        ;       Parent Loop BB134_66 Depth=3
                                        ; =>      This Inner Loop Header: Depth=4
	s_sub_i32 s38, s2, s23
	s_sub_i32 s25, s36, s22
	s_lshl_b32 s38, s38, 3
	s_lshl_b32 s25, s25, 3
	s_add_i32 s38, s21, s38
	s_add_i32 s25, s21, s25
	v_mov_b32_e32 v13, s38
	ds_read_b128 v[16:19], v7
	v_mov_b32_e32 v15, s25
	ds_read_b64 v[24:25], v13
	ds_read_b64 v[20:21], v15
	s_add_i32 s23, s23, 2
	s_add_i32 s22, s22, 2
	s_waitcnt lgkmcnt(2)
	v_mov_b32_e32 v23, v18
	v_mov_b32_e32 v18, v17
	s_waitcnt lgkmcnt(0)
	v_mov_b32_e32 v17, v20
	v_mov_b32_e32 v20, v25
	v_mov_b32_e32 v22, v16
	v_mov_b32_e32 v16, v24
	v_pk_mul_f32 v[24:25], v[20:21], v[10:11]
	v_pk_mul_f32 v[20:21], v[20:21], v[8:9]
	v_pk_fma_f32 v[24:25], v[16:17], v[8:9], v[24:25] neg_lo:[0,0,1] neg_hi:[0,0,1]
	v_pk_fma_f32 v[16:17], v[16:17], v[10:11], v[20:21]
	v_pk_add_f32 v[20:21], v[22:23], v[24:25] neg_lo:[0,1] neg_hi:[0,1]
	v_pk_add_f32 v[18:19], v[18:19], v[16:17] neg_lo:[0,1] neg_hi:[0,1]
	s_add_i32 s24, s24, -2
	v_mov_b32_e32 v16, v20
	v_mov_b32_e32 v17, v18
	;; [unrolled: 1-line block ×3, first 2 shown]
	s_cmp_lg_u32 s24, 0
	ds_write_b128 v7, v[16:19]
	v_add_u32_e32 v7, 16, v7
	s_cbranch_scc1 .LBB134_68
; %bb.69:                               ;   in Loop: Header=BB134_66 Depth=3
	s_mov_b64 s[22:23], s[18:19]
	s_mov_b32 s24, s30
	s_branch .LBB134_72
.LBB134_70:                             ;   in Loop: Header=BB134_66 Depth=3
	s_waitcnt vmcnt(0) lgkmcnt(0)
	v_mov_b32_e32 v6, v5
	s_mov_b64 s[22:23], 0
	s_mov_b32 s24, s30
	s_cbranch_execz .LBB134_72
; %bb.71:                               ;   in Loop: Header=BB134_66 Depth=3
	s_mov_b64 s[22:23], -1
	s_mov_b32 s24, 0
.LBB134_72:                             ;   in Loop: Header=BB134_66 Depth=3
	s_andn2_b64 vcc, exec, s[22:23]
	s_cbranch_vccnz .LBB134_65
; %bb.73:                               ;   in Loop: Header=BB134_66 Depth=3
	s_lshl_b32 s23, s24, 3
	v_mov_b32_e32 v7, v5
	v_mov_b32_e32 v5, v4
	s_sub_i32 s21, s29, s24
	s_sub_i32 s22, s37, s23
	v_add_u32_e32 v8, s23, v12
.LBB134_74:                             ;   Parent Loop BB134_53 Depth=1
                                        ;     Parent Loop BB134_56 Depth=2
                                        ;       Parent Loop BB134_66 Depth=3
                                        ; =>      This Inner Loop Header: Depth=4
	v_mov_b32_e32 v9, s22
	ds_read_b64 v[16:17], v9
	ds_read_b64 v[10:11], v8
	s_add_i32 s21, s21, -1
	s_add_i32 s22, s22, -8
	s_cmp_eq_u32 s21, 0
	s_waitcnt lgkmcnt(1)
	v_pk_mul_f32 v[18:19], v[16:17], v[6:7] op_sel:[1,0] op_sel_hi:[0,1]
	v_pk_fma_f32 v[20:21], v[16:17], v[4:5], v[18:19] neg_lo:[0,0,1] neg_hi:[0,0,1]
	v_pk_fma_f32 v[16:17], v[16:17], v[4:5], v[18:19]
	s_nop 0
	v_mov_b32_e32 v21, v17
	s_waitcnt lgkmcnt(0)
	v_pk_add_f32 v[10:11], v[10:11], v[20:21] neg_lo:[0,1] neg_hi:[0,1]
	ds_write_b64 v8, v[10:11]
	v_add_u32_e32 v8, 8, v8
	s_cbranch_scc0 .LBB134_74
	s_branch .LBB134_65
.LBB134_75:                             ;   in Loop: Header=BB134_56 Depth=2
	s_mov_b32 s2, 0
	s_mov_b32 s36, s34
	s_branch .LBB134_77
.LBB134_76:                             ;   in Loop: Header=BB134_77 Depth=3
	s_mul_i32 s22, s22, 40
	v_mov_b32_e32 v5, s22
	ds_read_b64 v[8:9], v5
	s_add_i32 s2, s2, 1
	s_add_i32 s36, s36, -8
	v_lshl_add_u64 v[10:11], s[20:21], 3, v[0:1]
	s_cmp_eq_u32 s2, s29
	s_waitcnt lgkmcnt(0)
	v_pk_mul_f32 v[16:17], v[8:9], v[6:7] op_sel:[1,0] op_sel_hi:[0,0]
	v_pk_fma_f32 v[18:19], v[8:9], v[4:5], v[16:17] neg_lo:[0,0,1] neg_hi:[0,0,1]
	v_pk_fma_f32 v[4:5], v[8:9], v[4:5], v[16:17] op_sel_hi:[1,0,1]
	s_nop 0
	v_mov_b32_e32 v19, v5
	ds_write_b64 v7, v[18:19]
	flat_store_dwordx2 v[10:11], v[18:19]
	s_cbranch_scc1 .LBB134_55
.LBB134_77:                             ;   Parent Loop BB134_53 Depth=1
                                        ;     Parent Loop BB134_56 Depth=2
                                        ; =>    This Loop Header: Depth=3
                                        ;         Child Loop BB134_79 Depth 4
	s_cmp_lg_u32 s2, 0
	v_lshl_add_u32 v7, s2, 3, v14
	s_cbranch_scc0 .LBB134_81
; %bb.78:                               ;   in Loop: Header=BB134_77 Depth=3
	ds_read_b64 v[4:5], v7
	v_mov_b32_e32 v6, v14
	s_mov_b32 s20, s36
	s_mov_b32 s21, s2
.LBB134_79:                             ;   Parent Loop BB134_53 Depth=1
                                        ;     Parent Loop BB134_56 Depth=2
                                        ;       Parent Loop BB134_77 Depth=3
                                        ; =>      This Inner Loop Header: Depth=4
	v_mov_b32_e32 v10, s20
	ds_read_b64 v[8:9], v6
	ds_read_b64 v[10:11], v10
	s_add_i32 s21, s21, -1
	s_sub_i32 s20, s20, 32
	v_add_u32_e32 v6, 8, v6
	s_cmp_eq_u32 s21, 0
	s_waitcnt lgkmcnt(0)
	v_pk_mul_f32 v[16:17], v[10:11], v[8:9] op_sel:[1,1] op_sel_hi:[0,1]
	v_pk_fma_f32 v[18:19], v[10:11], v[8:9], v[16:17] neg_lo:[0,0,1] neg_hi:[0,0,1]
	v_pk_fma_f32 v[8:9], v[10:11], v[8:9], v[16:17] op_sel_hi:[1,0,1]
	s_nop 0
	v_mov_b32_e32 v19, v9
	v_pk_add_f32 v[4:5], v[4:5], v[18:19] neg_lo:[0,1] neg_hi:[0,1]
	ds_write_b64 v7, v[4:5]
	s_cbranch_scc0 .LBB134_79
; %bb.80:                               ;   in Loop: Header=BB134_77 Depth=3
	s_sub_i32 s22, s12, s2
	s_ashr_i32 s23, s22, 31
	v_mov_b32_e32 v6, v5
	s_mov_b64 s[20:21], s[22:23]
	s_branch .LBB134_76
.LBB134_81:                             ;   in Loop: Header=BB134_77 Depth=3
                                        ; implicit-def: $vgpr4
                                        ; implicit-def: $vgpr6
                                        ; implicit-def: $sgpr22
                                        ; implicit-def: $sgpr20_sgpr21
	s_cbranch_execz .LBB134_76
; %bb.82:                               ;   in Loop: Header=BB134_77 Depth=3
	ds_read_b64 v[4:5], v14
	s_mov_b64 s[20:21], s[12:13]
	s_mov_b32 s22, s12
	s_waitcnt lgkmcnt(0)
	v_mov_b32_e32 v6, v5
	s_branch .LBB134_76
.LBB134_83:
	s_endpgm
	.section	.rodata,"a",@progbits
	.p2align	6, 0x0
	.amdhsa_kernel _ZL30rocblas_trsm_small_left_deviceILi4ELi4ELb0E19rocblas_complex_numIfES1_PKPKS1_PKPS1_Ev13rocblas_fill_18rocblas_operation_17rocblas_diagonal_iiT3_T4_lilT5_lili
		.amdhsa_group_segment_fixed_size 256
		.amdhsa_private_segment_fixed_size 0
		.amdhsa_kernarg_size 360
		.amdhsa_user_sgpr_count 4
		.amdhsa_user_sgpr_dispatch_ptr 1
		.amdhsa_user_sgpr_queue_ptr 0
		.amdhsa_user_sgpr_kernarg_segment_ptr 1
		.amdhsa_user_sgpr_dispatch_id 0
		.amdhsa_user_sgpr_kernarg_preload_length 0
		.amdhsa_user_sgpr_kernarg_preload_offset 0
		.amdhsa_user_sgpr_private_segment_size 0
		.amdhsa_uses_dynamic_stack 0
		.amdhsa_enable_private_segment 0
		.amdhsa_system_sgpr_workgroup_id_x 1
		.amdhsa_system_sgpr_workgroup_id_y 0
		.amdhsa_system_sgpr_workgroup_id_z 1
		.amdhsa_system_sgpr_workgroup_info 0
		.amdhsa_system_vgpr_workitem_id 2
		.amdhsa_next_free_vgpr 28
		.amdhsa_next_free_sgpr 41
		.amdhsa_accum_offset 28
		.amdhsa_reserve_vcc 1
		.amdhsa_float_round_mode_32 0
		.amdhsa_float_round_mode_16_64 0
		.amdhsa_float_denorm_mode_32 3
		.amdhsa_float_denorm_mode_16_64 3
		.amdhsa_dx10_clamp 1
		.amdhsa_ieee_mode 1
		.amdhsa_fp16_overflow 0
		.amdhsa_tg_split 0
		.amdhsa_exception_fp_ieee_invalid_op 0
		.amdhsa_exception_fp_denorm_src 0
		.amdhsa_exception_fp_ieee_div_zero 0
		.amdhsa_exception_fp_ieee_overflow 0
		.amdhsa_exception_fp_ieee_underflow 0
		.amdhsa_exception_fp_ieee_inexact 0
		.amdhsa_exception_int_div_zero 0
	.end_amdhsa_kernel
	.section	.text._ZL30rocblas_trsm_small_left_deviceILi4ELi4ELb0E19rocblas_complex_numIfES1_PKPKS1_PKPS1_Ev13rocblas_fill_18rocblas_operation_17rocblas_diagonal_iiT3_T4_lilT5_lili,"axG",@progbits,_ZL30rocblas_trsm_small_left_deviceILi4ELi4ELb0E19rocblas_complex_numIfES1_PKPKS1_PKPS1_Ev13rocblas_fill_18rocblas_operation_17rocblas_diagonal_iiT3_T4_lilT5_lili,comdat
.Lfunc_end134:
	.size	_ZL30rocblas_trsm_small_left_deviceILi4ELi4ELb0E19rocblas_complex_numIfES1_PKPKS1_PKPS1_Ev13rocblas_fill_18rocblas_operation_17rocblas_diagonal_iiT3_T4_lilT5_lili, .Lfunc_end134-_ZL30rocblas_trsm_small_left_deviceILi4ELi4ELb0E19rocblas_complex_numIfES1_PKPKS1_PKPS1_Ev13rocblas_fill_18rocblas_operation_17rocblas_diagonal_iiT3_T4_lilT5_lili
                                        ; -- End function
	.set _ZL30rocblas_trsm_small_left_deviceILi4ELi4ELb0E19rocblas_complex_numIfES1_PKPKS1_PKPS1_Ev13rocblas_fill_18rocblas_operation_17rocblas_diagonal_iiT3_T4_lilT5_lili.num_vgpr, 28
	.set _ZL30rocblas_trsm_small_left_deviceILi4ELi4ELb0E19rocblas_complex_numIfES1_PKPKS1_PKPS1_Ev13rocblas_fill_18rocblas_operation_17rocblas_diagonal_iiT3_T4_lilT5_lili.num_agpr, 0
	.set _ZL30rocblas_trsm_small_left_deviceILi4ELi4ELb0E19rocblas_complex_numIfES1_PKPKS1_PKPS1_Ev13rocblas_fill_18rocblas_operation_17rocblas_diagonal_iiT3_T4_lilT5_lili.numbered_sgpr, 41
	.set _ZL30rocblas_trsm_small_left_deviceILi4ELi4ELb0E19rocblas_complex_numIfES1_PKPKS1_PKPS1_Ev13rocblas_fill_18rocblas_operation_17rocblas_diagonal_iiT3_T4_lilT5_lili.num_named_barrier, 0
	.set _ZL30rocblas_trsm_small_left_deviceILi4ELi4ELb0E19rocblas_complex_numIfES1_PKPKS1_PKPS1_Ev13rocblas_fill_18rocblas_operation_17rocblas_diagonal_iiT3_T4_lilT5_lili.private_seg_size, 0
	.set _ZL30rocblas_trsm_small_left_deviceILi4ELi4ELb0E19rocblas_complex_numIfES1_PKPKS1_PKPS1_Ev13rocblas_fill_18rocblas_operation_17rocblas_diagonal_iiT3_T4_lilT5_lili.uses_vcc, 1
	.set _ZL30rocblas_trsm_small_left_deviceILi4ELi4ELb0E19rocblas_complex_numIfES1_PKPKS1_PKPS1_Ev13rocblas_fill_18rocblas_operation_17rocblas_diagonal_iiT3_T4_lilT5_lili.uses_flat_scratch, 0
	.set _ZL30rocblas_trsm_small_left_deviceILi4ELi4ELb0E19rocblas_complex_numIfES1_PKPKS1_PKPS1_Ev13rocblas_fill_18rocblas_operation_17rocblas_diagonal_iiT3_T4_lilT5_lili.has_dyn_sized_stack, 0
	.set _ZL30rocblas_trsm_small_left_deviceILi4ELi4ELb0E19rocblas_complex_numIfES1_PKPKS1_PKPS1_Ev13rocblas_fill_18rocblas_operation_17rocblas_diagonal_iiT3_T4_lilT5_lili.has_recursion, 0
	.set _ZL30rocblas_trsm_small_left_deviceILi4ELi4ELb0E19rocblas_complex_numIfES1_PKPKS1_PKPS1_Ev13rocblas_fill_18rocblas_operation_17rocblas_diagonal_iiT3_T4_lilT5_lili.has_indirect_call, 0
	.section	.AMDGPU.csdata,"",@progbits
; Kernel info:
; codeLenInByte = 3560
; TotalNumSgprs: 47
; NumVgprs: 28
; NumAgprs: 0
; TotalNumVgprs: 28
; ScratchSize: 0
; MemoryBound: 0
; FloatMode: 240
; IeeeMode: 1
; LDSByteSize: 256 bytes/workgroup (compile time only)
; SGPRBlocks: 5
; VGPRBlocks: 3
; NumSGPRsForWavesPerEU: 47
; NumVGPRsForWavesPerEU: 28
; AccumOffset: 28
; Occupancy: 8
; WaveLimiterHint : 1
; COMPUTE_PGM_RSRC2:SCRATCH_EN: 0
; COMPUTE_PGM_RSRC2:USER_SGPR: 4
; COMPUTE_PGM_RSRC2:TRAP_HANDLER: 0
; COMPUTE_PGM_RSRC2:TGID_X_EN: 1
; COMPUTE_PGM_RSRC2:TGID_Y_EN: 0
; COMPUTE_PGM_RSRC2:TGID_Z_EN: 1
; COMPUTE_PGM_RSRC2:TIDIG_COMP_CNT: 2
; COMPUTE_PGM_RSRC3_GFX90A:ACCUM_OFFSET: 6
; COMPUTE_PGM_RSRC3_GFX90A:TG_SPLIT: 0
	.section	.text._ZL38rocblas_trsm_small_left_device_sharedBILi4ELi4ELb1E19rocblas_complex_numIfES1_PKPKS1_PKPS1_Ev13rocblas_fill_18rocblas_operation_17rocblas_diagonal_iiT3_T4_lilT5_lili,"axG",@progbits,_ZL38rocblas_trsm_small_left_device_sharedBILi4ELi4ELb1E19rocblas_complex_numIfES1_PKPKS1_PKPS1_Ev13rocblas_fill_18rocblas_operation_17rocblas_diagonal_iiT3_T4_lilT5_lili,comdat
	.globl	_ZL38rocblas_trsm_small_left_device_sharedBILi4ELi4ELb1E19rocblas_complex_numIfES1_PKPKS1_PKPS1_Ev13rocblas_fill_18rocblas_operation_17rocblas_diagonal_iiT3_T4_lilT5_lili ; -- Begin function _ZL38rocblas_trsm_small_left_device_sharedBILi4ELi4ELb1E19rocblas_complex_numIfES1_PKPKS1_PKPS1_Ev13rocblas_fill_18rocblas_operation_17rocblas_diagonal_iiT3_T4_lilT5_lili
	.p2align	8
	.type	_ZL38rocblas_trsm_small_left_device_sharedBILi4ELi4ELb1E19rocblas_complex_numIfES1_PKPKS1_PKPS1_Ev13rocblas_fill_18rocblas_operation_17rocblas_diagonal_iiT3_T4_lilT5_lili,@function
_ZL38rocblas_trsm_small_left_device_sharedBILi4ELi4ELb1E19rocblas_complex_numIfES1_PKPKS1_PKPS1_Ev13rocblas_fill_18rocblas_operation_17rocblas_diagonal_iiT3_T4_lilT5_lili: ; @_ZL38rocblas_trsm_small_left_device_sharedBILi4ELi4ELb1E19rocblas_complex_numIfES1_PKPKS1_PKPS1_Ev13rocblas_fill_18rocblas_operation_17rocblas_diagonal_iiT3_T4_lilT5_lili
; %bb.0:
	s_load_dwordx4 s[8:11], s[0:1], 0x40
	s_load_dwordx4 s[4:7], s[0:1], 0x4
	s_load_dwordx2 s[12:13], s[0:1], 0x14
	s_mov_b32 s14, s3
	s_mov_b32 s15, 0
	s_lshl_b64 s[18:19], s[14:15], 3
	s_waitcnt lgkmcnt(0)
	s_add_u32 s8, s8, s18
	s_addc_u32 s9, s9, s19
	s_load_dword s3, s[0:1], 0x68
	s_min_i32 s22, s6, 4
	s_load_dwordx2 s[8:9], s[8:9], 0x0
	v_cmp_gt_i32_e32 vcc, s22, v0
	s_and_saveexec_b64 s[14:15], vcc
	s_cbranch_execz .LBB135_15
; %bb.1:
	s_load_dword s20, s[0:1], 0x30
	s_load_dwordx4 s[24:27], s[0:1], 0x20
	v_lshlrev_b32_e32 v2, 3, v0
	v_mov_b32_e32 v3, 0
	v_mov_b32_e32 v1, v2
	s_waitcnt lgkmcnt(0)
	s_ashr_i32 s21, s20, 31
	s_cmpk_lg_i32 s4, 0x71
	s_cselect_b64 s[16:17], -1, 0
	s_add_u32 s18, s24, s18
	s_addc_u32 s19, s25, s19
	s_load_dwordx2 s[18:19], s[18:19], 0x0
	s_lshl_b64 s[24:25], s[26:27], 3
	s_mov_b32 s23, s22
	s_waitcnt lgkmcnt(0)
	s_add_u32 s24, s18, s24
	s_addc_u32 s25, s19, s25
	s_lshl_b64 s[18:19], s[20:21], 3
	v_lshl_add_u64 v[4:5], s[24:25], 0, v[2:3]
	s_branch .LBB135_3
.LBB135_2:                              ;   in Loop: Header=BB135_3 Depth=1
	flat_load_dword v6, v[4:5]
	s_add_i32 s23, s23, -1
	v_lshl_add_u64 v[4:5], v[4:5], 0, s[18:19]
	s_cmp_eq_u32 s23, 0
	s_waitcnt vmcnt(0) lgkmcnt(0)
	ds_write_b64 v1, v[6:7]
	v_add_u32_e32 v1, 32, v1
	s_cbranch_scc1 .LBB135_7
.LBB135_3:                              ; =>This Inner Loop Header: Depth=1
	s_mov_b64 s[20:21], -1
	s_and_b64 vcc, exec, s[16:17]
                                        ; implicit-def: $vgpr7
	s_cbranch_vccz .LBB135_5
; %bb.4:                                ;   in Loop: Header=BB135_3 Depth=1
	flat_load_dword v7, v[4:5] offset:4
	s_mov_b64 s[20:21], 0
.LBB135_5:                              ;   in Loop: Header=BB135_3 Depth=1
	s_andn2_b64 vcc, exec, s[20:21]
	s_cbranch_vccnz .LBB135_2
; %bb.6:                                ;   in Loop: Header=BB135_3 Depth=1
	flat_load_dword v3, v[4:5] offset:4
	s_waitcnt vmcnt(0) lgkmcnt(0)
	v_xor_b32_e32 v7, 0x80000000, v3
	s_branch .LBB135_2
.LBB135_7:
	s_cmpk_lg_i32 s5, 0x84
	v_lshlrev_b32_e32 v1, 5, v0
	s_mov_b64 s[16:17], -1
	s_cbranch_scc0 .LBB135_13
; %bb.8:
	v_add_u32_e32 v3, v2, v1
	ds_read_b64 v[4:5], v3
                                        ; implicit-def: $vgpr6_vgpr7
	s_waitcnt lgkmcnt(0)
	v_cmp_ngt_f32_e64 s[16:17], |v4|, |v5|
	s_and_saveexec_b64 s[18:19], s[16:17]
	s_xor_b64 s[16:17], exec, s[18:19]
	s_cbranch_execz .LBB135_10
; %bb.9:
	v_div_scale_f32 v6, s[18:19], v5, v5, v4
	v_rcp_f32_e32 v7, v6
	v_div_scale_f32 v8, vcc, v4, v5, v4
	v_fma_f32 v9, -v6, v7, 1.0
	v_fmac_f32_e32 v7, v9, v7
	v_mul_f32_e32 v9, v8, v7
	v_fma_f32 v10, -v6, v9, v8
	v_fmac_f32_e32 v9, v10, v7
	v_fma_f32 v6, -v6, v9, v8
	v_div_fmas_f32 v6, v6, v7, v9
	v_div_fixup_f32 v6, v6, v5, v4
	v_fmac_f32_e32 v5, v4, v6
	v_div_scale_f32 v4, s[18:19], v5, v5, 1.0
	v_rcp_f32_e32 v7, v4
	s_mov_b32 s18, 0
	s_mov_b32 s19, -1.0
	v_fma_f32 v8, -v4, v7, 1.0
	v_fmac_f32_e32 v7, v8, v7
	v_div_scale_f32 v8, vcc, 1.0, v5, 1.0
	v_mul_f32_e32 v9, v8, v7
	v_fma_f32 v10, -v4, v9, v8
	v_fmac_f32_e32 v9, v10, v7
	v_fma_f32 v4, -v4, v9, v8
	v_div_fmas_f32 v4, v4, v7, v9
	v_mul_f32_e32 v7, 0, v6
	v_div_fixup_f32 v4, v4, v5, 1.0
	v_pk_add_f32 v[6:7], v[6:7], s[18:19]
	s_nop 0
	v_pk_mul_f32 v[6:7], v[6:7], v[4:5] op_sel_hi:[1,0]
                                        ; implicit-def: $vgpr4_vgpr5
.LBB135_10:
	s_andn2_saveexec_b64 s[16:17], s[16:17]
	s_cbranch_execz .LBB135_12
; %bb.11:
	v_div_scale_f32 v6, s[18:19], v4, v4, v5
	v_rcp_f32_e32 v7, v6
	v_div_scale_f32 v8, vcc, v5, v4, v5
	v_fma_f32 v9, -v6, v7, 1.0
	v_fmac_f32_e32 v7, v9, v7
	v_mul_f32_e32 v9, v8, v7
	v_fma_f32 v10, -v6, v9, v8
	v_fmac_f32_e32 v9, v10, v7
	v_fma_f32 v6, -v6, v9, v8
	v_div_fmas_f32 v6, v6, v7, v9
	v_div_fixup_f32 v7, v6, v4, v5
	v_fmac_f32_e32 v4, v5, v7
	v_div_scale_f32 v5, s[18:19], v4, v4, 1.0
	v_rcp_f32_e32 v6, v5
	s_nop 0
	v_fma_f32 v8, -v5, v6, 1.0
	v_fmac_f32_e32 v6, v8, v6
	v_div_scale_f32 v8, vcc, 1.0, v4, 1.0
	v_mul_f32_e32 v9, v8, v6
	v_fma_f32 v10, -v5, v9, v8
	v_fmac_f32_e32 v9, v10, v6
	v_fma_f32 v5, -v5, v9, v8
	v_div_fmas_f32 v5, v5, v6, v9
	v_div_fixup_f32 v4, v5, v4, 1.0
	v_mul_f32_e32 v5, 0, v7
	v_add_f32_e32 v6, 1.0, v5
	v_sub_f32_e32 v7, 0, v7
	v_pk_mul_f32 v[6:7], v[6:7], v[4:5] op_sel_hi:[1,0]
.LBB135_12:
	s_or_b64 exec, exec, s[16:17]
	s_mov_b64 s[16:17], 0
	ds_write_b64 v3, v[6:7]
.LBB135_13:
	s_and_b64 vcc, exec, s[16:17]
	s_cbranch_vccz .LBB135_15
; %bb.14:
	v_add_u32_e32 v1, v2, v1
	v_mov_b32_e32 v2, 1.0
	v_mov_b32_e32 v3, 0
	ds_write_b64 v1, v[2:3]
.LBB135_15:
	s_or_b64 exec, exec, s[14:15]
	s_load_dword s16, s[0:1], 0x50
	s_lshl_b64 s[0:1], s[10:11], 3
	s_waitcnt lgkmcnt(0)
	s_add_u32 s5, s8, s0
	s_addc_u32 s8, s9, s1
	s_lshl_b32 s0, s2, 2
	s_add_i32 s3, s3, -1
	s_sub_i32 s1, s7, s0
	s_cmp_ge_u32 s2, s3
	s_cselect_b32 s7, s1, 4
	s_mul_hi_i32 s1, s16, s0
	s_mul_i32 s0, s16, s0
	s_lshl_b64 s[0:1], s[0:1], 3
	s_add_u32 s2, s5, s0
	s_addc_u32 s3, s8, s1
	s_cmp_gt_i32 s6, 0
	v_cmp_gt_i32_e64 s[0:1], s7, v0
	s_cselect_b64 s[8:9], -1, 0
	s_and_b64 s[14:15], s[0:1], s[8:9]
	s_and_saveexec_b64 s[10:11], s[14:15]
	s_cbranch_execz .LBB135_18
; %bb.16:
	v_mad_i64_i32 v[2:3], s[14:15], s16, v0, 0
	v_mov_b32_e32 v1, 0x80
	v_lshl_add_u64 v[2:3], v[2:3], 3, s[2:3]
	v_lshl_or_b32 v1, v0, 3, v1
	s_mov_b32 s14, s13
	s_mov_b32 s15, s12
	;; [unrolled: 1-line block ×3, first 2 shown]
.LBB135_17:                             ; =>This Inner Loop Header: Depth=1
	flat_load_dwordx2 v[4:5], v[2:3]
	s_add_i32 s5, s5, -1
	v_lshl_add_u64 v[2:3], v[2:3], 0, 8
	s_cmp_lg_u32 s5, 0
	s_waitcnt vmcnt(0) lgkmcnt(0)
	v_pk_mul_f32 v[6:7], s[14:15], v[4:5] op_sel:[0,1]
	s_nop 0
	v_pk_fma_f32 v[8:9], s[12:13], v[4:5], v[6:7] neg_lo:[0,0,1] neg_hi:[0,0,1]
	v_pk_fma_f32 v[4:5], s[12:13], v[4:5], v[6:7] op_sel_hi:[1,0,1]
	s_nop 0
	v_mov_b32_e32 v9, v5
	ds_write_b64 v1, v[8:9]
	v_add_u32_e32 v1, 32, v1
	s_cbranch_scc1 .LBB135_17
.LBB135_18:
	s_or_b64 exec, exec, s[10:11]
	v_mov_b32_e32 v1, 0x80
	s_cmpk_eq_i32 s4, 0x6f
	v_lshl_or_b32 v1, v0, 3, v1
	s_mov_b64 s[4:5], -1
	s_waitcnt lgkmcnt(0)
	; wave barrier
	s_cbranch_scc1 .LBB135_35
; %bb.19:
	s_add_i32 s4, s22, -1
	s_cmp_gt_i32 s6, 3
	s_mov_b32 s7, s4
	s_cbranch_scc0 .LBB135_21
; %bb.20:
	ds_read2_b64 v[2:5], v1 offset0:8 offset1:12
	v_mov_b32_e32 v28, 0
	ds_read2_b64 v[6:9], v28 offset0:7 offset1:15
	ds_read2_b64 v[10:13], v1 offset1:4
	ds_read_b128 v[14:17], v28 offset:80
	s_mov_b32 s7, -1
	s_waitcnt lgkmcnt(2)
	v_pk_mul_f32 v[18:19], v[8:9], v[4:5] op_sel:[1,1] op_sel_hi:[0,1]
	v_pk_fma_f32 v[22:23], v[8:9], v[4:5], v[18:19] op_sel_hi:[1,0,1] neg_lo:[0,0,1] neg_hi:[0,0,1]
	v_pk_fma_f32 v[8:9], v[8:9], v[4:5], v[18:19] op_sel_hi:[1,0,1]
	ds_read2_b64 v[18:21], v28 offset0:5 offset1:6
	s_waitcnt lgkmcnt(1)
	v_mul_f32_e32 v4, v17, v9
	v_mul_f32_e32 v5, v16, v9
	v_fma_f32 v4, v16, v22, -v4
	v_fmac_f32_e32 v5, v17, v22
	v_sub_f32_e32 v2, v2, v4
	v_sub_f32_e32 v4, v3, v5
	v_pk_mul_f32 v[4:5], v[14:15], v[4:5] op_sel:[1,0] op_sel_hi:[0,0]
	v_pk_fma_f32 v[24:25], v[14:15], v[2:3], v[4:5] op_sel_hi:[1,0,1] neg_lo:[0,0,1] neg_hi:[0,0,1]
	v_pk_fma_f32 v[26:27], v[14:15], v[2:3], v[4:5] op_sel_hi:[1,0,1]
	v_mov_b32_e32 v23, v9
	v_mov_b32_e32 v25, v27
	v_mul_f32_e32 v8, v7, v9
	ds_write2_b64 v1, v[24:25], v[22:23] offset0:8 offset1:12
	v_fma_f32 v8, v6, v22, -v8
	v_mul_f32_e32 v6, v6, v9
	ds_read_b128 v[2:5], v28
	ds_read_b128 v[14:17], v28 offset:16
	v_fmac_f32_e32 v6, v7, v22
	v_sub_f32_e32 v7, v12, v8
	s_waitcnt lgkmcnt(3)
	v_mul_f32_e32 v12, v20, v27
	v_sub_f32_e32 v8, v13, v6
	v_mul_f32_e32 v6, v21, v27
	v_fmac_f32_e32 v12, v21, v24
	v_fma_f32 v6, v20, v24, -v6
	v_sub_f32_e32 v8, v8, v12
	v_sub_f32_e32 v6, v7, v6
	v_pk_mul_f32 v[12:13], v[18:19], v[8:9] op_sel:[1,0] op_sel_hi:[0,0]
	v_pk_fma_f32 v[20:21], v[18:19], v[6:7], v[12:13] op_sel_hi:[1,0,1] neg_lo:[0,0,1] neg_hi:[0,0,1]
	v_pk_fma_f32 v[6:7], v[18:19], v[6:7], v[12:13] op_sel_hi:[1,0,1]
	s_waitcnt lgkmcnt(0)
	v_mul_f32_e32 v8, v16, v9
	v_mul_f32_e32 v6, v17, v9
	v_fma_f32 v6, v16, v22, -v6
	v_mul_f32_e32 v9, v15, v27
	v_fmac_f32_e32 v8, v17, v22
	v_sub_f32_e32 v6, v10, v6
	v_fma_f32 v9, v14, v24, -v9
	v_mul_f32_e32 v10, v14, v27
	v_mov_b32_e32 v21, v7
	v_sub_f32_e32 v8, v11, v8
	v_fmac_f32_e32 v10, v15, v24
	v_sub_f32_e32 v6, v6, v9
	v_mul_f32_e32 v9, v5, v7
	v_mul_f32_e32 v7, v4, v7
	v_sub_f32_e32 v8, v8, v10
	v_fma_f32 v9, v4, v20, -v9
	v_fmac_f32_e32 v7, v5, v20
	v_sub_f32_e32 v4, v6, v9
	v_sub_f32_e32 v6, v8, v7
	v_pk_mul_f32 v[6:7], v[2:3], v[6:7] op_sel:[1,0] op_sel_hi:[0,0]
	v_pk_fma_f32 v[8:9], v[2:3], v[4:5], v[6:7] neg_lo:[0,0,1] neg_hi:[0,0,1]
	v_pk_fma_f32 v[2:3], v[2:3], v[4:5], v[6:7] op_sel_hi:[1,0,1]
	s_nop 0
	v_mov_b32_e32 v9, v3
	ds_write2_b64 v1, v[8:9], v[20:21] offset1:4
.LBB135_21:
	s_cmp_gt_i32 s7, -1
	s_cbranch_scc0 .LBB135_34
; %bb.22:
	s_bitcmp1_b32 s7, 0
	s_cselect_b64 s[10:11], -1, 0
	s_and_b64 vcc, exec, s[10:11]
	s_mov_b32 s5, s7
	s_cbranch_vccnz .LBB135_27
; %bb.23:
	s_lshl_b32 s5, s7, 5
	v_add_u32_e32 v4, s5, v1
	ds_read_b64 v[2:3], v4
	s_cmp_le_i32 s4, s7
	s_cbranch_scc1 .LBB135_26
; %bb.24:
	s_lshl_b32 s10, s22, 3
	v_lshlrev_b32_e32 v5, 3, v0
	s_add_i32 s5, s5, s10
	v_lshl_or_b32 v5, s22, 5, v5
	s_add_i32 s5, s5, -8
	v_add_u32_e32 v5, 0x60, v5
	s_mov_b32 s10, s4
.LBB135_25:                             ; =>This Inner Loop Header: Depth=1
	v_mov_b32_e32 v8, s5
	ds_read_b64 v[6:7], v5
	ds_read_b64 v[8:9], v8
	s_add_i32 s10, s10, -1
	s_add_i32 s5, s5, -8
	v_subrev_u32_e32 v5, 32, v5
	s_cmp_gt_i32 s10, s7
	s_waitcnt lgkmcnt(0)
	v_pk_mul_f32 v[10:11], v[8:9], v[6:7] op_sel:[1,1] op_sel_hi:[0,1]
	v_pk_fma_f32 v[12:13], v[8:9], v[6:7], v[10:11] neg_lo:[0,0,1] neg_hi:[0,0,1]
	v_pk_fma_f32 v[6:7], v[8:9], v[6:7], v[10:11] op_sel_hi:[1,0,1]
	s_nop 0
	v_mov_b32_e32 v13, v7
	v_pk_add_f32 v[2:3], v[2:3], v[12:13] neg_lo:[0,1] neg_hi:[0,1]
	s_cbranch_scc1 .LBB135_25
.LBB135_26:
	s_mul_i32 s5, s7, 40
	v_mov_b32_e32 v5, s5
	ds_read_b64 v[6:7], v5
	s_add_i32 s5, s7, -1
	s_waitcnt lgkmcnt(0)
	v_pk_mul_f32 v[8:9], v[6:7], v[2:3] op_sel:[1,1] op_sel_hi:[0,1]
	v_pk_fma_f32 v[10:11], v[6:7], v[2:3], v[8:9] op_sel_hi:[1,0,1] neg_lo:[0,0,1] neg_hi:[0,0,1]
	v_pk_fma_f32 v[2:3], v[6:7], v[2:3], v[8:9] op_sel_hi:[1,0,1]
	s_nop 0
	v_mov_b32_e32 v11, v3
	ds_write_b64 v4, v[10:11]
.LBB135_27:
	s_cmp_eq_u32 s7, 0
	s_cbranch_scc1 .LBB135_34
; %bb.28:
	s_lshl_b32 s7, s5, 5
	s_lshl_b32 s10, s22, 3
	v_lshlrev_b32_e32 v2, 3, v0
	s_add_i32 s10, s7, s10
	v_lshl_or_b32 v2, s22, 5, v2
	s_add_i32 s7, s10, -8
	v_add_u32_e32 v6, 0x60, v2
	s_sub_i32 s10, s10, 40
	s_branch .LBB135_30
.LBB135_29:                             ;   in Loop: Header=BB135_30 Depth=1
	s_sub_i32 s11, s11, 40
	v_mov_b32_e32 v4, s11
	ds_read_b64 v[4:5], v4
	s_add_i32 s11, s5, -2
	s_sub_i32 s7, s7, 64
	s_sub_i32 s10, s10, 64
	s_cmp_lt_i32 s5, 2
	s_waitcnt lgkmcnt(0)
	v_pk_mul_f32 v[8:9], v[4:5], v[2:3] op_sel:[1,1] op_sel_hi:[0,1]
	v_pk_fma_f32 v[10:11], v[4:5], v[2:3], v[8:9] op_sel_hi:[1,0,1] neg_lo:[0,0,1] neg_hi:[0,0,1]
	v_pk_fma_f32 v[2:3], v[4:5], v[2:3], v[8:9] op_sel_hi:[1,0,1]
	s_mov_b32 s5, s11
	v_mov_b32_e32 v11, v3
	ds_write_b64 v7, v[10:11]
	s_cbranch_scc1 .LBB135_34
.LBB135_30:                             ; =>This Loop Header: Depth=1
                                        ;     Child Loop BB135_31 Depth 2
                                        ;     Child Loop BB135_33 Depth 2
	s_lshl_b32 s12, s5, 5
	v_add_u32_e32 v8, s12, v1
	ds_read_b64 v[4:5], v8
	s_cmp_le_i32 s4, s5
	v_mov_b32_e32 v2, v6
	s_mov_b32 s11, s7
	s_mov_b32 s13, s4
	s_cbranch_scc1 .LBB135_32
.LBB135_31:                             ;   Parent Loop BB135_30 Depth=1
                                        ; =>  This Inner Loop Header: Depth=2
	v_mov_b32_e32 v3, s11
	ds_read_b64 v[10:11], v2
	ds_read_b64 v[12:13], v3
	s_add_i32 s13, s13, -1
	s_add_i32 s11, s11, -8
	v_subrev_u32_e32 v2, 32, v2
	s_cmp_gt_i32 s13, s5
	s_waitcnt lgkmcnt(0)
	v_pk_mul_f32 v[14:15], v[12:13], v[10:11] op_sel:[1,1] op_sel_hi:[0,1]
	v_pk_fma_f32 v[16:17], v[12:13], v[10:11], v[14:15] neg_lo:[0,0,1] neg_hi:[0,0,1]
	v_pk_fma_f32 v[10:11], v[12:13], v[10:11], v[14:15] op_sel_hi:[1,0,1]
	s_nop 0
	v_mov_b32_e32 v17, v11
	v_pk_add_f32 v[4:5], v[4:5], v[16:17] neg_lo:[0,1] neg_hi:[0,1]
	s_cbranch_scc1 .LBB135_31
.LBB135_32:                             ;   in Loop: Header=BB135_30 Depth=1
	s_mul_i32 s11, s5, 40
	v_mov_b32_e32 v2, s11
	ds_read_b64 v[10:11], v2
	s_sub_i32 s12, s12, 32
	v_add_u32_e32 v7, s12, v1
	ds_read_b64 v[2:3], v7
	s_cmp_le_i32 s22, s5
	s_waitcnt lgkmcnt(1)
	v_pk_mul_f32 v[12:13], v[10:11], v[4:5] op_sel:[1,1] op_sel_hi:[0,1]
	v_pk_fma_f32 v[14:15], v[10:11], v[4:5], v[12:13] op_sel_hi:[1,0,1] neg_lo:[0,0,1] neg_hi:[0,0,1]
	v_pk_fma_f32 v[4:5], v[10:11], v[4:5], v[12:13] op_sel_hi:[1,0,1]
	s_mov_b32 s12, s10
	v_mov_b32_e32 v15, v5
	v_mov_b32_e32 v4, v6
	s_mov_b32 s13, s22
	ds_write_b64 v8, v[14:15]
	s_cbranch_scc1 .LBB135_29
.LBB135_33:                             ;   Parent Loop BB135_30 Depth=1
                                        ; =>  This Inner Loop Header: Depth=2
	v_mov_b32_e32 v5, s12
	ds_read_b64 v[8:9], v4
	ds_read_b64 v[10:11], v5
	s_add_i32 s13, s13, -1
	s_add_i32 s12, s12, -8
	v_subrev_u32_e32 v4, 32, v4
	s_cmp_gt_i32 s13, s5
	s_waitcnt lgkmcnt(0)
	v_pk_mul_f32 v[12:13], v[10:11], v[8:9] op_sel:[1,1] op_sel_hi:[0,1]
	v_pk_fma_f32 v[14:15], v[10:11], v[8:9], v[12:13] neg_lo:[0,0,1] neg_hi:[0,0,1]
	v_pk_fma_f32 v[8:9], v[10:11], v[8:9], v[12:13] op_sel_hi:[1,0,1]
	s_nop 0
	v_mov_b32_e32 v15, v9
	v_pk_add_f32 v[2:3], v[2:3], v[14:15] neg_lo:[0,1] neg_hi:[0,1]
	s_cbranch_scc1 .LBB135_33
	s_branch .LBB135_29
.LBB135_34:
	s_mov_b64 s[4:5], 0
.LBB135_35:
	s_and_b64 vcc, exec, s[4:5]
	s_cbranch_vccz .LBB135_43
; %bb.36:
	s_cmp_gt_i32 s6, 3
	s_mov_b32 s4, 0
	s_cbranch_scc0 .LBB135_38
; %bb.37:
	ds_read2_b64 v[2:5], v1 offset1:4
	v_mov_b32_e32 v28, 0
	ds_read_b128 v[6:9], v28
	ds_read2_b64 v[10:13], v1 offset0:8 offset1:12
	ds_read_b128 v[14:17], v28 offset:16
	ds_read2_b64 v[18:21], v28 offset0:7 offset1:15
	s_mov_b32 s4, 4
	s_waitcnt lgkmcnt(3)
	v_pk_mul_f32 v[22:23], v[6:7], v[2:3] op_sel:[1,1] op_sel_hi:[0,1]
	v_pk_fma_f32 v[26:27], v[6:7], v[2:3], v[22:23] op_sel_hi:[1,0,1] neg_lo:[0,0,1] neg_hi:[0,0,1]
	v_pk_fma_f32 v[6:7], v[6:7], v[2:3], v[22:23] op_sel_hi:[1,0,1]
	ds_read2_b64 v[22:25], v28 offset0:5 offset1:6
	v_mul_f32_e32 v3, v8, v7
	v_mul_f32_e32 v2, v9, v7
	v_fmac_f32_e32 v3, v9, v26
	v_fma_f32 v2, v8, v26, -v2
	v_sub_f32_e32 v8, v5, v3
	v_sub_f32_e32 v6, v4, v2
	ds_read_b128 v[2:5], v28 offset:80
	s_waitcnt lgkmcnt(1)
	v_pk_mul_f32 v[8:9], v[22:23], v[8:9] op_sel:[1,0] op_sel_hi:[0,0]
	v_pk_fma_f32 v[28:29], v[22:23], v[6:7], v[8:9] op_sel_hi:[1,0,1] neg_lo:[0,0,1] neg_hi:[0,0,1]
	v_pk_fma_f32 v[8:9], v[22:23], v[6:7], v[8:9] op_sel_hi:[1,0,1]
	v_mul_f32_e32 v6, v15, v7
	v_mul_f32_e32 v8, v14, v7
	v_fmac_f32_e32 v8, v15, v26
	v_fma_f32 v6, v14, v26, -v6
	v_sub_f32_e32 v8, v11, v8
	v_mul_f32_e32 v11, v24, v9
	v_sub_f32_e32 v6, v10, v6
	v_mul_f32_e32 v10, v25, v9
	v_fmac_f32_e32 v11, v25, v28
	v_fma_f32 v10, v24, v28, -v10
	v_sub_f32_e32 v8, v8, v11
	v_sub_f32_e32 v6, v6, v10
	s_waitcnt lgkmcnt(0)
	v_pk_mul_f32 v[10:11], v[2:3], v[8:9] op_sel:[1,0] op_sel_hi:[0,0]
	v_pk_fma_f32 v[14:15], v[2:3], v[6:7], v[10:11] op_sel_hi:[1,0,1] neg_lo:[0,0,1] neg_hi:[0,0,1]
	v_pk_fma_f32 v[2:3], v[2:3], v[6:7], v[10:11] op_sel_hi:[1,0,1]
	v_mov_b32_e32 v27, v7
	v_mul_f32_e32 v2, v17, v7
	v_fma_f32 v2, v16, v26, -v2
	v_mul_f32_e32 v6, v16, v7
	v_mul_f32_e32 v7, v19, v9
	v_fmac_f32_e32 v6, v17, v26
	v_sub_f32_e32 v2, v12, v2
	v_fma_f32 v7, v18, v28, -v7
	v_mul_f32_e32 v8, v18, v9
	v_mov_b32_e32 v15, v3
	v_sub_f32_e32 v6, v13, v6
	v_fmac_f32_e32 v8, v19, v28
	v_sub_f32_e32 v2, v2, v7
	v_mul_f32_e32 v7, v5, v3
	v_mul_f32_e32 v3, v4, v3
	v_sub_f32_e32 v6, v6, v8
	v_fmac_f32_e32 v3, v5, v14
	v_fma_f32 v7, v4, v14, -v7
	v_sub_f32_e32 v4, v6, v3
	v_sub_f32_e32 v2, v2, v7
	v_pk_mul_f32 v[4:5], v[20:21], v[4:5] op_sel:[1,0] op_sel_hi:[0,0]
	v_pk_fma_f32 v[6:7], v[20:21], v[2:3], v[4:5] neg_lo:[0,0,1] neg_hi:[0,0,1]
	v_pk_fma_f32 v[2:3], v[20:21], v[2:3], v[4:5] op_sel_hi:[1,0,1]
	v_mov_b32_e32 v29, v9
	v_mov_b32_e32 v7, v3
	ds_write2_b64 v1, v[26:27], v[28:29] offset1:4
	ds_write2_b64 v1, v[14:15], v[6:7] offset0:8 offset1:12
.LBB135_38:
	s_cmp_ge_i32 s4, s22
	s_cbranch_scc1 .LBB135_43
; %bb.39:
	v_mov_b32_e32 v2, 0x80
	s_lshl_b32 s5, s4, 3
	v_lshl_or_b32 v4, v0, 3, v2
	s_branch .LBB135_41
.LBB135_40:                             ;   in Loop: Header=BB135_41 Depth=1
	s_lshl_b32 s7, s4, 3
	s_add_i32 s6, s7, s6
	v_mov_b32_e32 v6, s6
	ds_read_b64 v[6:7], v6
	s_add_i32 s4, s4, 1
	s_add_i32 s5, s5, 8
	s_cmp_ge_i32 s4, s22
	s_waitcnt lgkmcnt(0)
	v_pk_mul_f32 v[8:9], v[6:7], v[2:3] op_sel:[1,1] op_sel_hi:[0,1]
	v_pk_fma_f32 v[10:11], v[6:7], v[2:3], v[8:9] op_sel_hi:[1,0,1] neg_lo:[0,0,1] neg_hi:[0,0,1]
	v_pk_fma_f32 v[2:3], v[6:7], v[2:3], v[8:9] op_sel_hi:[1,0,1]
	s_nop 0
	v_mov_b32_e32 v11, v3
	ds_write_b64 v5, v[10:11]
	s_cbranch_scc1 .LBB135_43
.LBB135_41:                             ; =>This Loop Header: Depth=1
                                        ;     Child Loop BB135_42 Depth 2
	s_lshl_b32 s6, s4, 5
	v_add_u32_e32 v5, s6, v1
	ds_read_b64 v[2:3], v5
	s_cmp_eq_u32 s4, 0
	v_mov_b32_e32 v6, v4
	s_mov_b32 s7, s5
	s_mov_b32 s10, s4
	s_cbranch_scc1 .LBB135_40
.LBB135_42:                             ;   Parent Loop BB135_41 Depth=1
                                        ; =>  This Inner Loop Header: Depth=2
	v_mov_b32_e32 v7, s7
	ds_read_b64 v[8:9], v6
	ds_read_b64 v[10:11], v7
	s_add_i32 s10, s10, -1
	s_add_i32 s7, s7, 32
	v_add_u32_e32 v6, 32, v6
	s_cmp_lg_u32 s10, 0
	s_waitcnt lgkmcnt(0)
	v_pk_mul_f32 v[12:13], v[10:11], v[8:9] op_sel:[1,1] op_sel_hi:[0,1]
	v_pk_fma_f32 v[14:15], v[10:11], v[8:9], v[12:13] neg_lo:[0,0,1] neg_hi:[0,0,1]
	v_pk_fma_f32 v[8:9], v[10:11], v[8:9], v[12:13] op_sel_hi:[1,0,1]
	s_nop 0
	v_mov_b32_e32 v15, v9
	v_pk_add_f32 v[2:3], v[2:3], v[14:15] neg_lo:[0,1] neg_hi:[0,1]
	s_cbranch_scc1 .LBB135_42
	s_branch .LBB135_40
.LBB135_43:
	s_waitcnt lgkmcnt(0)
	; wave barrier
	s_and_saveexec_b64 s[4:5], s[0:1]
	s_cbranch_execz .LBB135_47
; %bb.44:
	s_andn2_b64 vcc, exec, s[8:9]
	s_cbranch_vccnz .LBB135_47
; %bb.45:
	v_mad_i64_i32 v[2:3], s[0:1], s16, v0, 0
	v_mov_b32_e32 v1, 0x80
	v_lshl_add_u64 v[2:3], v[2:3], 3, s[2:3]
	v_lshl_or_b32 v0, v0, 3, v1
.LBB135_46:                             ; =>This Inner Loop Header: Depth=1
	ds_read_b64 v[4:5], v0
	s_add_i32 s22, s22, -1
	v_add_u32_e32 v0, 32, v0
	s_cmp_lg_u32 s22, 0
	s_waitcnt lgkmcnt(0)
	flat_store_dwordx2 v[2:3], v[4:5]
	v_lshl_add_u64 v[2:3], v[2:3], 0, 8
	s_cbranch_scc1 .LBB135_46
.LBB135_47:
	s_endpgm
	.section	.rodata,"a",@progbits
	.p2align	6, 0x0
	.amdhsa_kernel _ZL38rocblas_trsm_small_left_device_sharedBILi4ELi4ELb1E19rocblas_complex_numIfES1_PKPKS1_PKPS1_Ev13rocblas_fill_18rocblas_operation_17rocblas_diagonal_iiT3_T4_lilT5_lili
		.amdhsa_group_segment_fixed_size 256
		.amdhsa_private_segment_fixed_size 0
		.amdhsa_kernarg_size 360
		.amdhsa_user_sgpr_count 2
		.amdhsa_user_sgpr_dispatch_ptr 0
		.amdhsa_user_sgpr_queue_ptr 0
		.amdhsa_user_sgpr_kernarg_segment_ptr 1
		.amdhsa_user_sgpr_dispatch_id 0
		.amdhsa_user_sgpr_kernarg_preload_length 0
		.amdhsa_user_sgpr_kernarg_preload_offset 0
		.amdhsa_user_sgpr_private_segment_size 0
		.amdhsa_uses_dynamic_stack 0
		.amdhsa_enable_private_segment 0
		.amdhsa_system_sgpr_workgroup_id_x 1
		.amdhsa_system_sgpr_workgroup_id_y 0
		.amdhsa_system_sgpr_workgroup_id_z 1
		.amdhsa_system_sgpr_workgroup_info 0
		.amdhsa_system_vgpr_workitem_id 0
		.amdhsa_next_free_vgpr 30
		.amdhsa_next_free_sgpr 28
		.amdhsa_accum_offset 32
		.amdhsa_reserve_vcc 1
		.amdhsa_float_round_mode_32 0
		.amdhsa_float_round_mode_16_64 0
		.amdhsa_float_denorm_mode_32 3
		.amdhsa_float_denorm_mode_16_64 3
		.amdhsa_dx10_clamp 1
		.amdhsa_ieee_mode 1
		.amdhsa_fp16_overflow 0
		.amdhsa_tg_split 0
		.amdhsa_exception_fp_ieee_invalid_op 0
		.amdhsa_exception_fp_denorm_src 0
		.amdhsa_exception_fp_ieee_div_zero 0
		.amdhsa_exception_fp_ieee_overflow 0
		.amdhsa_exception_fp_ieee_underflow 0
		.amdhsa_exception_fp_ieee_inexact 0
		.amdhsa_exception_int_div_zero 0
	.end_amdhsa_kernel
	.section	.text._ZL38rocblas_trsm_small_left_device_sharedBILi4ELi4ELb1E19rocblas_complex_numIfES1_PKPKS1_PKPS1_Ev13rocblas_fill_18rocblas_operation_17rocblas_diagonal_iiT3_T4_lilT5_lili,"axG",@progbits,_ZL38rocblas_trsm_small_left_device_sharedBILi4ELi4ELb1E19rocblas_complex_numIfES1_PKPKS1_PKPS1_Ev13rocblas_fill_18rocblas_operation_17rocblas_diagonal_iiT3_T4_lilT5_lili,comdat
.Lfunc_end135:
	.size	_ZL38rocblas_trsm_small_left_device_sharedBILi4ELi4ELb1E19rocblas_complex_numIfES1_PKPKS1_PKPS1_Ev13rocblas_fill_18rocblas_operation_17rocblas_diagonal_iiT3_T4_lilT5_lili, .Lfunc_end135-_ZL38rocblas_trsm_small_left_device_sharedBILi4ELi4ELb1E19rocblas_complex_numIfES1_PKPKS1_PKPS1_Ev13rocblas_fill_18rocblas_operation_17rocblas_diagonal_iiT3_T4_lilT5_lili
                                        ; -- End function
	.set _ZL38rocblas_trsm_small_left_device_sharedBILi4ELi4ELb1E19rocblas_complex_numIfES1_PKPKS1_PKPS1_Ev13rocblas_fill_18rocblas_operation_17rocblas_diagonal_iiT3_T4_lilT5_lili.num_vgpr, 30
	.set _ZL38rocblas_trsm_small_left_device_sharedBILi4ELi4ELb1E19rocblas_complex_numIfES1_PKPKS1_PKPS1_Ev13rocblas_fill_18rocblas_operation_17rocblas_diagonal_iiT3_T4_lilT5_lili.num_agpr, 0
	.set _ZL38rocblas_trsm_small_left_device_sharedBILi4ELi4ELb1E19rocblas_complex_numIfES1_PKPKS1_PKPS1_Ev13rocblas_fill_18rocblas_operation_17rocblas_diagonal_iiT3_T4_lilT5_lili.numbered_sgpr, 28
	.set _ZL38rocblas_trsm_small_left_device_sharedBILi4ELi4ELb1E19rocblas_complex_numIfES1_PKPKS1_PKPS1_Ev13rocblas_fill_18rocblas_operation_17rocblas_diagonal_iiT3_T4_lilT5_lili.num_named_barrier, 0
	.set _ZL38rocblas_trsm_small_left_device_sharedBILi4ELi4ELb1E19rocblas_complex_numIfES1_PKPKS1_PKPS1_Ev13rocblas_fill_18rocblas_operation_17rocblas_diagonal_iiT3_T4_lilT5_lili.private_seg_size, 0
	.set _ZL38rocblas_trsm_small_left_device_sharedBILi4ELi4ELb1E19rocblas_complex_numIfES1_PKPKS1_PKPS1_Ev13rocblas_fill_18rocblas_operation_17rocblas_diagonal_iiT3_T4_lilT5_lili.uses_vcc, 1
	.set _ZL38rocblas_trsm_small_left_device_sharedBILi4ELi4ELb1E19rocblas_complex_numIfES1_PKPKS1_PKPS1_Ev13rocblas_fill_18rocblas_operation_17rocblas_diagonal_iiT3_T4_lilT5_lili.uses_flat_scratch, 0
	.set _ZL38rocblas_trsm_small_left_device_sharedBILi4ELi4ELb1E19rocblas_complex_numIfES1_PKPKS1_PKPS1_Ev13rocblas_fill_18rocblas_operation_17rocblas_diagonal_iiT3_T4_lilT5_lili.has_dyn_sized_stack, 0
	.set _ZL38rocblas_trsm_small_left_device_sharedBILi4ELi4ELb1E19rocblas_complex_numIfES1_PKPKS1_PKPS1_Ev13rocblas_fill_18rocblas_operation_17rocblas_diagonal_iiT3_T4_lilT5_lili.has_recursion, 0
	.set _ZL38rocblas_trsm_small_left_device_sharedBILi4ELi4ELb1E19rocblas_complex_numIfES1_PKPKS1_PKPS1_Ev13rocblas_fill_18rocblas_operation_17rocblas_diagonal_iiT3_T4_lilT5_lili.has_indirect_call, 0
	.section	.AMDGPU.csdata,"",@progbits
; Kernel info:
; codeLenInByte = 2784
; TotalNumSgprs: 34
; NumVgprs: 30
; NumAgprs: 0
; TotalNumVgprs: 30
; ScratchSize: 0
; MemoryBound: 0
; FloatMode: 240
; IeeeMode: 1
; LDSByteSize: 256 bytes/workgroup (compile time only)
; SGPRBlocks: 4
; VGPRBlocks: 3
; NumSGPRsForWavesPerEU: 34
; NumVGPRsForWavesPerEU: 30
; AccumOffset: 32
; Occupancy: 8
; WaveLimiterHint : 0
; COMPUTE_PGM_RSRC2:SCRATCH_EN: 0
; COMPUTE_PGM_RSRC2:USER_SGPR: 2
; COMPUTE_PGM_RSRC2:TRAP_HANDLER: 0
; COMPUTE_PGM_RSRC2:TGID_X_EN: 1
; COMPUTE_PGM_RSRC2:TGID_Y_EN: 0
; COMPUTE_PGM_RSRC2:TGID_Z_EN: 1
; COMPUTE_PGM_RSRC2:TIDIG_COMP_CNT: 0
; COMPUTE_PGM_RSRC3_GFX90A:ACCUM_OFFSET: 7
; COMPUTE_PGM_RSRC3_GFX90A:TG_SPLIT: 0
	.section	.text._ZL30rocblas_trsm_small_left_deviceILi4ELi4ELb1E19rocblas_complex_numIfES1_PKPKS1_PKPS1_Ev13rocblas_fill_18rocblas_operation_17rocblas_diagonal_iiT3_T4_lilT5_lili,"axG",@progbits,_ZL30rocblas_trsm_small_left_deviceILi4ELi4ELb1E19rocblas_complex_numIfES1_PKPKS1_PKPS1_Ev13rocblas_fill_18rocblas_operation_17rocblas_diagonal_iiT3_T4_lilT5_lili,comdat
	.globl	_ZL30rocblas_trsm_small_left_deviceILi4ELi4ELb1E19rocblas_complex_numIfES1_PKPKS1_PKPS1_Ev13rocblas_fill_18rocblas_operation_17rocblas_diagonal_iiT3_T4_lilT5_lili ; -- Begin function _ZL30rocblas_trsm_small_left_deviceILi4ELi4ELb1E19rocblas_complex_numIfES1_PKPKS1_PKPS1_Ev13rocblas_fill_18rocblas_operation_17rocblas_diagonal_iiT3_T4_lilT5_lili
	.p2align	8
	.type	_ZL30rocblas_trsm_small_left_deviceILi4ELi4ELb1E19rocblas_complex_numIfES1_PKPKS1_PKPS1_Ev13rocblas_fill_18rocblas_operation_17rocblas_diagonal_iiT3_T4_lilT5_lili,@function
_ZL30rocblas_trsm_small_left_deviceILi4ELi4ELb1E19rocblas_complex_numIfES1_PKPKS1_PKPS1_Ev13rocblas_fill_18rocblas_operation_17rocblas_diagonal_iiT3_T4_lilT5_lili: ; @_ZL30rocblas_trsm_small_left_deviceILi4ELi4ELb1E19rocblas_complex_numIfES1_PKPKS1_PKPS1_Ev13rocblas_fill_18rocblas_operation_17rocblas_diagonal_iiT3_T4_lilT5_lili
; %bb.0:
	s_load_dwordx4 s[12:15], s[2:3], 0x40
	s_load_dwordx4 s[8:11], s[2:3], 0x4
	s_load_dwordx2 s[6:7], s[2:3], 0x14
	s_mov_b32 s16, s5
	s_mov_b32 s17, 0
	s_lshl_b64 s[20:21], s[16:17], 3
	s_waitcnt lgkmcnt(0)
	s_add_u32 s12, s12, s20
	s_addc_u32 s13, s13, s21
	s_load_dword s5, s[2:3], 0x68
	v_and_b32_e32 v1, 0x3ff, v0
	s_load_dwordx2 s[12:13], s[12:13], 0x0
	s_min_i32 s30, s10, 4
	v_cmp_gt_i32_e32 vcc, s30, v1
	s_and_saveexec_b64 s[16:17], vcc
	s_cbranch_execz .LBB136_15
; %bb.1:
	s_load_dword s22, s[2:3], 0x30
	s_load_dwordx4 s[24:27], s[2:3], 0x20
	v_lshlrev_b32_e32 v2, 3, v1
	v_mov_b32_e32 v3, 0
	v_mov_b32_e32 v8, v2
	s_waitcnt lgkmcnt(0)
	s_ashr_i32 s23, s22, 31
	s_cmpk_lg_i32 s8, 0x71
	s_cselect_b64 s[18:19], -1, 0
	s_add_u32 s20, s24, s20
	s_addc_u32 s21, s25, s21
	s_load_dwordx2 s[20:21], s[20:21], 0x0
	s_lshl_b64 s[24:25], s[26:27], 3
	s_mov_b32 s10, s30
	s_waitcnt lgkmcnt(0)
	s_add_u32 s24, s20, s24
	s_addc_u32 s25, s21, s25
	s_lshl_b64 s[20:21], s[22:23], 3
	v_lshl_add_u64 v[4:5], s[24:25], 0, v[2:3]
	s_branch .LBB136_3
.LBB136_2:                              ;   in Loop: Header=BB136_3 Depth=1
	flat_load_dword v6, v[4:5]
	s_add_i32 s10, s10, -1
	v_lshl_add_u64 v[4:5], v[4:5], 0, s[20:21]
	s_cmp_eq_u32 s10, 0
	s_waitcnt vmcnt(0) lgkmcnt(0)
	ds_write_b64 v8, v[6:7]
	v_add_u32_e32 v8, 32, v8
	s_cbranch_scc1 .LBB136_7
.LBB136_3:                              ; =>This Inner Loop Header: Depth=1
	s_mov_b64 s[22:23], -1
	s_and_b64 vcc, exec, s[18:19]
                                        ; implicit-def: $vgpr7
	s_cbranch_vccz .LBB136_5
; %bb.4:                                ;   in Loop: Header=BB136_3 Depth=1
	flat_load_dword v7, v[4:5] offset:4
	s_mov_b64 s[22:23], 0
.LBB136_5:                              ;   in Loop: Header=BB136_3 Depth=1
	s_andn2_b64 vcc, exec, s[22:23]
	s_cbranch_vccnz .LBB136_2
; %bb.6:                                ;   in Loop: Header=BB136_3 Depth=1
	flat_load_dword v3, v[4:5] offset:4
	s_waitcnt vmcnt(0) lgkmcnt(0)
	v_xor_b32_e32 v7, 0x80000000, v3
	s_branch .LBB136_2
.LBB136_7:
	s_cmpk_lg_i32 s9, 0x84
	v_lshlrev_b32_e32 v3, 5, v1
	s_mov_b64 s[18:19], -1
	s_cbranch_scc0 .LBB136_13
; %bb.8:
	v_add_u32_e32 v8, v2, v3
	ds_read_b64 v[4:5], v8
                                        ; implicit-def: $vgpr6_vgpr7
	s_waitcnt lgkmcnt(0)
	v_cmp_ngt_f32_e64 s[18:19], |v4|, |v5|
	s_and_saveexec_b64 s[20:21], s[18:19]
	s_xor_b64 s[18:19], exec, s[20:21]
	s_cbranch_execz .LBB136_10
; %bb.9:
	v_div_scale_f32 v6, s[20:21], v5, v5, v4
	v_rcp_f32_e32 v7, v6
	v_div_scale_f32 v9, vcc, v4, v5, v4
	v_fma_f32 v10, -v6, v7, 1.0
	v_fmac_f32_e32 v7, v10, v7
	v_mul_f32_e32 v10, v9, v7
	v_fma_f32 v11, -v6, v10, v9
	v_fmac_f32_e32 v10, v11, v7
	v_fma_f32 v6, -v6, v10, v9
	v_div_fmas_f32 v6, v6, v7, v10
	v_div_fixup_f32 v6, v6, v5, v4
	v_fmac_f32_e32 v5, v4, v6
	v_div_scale_f32 v4, s[20:21], v5, v5, 1.0
	v_rcp_f32_e32 v7, v4
	s_mov_b32 s20, 0
	s_mov_b32 s21, -1.0
	v_fma_f32 v9, -v4, v7, 1.0
	v_fmac_f32_e32 v7, v9, v7
	v_div_scale_f32 v9, vcc, 1.0, v5, 1.0
	v_mul_f32_e32 v10, v9, v7
	v_fma_f32 v11, -v4, v10, v9
	v_fmac_f32_e32 v10, v11, v7
	v_fma_f32 v4, -v4, v10, v9
	v_div_fmas_f32 v4, v4, v7, v10
	v_mul_f32_e32 v7, 0, v6
	v_div_fixup_f32 v4, v4, v5, 1.0
	v_pk_add_f32 v[6:7], v[6:7], s[20:21]
	s_nop 0
	v_pk_mul_f32 v[6:7], v[6:7], v[4:5] op_sel_hi:[1,0]
                                        ; implicit-def: $vgpr4_vgpr5
.LBB136_10:
	s_andn2_saveexec_b64 s[18:19], s[18:19]
	s_cbranch_execz .LBB136_12
; %bb.11:
	v_div_scale_f32 v6, s[20:21], v4, v4, v5
	v_rcp_f32_e32 v7, v6
	v_div_scale_f32 v9, vcc, v5, v4, v5
	v_fma_f32 v10, -v6, v7, 1.0
	v_fmac_f32_e32 v7, v10, v7
	v_mul_f32_e32 v10, v9, v7
	v_fma_f32 v11, -v6, v10, v9
	v_fmac_f32_e32 v10, v11, v7
	v_fma_f32 v6, -v6, v10, v9
	v_div_fmas_f32 v6, v6, v7, v10
	v_div_fixup_f32 v7, v6, v4, v5
	v_fmac_f32_e32 v4, v5, v7
	v_div_scale_f32 v5, s[20:21], v4, v4, 1.0
	v_rcp_f32_e32 v6, v5
	s_nop 0
	v_fma_f32 v9, -v5, v6, 1.0
	v_fmac_f32_e32 v6, v9, v6
	v_div_scale_f32 v9, vcc, 1.0, v4, 1.0
	v_mul_f32_e32 v10, v9, v6
	v_fma_f32 v11, -v5, v10, v9
	v_fmac_f32_e32 v10, v11, v6
	v_fma_f32 v5, -v5, v10, v9
	v_div_fmas_f32 v5, v5, v6, v10
	v_div_fixup_f32 v4, v5, v4, 1.0
	v_mul_f32_e32 v5, 0, v7
	v_add_f32_e32 v6, 1.0, v5
	v_sub_f32_e32 v7, 0, v7
	v_pk_mul_f32 v[6:7], v[6:7], v[4:5] op_sel_hi:[1,0]
.LBB136_12:
	s_or_b64 exec, exec, s[18:19]
	s_mov_b64 s[18:19], 0
	ds_write_b64 v8, v[6:7]
.LBB136_13:
	s_and_b64 vcc, exec, s[18:19]
	s_cbranch_vccz .LBB136_15
; %bb.14:
	v_add_u32_e32 v2, v2, v3
	v_mov_b32_e32 v4, 1.0
	v_mov_b32_e32 v5, 0
	ds_write_b64 v2, v[4:5]
.LBB136_15:
	s_or_b64 exec, exec, s[16:17]
	s_waitcnt lgkmcnt(0)
	s_add_i32 s9, s5, -1
	s_lshl_b32 s5, s4, 2
	s_sub_i32 s10, s11, s5
	s_cmp_ge_u32 s4, s9
	s_cselect_b32 s4, s10, 4
	v_cmp_gt_i32_e32 vcc, s4, v1
	; wave barrier
	s_and_saveexec_b64 s[10:11], vcc
	s_cbranch_execz .LBB136_83
; %bb.16:
	s_load_dwordx2 s[10:11], s[0:1], 0x4
	s_load_dword s4, s[2:3], 0x50
	v_bfe_u32 v2, v0, 10, 10
	v_bfe_u32 v0, v0, 20, 10
	s_lshl_b64 s[2:3], s[14:15], 3
	s_waitcnt lgkmcnt(0)
	s_lshr_b32 s0, s10, 16
	s_mul_i32 s0, s0, s11
	v_mul_u32_u24_e32 v2, s11, v2
	v_mul_u32_u24_e32 v3, s0, v1
	v_add3_u32 v15, v3, v2, v0
	s_add_u32 s0, s12, s2
	v_add_u32_e32 v0, s5, v1
	v_mov_b32_e32 v6, 0x80
	s_addc_u32 s1, s13, s3
	v_mad_i64_i32 v[2:3], s[4:5], s4, v0, 0
	v_lshl_add_u32 v14, v15, 5, v6
	v_lshl_add_u64 v[0:1], v[2:3], 3, s[0:1]
	s_cmpk_eq_i32 s8, 0x6f
	s_mov_b64 s[0:1], -1
	s_cbranch_scc1 .LBB136_50
; %bb.17:
	s_add_i32 s31, s30, -1
	s_add_u32 s0, s12, s2
	s_addc_u32 s1, s13, s3
	s_lshl_b32 s33, s30, 3
	s_mov_b32 s15, 0
	s_mov_b32 s4, s6
	s_mov_b32 s5, s6
	s_mov_b32 s8, s7
	s_mov_b32 s9, s7
	s_mov_b32 s10, s7
	s_mov_b32 s11, s6
	v_lshl_add_u64 v[4:5], v[2:3], 3, s[0:1]
	v_lshl_add_u32 v16, v15, 5, v6
	s_add_i32 s33, s33, -8
	s_mov_b32 s16, s15
	s_mov_b32 s18, s31
	s_branch .LBB136_19
.LBB136_18:                             ;   in Loop: Header=BB136_19 Depth=1
	s_cmp_lt_i32 s18, 0
	s_cselect_b64 s[0:1], -1, 0
	s_add_i32 s16, s16, 1
	s_cmp_eq_u32 s16, 3
	s_cselect_b64 s[20:21], -1, 0
	s_or_b64 s[0:1], s[0:1], s[20:21]
	s_andn2_b64 vcc, exec, s[0:1]
	s_cbranch_vccz .LBB136_49
.LBB136_19:                             ; =>This Loop Header: Depth=1
                                        ;     Child Loop BB136_22 Depth 2
                                        ;       Child Loop BB136_24 Depth 3
                                        ;       Child Loop BB136_28 Depth 3
	;; [unrolled: 1-line block ×3, first 2 shown]
                                        ;         Child Loop BB136_34 Depth 4
                                        ;         Child Loop BB136_40 Depth 4
                                        ;       Child Loop BB136_43 Depth 3
                                        ;         Child Loop BB136_45 Depth 4
	s_mov_b32 s17, s15
	s_lshl_b64 s[0:1], s[16:17], 2
	s_getpc_b64 s[20:21]
	s_add_u32 s20, s20, __const._ZL30rocblas_trsm_small_left_deviceILi4ELi4ELb1E19rocblas_complex_numIfES1_PKPKS1_PKPS1_Ev13rocblas_fill_18rocblas_operation_17rocblas_diagonal_iiT3_T4_lilT5_lili.step_sizes@rel32@lo+4
	s_addc_u32 s21, s21, __const._ZL30rocblas_trsm_small_left_deviceILi4ELi4ELb1E19rocblas_complex_numIfES1_PKPKS1_PKPS1_Ev13rocblas_fill_18rocblas_operation_17rocblas_diagonal_iiT3_T4_lilT5_lili.step_sizes@rel32@hi+12
	s_add_u32 s0, s20, s0
	s_addc_u32 s1, s21, s1
	s_load_dword s17, s[0:1], 0x0
	s_waitcnt lgkmcnt(0)
	s_add_i32 s34, s17, -1
	s_cmp_lt_i32 s18, s34
	s_cbranch_scc1 .LBB136_18
; %bb.20:                               ;   in Loop: Header=BB136_19 Depth=1
	s_max_i32 s35, s17, 1
	s_add_i32 s0, s16, -1
	s_cmp_gt_u32 s0, 1
	s_cselect_b64 s[20:21], -1, 0
	s_and_b32 s36, s35, 0x7ffffffe
	s_cmp_lg_u32 s35, s36
	s_cselect_b64 s[22:23], -1, 0
	s_lshl_b32 s0, s18, 5
	s_add_i32 s37, s33, s0
	s_lshl_b32 s0, s17, 5
	v_cndmask_b32_e64 v6, 0, 1, s[20:21]
	s_sub_i32 s38, 0, s0
	s_mul_i32 s39, s18, 40
	s_mul_i32 s40, s17, 0xffffffd8
	v_cmp_ne_u32_e64 s[0:1], 1, v6
	s_branch .LBB136_22
.LBB136_21:                             ;   in Loop: Header=BB136_22 Depth=2
	s_sub_i32 s18, s18, s17
	s_add_i32 s37, s37, s38
	s_add_i32 s39, s39, s40
	s_cmp_lt_i32 s18, s34
	s_cbranch_scc1 .LBB136_18
.LBB136_22:                             ;   Parent Loop BB136_19 Depth=1
                                        ; =>  This Loop Header: Depth=2
                                        ;       Child Loop BB136_24 Depth 3
                                        ;       Child Loop BB136_28 Depth 3
	;; [unrolled: 1-line block ×3, first 2 shown]
                                        ;         Child Loop BB136_34 Depth 4
                                        ;         Child Loop BB136_40 Depth 4
                                        ;       Child Loop BB136_43 Depth 3
                                        ;         Child Loop BB136_45 Depth 4
	s_and_b64 vcc, exec, s[0:1]
	s_cbranch_vccnz .LBB136_26
; %bb.23:                               ;   in Loop: Header=BB136_22 Depth=2
	s_mov_b32 s19, s18
	s_mov_b32 s26, 1
	;; [unrolled: 1-line block ×4, first 2 shown]
	v_mov_b32_e32 v6, v14
.LBB136_24:                             ;   Parent Loop BB136_19 Depth=1
                                        ;     Parent Loop BB136_22 Depth=2
                                        ; =>    This Inner Loop Header: Depth=3
	s_sub_i32 s24, s18, s27
	s_sub_i32 s42, s19, s26
	s_ashr_i32 s25, s24, 31
	s_ashr_i32 s43, s42, 31
	v_lshl_add_u64 v[8:9], s[24:25], 3, v[0:1]
	v_lshl_add_u64 v[10:11], s[42:43], 3, v[0:1]
	flat_load_dwordx2 v[18:19], v[8:9]
	flat_load_dwordx2 v[12:13], v[10:11]
	s_add_i32 s27, s27, 2
	s_add_i32 s26, s26, 2
	s_add_i32 s28, s28, -2
	s_mov_b32 s14, s36
	s_mov_b64 s[24:25], s[22:23]
	s_cmp_lg_u32 s28, 0
	s_waitcnt vmcnt(0) lgkmcnt(0)
	v_mov_b32_e32 v8, v18
	v_mov_b32_e32 v9, v12
	;; [unrolled: 1-line block ×3, first 2 shown]
	v_pk_mul_f32 v[10:11], v[12:13], s[8:9]
	v_pk_mul_f32 v[12:13], v[12:13], s[4:5]
	v_pk_fma_f32 v[18:19], v[8:9], s[4:5], v[10:11] neg_lo:[0,0,1] neg_hi:[0,0,1]
	v_pk_fma_f32 v[10:11], v[8:9], s[8:9], v[12:13]
	v_mov_b32_e32 v8, v18
	v_mov_b32_e32 v9, v10
	;; [unrolled: 1-line block ×3, first 2 shown]
	ds_write_b128 v6, v[8:11]
	v_add_u32_e32 v6, 16, v6
	s_cbranch_scc1 .LBB136_24
; %bb.25:                               ;   in Loop: Header=BB136_22 Depth=2
	s_ashr_i32 s19, s18, 31
	s_and_b64 vcc, exec, s[24:25]
	s_cbranch_vccnz .LBB136_27
	s_branch .LBB136_29
.LBB136_26:                             ;   in Loop: Header=BB136_22 Depth=2
	s_mov_b32 s14, 0
	s_ashr_i32 s19, s18, 31
	s_cbranch_execz .LBB136_29
.LBB136_27:                             ;   in Loop: Header=BB136_22 Depth=2
	s_lshl_b64 s[26:27], s[18:19], 3
	s_sub_i32 s24, s35, s14
	s_lshl_b64 s[28:29], s[14:15], 3
	s_sub_u32 s26, s26, s28
	s_subb_u32 s27, s27, s29
	v_lshl_add_u64 v[6:7], v[4:5], 0, s[26:27]
	v_lshl_add_u32 v8, s14, 3, v16
.LBB136_28:                             ;   Parent Loop BB136_19 Depth=1
                                        ;     Parent Loop BB136_22 Depth=2
                                        ; =>    This Inner Loop Header: Depth=3
	flat_load_dwordx2 v[10:11], v[6:7]
	s_add_i32 s24, s24, -1
	v_lshl_add_u64 v[6:7], v[6:7], 0, -8
	s_cmp_eq_u32 s24, 0
	s_waitcnt vmcnt(0) lgkmcnt(0)
	v_pk_mul_f32 v[12:13], v[10:11], s[10:11] op_sel:[1,0]
	s_nop 0
	v_pk_fma_f32 v[18:19], v[10:11], s[6:7], v[12:13] neg_lo:[0,0,1] neg_hi:[0,0,1]
	v_pk_fma_f32 v[10:11], v[10:11], s[6:7], v[12:13] op_sel_hi:[0,1,1]
	v_mov_b32_e32 v19, v11
	ds_write_b64 v8, v[18:19]
	v_add_u32_e32 v8, 8, v8
	s_cbranch_scc0 .LBB136_28
.LBB136_29:                             ;   in Loop: Header=BB136_22 Depth=2
	s_cmp_le_i32 s31, s18
	s_cbranch_scc1 .LBB136_41
; %bb.30:                               ;   in Loop: Header=BB136_22 Depth=2
	s_mov_b32 s14, s18
	s_mov_b32 s41, s18
	;; [unrolled: 1-line block ×4, first 2 shown]
	s_branch .LBB136_32
.LBB136_31:                             ;   in Loop: Header=BB136_32 Depth=3
	s_add_i32 s24, s24, -1
	s_add_i32 s42, s42, -8
	s_cmp_le_i32 s24, s18
	s_cbranch_scc1 .LBB136_41
.LBB136_32:                             ;   Parent Loop BB136_19 Depth=1
                                        ;     Parent Loop BB136_22 Depth=2
                                        ; =>    This Loop Header: Depth=3
                                        ;         Child Loop BB136_34 Depth 4
                                        ;         Child Loop BB136_40 Depth 4
	s_ashr_i32 s25, s24, 31
	v_lshl_add_u64 v[6:7], s[24:25], 3, v[0:1]
	flat_load_dwordx2 v[6:7], v[6:7]
	s_and_b64 vcc, exec, s[20:21]
	s_cbranch_vccz .LBB136_36
; %bb.33:                               ;   in Loop: Header=BB136_32 Depth=3
	s_lshl_b32 s25, s24, 3
	s_waitcnt vmcnt(0) lgkmcnt(0)
	v_mov_b32_e32 v10, v6
	v_mov_b32_e32 v11, v6
	;; [unrolled: 1-line block ×5, first 2 shown]
	s_mov_b32 s26, 1
	s_mov_b32 s27, 0
	;; [unrolled: 1-line block ×3, first 2 shown]
	v_mov_b32_e32 v9, v14
.LBB136_34:                             ;   Parent Loop BB136_19 Depth=1
                                        ;     Parent Loop BB136_22 Depth=2
                                        ;       Parent Loop BB136_32 Depth=3
                                        ; =>      This Inner Loop Header: Depth=4
	s_sub_i32 s29, s14, s27
	s_sub_i32 s43, s41, s26
	s_lshl_b32 s43, s43, 5
	s_lshl_b32 s29, s29, 5
	s_add_i32 s29, s25, s29
	s_add_i32 s43, s25, s43
	v_mov_b32_e32 v17, s29
	v_mov_b32_e32 v22, s43
	ds_read_b128 v[18:21], v9
	ds_read_b64 v[26:27], v17
	ds_read_b64 v[22:23], v22
	s_add_i32 s27, s27, 2
	s_add_i32 s26, s26, 2
	s_add_i32 s28, s28, -2
	s_waitcnt lgkmcnt(2)
	v_mov_b32_e32 v25, v20
	v_mov_b32_e32 v20, v19
	s_waitcnt lgkmcnt(0)
	v_mov_b32_e32 v19, v22
	v_mov_b32_e32 v22, v27
	;; [unrolled: 1-line block ×4, first 2 shown]
	v_pk_mul_f32 v[26:27], v[22:23], v[12:13]
	v_pk_mul_f32 v[22:23], v[22:23], v[10:11]
	v_pk_fma_f32 v[26:27], v[18:19], v[10:11], v[26:27] neg_lo:[0,0,1] neg_hi:[0,0,1]
	v_pk_fma_f32 v[18:19], v[18:19], v[12:13], v[22:23]
	v_pk_add_f32 v[22:23], v[24:25], v[26:27] neg_lo:[0,1] neg_hi:[0,1]
	v_pk_add_f32 v[20:21], v[20:21], v[18:19] neg_lo:[0,1] neg_hi:[0,1]
	v_mov_b32_e32 v18, v22
	v_mov_b32_e32 v19, v20
	;; [unrolled: 1-line block ×3, first 2 shown]
	s_cmp_lg_u32 s28, 0
	ds_write_b128 v9, v[18:21]
	v_add_u32_e32 v9, 16, v9
	s_cbranch_scc1 .LBB136_34
; %bb.35:                               ;   in Loop: Header=BB136_32 Depth=3
	s_mov_b64 s[26:27], s[22:23]
	s_mov_b32 s28, s36
	s_branch .LBB136_38
.LBB136_36:                             ;   in Loop: Header=BB136_32 Depth=3
	s_waitcnt vmcnt(0) lgkmcnt(0)
	v_mov_b32_e32 v8, v7
	s_mov_b64 s[26:27], 0
	s_mov_b32 s28, s36
	s_cbranch_execz .LBB136_38
; %bb.37:                               ;   in Loop: Header=BB136_32 Depth=3
	s_mov_b64 s[26:27], -1
	s_mov_b32 s28, 0
.LBB136_38:                             ;   in Loop: Header=BB136_32 Depth=3
	s_andn2_b64 vcc, exec, s[26:27]
	s_cbranch_vccnz .LBB136_31
; %bb.39:                               ;   in Loop: Header=BB136_32 Depth=3
	s_lshl_b32 s26, s28, 5
	v_mov_b32_e32 v9, v7
	v_mov_b32_e32 v7, v6
	s_sub_i32 s25, s35, s28
	s_sub_i32 s26, s42, s26
	v_lshl_add_u32 v10, s28, 3, v16
.LBB136_40:                             ;   Parent Loop BB136_19 Depth=1
                                        ;     Parent Loop BB136_22 Depth=2
                                        ;       Parent Loop BB136_32 Depth=3
                                        ; =>      This Inner Loop Header: Depth=4
	v_mov_b32_e32 v11, s26
	ds_read_b64 v[18:19], v11
	ds_read_b64 v[12:13], v10
	s_add_i32 s25, s25, -1
	s_sub_i32 s26, s26, 32
	s_cmp_eq_u32 s25, 0
	s_waitcnt lgkmcnt(1)
	v_pk_mul_f32 v[20:21], v[18:19], v[8:9] op_sel:[1,0] op_sel_hi:[0,1]
	v_pk_fma_f32 v[22:23], v[18:19], v[6:7], v[20:21] neg_lo:[0,0,1] neg_hi:[0,0,1]
	v_pk_fma_f32 v[18:19], v[18:19], v[6:7], v[20:21]
	s_nop 0
	v_mov_b32_e32 v23, v19
	s_waitcnt lgkmcnt(0)
	v_pk_add_f32 v[12:13], v[12:13], v[22:23] neg_lo:[0,1] neg_hi:[0,1]
	ds_write_b64 v10, v[12:13]
	v_add_u32_e32 v10, 8, v10
	s_cbranch_scc0 .LBB136_40
	s_branch .LBB136_31
.LBB136_41:                             ;   in Loop: Header=BB136_22 Depth=2
	s_mov_b32 s14, 0
	s_mov_b32 s41, s39
	s_branch .LBB136_43
.LBB136_42:                             ;   in Loop: Header=BB136_43 Depth=3
	s_mul_i32 s26, s26, 40
	v_mov_b32_e32 v7, s26
	ds_read_b64 v[10:11], v7
	s_add_i32 s14, s14, 1
	s_sub_i32 s41, s41, 32
	v_lshl_add_u64 v[12:13], s[24:25], 3, v[0:1]
	s_cmp_eq_u32 s14, s35
	s_waitcnt lgkmcnt(0)
	v_pk_mul_f32 v[18:19], v[10:11], v[8:9] op_sel:[1,0] op_sel_hi:[0,0]
	v_pk_fma_f32 v[20:21], v[10:11], v[6:7], v[18:19] neg_lo:[0,0,1] neg_hi:[0,0,1]
	v_pk_fma_f32 v[6:7], v[10:11], v[6:7], v[18:19] op_sel_hi:[1,0,1]
	s_nop 0
	v_mov_b32_e32 v21, v7
	ds_write_b64 v9, v[20:21]
	flat_store_dwordx2 v[12:13], v[20:21]
	s_cbranch_scc1 .LBB136_21
.LBB136_43:                             ;   Parent Loop BB136_19 Depth=1
                                        ;     Parent Loop BB136_22 Depth=2
                                        ; =>    This Loop Header: Depth=3
                                        ;         Child Loop BB136_45 Depth 4
	s_cmp_lg_u32 s14, 0
	v_lshl_add_u32 v9, s14, 3, v14
	s_cbranch_scc0 .LBB136_47
; %bb.44:                               ;   in Loop: Header=BB136_43 Depth=3
	ds_read_b64 v[6:7], v9
	v_mov_b32_e32 v8, v14
	s_mov_b32 s24, s41
	s_mov_b32 s25, s14
.LBB136_45:                             ;   Parent Loop BB136_19 Depth=1
                                        ;     Parent Loop BB136_22 Depth=2
                                        ;       Parent Loop BB136_43 Depth=3
                                        ; =>      This Inner Loop Header: Depth=4
	v_mov_b32_e32 v12, s24
	ds_read_b64 v[10:11], v8
	ds_read_b64 v[12:13], v12
	s_add_i32 s25, s25, -1
	s_add_i32 s24, s24, -8
	v_add_u32_e32 v8, 8, v8
	s_cmp_eq_u32 s25, 0
	s_waitcnt lgkmcnt(0)
	v_pk_mul_f32 v[18:19], v[12:13], v[10:11] op_sel:[1,1] op_sel_hi:[0,1]
	v_pk_fma_f32 v[20:21], v[12:13], v[10:11], v[18:19] neg_lo:[0,0,1] neg_hi:[0,0,1]
	v_pk_fma_f32 v[10:11], v[12:13], v[10:11], v[18:19] op_sel_hi:[1,0,1]
	s_nop 0
	v_mov_b32_e32 v21, v11
	v_pk_add_f32 v[6:7], v[6:7], v[20:21] neg_lo:[0,1] neg_hi:[0,1]
	ds_write_b64 v9, v[6:7]
	s_cbranch_scc0 .LBB136_45
; %bb.46:                               ;   in Loop: Header=BB136_43 Depth=3
	s_sub_i32 s26, s18, s14
	s_ashr_i32 s27, s26, 31
	v_mov_b32_e32 v8, v7
	s_mov_b64 s[24:25], s[26:27]
	s_branch .LBB136_42
.LBB136_47:                             ;   in Loop: Header=BB136_43 Depth=3
                                        ; implicit-def: $vgpr6
                                        ; implicit-def: $vgpr8
                                        ; implicit-def: $sgpr26
                                        ; implicit-def: $sgpr24_sgpr25
	s_cbranch_execz .LBB136_42
; %bb.48:                               ;   in Loop: Header=BB136_43 Depth=3
	ds_read_b64 v[6:7], v14
	s_mov_b64 s[24:25], s[18:19]
	s_mov_b32 s26, s18
	s_waitcnt lgkmcnt(0)
	v_mov_b32_e32 v8, v7
	s_branch .LBB136_42
.LBB136_49:
	s_mov_b64 s[0:1], 0
.LBB136_50:
	s_and_b64 vcc, exec, s[0:1]
	s_cbranch_vccz .LBB136_83
; %bb.51:
	s_add_u32 s0, s12, s2
	s_addc_u32 s1, s13, s3
	v_mov_b32_e32 v4, 0x80
	s_mov_b32 s3, 0
	s_mov_b32 s4, s6
	;; [unrolled: 1-line block ×7, first 2 shown]
	v_lshl_add_u64 v[2:3], v[2:3], 3, s[0:1]
	v_lshl_add_u32 v12, v15, 5, v4
	s_mov_b32 s22, s3
	s_mov_b32 s12, s3
	s_branch .LBB136_53
.LBB136_52:                             ;   in Loop: Header=BB136_53 Depth=1
	s_cmp_ge_i32 s22, s30
	s_cselect_b64 s[0:1], -1, 0
	s_add_i32 s12, s12, 1
	s_cmp_eq_u32 s12, 3
	s_cselect_b64 s[14:15], -1, 0
	s_or_b64 s[0:1], s[0:1], s[14:15]
	s_and_b64 vcc, exec, s[0:1]
	s_cbranch_vccnz .LBB136_83
.LBB136_53:                             ; =>This Loop Header: Depth=1
                                        ;     Child Loop BB136_56 Depth 2
                                        ;       Child Loop BB136_58 Depth 3
                                        ;       Child Loop BB136_62 Depth 3
                                        ;       Child Loop BB136_66 Depth 3
                                        ;         Child Loop BB136_68 Depth 4
                                        ;         Child Loop BB136_74 Depth 4
                                        ;       Child Loop BB136_77 Depth 3
                                        ;         Child Loop BB136_79 Depth 4
	s_mov_b32 s13, s3
	s_lshl_b64 s[0:1], s[12:13], 2
	s_getpc_b64 s[14:15]
	s_add_u32 s14, s14, __const._ZL30rocblas_trsm_small_left_deviceILi4ELi4ELb1E19rocblas_complex_numIfES1_PKPKS1_PKPS1_Ev13rocblas_fill_18rocblas_operation_17rocblas_diagonal_iiT3_T4_lilT5_lili.step_sizes@rel32@lo+4
	s_addc_u32 s15, s15, __const._ZL30rocblas_trsm_small_left_deviceILi4ELi4ELb1E19rocblas_complex_numIfES1_PKPKS1_PKPS1_Ev13rocblas_fill_18rocblas_operation_17rocblas_diagonal_iiT3_T4_lilT5_lili.step_sizes@rel32@hi+12
	s_add_u32 s0, s14, s0
	s_addc_u32 s1, s15, s1
	s_load_dword s13, s[0:1], 0x0
	s_waitcnt lgkmcnt(0)
	s_add_i32 s23, s13, -1
	s_add_i32 s0, s23, s22
	s_cmp_ge_i32 s0, s30
	s_cbranch_scc1 .LBB136_52
; %bb.54:                               ;   in Loop: Header=BB136_53 Depth=1
	s_max_i32 s24, s13, 1
	s_add_i32 s0, s12, -1
	s_cmp_gt_u32 s0, 1
	s_cselect_b64 s[14:15], -1, 0
	s_and_b32 s25, s24, 0x7ffffffe
	s_cmp_lg_u32 s24, s25
	v_cndmask_b32_e64 v4, 0, 1, s[14:15]
	s_cselect_b64 s[16:17], -1, 0
	s_ashr_i32 s26, s22, 31
	s_ashr_i32 s27, s13, 31
	s_lshl_b32 s28, s22, 3
	s_lshl_b32 s29, s13, 3
	s_mul_i32 s31, s22, 40
	s_mul_i32 s33, s13, 40
	v_cmp_ne_u32_e64 s[0:1], 1, v4
	s_branch .LBB136_56
.LBB136_55:                             ;   in Loop: Header=BB136_56 Depth=2
	s_add_u32 s22, s22, s13
	s_addc_u32 s26, s26, s27
	s_add_i32 s2, s23, s22
	s_add_i32 s28, s28, s29
	;; [unrolled: 1-line block ×3, first 2 shown]
	s_cmp_ge_i32 s2, s30
	s_cbranch_scc1 .LBB136_52
.LBB136_56:                             ;   Parent Loop BB136_53 Depth=1
                                        ; =>  This Loop Header: Depth=2
                                        ;       Child Loop BB136_58 Depth 3
                                        ;       Child Loop BB136_62 Depth 3
	;; [unrolled: 1-line block ×3, first 2 shown]
                                        ;         Child Loop BB136_68 Depth 4
                                        ;         Child Loop BB136_74 Depth 4
                                        ;       Child Loop BB136_77 Depth 3
                                        ;         Child Loop BB136_79 Depth 4
	s_and_b64 vcc, exec, s[0:1]
	s_cbranch_vccnz .LBB136_60
; %bb.57:                               ;   in Loop: Header=BB136_56 Depth=2
	s_mov_b32 s2, s22
	s_mov_b32 s20, s22
	s_mov_b32 s21, 1
	s_mov_b32 s34, 0
	s_mov_b32 s35, s25
	v_mov_b32_e32 v4, v14
.LBB136_58:                             ;   Parent Loop BB136_53 Depth=1
                                        ;     Parent Loop BB136_56 Depth=2
                                        ; =>    This Inner Loop Header: Depth=3
	s_add_i32 s18, s34, s2
	s_add_i32 s36, s21, s20
	s_ashr_i32 s19, s18, 31
	s_ashr_i32 s37, s36, 31
	v_lshl_add_u64 v[6:7], s[18:19], 3, v[0:1]
	v_lshl_add_u64 v[8:9], s[36:37], 3, v[0:1]
	flat_load_dwordx2 v[16:17], v[6:7]
	flat_load_dwordx2 v[10:11], v[8:9]
	s_add_i32 s34, s34, 2
	s_add_i32 s21, s21, 2
	s_add_i32 s35, s35, -2
	s_mov_b32 s36, s25
	s_mov_b64 s[18:19], s[16:17]
	s_cmp_lg_u32 s35, 0
	s_waitcnt vmcnt(0) lgkmcnt(0)
	v_mov_b32_e32 v6, v16
	v_mov_b32_e32 v7, v10
	;; [unrolled: 1-line block ×3, first 2 shown]
	v_pk_mul_f32 v[8:9], v[10:11], s[8:9]
	v_pk_mul_f32 v[10:11], v[10:11], s[4:5]
	v_pk_fma_f32 v[16:17], v[6:7], s[4:5], v[8:9] neg_lo:[0,0,1] neg_hi:[0,0,1]
	v_pk_fma_f32 v[8:9], v[6:7], s[8:9], v[10:11]
	v_mov_b32_e32 v6, v16
	v_mov_b32_e32 v7, v8
	;; [unrolled: 1-line block ×3, first 2 shown]
	ds_write_b128 v4, v[6:9]
	v_add_u32_e32 v4, 16, v4
	s_cbranch_scc1 .LBB136_58
; %bb.59:                               ;   in Loop: Header=BB136_56 Depth=2
	s_and_b64 vcc, exec, s[18:19]
	s_cbranch_vccnz .LBB136_61
	s_branch .LBB136_63
.LBB136_60:                             ;   in Loop: Header=BB136_56 Depth=2
	s_mov_b32 s36, 0
	s_cbranch_execz .LBB136_63
.LBB136_61:                             ;   in Loop: Header=BB136_56 Depth=2
	s_sub_i32 s2, s24, s36
	s_add_u32 s18, s22, s36
	s_addc_u32 s19, s26, 0
	v_lshl_add_u64 v[4:5], s[18:19], 3, v[2:3]
	v_lshl_add_u32 v6, s36, 3, v12
.LBB136_62:                             ;   Parent Loop BB136_53 Depth=1
                                        ;     Parent Loop BB136_56 Depth=2
                                        ; =>    This Inner Loop Header: Depth=3
	flat_load_dwordx2 v[8:9], v[4:5]
	s_add_i32 s2, s2, -1
	v_lshl_add_u64 v[4:5], v[4:5], 0, 8
	s_cmp_eq_u32 s2, 0
	s_waitcnt vmcnt(0) lgkmcnt(0)
	v_pk_mul_f32 v[10:11], v[8:9], s[10:11] op_sel:[1,0]
	s_nop 0
	v_pk_fma_f32 v[16:17], v[8:9], s[6:7], v[10:11] neg_lo:[0,0,1] neg_hi:[0,0,1]
	v_pk_fma_f32 v[8:9], v[8:9], s[6:7], v[10:11] op_sel_hi:[0,1,1]
	v_mov_b32_e32 v17, v9
	ds_write_b64 v6, v[16:17]
	v_add_u32_e32 v6, 8, v6
	s_cbranch_scc0 .LBB136_62
.LBB136_63:                             ;   in Loop: Header=BB136_56 Depth=2
	s_cmp_lt_i32 s22, 1
	s_cbranch_scc1 .LBB136_75
; %bb.64:                               ;   in Loop: Header=BB136_56 Depth=2
	s_mov_b32 s2, 0
	s_mov_b32 s34, s28
	s_branch .LBB136_66
.LBB136_65:                             ;   in Loop: Header=BB136_66 Depth=3
	s_add_i32 s2, s2, 1
	s_add_i32 s34, s34, 32
	s_cmp_eq_u32 s2, s22
	s_cbranch_scc1 .LBB136_75
.LBB136_66:                             ;   Parent Loop BB136_53 Depth=1
                                        ;     Parent Loop BB136_56 Depth=2
                                        ; =>    This Loop Header: Depth=3
                                        ;         Child Loop BB136_68 Depth 4
                                        ;         Child Loop BB136_74 Depth 4
	v_lshl_add_u64 v[4:5], s[2:3], 3, v[0:1]
	flat_load_dwordx2 v[4:5], v[4:5]
	s_and_b64 vcc, exec, s[14:15]
	s_cbranch_vccz .LBB136_70
; %bb.67:                               ;   in Loop: Header=BB136_66 Depth=3
	s_waitcnt vmcnt(0) lgkmcnt(0)
	v_mov_b32_e32 v8, v4
	v_mov_b32_e32 v9, v4
	;; [unrolled: 1-line block ×5, first 2 shown]
	s_mov_b32 s18, s25
	v_mov_b32_e32 v7, v14
	s_mov_b32 s19, s34
.LBB136_68:                             ;   Parent Loop BB136_53 Depth=1
                                        ;     Parent Loop BB136_56 Depth=2
                                        ;       Parent Loop BB136_66 Depth=3
                                        ; =>      This Inner Loop Header: Depth=4
	v_mov_b32_e32 v13, s19
	ds_read_b128 v[16:19], v7
	ds_read2_b64 v[20:23], v13 offset1:1
	s_add_i32 s19, s19, 16
	s_add_i32 s18, s18, -2
	s_cmp_lg_u32 s18, 0
	s_waitcnt lgkmcnt(1)
	v_mov_b32_e32 v25, v18
	v_mov_b32_e32 v18, v17
	s_waitcnt lgkmcnt(0)
	v_mov_b32_e32 v17, v22
	v_mov_b32_e32 v22, v21
	;; [unrolled: 1-line block ×4, first 2 shown]
	v_pk_mul_f32 v[20:21], v[22:23], v[10:11]
	v_pk_mul_f32 v[22:23], v[22:23], v[8:9]
	v_pk_fma_f32 v[20:21], v[16:17], v[8:9], v[20:21] neg_lo:[0,0,1] neg_hi:[0,0,1]
	v_pk_fma_f32 v[16:17], v[16:17], v[10:11], v[22:23]
	v_pk_add_f32 v[20:21], v[24:25], v[20:21] neg_lo:[0,1] neg_hi:[0,1]
	v_pk_add_f32 v[18:19], v[18:19], v[16:17] neg_lo:[0,1] neg_hi:[0,1]
	v_mov_b32_e32 v16, v20
	v_mov_b32_e32 v17, v18
	;; [unrolled: 1-line block ×3, first 2 shown]
	ds_write_b128 v7, v[16:19]
	v_add_u32_e32 v7, 16, v7
	s_cbranch_scc1 .LBB136_68
; %bb.69:                               ;   in Loop: Header=BB136_66 Depth=3
	s_mov_b64 s[18:19], s[16:17]
	s_mov_b32 s20, s25
	s_branch .LBB136_72
.LBB136_70:                             ;   in Loop: Header=BB136_66 Depth=3
	s_waitcnt vmcnt(0) lgkmcnt(0)
	v_mov_b32_e32 v6, v5
	s_mov_b64 s[18:19], 0
	s_mov_b32 s20, s25
	s_cbranch_execz .LBB136_72
; %bb.71:                               ;   in Loop: Header=BB136_66 Depth=3
	s_mov_b64 s[18:19], -1
	s_mov_b32 s20, 0
.LBB136_72:                             ;   in Loop: Header=BB136_66 Depth=3
	s_andn2_b64 vcc, exec, s[18:19]
	s_cbranch_vccnz .LBB136_65
; %bb.73:                               ;   in Loop: Header=BB136_66 Depth=3
	v_mov_b32_e32 v7, v5
	v_mov_b32_e32 v5, v4
	s_sub_i32 s18, s24, s20
	s_lshl_b32 s19, s20, 3
.LBB136_74:                             ;   Parent Loop BB136_53 Depth=1
                                        ;     Parent Loop BB136_56 Depth=2
                                        ;       Parent Loop BB136_66 Depth=3
                                        ; =>      This Inner Loop Header: Depth=4
	s_add_i32 s20, s34, s19
	v_mov_b32_e32 v8, s20
	ds_read_b64 v[8:9], v8
	v_add_u32_e32 v13, s19, v14
	ds_read_b64 v[10:11], v13
	s_add_i32 s18, s18, -1
	s_add_i32 s19, s19, 8
	s_waitcnt lgkmcnt(1)
	v_pk_mul_f32 v[16:17], v[8:9], v[6:7] op_sel:[1,0] op_sel_hi:[0,1]
	v_pk_fma_f32 v[18:19], v[8:9], v[4:5], v[16:17] neg_lo:[0,0,1] neg_hi:[0,0,1]
	v_pk_fma_f32 v[8:9], v[8:9], v[4:5], v[16:17]
	s_cmp_eq_u32 s18, 0
	v_mov_b32_e32 v19, v9
	s_waitcnt lgkmcnt(0)
	v_pk_add_f32 v[8:9], v[10:11], v[18:19] neg_lo:[0,1] neg_hi:[0,1]
	ds_write_b64 v13, v[8:9]
	s_cbranch_scc0 .LBB136_74
	s_branch .LBB136_65
.LBB136_75:                             ;   in Loop: Header=BB136_56 Depth=2
	s_mov_b32 s2, 0
	s_mov_b32 s20, s31
	s_branch .LBB136_77
.LBB136_76:                             ;   in Loop: Header=BB136_77 Depth=3
	s_add_i32 s18, s2, s22
	s_mul_i32 s19, s18, 40
	v_mov_b32_e32 v5, s19
	ds_read_b64 v[8:9], v5
	s_add_i32 s2, s2, 1
	s_ashr_i32 s19, s18, 31
	s_add_i32 s20, s20, 8
	v_lshl_add_u64 v[10:11], s[18:19], 3, v[0:1]
	s_waitcnt lgkmcnt(0)
	v_pk_mul_f32 v[16:17], v[8:9], v[6:7] op_sel:[1,0] op_sel_hi:[0,0]
	v_pk_fma_f32 v[18:19], v[8:9], v[4:5], v[16:17] neg_lo:[0,0,1] neg_hi:[0,0,1]
	v_pk_fma_f32 v[4:5], v[8:9], v[4:5], v[16:17] op_sel_hi:[1,0,1]
	s_cmp_eq_u32 s2, s24
	v_mov_b32_e32 v19, v5
	ds_write_b64 v7, v[18:19]
	flat_store_dwordx2 v[10:11], v[18:19]
	s_cbranch_scc1 .LBB136_55
.LBB136_77:                             ;   Parent Loop BB136_53 Depth=1
                                        ;     Parent Loop BB136_56 Depth=2
                                        ; =>    This Loop Header: Depth=3
                                        ;         Child Loop BB136_79 Depth 4
	s_cmp_lg_u32 s2, 0
	v_lshl_add_u32 v7, s2, 3, v14
	s_cbranch_scc0 .LBB136_81
; %bb.78:                               ;   in Loop: Header=BB136_77 Depth=3
	ds_read_b64 v[4:5], v7
	v_mov_b32_e32 v6, v14
	s_mov_b32 s18, s20
	s_mov_b32 s19, s2
.LBB136_79:                             ;   Parent Loop BB136_53 Depth=1
                                        ;     Parent Loop BB136_56 Depth=2
                                        ;       Parent Loop BB136_77 Depth=3
                                        ; =>      This Inner Loop Header: Depth=4
	v_mov_b32_e32 v10, s18
	ds_read_b64 v[8:9], v6
	ds_read_b64 v[10:11], v10
	s_add_i32 s19, s19, -1
	s_add_i32 s18, s18, 32
	v_add_u32_e32 v6, 8, v6
	s_cmp_eq_u32 s19, 0
	s_waitcnt lgkmcnt(0)
	v_pk_mul_f32 v[16:17], v[10:11], v[8:9] op_sel:[1,1] op_sel_hi:[0,1]
	v_pk_fma_f32 v[18:19], v[10:11], v[8:9], v[16:17] neg_lo:[0,0,1] neg_hi:[0,0,1]
	v_pk_fma_f32 v[8:9], v[10:11], v[8:9], v[16:17] op_sel_hi:[1,0,1]
	s_nop 0
	v_mov_b32_e32 v19, v9
	v_pk_add_f32 v[4:5], v[4:5], v[18:19] neg_lo:[0,1] neg_hi:[0,1]
	ds_write_b64 v7, v[4:5]
	s_cbranch_scc0 .LBB136_79
; %bb.80:                               ;   in Loop: Header=BB136_77 Depth=3
	v_mov_b32_e32 v6, v5
	s_branch .LBB136_76
.LBB136_81:                             ;   in Loop: Header=BB136_77 Depth=3
                                        ; implicit-def: $vgpr4
                                        ; implicit-def: $vgpr6
	s_cbranch_execz .LBB136_76
; %bb.82:                               ;   in Loop: Header=BB136_77 Depth=3
	ds_read_b64 v[4:5], v14
	s_waitcnt lgkmcnt(0)
	v_mov_b32_e32 v6, v5
	s_branch .LBB136_76
.LBB136_83:
	s_endpgm
	.section	.rodata,"a",@progbits
	.p2align	6, 0x0
	.amdhsa_kernel _ZL30rocblas_trsm_small_left_deviceILi4ELi4ELb1E19rocblas_complex_numIfES1_PKPKS1_PKPS1_Ev13rocblas_fill_18rocblas_operation_17rocblas_diagonal_iiT3_T4_lilT5_lili
		.amdhsa_group_segment_fixed_size 256
		.amdhsa_private_segment_fixed_size 0
		.amdhsa_kernarg_size 360
		.amdhsa_user_sgpr_count 4
		.amdhsa_user_sgpr_dispatch_ptr 1
		.amdhsa_user_sgpr_queue_ptr 0
		.amdhsa_user_sgpr_kernarg_segment_ptr 1
		.amdhsa_user_sgpr_dispatch_id 0
		.amdhsa_user_sgpr_kernarg_preload_length 0
		.amdhsa_user_sgpr_kernarg_preload_offset 0
		.amdhsa_user_sgpr_private_segment_size 0
		.amdhsa_uses_dynamic_stack 0
		.amdhsa_enable_private_segment 0
		.amdhsa_system_sgpr_workgroup_id_x 1
		.amdhsa_system_sgpr_workgroup_id_y 0
		.amdhsa_system_sgpr_workgroup_id_z 1
		.amdhsa_system_sgpr_workgroup_info 0
		.amdhsa_system_vgpr_workitem_id 2
		.amdhsa_next_free_vgpr 28
		.amdhsa_next_free_sgpr 44
		.amdhsa_accum_offset 28
		.amdhsa_reserve_vcc 1
		.amdhsa_float_round_mode_32 0
		.amdhsa_float_round_mode_16_64 0
		.amdhsa_float_denorm_mode_32 3
		.amdhsa_float_denorm_mode_16_64 3
		.amdhsa_dx10_clamp 1
		.amdhsa_ieee_mode 1
		.amdhsa_fp16_overflow 0
		.amdhsa_tg_split 0
		.amdhsa_exception_fp_ieee_invalid_op 0
		.amdhsa_exception_fp_denorm_src 0
		.amdhsa_exception_fp_ieee_div_zero 0
		.amdhsa_exception_fp_ieee_overflow 0
		.amdhsa_exception_fp_ieee_underflow 0
		.amdhsa_exception_fp_ieee_inexact 0
		.amdhsa_exception_int_div_zero 0
	.end_amdhsa_kernel
	.section	.text._ZL30rocblas_trsm_small_left_deviceILi4ELi4ELb1E19rocblas_complex_numIfES1_PKPKS1_PKPS1_Ev13rocblas_fill_18rocblas_operation_17rocblas_diagonal_iiT3_T4_lilT5_lili,"axG",@progbits,_ZL30rocblas_trsm_small_left_deviceILi4ELi4ELb1E19rocblas_complex_numIfES1_PKPKS1_PKPS1_Ev13rocblas_fill_18rocblas_operation_17rocblas_diagonal_iiT3_T4_lilT5_lili,comdat
.Lfunc_end136:
	.size	_ZL30rocblas_trsm_small_left_deviceILi4ELi4ELb1E19rocblas_complex_numIfES1_PKPKS1_PKPS1_Ev13rocblas_fill_18rocblas_operation_17rocblas_diagonal_iiT3_T4_lilT5_lili, .Lfunc_end136-_ZL30rocblas_trsm_small_left_deviceILi4ELi4ELb1E19rocblas_complex_numIfES1_PKPKS1_PKPS1_Ev13rocblas_fill_18rocblas_operation_17rocblas_diagonal_iiT3_T4_lilT5_lili
                                        ; -- End function
	.set _ZL30rocblas_trsm_small_left_deviceILi4ELi4ELb1E19rocblas_complex_numIfES1_PKPKS1_PKPS1_Ev13rocblas_fill_18rocblas_operation_17rocblas_diagonal_iiT3_T4_lilT5_lili.num_vgpr, 28
	.set _ZL30rocblas_trsm_small_left_deviceILi4ELi4ELb1E19rocblas_complex_numIfES1_PKPKS1_PKPS1_Ev13rocblas_fill_18rocblas_operation_17rocblas_diagonal_iiT3_T4_lilT5_lili.num_agpr, 0
	.set _ZL30rocblas_trsm_small_left_deviceILi4ELi4ELb1E19rocblas_complex_numIfES1_PKPKS1_PKPS1_Ev13rocblas_fill_18rocblas_operation_17rocblas_diagonal_iiT3_T4_lilT5_lili.numbered_sgpr, 44
	.set _ZL30rocblas_trsm_small_left_deviceILi4ELi4ELb1E19rocblas_complex_numIfES1_PKPKS1_PKPS1_Ev13rocblas_fill_18rocblas_operation_17rocblas_diagonal_iiT3_T4_lilT5_lili.num_named_barrier, 0
	.set _ZL30rocblas_trsm_small_left_deviceILi4ELi4ELb1E19rocblas_complex_numIfES1_PKPKS1_PKPS1_Ev13rocblas_fill_18rocblas_operation_17rocblas_diagonal_iiT3_T4_lilT5_lili.private_seg_size, 0
	.set _ZL30rocblas_trsm_small_left_deviceILi4ELi4ELb1E19rocblas_complex_numIfES1_PKPKS1_PKPS1_Ev13rocblas_fill_18rocblas_operation_17rocblas_diagonal_iiT3_T4_lilT5_lili.uses_vcc, 1
	.set _ZL30rocblas_trsm_small_left_deviceILi4ELi4ELb1E19rocblas_complex_numIfES1_PKPKS1_PKPS1_Ev13rocblas_fill_18rocblas_operation_17rocblas_diagonal_iiT3_T4_lilT5_lili.uses_flat_scratch, 0
	.set _ZL30rocblas_trsm_small_left_deviceILi4ELi4ELb1E19rocblas_complex_numIfES1_PKPKS1_PKPS1_Ev13rocblas_fill_18rocblas_operation_17rocblas_diagonal_iiT3_T4_lilT5_lili.has_dyn_sized_stack, 0
	.set _ZL30rocblas_trsm_small_left_deviceILi4ELi4ELb1E19rocblas_complex_numIfES1_PKPKS1_PKPS1_Ev13rocblas_fill_18rocblas_operation_17rocblas_diagonal_iiT3_T4_lilT5_lili.has_recursion, 0
	.set _ZL30rocblas_trsm_small_left_deviceILi4ELi4ELb1E19rocblas_complex_numIfES1_PKPKS1_PKPS1_Ev13rocblas_fill_18rocblas_operation_17rocblas_diagonal_iiT3_T4_lilT5_lili.has_indirect_call, 0
	.section	.AMDGPU.csdata,"",@progbits
; Kernel info:
; codeLenInByte = 3500
; TotalNumSgprs: 50
; NumVgprs: 28
; NumAgprs: 0
; TotalNumVgprs: 28
; ScratchSize: 0
; MemoryBound: 0
; FloatMode: 240
; IeeeMode: 1
; LDSByteSize: 256 bytes/workgroup (compile time only)
; SGPRBlocks: 6
; VGPRBlocks: 3
; NumSGPRsForWavesPerEU: 50
; NumVGPRsForWavesPerEU: 28
; AccumOffset: 28
; Occupancy: 8
; WaveLimiterHint : 1
; COMPUTE_PGM_RSRC2:SCRATCH_EN: 0
; COMPUTE_PGM_RSRC2:USER_SGPR: 4
; COMPUTE_PGM_RSRC2:TRAP_HANDLER: 0
; COMPUTE_PGM_RSRC2:TGID_X_EN: 1
; COMPUTE_PGM_RSRC2:TGID_Y_EN: 0
; COMPUTE_PGM_RSRC2:TGID_Z_EN: 1
; COMPUTE_PGM_RSRC2:TIDIG_COMP_CNT: 2
; COMPUTE_PGM_RSRC3_GFX90A:ACCUM_OFFSET: 6
; COMPUTE_PGM_RSRC3_GFX90A:TG_SPLIT: 0
	.section	.text._ZL31rocblas_trsm_small_right_deviceI19rocblas_complex_numIfES1_PKPKS1_PKPS1_Li4EEv13rocblas_fill_18rocblas_operation_17rocblas_diagonal_iiT0_T1_lilT2_lili,"axG",@progbits,_ZL31rocblas_trsm_small_right_deviceI19rocblas_complex_numIfES1_PKPKS1_PKPS1_Li4EEv13rocblas_fill_18rocblas_operation_17rocblas_diagonal_iiT0_T1_lilT2_lili,comdat
	.globl	_ZL31rocblas_trsm_small_right_deviceI19rocblas_complex_numIfES1_PKPKS1_PKPS1_Li4EEv13rocblas_fill_18rocblas_operation_17rocblas_diagonal_iiT0_T1_lilT2_lili ; -- Begin function _ZL31rocblas_trsm_small_right_deviceI19rocblas_complex_numIfES1_PKPKS1_PKPS1_Li4EEv13rocblas_fill_18rocblas_operation_17rocblas_diagonal_iiT0_T1_lilT2_lili
	.p2align	8
	.type	_ZL31rocblas_trsm_small_right_deviceI19rocblas_complex_numIfES1_PKPKS1_PKPS1_Li4EEv13rocblas_fill_18rocblas_operation_17rocblas_diagonal_iiT0_T1_lilT2_lili,@function
_ZL31rocblas_trsm_small_right_deviceI19rocblas_complex_numIfES1_PKPKS1_PKPS1_Li4EEv13rocblas_fill_18rocblas_operation_17rocblas_diagonal_iiT0_T1_lilT2_lili: ; @_ZL31rocblas_trsm_small_right_deviceI19rocblas_complex_numIfES1_PKPKS1_PKPS1_Li4EEv13rocblas_fill_18rocblas_operation_17rocblas_diagonal_iiT0_T1_lilT2_lili
; %bb.0:
	s_load_dwordx4 s[12:15], s[0:1], 0x40
	s_load_dwordx8 s[4:11], s[0:1], 0x0
	s_mov_b32 s16, s3
	s_mov_b32 s17, 0
	s_lshl_b64 s[20:21], s[16:17], 3
	s_waitcnt lgkmcnt(0)
	s_add_u32 s12, s12, s20
	s_addc_u32 s13, s13, s21
	s_load_dwordx2 s[12:13], s[12:13], 0x0
	s_min_i32 s28, s8, 4
	v_cmp_gt_i32_e32 vcc, s28, v0
	s_and_saveexec_b64 s[16:17], vcc
	s_cbranch_execz .LBB137_9
; %bb.1:
	s_load_dword s22, s[0:1], 0x30
	s_load_dwordx4 s[24:27], s[0:1], 0x20
	v_lshlrev_b32_e32 v2, 3, v0
	v_mov_b32_e32 v3, 0
	v_mov_b32_e32 v1, v2
	s_waitcnt lgkmcnt(0)
	s_ashr_i32 s23, s22, 31
	s_cmpk_lg_i32 s5, 0x71
	s_cselect_b64 s[18:19], -1, 0
	s_add_u32 s20, s24, s20
	s_addc_u32 s21, s25, s21
	s_load_dwordx2 s[20:21], s[20:21], 0x0
	s_lshl_b64 s[24:25], s[26:27], 3
	s_mov_b32 s3, s28
	s_waitcnt lgkmcnt(0)
	s_add_u32 s24, s20, s24
	s_addc_u32 s25, s21, s25
	s_lshl_b64 s[20:21], s[22:23], 3
	v_lshl_add_u64 v[4:5], s[24:25], 0, v[2:3]
	s_branch .LBB137_3
.LBB137_2:                              ;   in Loop: Header=BB137_3 Depth=1
	flat_load_dword v6, v[4:5]
	s_add_i32 s3, s3, -1
	v_lshl_add_u64 v[4:5], v[4:5], 0, s[20:21]
	s_cmp_eq_u32 s3, 0
	s_waitcnt vmcnt(0) lgkmcnt(0)
	ds_write_b64 v1, v[6:7]
	v_add_u32_e32 v1, 32, v1
	s_cbranch_scc1 .LBB137_7
.LBB137_3:                              ; =>This Inner Loop Header: Depth=1
	s_mov_b64 s[22:23], -1
	s_and_b64 vcc, exec, s[18:19]
                                        ; implicit-def: $vgpr7
	s_cbranch_vccz .LBB137_5
; %bb.4:                                ;   in Loop: Header=BB137_3 Depth=1
	flat_load_dword v7, v[4:5] offset:4
	s_mov_b64 s[22:23], 0
.LBB137_5:                              ;   in Loop: Header=BB137_3 Depth=1
	s_andn2_b64 vcc, exec, s[22:23]
	s_cbranch_vccnz .LBB137_2
; %bb.6:                                ;   in Loop: Header=BB137_3 Depth=1
	flat_load_dword v3, v[4:5] offset:4
	s_waitcnt vmcnt(0) lgkmcnt(0)
	v_xor_b32_e32 v7, 0x80000000, v3
	s_branch .LBB137_2
.LBB137_7:
	s_cmpk_eq_i32 s6, 0x84
	s_cbranch_scc0 .LBB137_9
; %bb.8:
	v_lshl_or_b32 v1, v0, 5, v2
	v_mov_b32_e32 v2, 1.0
	v_mov_b32_e32 v3, 0
	ds_write_b64 v1, v[2:3]
.LBB137_9:
	s_or_b64 exec, exec, s[16:17]
	s_load_dword s3, s[0:1], 0x68
	s_load_dword s6, s[0:1], 0x50
	s_lshl_b64 s[18:19], s[14:15], 3
	s_waitcnt lgkmcnt(0)
	s_add_u32 s0, s12, s18
	s_addc_u32 s1, s13, s19
	s_lshl_b32 s11, s2, 2
	s_add_i32 s3, s3, -1
	s_sub_i32 s7, s7, s11
	s_cmp_ge_u32 s2, s3
	s_cselect_b32 s7, s7, 4
	s_ashr_i32 s3, s2, 31
	s_lshl_b64 s[20:21], s[2:3], 5
	s_add_u32 s2, s0, s20
	s_addc_u32 s3, s1, s21
	v_cmp_gt_i32_e64 s[0:1], s7, v0
	s_and_saveexec_b64 s[14:15], s[0:1]
	s_cbranch_execz .LBB137_18
; %bb.10:
	s_cmp_lt_i32 s8, 1
	s_cbranch_scc1 .LBB137_18
; %bb.11:
	s_cmp_eq_u32 s8, 1
	s_cselect_b64 s[22:23], -1, 0
	s_cmp_lg_u32 s6, 1
	s_cselect_b64 s[24:25], -1, 0
	s_or_b64 s[22:23], s[22:23], s[24:25]
	s_mov_b32 s16, s9
	s_mov_b32 s17, s10
	v_mov_b32_e32 v3, 0
	s_and_b64 vcc, exec, s[22:23]
	s_cbranch_vccnz .LBB137_15
; %bb.12:
	v_lshlrev_b32_e32 v2, 3, v0
	v_mov_b32_e32 v1, 0x80
	s_and_b32 s29, s8, 0x7ffffffe
	s_mov_b32 s27, 0
	v_lshl_add_u64 v[2:3], s[2:3], 0, v[2:3]
	v_lshl_or_b32 v1, v0, 3, v1
	s_mov_b32 s22, s16
	s_mov_b32 s23, s9
	;; [unrolled: 1-line block ×6, first 2 shown]
.LBB137_13:                             ; =>This Inner Loop Header: Depth=1
	v_lshl_add_u64 v[4:5], s[26:27], 3, v[2:3]
	s_mov_b32 s25, s27
	v_lshl_add_u64 v[6:7], s[24:25], 3, v[2:3]
	flat_load_dwordx2 v[12:13], v[4:5]
	flat_load_dwordx2 v[8:9], v[6:7]
	v_lshl_add_u32 v10, s26, 5, v1
	v_lshl_add_u32 v11, s24, 5, v1
	s_add_i32 s26, s26, 2
	s_add_i32 s7, s7, -2
	s_add_i32 s24, s24, 2
	s_cmp_lg_u32 s7, 0
	s_waitcnt vmcnt(0) lgkmcnt(0)
	v_mov_b32_e32 v4, v12
	v_mov_b32_e32 v5, v8
	;; [unrolled: 1-line block ×3, first 2 shown]
	v_pk_mul_f32 v[6:7], s[10:11], v[8:9]
	v_pk_mul_f32 v[8:9], s[22:23], v[8:9]
	v_pk_fma_f32 v[6:7], s[22:23], v[4:5], v[6:7] neg_lo:[0,0,1] neg_hi:[0,0,1]
	v_pk_fma_f32 v[4:5], s[10:11], v[4:5], v[8:9]
	ds_write_b32 v10, v6
	ds_write_b32 v11, v7
	ds_write_b32 v10, v4 offset:4
	ds_write_b32 v11, v5 offset:4
	s_cbranch_scc1 .LBB137_13
; %bb.14:
	s_cmp_lg_u32 s8, s29
	s_cselect_b64 s[22:23], -1, 0
	s_and_b64 vcc, exec, s[22:23]
	s_cbranch_vccnz .LBB137_16
	s_branch .LBB137_18
.LBB137_15:
	s_mov_b32 s29, 0
	s_cbranch_execz .LBB137_18
.LBB137_16:
	s_mul_hi_i32 s23, s6, s29
	s_mul_i32 s22, s6, s29
	s_ashr_i32 s7, s6, 31
	s_mov_b32 s11, s9
	s_sub_i32 s9, s8, s29
	s_lshl_b64 s[22:23], s[22:23], 3
	s_add_u32 s20, s22, s20
	s_addc_u32 s21, s23, s21
	s_add_u32 s18, s20, s18
	s_addc_u32 s19, s21, s19
	v_lshlrev_b32_e32 v4, 3, v0
	s_add_u32 s12, s12, s18
	v_mov_b32_e32 v5, 0
	s_addc_u32 s13, s13, s19
	v_lshl_or_b32 v1, s29, 5, v4
	v_lshl_add_u64 v[2:3], s[12:13], 0, v[4:5]
	s_lshl_b64 s[12:13], s[6:7], 3
	v_add_u32_e32 v1, 0x80, v1
.LBB137_17:                             ; =>This Inner Loop Header: Depth=1
	flat_load_dwordx2 v[4:5], v[2:3]
	s_add_i32 s9, s9, -1
	v_lshl_add_u64 v[2:3], v[2:3], 0, s[12:13]
	s_cmp_lg_u32 s9, 0
	s_waitcnt vmcnt(0) lgkmcnt(0)
	v_pk_mul_f32 v[6:7], s[10:11], v[4:5] op_sel:[0,1]
	s_nop 0
	v_pk_fma_f32 v[8:9], s[16:17], v[4:5], v[6:7] neg_lo:[0,0,1] neg_hi:[0,0,1]
	v_pk_fma_f32 v[4:5], s[16:17], v[4:5], v[6:7] op_sel_hi:[1,0,1]
	s_nop 0
	v_mov_b32_e32 v9, v5
	ds_write_b64 v1, v[8:9]
	v_add_u32_e32 v1, 32, v1
	s_cbranch_scc1 .LBB137_17
.LBB137_18:
	s_or_b64 exec, exec, s[14:15]
	s_cmpk_eq_i32 s5, 0x6f
	s_cselect_b64 s[12:13], -1, 0
	s_cmpk_lg_i32 s4, 0x79
	s_cselect_b64 s[10:11], -1, 0
	s_cmpk_eq_i32 s4, 0x79
	s_cselect_b64 s[14:15], -1, 0
	s_and_b64 s[14:15], s[14:15], s[12:13]
	s_andn2_b64 vcc, exec, s[14:15]
	s_mov_b64 s[14:15], -1
	s_waitcnt lgkmcnt(0)
	; wave barrier
	s_cbranch_vccz .LBB137_115
; %bb.19:
	s_cmpk_lg_i32 s4, 0x7a
	s_cselect_b64 s[4:5], -1, 0
	s_xor_b64 s[12:13], s[12:13], -1
	s_add_i32 s7, s28, -1
	s_or_b64 s[12:13], s[4:5], s[12:13]
	v_mov_b32_e32 v1, 0x80
	s_cmp_gt_i32 s8, 3
	v_lshl_or_b32 v1, v0, 3, v1
	s_cselect_b64 s[4:5], -1, 0
	s_and_b64 vcc, exec, s[12:13]
	s_cbranch_vccz .LBB137_86
; %bb.20:
	s_andn2_b64 vcc, exec, s[10:11]
	s_mov_b64 s[10:11], -1
	s_cbranch_vccnz .LBB137_53
; %bb.21:
	s_andn2_b64 vcc, exec, s[4:5]
	s_mov_b32 s9, 0
	s_cbranch_vccnz .LBB137_43
; %bb.22:
	v_mov_b32_e32 v2, 0
	ds_read_b64 v[10:11], v2
	ds_read2_b64 v[6:9], v1 offset1:4
	ds_read2_b64 v[2:5], v1 offset0:8 offset1:12
	s_waitcnt lgkmcnt(2)
	v_cmp_ngt_f32_e64 s[10:11], |v10|, |v11|
	s_and_b64 vcc, exec, s[10:11]
	s_cbranch_vccz .LBB137_24
; %bb.23:
	v_div_scale_f32 v12, s[10:11], v11, v11, v10
	v_rcp_f32_e32 v13, v12
	v_div_scale_f32 v14, vcc, v10, v11, v10
	v_fma_f32 v15, -v12, v13, 1.0
	v_fmac_f32_e32 v13, v15, v13
	v_mul_f32_e32 v15, v14, v13
	v_fma_f32 v16, -v12, v15, v14
	v_fmac_f32_e32 v15, v16, v13
	v_fma_f32 v12, -v12, v15, v14
	v_div_fmas_f32 v12, v12, v13, v15
	v_div_fixup_f32 v12, v12, v11, v10
	v_fma_f32 v13, v10, v12, v11
	v_div_scale_f32 v14, s[10:11], v13, v13, 1.0
	v_rcp_f32_e32 v15, v14
	s_mov_b64 s[10:11], 0
	v_fma_f32 v16, -v14, v15, 1.0
	v_fmac_f32_e32 v15, v16, v15
	v_div_scale_f32 v16, vcc, 1.0, v13, 1.0
	v_mul_f32_e32 v17, v16, v15
	v_fma_f32 v18, -v14, v17, v16
	v_fmac_f32_e32 v17, v18, v15
	v_fma_f32 v14, -v14, v17, v16
	v_div_fmas_f32 v14, v14, v15, v17
	v_div_fixup_f32 v13, v14, v13, 1.0
	s_waitcnt lgkmcnt(1)
	v_fma_f32 v14, v6, v12, v7
	v_fma_f32 v12, v7, v12, -v6
	v_mul_f32_e32 v14, v14, v13
	v_mul_f32_e32 v15, v12, v13
	s_branch .LBB137_25
.LBB137_24:
	s_mov_b64 s[10:11], -1
                                        ; implicit-def: $vgpr15
.LBB137_25:
	s_andn2_b64 vcc, exec, s[10:11]
	s_cbranch_vccnz .LBB137_27
; %bb.26:
	v_div_scale_f32 v12, s[10:11], v10, v10, v11
	v_rcp_f32_e32 v13, v12
	v_div_scale_f32 v14, vcc, v11, v10, v11
	v_fma_f32 v15, -v12, v13, 1.0
	v_fmac_f32_e32 v13, v15, v13
	v_mul_f32_e32 v15, v14, v13
	v_fma_f32 v16, -v12, v15, v14
	v_fmac_f32_e32 v15, v16, v13
	v_fma_f32 v12, -v12, v15, v14
	v_div_fmas_f32 v12, v12, v13, v15
	v_div_fixup_f32 v12, v12, v10, v11
	v_fmac_f32_e32 v10, v11, v12
	v_div_scale_f32 v11, s[10:11], v10, v10, 1.0
	v_rcp_f32_e32 v13, v11
	s_nop 0
	v_fma_f32 v14, -v11, v13, 1.0
	v_fmac_f32_e32 v13, v14, v13
	v_div_scale_f32 v14, vcc, 1.0, v10, 1.0
	v_mul_f32_e32 v15, v14, v13
	v_fma_f32 v16, -v11, v15, v14
	v_fmac_f32_e32 v15, v16, v13
	v_fma_f32 v11, -v11, v15, v14
	v_div_fmas_f32 v11, v11, v13, v15
	v_div_fixup_f32 v10, v11, v10, 1.0
	s_waitcnt lgkmcnt(1)
	v_fma_f32 v11, v7, v12, v6
	v_fma_f32 v6, -v6, v12, v7
	v_mul_f32_e32 v14, v11, v10
	v_mul_f32_e32 v15, v6, v10
.LBB137_27:
	s_waitcnt lgkmcnt(1)
	v_mov_b32_e32 v6, 0
	ds_read2_b64 v[10:13], v6 offset0:1 offset1:5
	ds_write_b64 v1, v[14:15]
	s_waitcnt lgkmcnt(1)
	v_mul_f32_e32 v6, v15, v11
	v_mul_f32_e32 v7, v14, v11
	v_fma_f32 v6, v14, v10, -v6
	v_fmac_f32_e32 v7, v15, v10
	v_cmp_ngt_f32_e64 s[10:11], |v12|, |v13|
	v_sub_f32_e32 v8, v8, v6
	v_sub_f32_e32 v9, v9, v7
	s_and_b64 vcc, exec, s[10:11]
	s_cbranch_vccz .LBB137_29
; %bb.28:
	v_div_scale_f32 v6, s[10:11], v13, v13, v12
	v_rcp_f32_e32 v7, v6
	v_div_scale_f32 v10, vcc, v12, v13, v12
	v_fma_f32 v11, -v6, v7, 1.0
	v_fmac_f32_e32 v7, v11, v7
	v_mul_f32_e32 v11, v10, v7
	v_fma_f32 v16, -v6, v11, v10
	v_fmac_f32_e32 v11, v16, v7
	v_fma_f32 v6, -v6, v11, v10
	v_div_fmas_f32 v6, v6, v7, v11
	v_div_fixup_f32 v7, v6, v13, v12
	v_fma_f32 v6, v12, v7, v13
	v_div_scale_f32 v10, s[10:11], v6, v6, 1.0
	v_rcp_f32_e32 v11, v10
	s_mov_b64 s[10:11], 0
	v_fma_f32 v16, -v10, v11, 1.0
	v_fmac_f32_e32 v11, v16, v11
	v_div_scale_f32 v16, vcc, 1.0, v6, 1.0
	v_mul_f32_e32 v17, v16, v11
	v_fma_f32 v18, -v10, v17, v16
	v_fmac_f32_e32 v17, v18, v11
	v_fma_f32 v10, -v10, v17, v16
	v_div_fmas_f32 v10, v10, v11, v17
	v_div_fixup_f32 v10, v10, v6, 1.0
	v_fma_f32 v6, v7, v8, v9
	v_fma_f32 v7, v7, v9, -v8
	v_mul_f32_e32 v6, v6, v10
	v_mul_f32_e32 v7, v7, v10
	s_branch .LBB137_30
.LBB137_29:
	s_mov_b64 s[10:11], -1
                                        ; implicit-def: $vgpr7
.LBB137_30:
	s_andn2_b64 vcc, exec, s[10:11]
	s_cbranch_vccnz .LBB137_32
; %bb.31:
	v_div_scale_f32 v6, s[10:11], v12, v12, v13
	v_rcp_f32_e32 v7, v6
	v_div_scale_f32 v10, vcc, v13, v12, v13
	v_fma_f32 v11, -v6, v7, 1.0
	v_fmac_f32_e32 v7, v11, v7
	v_mul_f32_e32 v11, v10, v7
	v_fma_f32 v16, -v6, v11, v10
	v_fmac_f32_e32 v11, v16, v7
	v_fma_f32 v6, -v6, v11, v10
	v_div_fmas_f32 v6, v6, v7, v11
	v_div_fixup_f32 v7, v6, v12, v13
	v_fmac_f32_e32 v12, v13, v7
	v_div_scale_f32 v6, s[10:11], v12, v12, 1.0
	v_rcp_f32_e32 v10, v6
	s_nop 0
	v_fma_f32 v11, -v6, v10, 1.0
	v_fmac_f32_e32 v10, v11, v10
	v_div_scale_f32 v11, vcc, 1.0, v12, 1.0
	v_mul_f32_e32 v13, v11, v10
	v_fma_f32 v16, -v6, v13, v11
	v_fmac_f32_e32 v13, v16, v10
	v_fma_f32 v6, -v6, v13, v11
	v_div_fmas_f32 v6, v6, v10, v13
	v_div_fixup_f32 v10, v6, v12, 1.0
	v_fma_f32 v6, v7, v9, v8
	v_fma_f32 v7, -v7, v8, v9
	v_mul_f32_e32 v6, v6, v10
	v_mul_f32_e32 v7, v7, v10
.LBB137_32:
	v_mov_b32_e32 v12, 0
	ds_read2_b64 v[8:11], v12 offset0:2 offset1:6
	ds_write_b64 v1, v[6:7] offset:32
	s_waitcnt lgkmcnt(1)
	v_mul_f32_e32 v13, v15, v9
	v_mul_f32_e32 v9, v14, v9
	v_fma_f32 v13, v14, v8, -v13
	v_fmac_f32_e32 v9, v15, v8
	v_sub_f32_e32 v8, v2, v13
	v_mul_f32_e32 v2, v7, v11
	v_sub_f32_e32 v9, v3, v9
	v_fma_f32 v13, v6, v10, -v2
	ds_read_b64 v[2:3], v12 offset:80
	v_mul_f32_e32 v11, v6, v11
	v_fmac_f32_e32 v11, v7, v10
	v_sub_f32_e32 v10, v8, v13
	v_sub_f32_e32 v11, v9, v11
	s_waitcnt lgkmcnt(0)
	v_cmp_ngt_f32_e64 s[10:11], |v2|, |v3|
	s_and_b64 vcc, exec, s[10:11]
	s_cbranch_vccz .LBB137_34
; %bb.33:
	v_div_scale_f32 v8, s[10:11], v3, v3, v2
	v_rcp_f32_e32 v9, v8
	v_div_scale_f32 v12, vcc, v2, v3, v2
	v_fma_f32 v13, -v8, v9, 1.0
	v_fmac_f32_e32 v9, v13, v9
	v_mul_f32_e32 v13, v12, v9
	v_fma_f32 v16, -v8, v13, v12
	v_fmac_f32_e32 v13, v16, v9
	v_fma_f32 v8, -v8, v13, v12
	v_div_fmas_f32 v8, v8, v9, v13
	v_div_fixup_f32 v9, v8, v3, v2
	v_fma_f32 v8, v2, v9, v3
	v_div_scale_f32 v12, s[10:11], v8, v8, 1.0
	v_rcp_f32_e32 v13, v12
	s_mov_b64 s[10:11], 0
	v_fma_f32 v16, -v12, v13, 1.0
	v_fmac_f32_e32 v13, v16, v13
	v_div_scale_f32 v16, vcc, 1.0, v8, 1.0
	v_mul_f32_e32 v17, v16, v13
	v_fma_f32 v18, -v12, v17, v16
	v_fmac_f32_e32 v17, v18, v13
	v_fma_f32 v12, -v12, v17, v16
	v_div_fmas_f32 v12, v12, v13, v17
	v_div_fixup_f32 v12, v12, v8, 1.0
	v_fma_f32 v8, v9, v10, v11
	v_fma_f32 v9, v9, v11, -v10
	v_mul_f32_e32 v8, v8, v12
	v_mul_f32_e32 v9, v9, v12
	s_branch .LBB137_35
.LBB137_34:
	s_mov_b64 s[10:11], -1
                                        ; implicit-def: $vgpr9
.LBB137_35:
	s_andn2_b64 vcc, exec, s[10:11]
	s_cbranch_vccnz .LBB137_37
; %bb.36:
	v_div_scale_f32 v8, s[10:11], v2, v2, v3
	v_rcp_f32_e32 v9, v8
	v_div_scale_f32 v12, vcc, v3, v2, v3
	v_fma_f32 v13, -v8, v9, 1.0
	v_fmac_f32_e32 v9, v13, v9
	v_mul_f32_e32 v13, v12, v9
	v_fma_f32 v16, -v8, v13, v12
	v_fmac_f32_e32 v13, v16, v9
	v_fma_f32 v8, -v8, v13, v12
	v_div_fmas_f32 v8, v8, v9, v13
	v_div_fixup_f32 v9, v8, v2, v3
	v_fmac_f32_e32 v2, v3, v9
	v_div_scale_f32 v3, s[10:11], v2, v2, 1.0
	v_rcp_f32_e32 v8, v3
	s_nop 0
	v_fma_f32 v12, -v3, v8, 1.0
	v_fmac_f32_e32 v8, v12, v8
	v_div_scale_f32 v12, vcc, 1.0, v2, 1.0
	v_mul_f32_e32 v13, v12, v8
	v_fma_f32 v16, -v3, v13, v12
	v_fmac_f32_e32 v13, v16, v8
	v_fma_f32 v3, -v3, v13, v12
	v_div_fmas_f32 v3, v3, v8, v13
	v_div_fixup_f32 v2, v3, v2, 1.0
	v_fma_f32 v3, v9, v11, v10
	v_mul_f32_e32 v8, v3, v2
	v_fma_f32 v3, -v9, v10, v11
	v_mul_f32_e32 v9, v3, v2
.LBB137_37:
	v_mov_b32_e32 v20, 0
	ds_read2_b64 v[10:13], v20 offset0:3 offset1:7
	v_mov_b32_e32 v2, v15
	v_mov_b32_e32 v16, v7
	ds_write_b64 v1, v[8:9] offset:64
	s_waitcnt lgkmcnt(1)
	v_pk_mul_f32 v[2:3], v[2:3], v[10:11] op_sel:[0,1] op_sel_hi:[0,0]
	v_pk_fma_f32 v[18:19], v[14:15], v[10:11], v[2:3] neg_lo:[0,0,1] neg_hi:[0,0,1]
	v_pk_fma_f32 v[2:3], v[14:15], v[10:11], v[2:3] op_sel_hi:[0,1,1]
	v_mov_b32_e32 v19, v3
	v_pk_add_f32 v[10:11], v[4:5], v[18:19] neg_lo:[0,1] neg_hi:[0,1]
	ds_read2_b64 v[2:5], v20 offset0:11 offset1:15
	v_pk_mul_f32 v[14:15], v[16:17], v[12:13] op_sel:[0,1] op_sel_hi:[0,0]
	v_pk_fma_f32 v[16:17], v[6:7], v[12:13], v[14:15] neg_lo:[0,0,1] neg_hi:[0,0,1]
	v_pk_fma_f32 v[6:7], v[6:7], v[12:13], v[14:15] op_sel_hi:[0,1,1]
	v_mov_b32_e32 v17, v7
	v_pk_add_f32 v[6:7], v[10:11], v[16:17] neg_lo:[0,1] neg_hi:[0,1]
	v_mov_b32_e32 v10, v9
	s_waitcnt lgkmcnt(0)
	v_pk_mul_f32 v[10:11], v[10:11], v[2:3] op_sel:[0,1] op_sel_hi:[0,0]
	v_pk_fma_f32 v[12:13], v[8:9], v[2:3], v[10:11] neg_lo:[0,0,1] neg_hi:[0,0,1]
	v_pk_fma_f32 v[2:3], v[8:9], v[2:3], v[10:11] op_sel_hi:[0,1,1]
	v_mov_b32_e32 v13, v3
	v_cmp_ngt_f32_e64 s[10:11], |v4|, |v5|
	v_pk_add_f32 v[2:3], v[6:7], v[12:13] neg_lo:[0,1] neg_hi:[0,1]
	s_and_b64 vcc, exec, s[10:11]
	s_cbranch_vccz .LBB137_39
; %bb.38:
	v_div_scale_f32 v6, s[10:11], v5, v5, v4
	v_rcp_f32_e32 v7, v6
	v_div_scale_f32 v8, vcc, v4, v5, v4
	v_fma_f32 v9, -v6, v7, 1.0
	v_fmac_f32_e32 v7, v9, v7
	v_mul_f32_e32 v9, v8, v7
	v_fma_f32 v10, -v6, v9, v8
	v_fmac_f32_e32 v9, v10, v7
	v_fma_f32 v6, -v6, v9, v8
	v_div_fmas_f32 v6, v6, v7, v9
	v_div_fixup_f32 v6, v6, v5, v4
	v_fma_f32 v7, v4, v6, v5
	v_div_scale_f32 v10, s[10:11], v7, v7, 1.0
	v_rcp_f32_e32 v11, v10
	v_pk_fma_f32 v[8:9], v[6:7], v[2:3], v[2:3] op_sel:[0,0,1] op_sel_hi:[1,1,0]
	s_mov_b64 s[10:11], 0
	v_fma_f32 v9, -v10, v11, 1.0
	v_fmac_f32_e32 v11, v9, v11
	v_div_scale_f32 v9, vcc, 1.0, v7, 1.0
	v_mul_f32_e32 v12, v9, v11
	v_fma_f32 v13, -v10, v12, v9
	v_fmac_f32_e32 v12, v13, v11
	v_fma_f32 v9, -v10, v12, v9
	v_div_fmas_f32 v9, v9, v11, v12
	v_div_fixup_f32 v9, v9, v7, 1.0
	v_fma_f32 v7, v6, v3, -v2
	v_mov_b32_e32 v6, v9
	v_pk_mul_f32 v[6:7], v[8:9], v[6:7]
	s_branch .LBB137_40
.LBB137_39:
	s_mov_b64 s[10:11], -1
                                        ; implicit-def: $vgpr6_vgpr7
.LBB137_40:
	s_andn2_b64 vcc, exec, s[10:11]
	s_cbranch_vccnz .LBB137_42
; %bb.41:
	v_div_scale_f32 v6, s[10:11], v4, v4, v5
	v_rcp_f32_e32 v7, v6
	v_div_scale_f32 v8, vcc, v5, v4, v5
	v_fma_f32 v9, -v6, v7, 1.0
	v_fmac_f32_e32 v7, v9, v7
	v_mul_f32_e32 v9, v8, v7
	v_fma_f32 v10, -v6, v9, v8
	v_fmac_f32_e32 v9, v10, v7
	v_fma_f32 v6, -v6, v9, v8
	v_div_fmas_f32 v6, v6, v7, v9
	v_div_fixup_f32 v6, v6, v4, v5
	v_fma_f32 v4, v5, v6, v4
	v_div_scale_f32 v5, s[10:11], v4, v4, 1.0
	v_rcp_f32_e32 v7, v5
	s_nop 0
	v_fma_f32 v8, -v5, v7, 1.0
	v_fmac_f32_e32 v7, v8, v7
	v_div_scale_f32 v8, vcc, 1.0, v4, 1.0
	v_mul_f32_e32 v9, v8, v7
	v_fma_f32 v10, -v5, v9, v8
	v_fmac_f32_e32 v9, v10, v7
	v_fma_f32 v5, -v5, v9, v8
	v_div_fmas_f32 v5, v5, v7, v9
	v_pk_fma_f32 v[8:9], v[6:7], v[2:3], v[2:3] op_sel:[0,1,0] op_sel_hi:[1,0,1]
	v_pk_fma_f32 v[2:3], v[6:7], v[2:3], v[2:3] op_sel:[0,1,0] op_sel_hi:[0,0,1] neg_lo:[1,0,0] neg_hi:[1,0,0]
	v_div_fixup_f32 v4, v5, v4, 1.0
	v_mov_b32_e32 v9, v3
	v_pk_mul_f32 v[6:7], v[8:9], v[4:5] op_sel_hi:[1,0]
.LBB137_42:
	s_mov_b32 s9, 4
	ds_write_b64 v1, v[6:7] offset:96
.LBB137_43:
	s_cmp_ge_i32 s9, s28
	s_cbranch_scc1 .LBB137_52
; %bb.44:
	v_mov_b32_e32 v2, 0x80
	s_lshl_b32 s12, s9, 3
	v_lshl_or_b32 v8, v0, 3, v2
	s_branch .LBB137_46
.LBB137_45:                             ;   in Loop: Header=BB137_46 Depth=1
	s_add_i32 s9, s9, 1
	s_add_i32 s12, s12, 8
	s_cmp_ge_i32 s9, s28
	ds_write_b64 v9, v[6:7]
	s_cbranch_scc1 .LBB137_52
.LBB137_46:                             ; =>This Loop Header: Depth=1
                                        ;     Child Loop BB137_47 Depth 2
	s_lshl_b32 s10, s9, 5
	v_add_u32_e32 v9, s10, v1
	ds_read_b64 v[2:3], v9
	s_cmp_eq_u32 s9, 0
	v_mov_b32_e32 v4, v8
	s_mov_b32 s11, s12
	s_mov_b32 s13, s9
	s_cbranch_scc1 .LBB137_48
.LBB137_47:                             ;   Parent Loop BB137_46 Depth=1
                                        ; =>  This Inner Loop Header: Depth=2
	v_mov_b32_e32 v5, s11
	ds_read_b64 v[6:7], v4
	ds_read_b64 v[10:11], v5
	s_add_i32 s13, s13, -1
	s_add_i32 s11, s11, 32
	v_add_u32_e32 v4, 32, v4
	s_cmp_eq_u32 s13, 0
	s_waitcnt lgkmcnt(0)
	v_pk_mul_f32 v[12:13], v[10:11], v[6:7] op_sel:[1,1] op_sel_hi:[0,1]
	v_pk_fma_f32 v[14:15], v[10:11], v[6:7], v[12:13] op_sel_hi:[1,0,1]
	v_pk_fma_f32 v[6:7], v[10:11], v[6:7], v[12:13] op_sel_hi:[1,0,1] neg_lo:[0,0,1] neg_hi:[0,0,1]
	s_nop 0
	v_mov_b32_e32 v7, v15
	v_pk_add_f32 v[2:3], v[2:3], v[6:7] neg_lo:[0,1] neg_hi:[0,1]
	s_cbranch_scc0 .LBB137_47
.LBB137_48:                             ;   in Loop: Header=BB137_46 Depth=1
	s_lshl_b32 s11, s9, 3
	s_add_i32 s10, s11, s10
	v_mov_b32_e32 v4, s10
	ds_read_b64 v[4:5], v4
	s_mov_b64 s[10:11], -1
                                        ; implicit-def: $vgpr6_vgpr7
	s_waitcnt lgkmcnt(0)
	v_cmp_ngt_f32_e64 s[14:15], |v4|, |v5|
	s_and_b64 vcc, exec, s[14:15]
	s_cbranch_vccz .LBB137_50
; %bb.49:                               ;   in Loop: Header=BB137_46 Depth=1
	v_div_scale_f32 v6, s[10:11], v5, v5, v4
	v_rcp_f32_e32 v7, v6
	v_div_scale_f32 v10, vcc, v4, v5, v4
	v_fma_f32 v11, -v6, v7, 1.0
	v_fmac_f32_e32 v7, v11, v7
	v_mul_f32_e32 v11, v10, v7
	v_fma_f32 v12, -v6, v11, v10
	v_fmac_f32_e32 v11, v12, v7
	v_fma_f32 v6, -v6, v11, v10
	v_div_fmas_f32 v6, v6, v7, v11
	v_div_fixup_f32 v6, v6, v5, v4
	v_fma_f32 v7, v4, v6, v5
	v_div_scale_f32 v10, s[10:11], v7, v7, 1.0
	v_rcp_f32_e32 v11, v10
	s_mov_b64 s[10:11], 0
	v_fma_f32 v12, -v10, v11, 1.0
	v_fmac_f32_e32 v11, v12, v11
	v_div_scale_f32 v12, vcc, 1.0, v7, 1.0
	v_mul_f32_e32 v13, v12, v11
	v_fma_f32 v14, -v10, v13, v12
	v_fmac_f32_e32 v13, v14, v11
	v_fma_f32 v10, -v10, v13, v12
	v_div_fmas_f32 v10, v10, v11, v13
	v_div_fixup_f32 v10, v10, v7, 1.0
	v_pk_fma_f32 v[12:13], v[2:3], v[6:7], v[2:3] op_sel:[0,0,1] op_sel_hi:[1,0,0] neg_lo:[0,0,1] neg_hi:[0,0,1]
	v_pk_fma_f32 v[6:7], v[2:3], v[6:7], v[2:3] op_sel:[0,0,1] op_sel_hi:[1,0,0]
	s_nop 0
	v_mov_b32_e32 v7, v13
	v_pk_mul_f32 v[6:7], v[6:7], v[10:11] op_sel_hi:[1,0]
.LBB137_50:                             ;   in Loop: Header=BB137_46 Depth=1
	s_andn2_b64 vcc, exec, s[10:11]
	s_cbranch_vccnz .LBB137_45
; %bb.51:                               ;   in Loop: Header=BB137_46 Depth=1
	v_div_scale_f32 v6, s[10:11], v4, v4, v5
	v_rcp_f32_e32 v7, v6
	v_div_scale_f32 v10, vcc, v5, v4, v5
	v_fma_f32 v11, -v6, v7, 1.0
	v_fmac_f32_e32 v7, v11, v7
	v_mul_f32_e32 v11, v10, v7
	v_fma_f32 v12, -v6, v11, v10
	v_fmac_f32_e32 v11, v12, v7
	v_fma_f32 v6, -v6, v11, v10
	v_div_fmas_f32 v6, v6, v7, v11
	v_div_fixup_f32 v6, v6, v4, v5
	v_fmac_f32_e32 v4, v5, v6
	v_div_scale_f32 v5, s[10:11], v4, v4, 1.0
	v_rcp_f32_e32 v7, v5
	s_nop 0
	v_fma_f32 v10, -v5, v7, 1.0
	v_fmac_f32_e32 v7, v10, v7
	v_div_scale_f32 v10, vcc, 1.0, v4, 1.0
	v_mul_f32_e32 v11, v10, v7
	v_fma_f32 v12, -v5, v11, v10
	v_fmac_f32_e32 v11, v12, v7
	v_fma_f32 v5, -v5, v11, v10
	v_div_fmas_f32 v5, v5, v7, v11
	v_pk_fma_f32 v[10:11], v[2:3], v[6:7], v[2:3] op_sel:[1,0,0] op_sel_hi:[0,0,1] neg_lo:[1,0,0] neg_hi:[1,0,0]
	v_pk_fma_f32 v[2:3], v[2:3], v[6:7], v[2:3] op_sel:[1,0,0] op_sel_hi:[0,0,1]
	v_div_fixup_f32 v4, v5, v4, 1.0
	v_mov_b32_e32 v3, v11
	v_pk_mul_f32 v[6:7], v[2:3], v[4:5] op_sel_hi:[1,0]
	s_branch .LBB137_45
.LBB137_52:
	s_mov_b64 s[10:11], 0
.LBB137_53:
	s_and_b64 vcc, exec, s[10:11]
	s_cbranch_vccz .LBB137_85
; %bb.54:
	s_and_b64 vcc, exec, s[4:5]
	s_mov_b32 s9, s7
	s_cbranch_vccz .LBB137_76
; %bb.55:
	s_lshl_b32 s10, s28, 5
	s_mul_i32 s13, s7, 40
	s_add_i32 s12, s28, -2
	s_add_i32 s9, s28, -3
	s_addk_i32 s10, 0xff80
	v_mov_b32_e32 v2, s13
	v_lshl_add_u32 v17, s7, 5, v1
	v_lshl_add_u32 v16, s12, 5, v1
	;; [unrolled: 1-line block ×3, first 2 shown]
	v_add_u32_e32 v14, s10, v1
	ds_read_b64 v[12:13], v2
	ds_read_b64 v[10:11], v17
	;; [unrolled: 1-line block ×5, first 2 shown]
	s_waitcnt lgkmcnt(4)
	v_cmp_ngt_f32_e64 s[10:11], |v12|, |v13|
	s_and_b64 vcc, exec, s[10:11]
	s_cbranch_vccz .LBB137_57
; %bb.56:
	v_div_scale_f32 v4, s[10:11], v13, v13, v12
	v_rcp_f32_e32 v5, v4
	v_div_scale_f32 v18, vcc, v12, v13, v12
	v_fma_f32 v19, -v4, v5, 1.0
	v_fmac_f32_e32 v5, v19, v5
	v_mul_f32_e32 v19, v18, v5
	v_fma_f32 v20, -v4, v19, v18
	v_fmac_f32_e32 v19, v20, v5
	v_fma_f32 v4, -v4, v19, v18
	v_div_fmas_f32 v4, v4, v5, v19
	v_div_fixup_f32 v5, v4, v13, v12
	v_fma_f32 v4, v12, v5, v13
	v_div_scale_f32 v18, s[10:11], v4, v4, 1.0
	v_rcp_f32_e32 v19, v18
	s_mov_b64 s[10:11], 0
	v_fma_f32 v20, -v18, v19, 1.0
	v_fmac_f32_e32 v19, v20, v19
	v_div_scale_f32 v20, vcc, 1.0, v4, 1.0
	v_mul_f32_e32 v21, v20, v19
	v_fma_f32 v22, -v18, v21, v20
	v_fmac_f32_e32 v21, v22, v19
	v_fma_f32 v18, -v18, v21, v20
	v_div_fmas_f32 v18, v18, v19, v21
	v_div_fixup_f32 v18, v18, v4, 1.0
	s_waitcnt lgkmcnt(3)
	v_fma_f32 v4, v10, v5, v11
	v_fma_f32 v5, v11, v5, -v10
	v_mul_f32_e32 v4, v4, v18
	v_mul_f32_e32 v5, v5, v18
	s_branch .LBB137_58
.LBB137_57:
	s_mov_b64 s[10:11], -1
                                        ; implicit-def: $vgpr5
.LBB137_58:
	s_andn2_b64 vcc, exec, s[10:11]
	s_cbranch_vccnz .LBB137_60
; %bb.59:
	v_div_scale_f32 v4, s[10:11], v12, v12, v13
	v_rcp_f32_e32 v5, v4
	v_div_scale_f32 v18, vcc, v13, v12, v13
	v_fma_f32 v19, -v4, v5, 1.0
	v_fmac_f32_e32 v5, v19, v5
	v_mul_f32_e32 v19, v18, v5
	v_fma_f32 v20, -v4, v19, v18
	v_fmac_f32_e32 v19, v20, v5
	v_fma_f32 v4, -v4, v19, v18
	v_div_fmas_f32 v4, v4, v5, v19
	v_div_fixup_f32 v5, v4, v12, v13
	v_fmac_f32_e32 v12, v13, v5
	v_div_scale_f32 v4, s[10:11], v12, v12, 1.0
	v_rcp_f32_e32 v13, v4
	s_nop 0
	v_fma_f32 v18, -v4, v13, 1.0
	v_fmac_f32_e32 v13, v18, v13
	v_div_scale_f32 v18, vcc, 1.0, v12, 1.0
	v_mul_f32_e32 v19, v18, v13
	v_fma_f32 v20, -v4, v19, v18
	v_fmac_f32_e32 v19, v20, v13
	v_fma_f32 v4, -v4, v19, v18
	v_div_fmas_f32 v4, v4, v13, v19
	v_div_fixup_f32 v12, v4, v12, 1.0
	s_waitcnt lgkmcnt(3)
	v_fma_f32 v4, v11, v5, v10
	v_fma_f32 v5, -v10, v5, v11
	v_mul_f32_e32 v4, v4, v12
	v_mul_f32_e32 v5, v5, v12
.LBB137_60:
	s_lshl_b32 s10, s7, 3
	s_sub_i32 s14, s13, s10
	s_lshl_b32 s12, s12, 3
	s_add_i32 s10, s14, s12
	s_waitcnt lgkmcnt(3)
	v_mov_b32_e32 v10, s10
	s_sub_i32 s13, s13, 40
	ds_read_b64 v[12:13], v10
	v_mov_b32_e32 v10, s13
	ds_read_b64 v[10:11], v10
	ds_write_b64 v17, v[4:5]
	s_waitcnt lgkmcnt(2)
	v_mul_f32_e32 v17, v5, v13
	v_mul_f32_e32 v13, v4, v13
	v_fma_f32 v17, v4, v12, -v17
	v_fmac_f32_e32 v13, v5, v12
	s_waitcnt lgkmcnt(1)
	v_cmp_ngt_f32_e64 s[10:11], |v10|, |v11|
	v_sub_f32_e32 v12, v8, v17
	v_sub_f32_e32 v13, v9, v13
	s_and_b64 vcc, exec, s[10:11]
	s_cbranch_vccz .LBB137_62
; %bb.61:
	v_div_scale_f32 v8, s[10:11], v11, v11, v10
	v_rcp_f32_e32 v9, v8
	v_div_scale_f32 v17, vcc, v10, v11, v10
	v_fma_f32 v18, -v8, v9, 1.0
	v_fmac_f32_e32 v9, v18, v9
	v_mul_f32_e32 v18, v17, v9
	v_fma_f32 v19, -v8, v18, v17
	v_fmac_f32_e32 v18, v19, v9
	v_fma_f32 v8, -v8, v18, v17
	v_div_fmas_f32 v8, v8, v9, v18
	v_div_fixup_f32 v9, v8, v11, v10
	v_fma_f32 v8, v10, v9, v11
	v_div_scale_f32 v17, s[10:11], v8, v8, 1.0
	v_rcp_f32_e32 v18, v17
	s_mov_b64 s[10:11], 0
	v_fma_f32 v19, -v17, v18, 1.0
	v_fmac_f32_e32 v18, v19, v18
	v_div_scale_f32 v19, vcc, 1.0, v8, 1.0
	v_mul_f32_e32 v20, v19, v18
	v_fma_f32 v21, -v17, v20, v19
	v_fmac_f32_e32 v20, v21, v18
	v_fma_f32 v17, -v17, v20, v19
	v_div_fmas_f32 v17, v17, v18, v20
	v_div_fixup_f32 v17, v17, v8, 1.0
	v_fma_f32 v8, v9, v12, v13
	v_fma_f32 v9, v9, v13, -v12
	v_mul_f32_e32 v8, v8, v17
	v_mul_f32_e32 v9, v9, v17
	s_branch .LBB137_63
.LBB137_62:
	s_mov_b64 s[10:11], -1
                                        ; implicit-def: $vgpr9
.LBB137_63:
	s_andn2_b64 vcc, exec, s[10:11]
	s_cbranch_vccnz .LBB137_65
; %bb.64:
	v_div_scale_f32 v8, s[10:11], v10, v10, v11
	v_rcp_f32_e32 v9, v8
	v_div_scale_f32 v17, vcc, v11, v10, v11
	v_fma_f32 v18, -v8, v9, 1.0
	v_fmac_f32_e32 v9, v18, v9
	v_mul_f32_e32 v18, v17, v9
	v_fma_f32 v19, -v8, v18, v17
	v_fmac_f32_e32 v18, v19, v9
	v_fma_f32 v8, -v8, v18, v17
	v_div_fmas_f32 v8, v8, v9, v18
	v_div_fixup_f32 v9, v8, v10, v11
	v_fmac_f32_e32 v10, v11, v9
	v_div_scale_f32 v8, s[10:11], v10, v10, 1.0
	v_rcp_f32_e32 v11, v8
	s_nop 0
	v_fma_f32 v17, -v8, v11, 1.0
	v_fmac_f32_e32 v11, v17, v11
	v_div_scale_f32 v17, vcc, 1.0, v10, 1.0
	v_mul_f32_e32 v18, v17, v11
	v_fma_f32 v19, -v8, v18, v17
	v_fmac_f32_e32 v18, v19, v11
	v_fma_f32 v8, -v8, v18, v17
	v_div_fmas_f32 v8, v8, v11, v18
	v_div_fixup_f32 v10, v8, v10, 1.0
	v_fma_f32 v8, v9, v13, v12
	v_fma_f32 v9, -v9, v12, v13
	v_mul_f32_e32 v8, v8, v10
	v_mul_f32_e32 v9, v9, v10
.LBB137_65:
	s_lshl_b32 s9, s9, 3
	s_add_i32 s10, s14, s9
	v_mov_b32_e32 v10, s10
	s_sub_i32 s12, s13, s12
	ds_read_b64 v[12:13], v10
	s_add_i32 s9, s12, s9
	v_mov_b32_e32 v10, s9
	s_sub_i32 s9, s13, 40
	ds_write_b64 v16, v[8:9]
	v_mov_b32_e32 v11, s9
	ds_read_b64 v[16:17], v10
	ds_read_b64 v[10:11], v11
	s_waitcnt lgkmcnt(3)
	v_mul_f32_e32 v18, v5, v13
	v_mul_f32_e32 v13, v4, v13
	v_fmac_f32_e32 v13, v5, v12
	v_fma_f32 v18, v4, v12, -v18
	v_sub_f32_e32 v7, v7, v13
	s_waitcnt lgkmcnt(1)
	v_mul_f32_e32 v12, v9, v17
	v_mul_f32_e32 v13, v8, v17
	v_sub_f32_e32 v6, v6, v18
	v_fma_f32 v12, v8, v16, -v12
	v_fmac_f32_e32 v13, v9, v16
	s_waitcnt lgkmcnt(0)
	v_cmp_ngt_f32_e64 s[10:11], |v10|, |v11|
	v_sub_f32_e32 v6, v6, v12
	v_sub_f32_e32 v7, v7, v13
	s_and_b64 vcc, exec, s[10:11]
	s_cbranch_vccz .LBB137_67
; %bb.66:
	v_div_scale_f32 v12, s[10:11], v11, v11, v10
	v_rcp_f32_e32 v13, v12
	v_div_scale_f32 v16, vcc, v10, v11, v10
	v_fma_f32 v17, -v12, v13, 1.0
	v_fmac_f32_e32 v13, v17, v13
	v_mul_f32_e32 v17, v16, v13
	v_fma_f32 v18, -v12, v17, v16
	v_fmac_f32_e32 v17, v18, v13
	v_fma_f32 v12, -v12, v17, v16
	v_div_fmas_f32 v12, v12, v13, v17
	v_div_fixup_f32 v13, v12, v11, v10
	v_fma_f32 v12, v10, v13, v11
	v_div_scale_f32 v16, s[10:11], v12, v12, 1.0
	v_rcp_f32_e32 v17, v16
	s_mov_b64 s[10:11], 0
	v_fma_f32 v18, -v16, v17, 1.0
	v_fmac_f32_e32 v17, v18, v17
	v_div_scale_f32 v18, vcc, 1.0, v12, 1.0
	v_mul_f32_e32 v19, v18, v17
	v_fma_f32 v20, -v16, v19, v18
	v_fmac_f32_e32 v19, v20, v17
	v_fma_f32 v16, -v16, v19, v18
	v_div_fmas_f32 v16, v16, v17, v19
	v_div_fixup_f32 v16, v16, v12, 1.0
	v_fma_f32 v12, v13, v6, v7
	v_fma_f32 v13, v13, v7, -v6
	v_mul_f32_e32 v12, v12, v16
	v_mul_f32_e32 v13, v13, v16
	s_branch .LBB137_68
.LBB137_67:
	s_mov_b64 s[10:11], -1
                                        ; implicit-def: $vgpr13
.LBB137_68:
	s_andn2_b64 vcc, exec, s[10:11]
	s_cbranch_vccnz .LBB137_70
; %bb.69:
	v_div_scale_f32 v12, s[10:11], v10, v10, v11
	v_rcp_f32_e32 v13, v12
	v_div_scale_f32 v16, vcc, v11, v10, v11
	v_fma_f32 v17, -v12, v13, 1.0
	v_fmac_f32_e32 v13, v17, v13
	v_mul_f32_e32 v17, v16, v13
	v_fma_f32 v18, -v12, v17, v16
	v_fmac_f32_e32 v17, v18, v13
	v_fma_f32 v12, -v12, v17, v16
	v_div_fmas_f32 v12, v12, v13, v17
	v_div_fixup_f32 v13, v12, v10, v11
	v_fmac_f32_e32 v10, v11, v13
	v_div_scale_f32 v11, s[10:11], v10, v10, 1.0
	v_rcp_f32_e32 v12, v11
	s_nop 0
	v_fma_f32 v16, -v11, v12, 1.0
	v_fmac_f32_e32 v12, v16, v12
	v_div_scale_f32 v16, vcc, 1.0, v10, 1.0
	v_mul_f32_e32 v17, v16, v12
	v_fma_f32 v18, -v11, v17, v16
	v_fmac_f32_e32 v17, v18, v12
	v_fma_f32 v11, -v11, v17, v16
	v_div_fmas_f32 v11, v11, v12, v17
	v_div_fixup_f32 v10, v11, v10, 1.0
	v_fma_f32 v11, v13, v7, v6
	v_fma_f32 v6, -v13, v6, v7
	v_mul_f32_e32 v12, v11, v10
	v_mul_f32_e32 v13, v6, v10
.LBB137_70:
	s_lshl_b32 s10, s28, 3
	s_add_i32 s10, s12, s10
	v_mov_b32_e32 v6, s10
	ds_read_b64 v[10:11], v6
	s_sub_i32 s11, s10, 32
	s_sub_i32 s12, s10, 64
	;; [unrolled: 1-line block ×3, first 2 shown]
	ds_write_b64 v15, v[12:13]
	v_mov_b32_e32 v16, v5
	v_mov_b32_e32 v5, s11
	;; [unrolled: 1-line block ×4, first 2 shown]
	ds_read_b64 v[18:19], v5
	ds_read_b64 v[20:21], v6
	;; [unrolled: 1-line block ×3, first 2 shown]
	s_waitcnt lgkmcnt(4)
	v_pk_mul_f32 v[16:17], v[16:17], v[10:11] op_sel:[0,1] op_sel_hi:[0,0]
	v_pk_fma_f32 v[22:23], v[4:5], v[10:11], v[16:17] neg_lo:[0,0,1] neg_hi:[0,0,1]
	v_pk_fma_f32 v[4:5], v[4:5], v[10:11], v[16:17] op_sel_hi:[0,1,1]
	v_mov_b32_e32 v4, v9
	v_mov_b32_e32 v23, v5
	s_waitcnt lgkmcnt(2)
	v_pk_mul_f32 v[4:5], v[4:5], v[18:19] op_sel:[0,1] op_sel_hi:[0,0]
	v_pk_fma_f32 v[10:11], v[8:9], v[18:19], v[4:5] neg_lo:[0,0,1] neg_hi:[0,0,1]
	v_pk_fma_f32 v[4:5], v[8:9], v[18:19], v[4:5] op_sel_hi:[0,1,1]
	v_mov_b32_e32 v4, v13
	v_mov_b32_e32 v11, v5
	s_waitcnt lgkmcnt(1)
	v_pk_mul_f32 v[4:5], v[4:5], v[20:21] op_sel:[0,1] op_sel_hi:[0,0]
	v_pk_add_f32 v[2:3], v[2:3], v[22:23] neg_lo:[0,1] neg_hi:[0,1]
	v_pk_fma_f32 v[8:9], v[12:13], v[20:21], v[4:5] neg_lo:[0,0,1] neg_hi:[0,0,1]
	v_pk_fma_f32 v[4:5], v[12:13], v[20:21], v[4:5] op_sel_hi:[0,1,1]
	v_pk_add_f32 v[2:3], v[2:3], v[10:11] neg_lo:[0,1] neg_hi:[0,1]
	v_mov_b32_e32 v9, v5
	s_waitcnt lgkmcnt(0)
	v_cmp_ngt_f32_e64 s[10:11], |v6|, |v7|
	v_pk_add_f32 v[2:3], v[2:3], v[8:9] neg_lo:[0,1] neg_hi:[0,1]
	s_and_b64 vcc, exec, s[10:11]
	s_cbranch_vccz .LBB137_72
; %bb.71:
	v_div_scale_f32 v4, s[10:11], v7, v7, v6
	v_rcp_f32_e32 v5, v4
	v_div_scale_f32 v8, vcc, v6, v7, v6
	v_fma_f32 v9, -v4, v5, 1.0
	v_fmac_f32_e32 v5, v9, v5
	v_mul_f32_e32 v9, v8, v5
	v_fma_f32 v10, -v4, v9, v8
	v_fmac_f32_e32 v9, v10, v5
	v_fma_f32 v4, -v4, v9, v8
	v_div_fmas_f32 v4, v4, v5, v9
	v_div_fixup_f32 v4, v4, v7, v6
	v_fma_f32 v5, v6, v4, v7
	v_div_scale_f32 v10, s[10:11], v5, v5, 1.0
	v_rcp_f32_e32 v11, v10
	v_pk_fma_f32 v[8:9], v[4:5], v[2:3], v[2:3] op_sel:[0,0,1] op_sel_hi:[1,1,0]
	s_mov_b64 s[10:11], 0
	v_fma_f32 v9, -v10, v11, 1.0
	v_fmac_f32_e32 v11, v9, v11
	v_div_scale_f32 v9, vcc, 1.0, v5, 1.0
	v_mul_f32_e32 v12, v9, v11
	v_fma_f32 v13, -v10, v12, v9
	v_fmac_f32_e32 v12, v13, v11
	v_fma_f32 v9, -v10, v12, v9
	v_div_fmas_f32 v9, v9, v11, v12
	v_div_fixup_f32 v9, v9, v5, 1.0
	v_fma_f32 v5, v4, v3, -v2
	v_mov_b32_e32 v4, v9
	v_pk_mul_f32 v[4:5], v[8:9], v[4:5]
	s_branch .LBB137_73
.LBB137_72:
	s_mov_b64 s[10:11], -1
                                        ; implicit-def: $vgpr4_vgpr5
.LBB137_73:
	s_andn2_b64 vcc, exec, s[10:11]
	s_cbranch_vccnz .LBB137_75
; %bb.74:
	v_div_scale_f32 v4, s[10:11], v6, v6, v7
	v_rcp_f32_e32 v5, v4
	v_div_scale_f32 v8, vcc, v7, v6, v7
	v_fma_f32 v9, -v4, v5, 1.0
	v_fmac_f32_e32 v5, v9, v5
	v_mul_f32_e32 v9, v8, v5
	v_fma_f32 v10, -v4, v9, v8
	v_fmac_f32_e32 v9, v10, v5
	v_fma_f32 v4, -v4, v9, v8
	v_div_fmas_f32 v4, v4, v5, v9
	v_div_fixup_f32 v4, v4, v6, v7
	v_fmac_f32_e32 v6, v7, v4
	v_div_scale_f32 v5, s[10:11], v6, v6, 1.0
	v_rcp_f32_e32 v7, v5
	s_nop 0
	v_fma_f32 v8, -v5, v7, 1.0
	v_fmac_f32_e32 v7, v8, v7
	v_div_scale_f32 v8, vcc, 1.0, v6, 1.0
	v_mul_f32_e32 v9, v8, v7
	v_fma_f32 v10, -v5, v9, v8
	v_fmac_f32_e32 v9, v10, v7
	v_fma_f32 v5, -v5, v9, v8
	v_div_fmas_f32 v5, v5, v7, v9
	v_pk_fma_f32 v[8:9], v[4:5], v[2:3], v[2:3] op_sel:[0,1,0] op_sel_hi:[1,0,1]
	v_pk_fma_f32 v[2:3], v[4:5], v[2:3], v[2:3] op_sel:[0,1,0] op_sel_hi:[0,0,1] neg_lo:[1,0,0] neg_hi:[1,0,0]
	v_div_fixup_f32 v6, v5, v6, 1.0
	v_mov_b32_e32 v9, v3
	v_pk_mul_f32 v[4:5], v[8:9], v[6:7] op_sel_hi:[1,0]
.LBB137_75:
	ds_write_b64 v14, v[4:5]
	s_add_i32 s9, s28, -5
.LBB137_76:
	s_cmp_lt_i32 s9, 0
	s_cbranch_scc1 .LBB137_85
; %bb.77:
	s_lshl_b32 s10, s28, 5
	s_lshl_b32 s11, s9, 3
	s_add_i32 s11, s10, s11
	v_lshl_or_b32 v2, v0, 3, s10
	s_sub_i32 s12, s11, 32
	v_add_u32_e32 v8, 0x60, v2
	s_branch .LBB137_79
.LBB137_78:                             ;   in Loop: Header=BB137_79 Depth=1
	v_sub_co_u32_e64 v2, s[10:11], s9, 1
	s_nop 0
	v_readfirstlane_b32 s9, v2
	s_add_i32 s12, s12, -8
	s_and_b64 vcc, exec, s[10:11]
	ds_write_b64 v9, v[6:7]
	s_cbranch_vccnz .LBB137_85
.LBB137_79:                             ; =>This Loop Header: Depth=1
                                        ;     Child Loop BB137_80 Depth 2
	s_lshl_b32 s10, s9, 5
	v_add_u32_e32 v9, s10, v1
	ds_read_b64 v[2:3], v9
	s_cmp_le_i32 s7, s9
	v_mov_b32_e32 v4, v8
	s_mov_b32 s11, s12
	s_mov_b32 s13, s7
	s_cbranch_scc1 .LBB137_81
.LBB137_80:                             ;   Parent Loop BB137_79 Depth=1
                                        ; =>  This Inner Loop Header: Depth=2
	v_mov_b32_e32 v5, s11
	ds_read_b64 v[6:7], v4
	ds_read_b64 v[10:11], v5
	s_add_i32 s13, s13, -1
	s_sub_i32 s11, s11, 32
	v_subrev_u32_e32 v4, 32, v4
	s_cmp_le_u32 s13, s9
	s_waitcnt lgkmcnt(0)
	v_pk_mul_f32 v[12:13], v[10:11], v[6:7] op_sel:[1,1] op_sel_hi:[0,1]
	v_pk_fma_f32 v[14:15], v[10:11], v[6:7], v[12:13] op_sel_hi:[1,0,1]
	v_pk_fma_f32 v[6:7], v[10:11], v[6:7], v[12:13] op_sel_hi:[1,0,1] neg_lo:[0,0,1] neg_hi:[0,0,1]
	s_nop 0
	v_mov_b32_e32 v7, v15
	v_pk_add_f32 v[2:3], v[2:3], v[6:7] neg_lo:[0,1] neg_hi:[0,1]
	s_cbranch_scc0 .LBB137_80
.LBB137_81:                             ;   in Loop: Header=BB137_79 Depth=1
	s_lshl_b32 s11, s9, 3
	s_add_i32 s10, s11, s10
	v_mov_b32_e32 v4, s10
	ds_read_b64 v[4:5], v4
	s_mov_b64 s[10:11], -1
                                        ; implicit-def: $vgpr6_vgpr7
	s_waitcnt lgkmcnt(0)
	v_cmp_ngt_f32_e64 s[14:15], |v4|, |v5|
	s_and_b64 vcc, exec, s[14:15]
	s_cbranch_vccz .LBB137_83
; %bb.82:                               ;   in Loop: Header=BB137_79 Depth=1
	v_div_scale_f32 v6, s[10:11], v5, v5, v4
	v_rcp_f32_e32 v7, v6
	v_div_scale_f32 v10, vcc, v4, v5, v4
	v_fma_f32 v11, -v6, v7, 1.0
	v_fmac_f32_e32 v7, v11, v7
	v_mul_f32_e32 v11, v10, v7
	v_fma_f32 v12, -v6, v11, v10
	v_fmac_f32_e32 v11, v12, v7
	v_fma_f32 v6, -v6, v11, v10
	v_div_fmas_f32 v6, v6, v7, v11
	v_div_fixup_f32 v6, v6, v5, v4
	v_fma_f32 v7, v4, v6, v5
	v_div_scale_f32 v10, s[10:11], v7, v7, 1.0
	v_rcp_f32_e32 v11, v10
	s_mov_b64 s[10:11], 0
	v_fma_f32 v12, -v10, v11, 1.0
	v_fmac_f32_e32 v11, v12, v11
	v_div_scale_f32 v12, vcc, 1.0, v7, 1.0
	v_mul_f32_e32 v13, v12, v11
	v_fma_f32 v14, -v10, v13, v12
	v_fmac_f32_e32 v13, v14, v11
	v_fma_f32 v10, -v10, v13, v12
	v_div_fmas_f32 v10, v10, v11, v13
	v_div_fixup_f32 v10, v10, v7, 1.0
	v_pk_fma_f32 v[12:13], v[2:3], v[6:7], v[2:3] op_sel:[0,0,1] op_sel_hi:[1,0,0] neg_lo:[0,0,1] neg_hi:[0,0,1]
	v_pk_fma_f32 v[6:7], v[2:3], v[6:7], v[2:3] op_sel:[0,0,1] op_sel_hi:[1,0,0]
	s_nop 0
	v_mov_b32_e32 v7, v13
	v_pk_mul_f32 v[6:7], v[6:7], v[10:11] op_sel_hi:[1,0]
.LBB137_83:                             ;   in Loop: Header=BB137_79 Depth=1
	s_andn2_b64 vcc, exec, s[10:11]
	s_cbranch_vccnz .LBB137_78
; %bb.84:                               ;   in Loop: Header=BB137_79 Depth=1
	v_div_scale_f32 v6, s[10:11], v4, v4, v5
	v_rcp_f32_e32 v7, v6
	v_div_scale_f32 v10, vcc, v5, v4, v5
	v_fma_f32 v11, -v6, v7, 1.0
	v_fmac_f32_e32 v7, v11, v7
	v_mul_f32_e32 v11, v10, v7
	v_fma_f32 v12, -v6, v11, v10
	v_fmac_f32_e32 v11, v12, v7
	v_fma_f32 v6, -v6, v11, v10
	v_div_fmas_f32 v6, v6, v7, v11
	v_div_fixup_f32 v6, v6, v4, v5
	v_fmac_f32_e32 v4, v5, v6
	v_div_scale_f32 v5, s[10:11], v4, v4, 1.0
	v_rcp_f32_e32 v7, v5
	s_nop 0
	v_fma_f32 v10, -v5, v7, 1.0
	v_fmac_f32_e32 v7, v10, v7
	v_div_scale_f32 v10, vcc, 1.0, v4, 1.0
	v_mul_f32_e32 v11, v10, v7
	v_fma_f32 v12, -v5, v11, v10
	v_fmac_f32_e32 v11, v12, v7
	v_fma_f32 v5, -v5, v11, v10
	v_div_fmas_f32 v5, v5, v7, v11
	v_pk_fma_f32 v[10:11], v[2:3], v[6:7], v[2:3] op_sel:[1,0,0] op_sel_hi:[0,0,1] neg_lo:[1,0,0] neg_hi:[1,0,0]
	v_pk_fma_f32 v[2:3], v[2:3], v[6:7], v[2:3] op_sel:[1,0,0] op_sel_hi:[0,0,1]
	v_div_fixup_f32 v4, v5, v4, 1.0
	v_mov_b32_e32 v3, v11
	v_pk_mul_f32 v[6:7], v[2:3], v[4:5] op_sel_hi:[1,0]
	s_branch .LBB137_78
.LBB137_85:
	s_mov_b64 s[14:15], 0
.LBB137_86:
	s_andn2_b64 vcc, exec, s[14:15]
	s_cbranch_vccnz .LBB137_114
; %bb.87:
	s_and_b64 vcc, exec, s[4:5]
	s_mov_b32 s9, s7
	s_cbranch_vccz .LBB137_105
; %bb.88:
	s_lshl_b32 s4, s7, 5
	v_add_u32_e32 v17, s4, v1
	s_mul_i32 s4, s7, 40
	s_add_i32 s10, s28, -2
	s_add_i32 s11, s28, -3
	;; [unrolled: 1-line block ×3, first 2 shown]
	v_mov_b32_e32 v2, s4
	v_lshl_add_u32 v16, s10, 5, v1
	v_lshl_add_u32 v15, s11, 5, v1
	;; [unrolled: 1-line block ×3, first 2 shown]
	ds_read_b64 v[4:5], v2
	ds_read_b64 v[2:3], v17
	ds_read_b64 v[12:13], v16
	ds_read_b64 v[10:11], v15
	ds_read_b64 v[6:7], v14
	s_waitcnt lgkmcnt(4)
	v_cmp_ngt_f32_e64 s[4:5], |v4|, |v5|
	s_and_b64 vcc, exec, s[4:5]
	s_cbranch_vccz .LBB137_90
; %bb.89:
	v_div_scale_f32 v8, s[4:5], v5, v5, v4
	v_rcp_f32_e32 v9, v8
	v_div_scale_f32 v18, vcc, v4, v5, v4
	v_fma_f32 v19, -v8, v9, 1.0
	v_fmac_f32_e32 v9, v19, v9
	v_mul_f32_e32 v19, v18, v9
	v_fma_f32 v20, -v8, v19, v18
	v_fmac_f32_e32 v19, v20, v9
	v_fma_f32 v8, -v8, v19, v18
	v_div_fmas_f32 v8, v8, v9, v19
	v_div_fixup_f32 v9, v8, v5, v4
	v_fma_f32 v8, v4, v9, v5
	v_div_scale_f32 v18, s[4:5], v8, v8, 1.0
	v_rcp_f32_e32 v19, v18
	s_nop 0
	v_fma_f32 v20, -v18, v19, 1.0
	v_fmac_f32_e32 v19, v20, v19
	v_div_scale_f32 v20, vcc, 1.0, v8, 1.0
	v_mul_f32_e32 v21, v20, v19
	v_fma_f32 v22, -v18, v21, v20
	v_fmac_f32_e32 v21, v22, v19
	v_fma_f32 v18, -v18, v21, v20
	v_div_fmas_f32 v18, v18, v19, v21
	v_div_fixup_f32 v18, v18, v8, 1.0
	s_waitcnt lgkmcnt(3)
	v_fma_f32 v8, v2, v9, v3
	v_fma_f32 v9, v3, v9, -v2
	v_mul_f32_e32 v8, v8, v18
	v_mul_f32_e32 v9, v9, v18
	s_lshl_b32 s4, s10, 2
	s_cbranch_execz .LBB137_91
	s_branch .LBB137_92
.LBB137_90:
                                        ; implicit-def: $vgpr9
	s_lshl_b32 s4, s10, 2
.LBB137_91:
	v_div_scale_f32 v8, s[12:13], v4, v4, v5
	v_rcp_f32_e32 v9, v8
	v_div_scale_f32 v18, vcc, v5, v4, v5
	v_fma_f32 v19, -v8, v9, 1.0
	v_fmac_f32_e32 v9, v19, v9
	v_mul_f32_e32 v19, v18, v9
	v_fma_f32 v20, -v8, v19, v18
	v_fmac_f32_e32 v19, v20, v9
	v_fma_f32 v8, -v8, v19, v18
	v_div_fmas_f32 v8, v8, v9, v19
	v_div_fixup_f32 v9, v8, v4, v5
	v_fmac_f32_e32 v4, v5, v9
	v_div_scale_f32 v5, s[12:13], v4, v4, 1.0
	v_rcp_f32_e32 v8, v5
	s_nop 0
	v_fma_f32 v18, -v5, v8, 1.0
	v_fmac_f32_e32 v8, v18, v8
	v_div_scale_f32 v18, vcc, 1.0, v4, 1.0
	v_mul_f32_e32 v19, v18, v8
	v_fma_f32 v20, -v5, v19, v18
	v_fmac_f32_e32 v19, v20, v8
	v_fma_f32 v5, -v5, v19, v18
	v_div_fmas_f32 v5, v5, v8, v19
	v_div_fixup_f32 v4, v5, v4, 1.0
	s_waitcnt lgkmcnt(3)
	v_fma_f32 v5, v3, v9, v2
	v_fma_f32 v2, -v2, v9, v3
	v_mul_f32_e32 v8, v5, v4
	v_mul_f32_e32 v9, v2, v4
.LBB137_92:
	s_lshl_b32 s4, s4, 3
	s_lshl_b32 s10, s10, 3
	s_add_i32 s4, s4, s10
	s_waitcnt lgkmcnt(3)
	v_mov_b32_e32 v2, s4
	ds_read2_b64 v[2:5], v2 offset1:1
	ds_write_b64 v17, v[8:9]
	s_waitcnt lgkmcnt(1)
	v_mul_f32_e32 v17, v9, v5
	v_mul_f32_e32 v5, v8, v5
	v_fma_f32 v17, v8, v4, -v17
	v_fmac_f32_e32 v5, v9, v4
	v_cmp_ngt_f32_e64 s[4:5], |v2|, |v3|
	v_sub_f32_e32 v4, v12, v17
	v_sub_f32_e32 v5, v13, v5
	s_and_b64 vcc, exec, s[4:5]
	s_cbranch_vccz .LBB137_94
; %bb.93:
	v_div_scale_f32 v12, s[4:5], v3, v3, v2
	v_rcp_f32_e32 v13, v12
	v_div_scale_f32 v17, vcc, v2, v3, v2
	v_fma_f32 v18, -v12, v13, 1.0
	v_fmac_f32_e32 v13, v18, v13
	v_mul_f32_e32 v18, v17, v13
	v_fma_f32 v19, -v12, v18, v17
	v_fmac_f32_e32 v18, v19, v13
	v_fma_f32 v12, -v12, v18, v17
	v_div_fmas_f32 v12, v12, v13, v18
	v_div_fixup_f32 v13, v12, v3, v2
	v_fma_f32 v12, v2, v13, v3
	v_div_scale_f32 v17, s[4:5], v12, v12, 1.0
	v_rcp_f32_e32 v18, v17
	s_nop 0
	v_fma_f32 v19, -v17, v18, 1.0
	v_fmac_f32_e32 v18, v19, v18
	v_div_scale_f32 v19, vcc, 1.0, v12, 1.0
	v_mul_f32_e32 v20, v19, v18
	v_fma_f32 v21, -v17, v20, v19
	v_fmac_f32_e32 v20, v21, v18
	v_fma_f32 v17, -v17, v20, v19
	v_div_fmas_f32 v17, v17, v18, v20
	v_div_fixup_f32 v17, v17, v12, 1.0
	v_fma_f32 v12, v13, v4, v5
	v_fma_f32 v13, v13, v5, -v4
	v_mul_f32_e32 v12, v12, v17
	v_mul_f32_e32 v13, v13, v17
	s_lshl_b32 s4, s11, 2
	s_cbranch_execz .LBB137_95
	s_branch .LBB137_96
.LBB137_94:
                                        ; implicit-def: $vgpr13
	s_lshl_b32 s4, s11, 2
.LBB137_95:
	v_div_scale_f32 v12, s[12:13], v2, v2, v3
	v_rcp_f32_e32 v13, v12
	v_div_scale_f32 v17, vcc, v3, v2, v3
	v_fma_f32 v18, -v12, v13, 1.0
	v_fmac_f32_e32 v13, v18, v13
	v_mul_f32_e32 v18, v17, v13
	v_fma_f32 v19, -v12, v18, v17
	v_fmac_f32_e32 v18, v19, v13
	v_fma_f32 v12, -v12, v18, v17
	v_div_fmas_f32 v12, v12, v13, v18
	v_div_fixup_f32 v13, v12, v2, v3
	v_fmac_f32_e32 v2, v3, v13
	v_div_scale_f32 v3, s[12:13], v2, v2, 1.0
	v_rcp_f32_e32 v12, v3
	s_nop 0
	v_fma_f32 v17, -v3, v12, 1.0
	v_fmac_f32_e32 v12, v17, v12
	v_div_scale_f32 v17, vcc, 1.0, v2, 1.0
	v_mul_f32_e32 v18, v17, v12
	v_fma_f32 v19, -v3, v18, v17
	v_fmac_f32_e32 v18, v19, v12
	v_fma_f32 v3, -v3, v18, v17
	v_div_fmas_f32 v3, v3, v12, v18
	v_div_fixup_f32 v2, v3, v2, 1.0
	v_fma_f32 v3, v13, v5, v4
	v_mul_f32_e32 v12, v3, v2
	v_fma_f32 v3, -v13, v4, v5
	v_mul_f32_e32 v13, v3, v2
.LBB137_96:
	s_lshl_b32 s4, s4, 3
	s_lshl_b32 s5, s7, 3
	s_add_i32 s5, s4, s5
	v_mov_b32_e32 v2, s5
	s_lshl_b32 s5, s11, 3
	s_add_i32 s4, s4, s5
	ds_write_b64 v16, v[12:13]
	ds_read_b64 v[16:17], v2
	v_mov_b32_e32 v2, s4
	ds_read2_b64 v[2:5], v2 offset1:1
	s_waitcnt lgkmcnt(1)
	v_mul_f32_e32 v18, v9, v17
	v_mul_f32_e32 v17, v8, v17
	v_fma_f32 v18, v8, v16, -v18
	v_fmac_f32_e32 v17, v9, v16
	s_waitcnt lgkmcnt(0)
	v_mul_f32_e32 v16, v13, v5
	v_mul_f32_e32 v5, v12, v5
	v_sub_f32_e32 v10, v10, v18
	v_sub_f32_e32 v11, v11, v17
	v_fma_f32 v16, v12, v4, -v16
	v_fmac_f32_e32 v5, v13, v4
	v_cmp_ngt_f32_e64 s[4:5], |v2|, |v3|
	v_sub_f32_e32 v4, v10, v16
	v_sub_f32_e32 v5, v11, v5
	s_and_b64 vcc, exec, s[4:5]
	s_cbranch_vccz .LBB137_98
; %bb.97:
	v_div_scale_f32 v10, s[4:5], v3, v3, v2
	v_rcp_f32_e32 v11, v10
	v_div_scale_f32 v16, vcc, v2, v3, v2
	v_fma_f32 v17, -v10, v11, 1.0
	v_fmac_f32_e32 v11, v17, v11
	v_mul_f32_e32 v17, v16, v11
	v_fma_f32 v18, -v10, v17, v16
	v_fmac_f32_e32 v17, v18, v11
	v_fma_f32 v10, -v10, v17, v16
	v_div_fmas_f32 v10, v10, v11, v17
	v_div_fixup_f32 v11, v10, v3, v2
	v_fma_f32 v10, v2, v11, v3
	v_div_scale_f32 v16, s[4:5], v10, v10, 1.0
	v_rcp_f32_e32 v17, v16
	s_nop 0
	v_fma_f32 v18, -v16, v17, 1.0
	v_fmac_f32_e32 v17, v18, v17
	v_div_scale_f32 v18, vcc, 1.0, v10, 1.0
	v_mul_f32_e32 v19, v18, v17
	v_fma_f32 v20, -v16, v19, v18
	v_fmac_f32_e32 v19, v20, v17
	v_fma_f32 v16, -v16, v19, v18
	v_div_fmas_f32 v16, v16, v17, v19
	v_div_fixup_f32 v16, v16, v10, 1.0
	v_fma_f32 v10, v11, v4, v5
	v_fma_f32 v11, v11, v5, -v4
	v_mul_f32_e32 v10, v10, v16
	v_mul_f32_e32 v11, v11, v16
	s_lshl_b32 s4, s9, 2
	s_cbranch_execz .LBB137_99
	s_branch .LBB137_100
.LBB137_98:
                                        ; implicit-def: $vgpr11
	s_lshl_b32 s4, s9, 2
.LBB137_99:
	v_div_scale_f32 v10, s[12:13], v2, v2, v3
	v_rcp_f32_e32 v11, v10
	v_div_scale_f32 v16, vcc, v3, v2, v3
	v_fma_f32 v17, -v10, v11, 1.0
	v_fmac_f32_e32 v11, v17, v11
	v_mul_f32_e32 v17, v16, v11
	v_fma_f32 v18, -v10, v17, v16
	v_fmac_f32_e32 v17, v18, v11
	v_fma_f32 v10, -v10, v17, v16
	v_div_fmas_f32 v10, v10, v11, v17
	v_div_fixup_f32 v11, v10, v2, v3
	v_fmac_f32_e32 v2, v3, v11
	v_div_scale_f32 v3, s[12:13], v2, v2, 1.0
	v_rcp_f32_e32 v10, v3
	s_nop 0
	v_fma_f32 v16, -v3, v10, 1.0
	v_fmac_f32_e32 v10, v16, v10
	v_div_scale_f32 v16, vcc, 1.0, v2, 1.0
	v_mul_f32_e32 v17, v16, v10
	v_fma_f32 v18, -v3, v17, v16
	v_fmac_f32_e32 v17, v18, v10
	v_fma_f32 v3, -v3, v17, v16
	v_div_fmas_f32 v3, v3, v10, v17
	v_div_fixup_f32 v2, v3, v2, 1.0
	v_fma_f32 v3, v11, v5, v4
	v_mul_f32_e32 v10, v3, v2
	v_fma_f32 v3, -v11, v4, v5
	v_mul_f32_e32 v11, v3, v2
.LBB137_100:
	s_lshl_b32 s4, s4, 3
	s_add_i32 s5, s4, s10
	v_mov_b32_e32 v2, s5
	ds_read2_b64 v[16:19], v2 offset1:1
	s_lshl_b32 s5, s9, 3
	v_mov_b32_e32 v20, v9
	s_add_i32 s4, s4, s5
	v_mov_b32_e32 v2, s4
	s_waitcnt lgkmcnt(0)
	v_pk_mul_f32 v[20:21], v[20:21], v[18:19] op_sel:[0,1] op_sel_hi:[0,0]
	ds_read2_b64 v[2:5], v2 offset1:1
	v_pk_fma_f32 v[22:23], v[8:9], v[18:19], v[20:21] neg_lo:[0,0,1] neg_hi:[0,0,1]
	v_pk_fma_f32 v[8:9], v[8:9], v[18:19], v[20:21] op_sel_hi:[0,1,1]
	v_mov_b32_e32 v8, v13
	v_mov_b32_e32 v23, v9
	v_pk_mul_f32 v[8:9], v[8:9], v[16:17] op_sel:[0,1] op_sel_hi:[0,0]
	v_pk_fma_f32 v[18:19], v[12:13], v[16:17], v[8:9] neg_lo:[0,0,1] neg_hi:[0,0,1]
	v_pk_fma_f32 v[8:9], v[12:13], v[16:17], v[8:9] op_sel_hi:[0,1,1]
	v_mov_b32_e32 v8, v11
	v_mov_b32_e32 v19, v9
	s_waitcnt lgkmcnt(0)
	v_pk_mul_f32 v[8:9], v[8:9], v[4:5] op_sel:[0,1] op_sel_hi:[0,0]
	v_pk_add_f32 v[6:7], v[6:7], v[22:23] neg_lo:[0,1] neg_hi:[0,1]
	v_pk_fma_f32 v[12:13], v[10:11], v[4:5], v[8:9] neg_lo:[0,0,1] neg_hi:[0,0,1]
	v_pk_fma_f32 v[4:5], v[10:11], v[4:5], v[8:9] op_sel_hi:[0,1,1]
	v_pk_add_f32 v[6:7], v[6:7], v[18:19] neg_lo:[0,1] neg_hi:[0,1]
	v_mov_b32_e32 v13, v5
	v_cmp_ngt_f32_e64 s[4:5], |v2|, |v3|
	v_pk_add_f32 v[4:5], v[6:7], v[12:13] neg_lo:[0,1] neg_hi:[0,1]
	s_and_b64 vcc, exec, s[4:5]
	ds_write_b64 v15, v[10:11]
	s_cbranch_vccz .LBB137_102
; %bb.101:
	v_div_scale_f32 v6, s[4:5], v3, v3, v2
	v_rcp_f32_e32 v7, v6
	v_div_scale_f32 v8, vcc, v2, v3, v2
	v_fma_f32 v9, -v6, v7, 1.0
	v_fmac_f32_e32 v7, v9, v7
	v_mul_f32_e32 v9, v8, v7
	v_fma_f32 v10, -v6, v9, v8
	v_fmac_f32_e32 v9, v10, v7
	v_fma_f32 v6, -v6, v9, v8
	v_div_fmas_f32 v6, v6, v7, v9
	v_div_fixup_f32 v6, v6, v3, v2
	v_fma_f32 v7, v2, v6, v3
	v_div_scale_f32 v10, s[4:5], v7, v7, 1.0
	v_rcp_f32_e32 v11, v10
	v_pk_fma_f32 v[8:9], v[6:7], v[4:5], v[4:5] op_sel:[0,0,1] op_sel_hi:[1,1,0]
	s_nop 0
	v_fma_f32 v9, -v10, v11, 1.0
	v_fmac_f32_e32 v11, v9, v11
	v_div_scale_f32 v9, vcc, 1.0, v7, 1.0
	v_mul_f32_e32 v12, v9, v11
	v_fma_f32 v13, -v10, v12, v9
	v_fmac_f32_e32 v12, v13, v11
	v_fma_f32 v9, -v10, v12, v9
	v_div_fmas_f32 v9, v9, v11, v12
	v_div_fixup_f32 v9, v9, v7, 1.0
	v_fma_f32 v7, v6, v5, -v4
	v_mov_b32_e32 v6, v9
	v_pk_mul_f32 v[6:7], v[8:9], v[6:7]
	s_cbranch_execz .LBB137_103
	s_branch .LBB137_104
.LBB137_102:
                                        ; implicit-def: $vgpr6_vgpr7
.LBB137_103:
	v_div_scale_f32 v6, s[4:5], v2, v2, v3
	v_rcp_f32_e32 v7, v6
	v_div_scale_f32 v8, vcc, v3, v2, v3
	v_fma_f32 v9, -v6, v7, 1.0
	v_fmac_f32_e32 v7, v9, v7
	v_mul_f32_e32 v9, v8, v7
	v_fma_f32 v10, -v6, v9, v8
	v_fmac_f32_e32 v9, v10, v7
	v_fma_f32 v6, -v6, v9, v8
	v_div_fmas_f32 v6, v6, v7, v9
	v_div_fixup_f32 v6, v6, v2, v3
	v_fmac_f32_e32 v2, v3, v6
	v_div_scale_f32 v3, s[4:5], v2, v2, 1.0
	v_rcp_f32_e32 v7, v3
	s_nop 0
	v_fma_f32 v8, -v3, v7, 1.0
	v_fmac_f32_e32 v7, v8, v7
	v_div_scale_f32 v8, vcc, 1.0, v2, 1.0
	v_mul_f32_e32 v9, v8, v7
	v_fma_f32 v10, -v3, v9, v8
	v_fmac_f32_e32 v9, v10, v7
	v_fma_f32 v3, -v3, v9, v8
	v_div_fmas_f32 v3, v3, v7, v9
	v_pk_fma_f32 v[8:9], v[6:7], v[4:5], v[4:5] op_sel:[0,1,0] op_sel_hi:[1,0,1]
	v_pk_fma_f32 v[4:5], v[6:7], v[4:5], v[4:5] op_sel:[0,1,0] op_sel_hi:[0,0,1] neg_lo:[1,0,0] neg_hi:[1,0,0]
	v_div_fixup_f32 v2, v3, v2, 1.0
	v_mov_b32_e32 v9, v5
	v_pk_mul_f32 v[6:7], v[8:9], v[2:3] op_sel_hi:[1,0]
.LBB137_104:
	s_add_i32 s9, s28, -5
	ds_write_b64 v14, v[6:7]
.LBB137_105:
	s_cmp_lt_i32 s9, 0
	s_cbranch_scc1 .LBB137_114
; %bb.106:
	v_lshlrev_b32_e32 v2, 3, v0
	s_lshl_b32 s4, s9, 5
	s_lshl_b32 s5, s28, 3
	v_lshl_or_b32 v2, s28, 5, v2
	s_add_i32 s4, s4, s5
	v_add_u32_e32 v8, 0x60, v2
	s_add_i32 s10, s4, -8
	s_branch .LBB137_108
.LBB137_107:                            ;   in Loop: Header=BB137_108 Depth=1
	v_sub_co_u32_e64 v2, s[4:5], s9, 1
	s_nop 0
	v_readfirstlane_b32 s9, v2
	s_sub_i32 s10, s10, 32
	s_and_b64 vcc, exec, s[4:5]
	ds_write_b64 v9, v[6:7]
	s_cbranch_vccnz .LBB137_114
.LBB137_108:                            ; =>This Loop Header: Depth=1
                                        ;     Child Loop BB137_109 Depth 2
	v_lshl_add_u32 v9, s9, 5, v1
	ds_read_b64 v[2:3], v9
	s_cmp_le_i32 s7, s9
	s_mov_b32 s4, s10
	v_mov_b32_e32 v4, v8
	s_mov_b32 s5, s7
	s_cbranch_scc1 .LBB137_110
.LBB137_109:                            ;   Parent Loop BB137_108 Depth=1
                                        ; =>  This Inner Loop Header: Depth=2
	v_mov_b32_e32 v5, s4
	ds_read_b64 v[6:7], v4
	ds_read_b64 v[10:11], v5
	s_add_i32 s5, s5, -1
	s_add_i32 s4, s4, -8
	v_subrev_u32_e32 v4, 32, v4
	s_cmp_le_u32 s5, s9
	s_waitcnt lgkmcnt(0)
	v_pk_mul_f32 v[12:13], v[10:11], v[6:7] op_sel:[1,1] op_sel_hi:[0,1]
	v_pk_fma_f32 v[14:15], v[10:11], v[6:7], v[12:13] op_sel_hi:[1,0,1]
	v_pk_fma_f32 v[6:7], v[10:11], v[6:7], v[12:13] op_sel_hi:[1,0,1] neg_lo:[0,0,1] neg_hi:[0,0,1]
	s_nop 0
	v_mov_b32_e32 v7, v15
	v_pk_add_f32 v[2:3], v[2:3], v[6:7] neg_lo:[0,1] neg_hi:[0,1]
	s_cbranch_scc0 .LBB137_109
.LBB137_110:                            ;   in Loop: Header=BB137_108 Depth=1
	s_mul_i32 s4, s9, 40
	v_mov_b32_e32 v4, s4
	ds_read_b64 v[4:5], v4
	s_mov_b64 s[4:5], -1
                                        ; implicit-def: $vgpr6_vgpr7
	s_waitcnt lgkmcnt(0)
	v_cmp_ngt_f32_e64 s[12:13], |v4|, |v5|
	s_and_b64 vcc, exec, s[12:13]
	s_cbranch_vccz .LBB137_112
; %bb.111:                              ;   in Loop: Header=BB137_108 Depth=1
	v_div_scale_f32 v6, s[4:5], v5, v5, v4
	v_rcp_f32_e32 v7, v6
	v_div_scale_f32 v10, vcc, v4, v5, v4
	v_fma_f32 v11, -v6, v7, 1.0
	v_fmac_f32_e32 v7, v11, v7
	v_mul_f32_e32 v11, v10, v7
	v_fma_f32 v12, -v6, v11, v10
	v_fmac_f32_e32 v11, v12, v7
	v_fma_f32 v6, -v6, v11, v10
	v_div_fmas_f32 v6, v6, v7, v11
	v_div_fixup_f32 v6, v6, v5, v4
	v_fma_f32 v7, v4, v6, v5
	v_div_scale_f32 v10, s[4:5], v7, v7, 1.0
	v_rcp_f32_e32 v11, v10
	s_mov_b64 s[4:5], 0
	v_fma_f32 v12, -v10, v11, 1.0
	v_fmac_f32_e32 v11, v12, v11
	v_div_scale_f32 v12, vcc, 1.0, v7, 1.0
	v_mul_f32_e32 v13, v12, v11
	v_fma_f32 v14, -v10, v13, v12
	v_fmac_f32_e32 v13, v14, v11
	v_fma_f32 v10, -v10, v13, v12
	v_div_fmas_f32 v10, v10, v11, v13
	v_div_fixup_f32 v10, v10, v7, 1.0
	v_pk_fma_f32 v[12:13], v[2:3], v[6:7], v[2:3] op_sel:[0,0,1] op_sel_hi:[1,0,0] neg_lo:[0,0,1] neg_hi:[0,0,1]
	v_pk_fma_f32 v[6:7], v[2:3], v[6:7], v[2:3] op_sel:[0,0,1] op_sel_hi:[1,0,0]
	s_nop 0
	v_mov_b32_e32 v7, v13
	v_pk_mul_f32 v[6:7], v[6:7], v[10:11] op_sel_hi:[1,0]
.LBB137_112:                            ;   in Loop: Header=BB137_108 Depth=1
	s_andn2_b64 vcc, exec, s[4:5]
	s_cbranch_vccnz .LBB137_107
; %bb.113:                              ;   in Loop: Header=BB137_108 Depth=1
	v_div_scale_f32 v6, s[4:5], v4, v4, v5
	v_rcp_f32_e32 v7, v6
	v_div_scale_f32 v10, vcc, v5, v4, v5
	v_fma_f32 v11, -v6, v7, 1.0
	v_fmac_f32_e32 v7, v11, v7
	v_mul_f32_e32 v11, v10, v7
	v_fma_f32 v12, -v6, v11, v10
	v_fmac_f32_e32 v11, v12, v7
	v_fma_f32 v6, -v6, v11, v10
	v_div_fmas_f32 v6, v6, v7, v11
	v_div_fixup_f32 v6, v6, v4, v5
	v_fmac_f32_e32 v4, v5, v6
	v_div_scale_f32 v5, s[4:5], v4, v4, 1.0
	v_rcp_f32_e32 v7, v5
	s_nop 0
	v_fma_f32 v10, -v5, v7, 1.0
	v_fmac_f32_e32 v7, v10, v7
	v_div_scale_f32 v10, vcc, 1.0, v4, 1.0
	v_mul_f32_e32 v11, v10, v7
	v_fma_f32 v12, -v5, v11, v10
	v_fmac_f32_e32 v11, v12, v7
	v_fma_f32 v5, -v5, v11, v10
	v_div_fmas_f32 v5, v5, v7, v11
	v_pk_fma_f32 v[10:11], v[2:3], v[6:7], v[2:3] op_sel:[1,0,0] op_sel_hi:[0,0,1] neg_lo:[1,0,0] neg_hi:[1,0,0]
	v_pk_fma_f32 v[2:3], v[2:3], v[6:7], v[2:3] op_sel:[1,0,0] op_sel_hi:[0,0,1]
	v_div_fixup_f32 v4, v5, v4, 1.0
	v_mov_b32_e32 v3, v11
	v_pk_mul_f32 v[6:7], v[2:3], v[4:5] op_sel_hi:[1,0]
	s_branch .LBB137_107
.LBB137_114:
	s_mov_b64 s[14:15], 0
.LBB137_115:
	s_andn2_b64 vcc, exec, s[14:15]
	s_cbranch_vccnz .LBB137_143
; %bb.116:
	v_mov_b32_e32 v1, 0x80
	v_lshl_or_b32 v1, v0, 3, v1
	s_cmp_lt_i32 s8, 4
	s_mov_b32 s7, 0
	s_cbranch_scc1 .LBB137_134
; %bb.117:
	v_mov_b32_e32 v2, 0
	ds_read_b64 v[10:11], v2
	ds_read2_b64 v[6:9], v1 offset1:4
	ds_read2_b64 v[2:5], v1 offset0:8 offset1:12
	s_waitcnt lgkmcnt(2)
	v_cmp_ngt_f32_e64 s[4:5], |v10|, |v11|
	s_and_b64 vcc, exec, s[4:5]
	s_cbranch_vccz .LBB137_119
; %bb.118:
	v_div_scale_f32 v12, s[4:5], v11, v11, v10
	v_rcp_f32_e32 v13, v12
	v_div_scale_f32 v14, vcc, v10, v11, v10
	v_fma_f32 v15, -v12, v13, 1.0
	v_fmac_f32_e32 v13, v15, v13
	v_mul_f32_e32 v15, v14, v13
	v_fma_f32 v16, -v12, v15, v14
	v_fmac_f32_e32 v15, v16, v13
	v_fma_f32 v12, -v12, v15, v14
	v_div_fmas_f32 v12, v12, v13, v15
	v_div_fixup_f32 v12, v12, v11, v10
	v_fma_f32 v13, v10, v12, v11
	v_div_scale_f32 v14, s[4:5], v13, v13, 1.0
	v_rcp_f32_e32 v15, v14
	s_nop 0
	v_fma_f32 v16, -v14, v15, 1.0
	v_fmac_f32_e32 v15, v16, v15
	v_div_scale_f32 v16, vcc, 1.0, v13, 1.0
	v_mul_f32_e32 v17, v16, v15
	v_fma_f32 v18, -v14, v17, v16
	v_fmac_f32_e32 v17, v18, v15
	v_fma_f32 v14, -v14, v17, v16
	v_div_fmas_f32 v14, v14, v15, v17
	v_div_fixup_f32 v13, v14, v13, 1.0
	s_waitcnt lgkmcnt(1)
	v_fma_f32 v14, v6, v12, v7
	v_fma_f32 v12, v7, v12, -v6
	v_mul_f32_e32 v14, v14, v13
	v_mul_f32_e32 v15, v12, v13
	s_cbranch_execz .LBB137_120
	s_branch .LBB137_121
.LBB137_119:
                                        ; implicit-def: $vgpr15
.LBB137_120:
	v_div_scale_f32 v12, s[4:5], v10, v10, v11
	v_rcp_f32_e32 v13, v12
	v_div_scale_f32 v14, vcc, v11, v10, v11
	v_fma_f32 v15, -v12, v13, 1.0
	v_fmac_f32_e32 v13, v15, v13
	v_mul_f32_e32 v15, v14, v13
	v_fma_f32 v16, -v12, v15, v14
	v_fmac_f32_e32 v15, v16, v13
	v_fma_f32 v12, -v12, v15, v14
	v_div_fmas_f32 v12, v12, v13, v15
	v_div_fixup_f32 v12, v12, v10, v11
	v_fmac_f32_e32 v10, v11, v12
	v_div_scale_f32 v11, s[4:5], v10, v10, 1.0
	v_rcp_f32_e32 v13, v11
	s_nop 0
	v_fma_f32 v14, -v11, v13, 1.0
	v_fmac_f32_e32 v13, v14, v13
	v_div_scale_f32 v14, vcc, 1.0, v10, 1.0
	v_mul_f32_e32 v15, v14, v13
	v_fma_f32 v16, -v11, v15, v14
	v_fmac_f32_e32 v15, v16, v13
	v_fma_f32 v11, -v11, v15, v14
	v_div_fmas_f32 v11, v11, v13, v15
	v_div_fixup_f32 v10, v11, v10, 1.0
	s_waitcnt lgkmcnt(1)
	v_fma_f32 v11, v7, v12, v6
	v_fma_f32 v6, -v6, v12, v7
	v_mul_f32_e32 v14, v11, v10
	v_mul_f32_e32 v15, v6, v10
.LBB137_121:
	s_waitcnt lgkmcnt(1)
	v_mov_b32_e32 v6, 0
	ds_read_b128 v[10:13], v6 offset:32
	ds_write_b64 v1, v[14:15]
	s_waitcnt lgkmcnt(1)
	v_mul_f32_e32 v6, v15, v11
	v_mul_f32_e32 v7, v14, v11
	v_fma_f32 v6, v14, v10, -v6
	v_fmac_f32_e32 v7, v15, v10
	v_cmp_ngt_f32_e64 s[4:5], |v12|, |v13|
	v_sub_f32_e32 v6, v8, v6
	v_sub_f32_e32 v7, v9, v7
	s_and_b64 vcc, exec, s[4:5]
	s_cbranch_vccz .LBB137_123
; %bb.122:
	v_div_scale_f32 v8, s[4:5], v13, v13, v12
	v_rcp_f32_e32 v9, v8
	v_div_scale_f32 v10, vcc, v12, v13, v12
	v_fma_f32 v11, -v8, v9, 1.0
	v_fmac_f32_e32 v9, v11, v9
	v_mul_f32_e32 v11, v10, v9
	v_fma_f32 v16, -v8, v11, v10
	v_fmac_f32_e32 v11, v16, v9
	v_fma_f32 v8, -v8, v11, v10
	v_div_fmas_f32 v8, v8, v9, v11
	v_div_fixup_f32 v8, v8, v13, v12
	v_fma_f32 v9, v12, v8, v13
	v_div_scale_f32 v10, s[4:5], v9, v9, 1.0
	v_rcp_f32_e32 v11, v10
	s_nop 0
	v_fma_f32 v16, -v10, v11, 1.0
	v_fmac_f32_e32 v11, v16, v11
	v_div_scale_f32 v16, vcc, 1.0, v9, 1.0
	v_mul_f32_e32 v17, v16, v11
	v_fma_f32 v18, -v10, v17, v16
	v_fmac_f32_e32 v17, v18, v11
	v_fma_f32 v10, -v10, v17, v16
	v_div_fmas_f32 v10, v10, v11, v17
	v_div_fixup_f32 v9, v10, v9, 1.0
	v_fma_f32 v10, v8, v6, v7
	v_fma_f32 v8, v8, v7, -v6
	v_mul_f32_e32 v10, v10, v9
	v_mul_f32_e32 v11, v8, v9
	s_cbranch_execz .LBB137_124
	s_branch .LBB137_125
.LBB137_123:
                                        ; implicit-def: $vgpr11
.LBB137_124:
	v_div_scale_f32 v8, s[4:5], v12, v12, v13
	v_rcp_f32_e32 v9, v8
	v_div_scale_f32 v10, vcc, v13, v12, v13
	v_fma_f32 v11, -v8, v9, 1.0
	v_fmac_f32_e32 v9, v11, v9
	v_mul_f32_e32 v11, v10, v9
	v_fma_f32 v16, -v8, v11, v10
	v_fmac_f32_e32 v11, v16, v9
	v_fma_f32 v8, -v8, v11, v10
	v_div_fmas_f32 v8, v8, v9, v11
	v_div_fixup_f32 v8, v8, v12, v13
	v_fmac_f32_e32 v12, v13, v8
	v_div_scale_f32 v9, s[4:5], v12, v12, 1.0
	v_rcp_f32_e32 v10, v9
	s_nop 0
	v_fma_f32 v11, -v9, v10, 1.0
	v_fmac_f32_e32 v10, v11, v10
	v_div_scale_f32 v11, vcc, 1.0, v12, 1.0
	v_mul_f32_e32 v13, v11, v10
	v_fma_f32 v16, -v9, v13, v11
	v_fmac_f32_e32 v13, v16, v10
	v_fma_f32 v9, -v9, v13, v11
	v_div_fmas_f32 v9, v9, v10, v13
	v_div_fixup_f32 v9, v9, v12, 1.0
	v_fma_f32 v10, v8, v7, v6
	v_fma_f32 v6, -v8, v6, v7
	v_mul_f32_e32 v10, v10, v9
	v_mul_f32_e32 v11, v6, v9
.LBB137_125:
	v_mov_b32_e32 v6, 0
	ds_read_b128 v[16:19], v6 offset:64
	ds_read_b64 v[6:7], v6 offset:80
	ds_write_b64 v1, v[10:11] offset:32
	s_waitcnt lgkmcnt(2)
	v_mul_f32_e32 v8, v15, v17
	v_mul_f32_e32 v9, v14, v17
	v_fma_f32 v8, v14, v16, -v8
	v_fmac_f32_e32 v9, v15, v16
	v_sub_f32_e32 v2, v2, v8
	v_sub_f32_e32 v3, v3, v9
	v_mul_f32_e32 v8, v11, v19
	v_mul_f32_e32 v9, v10, v19
	v_fma_f32 v8, v10, v18, -v8
	v_fmac_f32_e32 v9, v11, v18
	s_waitcnt lgkmcnt(1)
	v_cmp_ngt_f32_e64 s[4:5], |v6|, |v7|
	v_sub_f32_e32 v8, v2, v8
	v_sub_f32_e32 v9, v3, v9
	s_and_b64 vcc, exec, s[4:5]
	s_cbranch_vccz .LBB137_127
; %bb.126:
	v_div_scale_f32 v2, s[4:5], v7, v7, v6
	v_rcp_f32_e32 v3, v2
	v_div_scale_f32 v12, vcc, v6, v7, v6
	v_fma_f32 v13, -v2, v3, 1.0
	v_fmac_f32_e32 v3, v13, v3
	v_mul_f32_e32 v13, v12, v3
	v_fma_f32 v16, -v2, v13, v12
	v_fmac_f32_e32 v13, v16, v3
	v_fma_f32 v2, -v2, v13, v12
	v_div_fmas_f32 v2, v2, v3, v13
	v_div_fixup_f32 v3, v2, v7, v6
	v_fma_f32 v2, v6, v3, v7
	v_div_scale_f32 v12, s[4:5], v2, v2, 1.0
	v_rcp_f32_e32 v13, v12
	s_nop 0
	v_fma_f32 v16, -v12, v13, 1.0
	v_fmac_f32_e32 v13, v16, v13
	v_div_scale_f32 v16, vcc, 1.0, v2, 1.0
	v_mul_f32_e32 v17, v16, v13
	v_fma_f32 v18, -v12, v17, v16
	v_fmac_f32_e32 v17, v18, v13
	v_fma_f32 v12, -v12, v17, v16
	v_div_fmas_f32 v12, v12, v13, v17
	v_div_fixup_f32 v12, v12, v2, 1.0
	v_fma_f32 v2, v3, v8, v9
	v_fma_f32 v3, v3, v9, -v8
	v_mul_f32_e32 v2, v2, v12
	v_mul_f32_e32 v3, v3, v12
	s_cbranch_execz .LBB137_128
	s_branch .LBB137_129
.LBB137_127:
                                        ; implicit-def: $vgpr3
.LBB137_128:
	v_div_scale_f32 v2, s[4:5], v6, v6, v7
	v_rcp_f32_e32 v3, v2
	v_div_scale_f32 v12, vcc, v7, v6, v7
	v_fma_f32 v13, -v2, v3, 1.0
	v_fmac_f32_e32 v3, v13, v3
	v_mul_f32_e32 v13, v12, v3
	v_fma_f32 v16, -v2, v13, v12
	v_fmac_f32_e32 v13, v16, v3
	v_fma_f32 v2, -v2, v13, v12
	v_div_fmas_f32 v2, v2, v3, v13
	v_div_fixup_f32 v3, v2, v6, v7
	v_fmac_f32_e32 v6, v7, v3
	v_div_scale_f32 v2, s[4:5], v6, v6, 1.0
	v_rcp_f32_e32 v7, v2
	s_nop 0
	v_fma_f32 v12, -v2, v7, 1.0
	v_fmac_f32_e32 v7, v12, v7
	v_div_scale_f32 v12, vcc, 1.0, v6, 1.0
	v_mul_f32_e32 v13, v12, v7
	v_fma_f32 v16, -v2, v13, v12
	v_fmac_f32_e32 v13, v16, v7
	v_fma_f32 v2, -v2, v13, v12
	v_div_fmas_f32 v2, v2, v7, v13
	v_div_fixup_f32 v6, v2, v6, 1.0
	v_fma_f32 v2, v3, v9, v8
	v_fma_f32 v3, -v3, v8, v9
	v_mul_f32_e32 v2, v2, v6
	v_mul_f32_e32 v3, v3, v6
.LBB137_129:
	v_mov_b32_e32 v6, 0
	ds_read_b128 v[16:19], v6 offset:96
	v_mov_b32_e32 v12, v15
	ds_read_b128 v[6:9], v6 offset:112
	ds_write_b64 v1, v[2:3] offset:64
	s_waitcnt lgkmcnt(2)
	v_pk_mul_f32 v[12:13], v[12:13], v[16:17] op_sel:[0,1] op_sel_hi:[0,0]
	v_pk_fma_f32 v[20:21], v[14:15], v[16:17], v[12:13] neg_lo:[0,0,1] neg_hi:[0,0,1]
	v_pk_fma_f32 v[12:13], v[14:15], v[16:17], v[12:13] op_sel_hi:[0,1,1]
	v_mov_b32_e32 v12, v11
	v_mov_b32_e32 v21, v13
	v_pk_mul_f32 v[12:13], v[12:13], v[18:19] op_sel:[0,1] op_sel_hi:[0,0]
	v_pk_fma_f32 v[14:15], v[10:11], v[18:19], v[12:13] neg_lo:[0,0,1] neg_hi:[0,0,1]
	v_pk_fma_f32 v[10:11], v[10:11], v[18:19], v[12:13] op_sel_hi:[0,1,1]
	v_mov_b32_e32 v10, v3
	v_mov_b32_e32 v15, v11
	s_waitcnt lgkmcnt(1)
	v_pk_mul_f32 v[10:11], v[10:11], v[6:7] op_sel:[0,1] op_sel_hi:[0,0]
	v_pk_add_f32 v[4:5], v[4:5], v[20:21] neg_lo:[0,1] neg_hi:[0,1]
	v_pk_fma_f32 v[12:13], v[2:3], v[6:7], v[10:11] neg_lo:[0,0,1] neg_hi:[0,0,1]
	v_pk_fma_f32 v[2:3], v[2:3], v[6:7], v[10:11] op_sel_hi:[0,1,1]
	v_pk_add_f32 v[4:5], v[4:5], v[14:15] neg_lo:[0,1] neg_hi:[0,1]
	v_mov_b32_e32 v13, v3
	v_cmp_ngt_f32_e64 s[4:5], |v8|, |v9|
	v_pk_add_f32 v[2:3], v[4:5], v[12:13] neg_lo:[0,1] neg_hi:[0,1]
	s_and_b64 vcc, exec, s[4:5]
	s_cbranch_vccz .LBB137_131
; %bb.130:
	v_div_scale_f32 v4, s[4:5], v9, v9, v8
	v_rcp_f32_e32 v5, v4
	v_div_scale_f32 v6, vcc, v8, v9, v8
	v_fma_f32 v7, -v4, v5, 1.0
	v_fmac_f32_e32 v5, v7, v5
	v_mul_f32_e32 v7, v6, v5
	v_fma_f32 v10, -v4, v7, v6
	v_fmac_f32_e32 v7, v10, v5
	v_fma_f32 v4, -v4, v7, v6
	v_div_fmas_f32 v4, v4, v5, v7
	v_div_fixup_f32 v4, v4, v9, v8
	v_fma_f32 v5, v8, v4, v9
	v_div_scale_f32 v10, s[4:5], v5, v5, 1.0
	v_rcp_f32_e32 v11, v10
	v_pk_fma_f32 v[6:7], v[4:5], v[2:3], v[2:3] op_sel:[0,0,1] op_sel_hi:[1,1,0]
	s_nop 0
	v_fma_f32 v7, -v10, v11, 1.0
	v_fmac_f32_e32 v11, v7, v11
	v_div_scale_f32 v7, vcc, 1.0, v5, 1.0
	v_mul_f32_e32 v12, v7, v11
	v_fma_f32 v13, -v10, v12, v7
	v_fmac_f32_e32 v12, v13, v11
	v_fma_f32 v7, -v10, v12, v7
	v_div_fmas_f32 v7, v7, v11, v12
	v_div_fixup_f32 v7, v7, v5, 1.0
	v_fma_f32 v5, v4, v3, -v2
	v_mov_b32_e32 v4, v7
	v_pk_mul_f32 v[4:5], v[6:7], v[4:5]
	s_cbranch_execz .LBB137_132
	s_branch .LBB137_133
.LBB137_131:
                                        ; implicit-def: $vgpr4_vgpr5
.LBB137_132:
	v_div_scale_f32 v4, s[4:5], v8, v8, v9
	v_rcp_f32_e32 v5, v4
	v_div_scale_f32 v6, vcc, v9, v8, v9
	v_fma_f32 v7, -v4, v5, 1.0
	v_fmac_f32_e32 v5, v7, v5
	v_mul_f32_e32 v7, v6, v5
	v_fma_f32 v10, -v4, v7, v6
	v_fmac_f32_e32 v7, v10, v5
	v_fma_f32 v4, -v4, v7, v6
	v_div_fmas_f32 v4, v4, v5, v7
	v_div_fixup_f32 v4, v4, v8, v9
	v_fmac_f32_e32 v8, v9, v4
	v_div_scale_f32 v5, s[4:5], v8, v8, 1.0
	v_rcp_f32_e32 v6, v5
	s_nop 0
	v_fma_f32 v7, -v5, v6, 1.0
	v_fmac_f32_e32 v6, v7, v6
	v_div_scale_f32 v7, vcc, 1.0, v8, 1.0
	v_mul_f32_e32 v9, v7, v6
	v_fma_f32 v10, -v5, v9, v7
	v_fmac_f32_e32 v9, v10, v6
	v_fma_f32 v5, -v5, v9, v7
	v_div_fmas_f32 v5, v5, v6, v9
	v_div_fixup_f32 v6, v5, v8, 1.0
	v_pk_fma_f32 v[8:9], v[4:5], v[2:3], v[2:3] op_sel:[0,1,0] op_sel_hi:[1,0,1]
	v_pk_fma_f32 v[2:3], v[4:5], v[2:3], v[2:3] op_sel:[0,1,0] op_sel_hi:[0,0,1] neg_lo:[1,0,0] neg_hi:[1,0,0]
	v_mov_b32_e32 v9, v3
	v_pk_mul_f32 v[4:5], v[8:9], v[6:7] op_sel_hi:[1,0]
.LBB137_133:
	s_mov_b32 s7, 4
	ds_write_b64 v1, v[4:5] offset:96
.LBB137_134:
	s_cmp_ge_i32 s7, s28
	s_cbranch_scc1 .LBB137_143
; %bb.135:
	v_mov_b32_e32 v2, 0x80
	v_lshl_or_b32 v8, v0, 3, v2
	s_lshl_b32 s9, s7, 5
	s_branch .LBB137_137
.LBB137_136:                            ;   in Loop: Header=BB137_137 Depth=1
	s_add_i32 s7, s7, 1
	s_add_i32 s9, s9, 32
	s_cmp_ge_i32 s7, s28
	ds_write_b64 v9, v[6:7]
	s_cbranch_scc1 .LBB137_143
.LBB137_137:                            ; =>This Loop Header: Depth=1
                                        ;     Child Loop BB137_138 Depth 2
	v_lshl_add_u32 v9, s7, 5, v1
	ds_read_b64 v[2:3], v9
	s_cmp_eq_u32 s7, 0
	s_mov_b32 s4, s9
	v_mov_b32_e32 v4, v8
	s_mov_b32 s5, s7
	s_cbranch_scc1 .LBB137_139
.LBB137_138:                            ;   Parent Loop BB137_137 Depth=1
                                        ; =>  This Inner Loop Header: Depth=2
	v_mov_b32_e32 v5, s4
	ds_read_b64 v[6:7], v4
	ds_read_b64 v[10:11], v5
	s_add_i32 s5, s5, -1
	s_add_i32 s4, s4, 8
	v_add_u32_e32 v4, 32, v4
	s_cmp_eq_u32 s5, 0
	s_waitcnt lgkmcnt(0)
	v_pk_mul_f32 v[12:13], v[10:11], v[6:7] op_sel:[1,1] op_sel_hi:[0,1]
	v_pk_fma_f32 v[14:15], v[10:11], v[6:7], v[12:13] op_sel_hi:[1,0,1]
	v_pk_fma_f32 v[6:7], v[10:11], v[6:7], v[12:13] op_sel_hi:[1,0,1] neg_lo:[0,0,1] neg_hi:[0,0,1]
	s_nop 0
	v_mov_b32_e32 v7, v15
	v_pk_add_f32 v[2:3], v[2:3], v[6:7] neg_lo:[0,1] neg_hi:[0,1]
	s_cbranch_scc0 .LBB137_138
.LBB137_139:                            ;   in Loop: Header=BB137_137 Depth=1
	s_mul_i32 s4, s7, 40
	v_mov_b32_e32 v4, s4
	ds_read_b64 v[4:5], v4
	s_mov_b64 s[4:5], -1
                                        ; implicit-def: $vgpr6_vgpr7
	s_waitcnt lgkmcnt(0)
	v_cmp_ngt_f32_e64 s[10:11], |v4|, |v5|
	s_and_b64 vcc, exec, s[10:11]
	s_cbranch_vccz .LBB137_141
; %bb.140:                              ;   in Loop: Header=BB137_137 Depth=1
	v_div_scale_f32 v6, s[4:5], v5, v5, v4
	v_rcp_f32_e32 v7, v6
	v_div_scale_f32 v10, vcc, v4, v5, v4
	v_fma_f32 v11, -v6, v7, 1.0
	v_fmac_f32_e32 v7, v11, v7
	v_mul_f32_e32 v11, v10, v7
	v_fma_f32 v12, -v6, v11, v10
	v_fmac_f32_e32 v11, v12, v7
	v_fma_f32 v6, -v6, v11, v10
	v_div_fmas_f32 v6, v6, v7, v11
	v_div_fixup_f32 v6, v6, v5, v4
	v_fma_f32 v7, v4, v6, v5
	v_div_scale_f32 v10, s[4:5], v7, v7, 1.0
	v_rcp_f32_e32 v11, v10
	s_mov_b64 s[4:5], 0
	v_fma_f32 v12, -v10, v11, 1.0
	v_fmac_f32_e32 v11, v12, v11
	v_div_scale_f32 v12, vcc, 1.0, v7, 1.0
	v_mul_f32_e32 v13, v12, v11
	v_fma_f32 v14, -v10, v13, v12
	v_fmac_f32_e32 v13, v14, v11
	v_fma_f32 v10, -v10, v13, v12
	v_div_fmas_f32 v10, v10, v11, v13
	v_div_fixup_f32 v10, v10, v7, 1.0
	v_pk_fma_f32 v[12:13], v[2:3], v[6:7], v[2:3] op_sel:[0,0,1] op_sel_hi:[1,0,0] neg_lo:[0,0,1] neg_hi:[0,0,1]
	v_pk_fma_f32 v[6:7], v[2:3], v[6:7], v[2:3] op_sel:[0,0,1] op_sel_hi:[1,0,0]
	s_nop 0
	v_mov_b32_e32 v7, v13
	v_pk_mul_f32 v[6:7], v[6:7], v[10:11] op_sel_hi:[1,0]
.LBB137_141:                            ;   in Loop: Header=BB137_137 Depth=1
	s_andn2_b64 vcc, exec, s[4:5]
	s_cbranch_vccnz .LBB137_136
; %bb.142:                              ;   in Loop: Header=BB137_137 Depth=1
	v_div_scale_f32 v6, s[4:5], v4, v4, v5
	v_rcp_f32_e32 v7, v6
	v_div_scale_f32 v10, vcc, v5, v4, v5
	v_fma_f32 v11, -v6, v7, 1.0
	v_fmac_f32_e32 v7, v11, v7
	v_mul_f32_e32 v11, v10, v7
	v_fma_f32 v12, -v6, v11, v10
	v_fmac_f32_e32 v11, v12, v7
	v_fma_f32 v6, -v6, v11, v10
	v_div_fmas_f32 v6, v6, v7, v11
	v_div_fixup_f32 v6, v6, v4, v5
	v_fmac_f32_e32 v4, v5, v6
	v_div_scale_f32 v5, s[4:5], v4, v4, 1.0
	v_rcp_f32_e32 v7, v5
	s_nop 0
	v_fma_f32 v10, -v5, v7, 1.0
	v_fmac_f32_e32 v7, v10, v7
	v_div_scale_f32 v10, vcc, 1.0, v4, 1.0
	v_mul_f32_e32 v11, v10, v7
	v_fma_f32 v12, -v5, v11, v10
	v_fmac_f32_e32 v11, v12, v7
	v_fma_f32 v5, -v5, v11, v10
	v_div_fmas_f32 v5, v5, v7, v11
	v_pk_fma_f32 v[10:11], v[2:3], v[6:7], v[2:3] op_sel:[1,0,0] op_sel_hi:[0,0,1] neg_lo:[1,0,0] neg_hi:[1,0,0]
	v_pk_fma_f32 v[2:3], v[2:3], v[6:7], v[2:3] op_sel:[1,0,0] op_sel_hi:[0,0,1]
	v_div_fixup_f32 v4, v5, v4, 1.0
	v_mov_b32_e32 v3, v11
	v_pk_mul_f32 v[6:7], v[2:3], v[4:5] op_sel_hi:[1,0]
	s_branch .LBB137_136
.LBB137_143:
	s_and_saveexec_b64 s[4:5], s[0:1]
	s_cbranch_execz .LBB137_147
; %bb.144:
	s_cmp_lt_i32 s8, 1
	s_cbranch_scc1 .LBB137_147
; %bb.145:
	s_ashr_i32 s7, s6, 31
	v_lshlrev_b32_e32 v2, 3, v0
	v_mov_b32_e32 v3, 0
	v_lshl_add_u64 v[0:1], s[2:3], 0, v[2:3]
	s_lshl_b64 s[0:1], s[6:7], 3
	v_or_b32_e32 v2, 0x80, v2
.LBB137_146:                            ; =>This Inner Loop Header: Depth=1
	ds_read_b64 v[4:5], v2
	s_add_i32 s8, s8, -1
	v_add_u32_e32 v2, 32, v2
	s_cmp_lg_u32 s8, 0
	s_waitcnt lgkmcnt(0)
	flat_store_dwordx2 v[0:1], v[4:5]
	v_lshl_add_u64 v[0:1], v[0:1], 0, s[0:1]
	s_cbranch_scc1 .LBB137_146
.LBB137_147:
	s_endpgm
	.section	.rodata,"a",@progbits
	.p2align	6, 0x0
	.amdhsa_kernel _ZL31rocblas_trsm_small_right_deviceI19rocblas_complex_numIfES1_PKPKS1_PKPS1_Li4EEv13rocblas_fill_18rocblas_operation_17rocblas_diagonal_iiT0_T1_lilT2_lili
		.amdhsa_group_segment_fixed_size 256
		.amdhsa_private_segment_fixed_size 0
		.amdhsa_kernarg_size 360
		.amdhsa_user_sgpr_count 2
		.amdhsa_user_sgpr_dispatch_ptr 0
		.amdhsa_user_sgpr_queue_ptr 0
		.amdhsa_user_sgpr_kernarg_segment_ptr 1
		.amdhsa_user_sgpr_dispatch_id 0
		.amdhsa_user_sgpr_kernarg_preload_length 0
		.amdhsa_user_sgpr_kernarg_preload_offset 0
		.amdhsa_user_sgpr_private_segment_size 0
		.amdhsa_uses_dynamic_stack 0
		.amdhsa_enable_private_segment 0
		.amdhsa_system_sgpr_workgroup_id_x 1
		.amdhsa_system_sgpr_workgroup_id_y 0
		.amdhsa_system_sgpr_workgroup_id_z 1
		.amdhsa_system_sgpr_workgroup_info 0
		.amdhsa_system_vgpr_workitem_id 0
		.amdhsa_next_free_vgpr 24
		.amdhsa_next_free_sgpr 30
		.amdhsa_accum_offset 24
		.amdhsa_reserve_vcc 1
		.amdhsa_float_round_mode_32 0
		.amdhsa_float_round_mode_16_64 0
		.amdhsa_float_denorm_mode_32 3
		.amdhsa_float_denorm_mode_16_64 3
		.amdhsa_dx10_clamp 1
		.amdhsa_ieee_mode 1
		.amdhsa_fp16_overflow 0
		.amdhsa_tg_split 0
		.amdhsa_exception_fp_ieee_invalid_op 0
		.amdhsa_exception_fp_denorm_src 0
		.amdhsa_exception_fp_ieee_div_zero 0
		.amdhsa_exception_fp_ieee_overflow 0
		.amdhsa_exception_fp_ieee_underflow 0
		.amdhsa_exception_fp_ieee_inexact 0
		.amdhsa_exception_int_div_zero 0
	.end_amdhsa_kernel
	.section	.text._ZL31rocblas_trsm_small_right_deviceI19rocblas_complex_numIfES1_PKPKS1_PKPS1_Li4EEv13rocblas_fill_18rocblas_operation_17rocblas_diagonal_iiT0_T1_lilT2_lili,"axG",@progbits,_ZL31rocblas_trsm_small_right_deviceI19rocblas_complex_numIfES1_PKPKS1_PKPS1_Li4EEv13rocblas_fill_18rocblas_operation_17rocblas_diagonal_iiT0_T1_lilT2_lili,comdat
.Lfunc_end137:
	.size	_ZL31rocblas_trsm_small_right_deviceI19rocblas_complex_numIfES1_PKPKS1_PKPS1_Li4EEv13rocblas_fill_18rocblas_operation_17rocblas_diagonal_iiT0_T1_lilT2_lili, .Lfunc_end137-_ZL31rocblas_trsm_small_right_deviceI19rocblas_complex_numIfES1_PKPKS1_PKPS1_Li4EEv13rocblas_fill_18rocblas_operation_17rocblas_diagonal_iiT0_T1_lilT2_lili
                                        ; -- End function
	.set _ZL31rocblas_trsm_small_right_deviceI19rocblas_complex_numIfES1_PKPKS1_PKPS1_Li4EEv13rocblas_fill_18rocblas_operation_17rocblas_diagonal_iiT0_T1_lilT2_lili.num_vgpr, 24
	.set _ZL31rocblas_trsm_small_right_deviceI19rocblas_complex_numIfES1_PKPKS1_PKPS1_Li4EEv13rocblas_fill_18rocblas_operation_17rocblas_diagonal_iiT0_T1_lilT2_lili.num_agpr, 0
	.set _ZL31rocblas_trsm_small_right_deviceI19rocblas_complex_numIfES1_PKPKS1_PKPS1_Li4EEv13rocblas_fill_18rocblas_operation_17rocblas_diagonal_iiT0_T1_lilT2_lili.numbered_sgpr, 30
	.set _ZL31rocblas_trsm_small_right_deviceI19rocblas_complex_numIfES1_PKPKS1_PKPS1_Li4EEv13rocblas_fill_18rocblas_operation_17rocblas_diagonal_iiT0_T1_lilT2_lili.num_named_barrier, 0
	.set _ZL31rocblas_trsm_small_right_deviceI19rocblas_complex_numIfES1_PKPKS1_PKPS1_Li4EEv13rocblas_fill_18rocblas_operation_17rocblas_diagonal_iiT0_T1_lilT2_lili.private_seg_size, 0
	.set _ZL31rocblas_trsm_small_right_deviceI19rocblas_complex_numIfES1_PKPKS1_PKPS1_Li4EEv13rocblas_fill_18rocblas_operation_17rocblas_diagonal_iiT0_T1_lilT2_lili.uses_vcc, 1
	.set _ZL31rocblas_trsm_small_right_deviceI19rocblas_complex_numIfES1_PKPKS1_PKPS1_Li4EEv13rocblas_fill_18rocblas_operation_17rocblas_diagonal_iiT0_T1_lilT2_lili.uses_flat_scratch, 0
	.set _ZL31rocblas_trsm_small_right_deviceI19rocblas_complex_numIfES1_PKPKS1_PKPS1_Li4EEv13rocblas_fill_18rocblas_operation_17rocblas_diagonal_iiT0_T1_lilT2_lili.has_dyn_sized_stack, 0
	.set _ZL31rocblas_trsm_small_right_deviceI19rocblas_complex_numIfES1_PKPKS1_PKPS1_Li4EEv13rocblas_fill_18rocblas_operation_17rocblas_diagonal_iiT0_T1_lilT2_lili.has_recursion, 0
	.set _ZL31rocblas_trsm_small_right_deviceI19rocblas_complex_numIfES1_PKPKS1_PKPS1_Li4EEv13rocblas_fill_18rocblas_operation_17rocblas_diagonal_iiT0_T1_lilT2_lili.has_indirect_call, 0
	.section	.AMDGPU.csdata,"",@progbits
; Kernel info:
; codeLenInByte = 11532
; TotalNumSgprs: 36
; NumVgprs: 24
; NumAgprs: 0
; TotalNumVgprs: 24
; ScratchSize: 0
; MemoryBound: 0
; FloatMode: 240
; IeeeMode: 1
; LDSByteSize: 256 bytes/workgroup (compile time only)
; SGPRBlocks: 4
; VGPRBlocks: 2
; NumSGPRsForWavesPerEU: 36
; NumVGPRsForWavesPerEU: 24
; AccumOffset: 24
; Occupancy: 8
; WaveLimiterHint : 1
; COMPUTE_PGM_RSRC2:SCRATCH_EN: 0
; COMPUTE_PGM_RSRC2:USER_SGPR: 2
; COMPUTE_PGM_RSRC2:TRAP_HANDLER: 0
; COMPUTE_PGM_RSRC2:TGID_X_EN: 1
; COMPUTE_PGM_RSRC2:TGID_Y_EN: 0
; COMPUTE_PGM_RSRC2:TGID_Z_EN: 1
; COMPUTE_PGM_RSRC2:TIDIG_COMP_CNT: 0
; COMPUTE_PGM_RSRC3_GFX90A:ACCUM_OFFSET: 5
; COMPUTE_PGM_RSRC3_GFX90A:TG_SPLIT: 0
	.section	.text._ZL38rocblas_trsm_small_left_device_sharedBILi8ELi8ELb0E19rocblas_complex_numIfES1_PKPKS1_PKPS1_Ev13rocblas_fill_18rocblas_operation_17rocblas_diagonal_iiT3_T4_lilT5_lili,"axG",@progbits,_ZL38rocblas_trsm_small_left_device_sharedBILi8ELi8ELb0E19rocblas_complex_numIfES1_PKPKS1_PKPS1_Ev13rocblas_fill_18rocblas_operation_17rocblas_diagonal_iiT3_T4_lilT5_lili,comdat
	.globl	_ZL38rocblas_trsm_small_left_device_sharedBILi8ELi8ELb0E19rocblas_complex_numIfES1_PKPKS1_PKPS1_Ev13rocblas_fill_18rocblas_operation_17rocblas_diagonal_iiT3_T4_lilT5_lili ; -- Begin function _ZL38rocblas_trsm_small_left_device_sharedBILi8ELi8ELb0E19rocblas_complex_numIfES1_PKPKS1_PKPS1_Ev13rocblas_fill_18rocblas_operation_17rocblas_diagonal_iiT3_T4_lilT5_lili
	.p2align	8
	.type	_ZL38rocblas_trsm_small_left_device_sharedBILi8ELi8ELb0E19rocblas_complex_numIfES1_PKPKS1_PKPS1_Ev13rocblas_fill_18rocblas_operation_17rocblas_diagonal_iiT3_T4_lilT5_lili,@function
_ZL38rocblas_trsm_small_left_device_sharedBILi8ELi8ELb0E19rocblas_complex_numIfES1_PKPKS1_PKPS1_Ev13rocblas_fill_18rocblas_operation_17rocblas_diagonal_iiT3_T4_lilT5_lili: ; @_ZL38rocblas_trsm_small_left_device_sharedBILi8ELi8ELb0E19rocblas_complex_numIfES1_PKPKS1_PKPS1_Ev13rocblas_fill_18rocblas_operation_17rocblas_diagonal_iiT3_T4_lilT5_lili
; %bb.0:
	s_load_dwordx4 s[8:11], s[0:1], 0x40
	s_load_dwordx4 s[4:7], s[0:1], 0x4
	s_load_dwordx2 s[12:13], s[0:1], 0x14
	s_mov_b32 s14, s3
	s_mov_b32 s15, 0
	s_lshl_b64 s[18:19], s[14:15], 3
	s_waitcnt lgkmcnt(0)
	s_add_u32 s8, s8, s18
	s_addc_u32 s9, s9, s19
	s_load_dword s3, s[0:1], 0x68
	s_min_i32 s22, s6, 8
	s_load_dwordx2 s[8:9], s[8:9], 0x0
	v_cmp_gt_i32_e32 vcc, s22, v0
	s_and_saveexec_b64 s[14:15], vcc
	s_cbranch_execz .LBB138_15
; %bb.1:
	s_load_dword s20, s[0:1], 0x30
	s_load_dwordx4 s[24:27], s[0:1], 0x20
	v_lshlrev_b32_e32 v2, 3, v0
	v_mov_b32_e32 v3, 0
	v_mov_b32_e32 v1, v2
	s_waitcnt lgkmcnt(0)
	s_ashr_i32 s21, s20, 31
	s_cmpk_lg_i32 s4, 0x71
	s_cselect_b64 s[16:17], -1, 0
	s_add_u32 s18, s24, s18
	s_addc_u32 s19, s25, s19
	s_load_dwordx2 s[18:19], s[18:19], 0x0
	s_lshl_b64 s[24:25], s[26:27], 3
	s_mov_b32 s23, s22
	s_waitcnt lgkmcnt(0)
	s_add_u32 s24, s18, s24
	s_addc_u32 s25, s19, s25
	s_lshl_b64 s[18:19], s[20:21], 3
	v_lshl_add_u64 v[4:5], s[24:25], 0, v[2:3]
	s_branch .LBB138_3
.LBB138_2:                              ;   in Loop: Header=BB138_3 Depth=1
	flat_load_dword v6, v[4:5]
	s_add_i32 s23, s23, -1
	v_lshl_add_u64 v[4:5], v[4:5], 0, s[18:19]
	s_cmp_eq_u32 s23, 0
	s_waitcnt vmcnt(0) lgkmcnt(0)
	ds_write_b64 v1, v[6:7]
	v_add_u32_e32 v1, 64, v1
	s_cbranch_scc1 .LBB138_7
.LBB138_3:                              ; =>This Inner Loop Header: Depth=1
	s_mov_b64 s[20:21], -1
	s_and_b64 vcc, exec, s[16:17]
                                        ; implicit-def: $vgpr7
	s_cbranch_vccz .LBB138_5
; %bb.4:                                ;   in Loop: Header=BB138_3 Depth=1
	flat_load_dword v7, v[4:5] offset:4
	s_mov_b64 s[20:21], 0
.LBB138_5:                              ;   in Loop: Header=BB138_3 Depth=1
	s_andn2_b64 vcc, exec, s[20:21]
	s_cbranch_vccnz .LBB138_2
; %bb.6:                                ;   in Loop: Header=BB138_3 Depth=1
	flat_load_dword v3, v[4:5] offset:4
	s_waitcnt vmcnt(0) lgkmcnt(0)
	v_xor_b32_e32 v7, 0x80000000, v3
	s_branch .LBB138_2
.LBB138_7:
	v_lshlrev_b32_e32 v1, 6, v0
	s_cmpk_lg_i32 s5, 0x84
	s_mov_b64 s[16:17], -1
	v_add_u32_e32 v1, v2, v1
	s_cbranch_scc0 .LBB138_13
; %bb.8:
	ds_read_b64 v[2:3], v1
                                        ; implicit-def: $vgpr4_vgpr5
	s_waitcnt lgkmcnt(0)
	v_cmp_ngt_f32_e64 s[16:17], |v2|, |v3|
	s_and_saveexec_b64 s[18:19], s[16:17]
	s_xor_b64 s[16:17], exec, s[18:19]
	s_cbranch_execz .LBB138_10
; %bb.9:
	v_div_scale_f32 v4, s[18:19], v3, v3, v2
	v_rcp_f32_e32 v5, v4
	v_div_scale_f32 v6, vcc, v2, v3, v2
	v_fma_f32 v7, -v4, v5, 1.0
	v_fmac_f32_e32 v5, v7, v5
	v_mul_f32_e32 v7, v6, v5
	v_fma_f32 v8, -v4, v7, v6
	v_fmac_f32_e32 v7, v8, v5
	v_fma_f32 v4, -v4, v7, v6
	v_div_fmas_f32 v4, v4, v5, v7
	v_div_fixup_f32 v4, v4, v3, v2
	v_fmac_f32_e32 v3, v2, v4
	v_div_scale_f32 v2, s[18:19], v3, v3, 1.0
	v_rcp_f32_e32 v5, v2
	s_mov_b32 s18, 0
	s_mov_b32 s19, -1.0
	v_fma_f32 v6, -v2, v5, 1.0
	v_fmac_f32_e32 v5, v6, v5
	v_div_scale_f32 v6, vcc, 1.0, v3, 1.0
	v_mul_f32_e32 v7, v6, v5
	v_fma_f32 v8, -v2, v7, v6
	v_fmac_f32_e32 v7, v8, v5
	v_fma_f32 v2, -v2, v7, v6
	v_div_fmas_f32 v2, v2, v5, v7
	v_mul_f32_e32 v5, 0, v4
	v_div_fixup_f32 v2, v2, v3, 1.0
	v_pk_add_f32 v[4:5], v[4:5], s[18:19]
	s_nop 0
	v_pk_mul_f32 v[4:5], v[4:5], v[2:3] op_sel_hi:[1,0]
                                        ; implicit-def: $vgpr2_vgpr3
.LBB138_10:
	s_andn2_saveexec_b64 s[16:17], s[16:17]
	s_cbranch_execz .LBB138_12
; %bb.11:
	v_div_scale_f32 v4, s[18:19], v2, v2, v3
	v_rcp_f32_e32 v5, v4
	v_div_scale_f32 v6, vcc, v3, v2, v3
	v_fma_f32 v7, -v4, v5, 1.0
	v_fmac_f32_e32 v5, v7, v5
	v_mul_f32_e32 v7, v6, v5
	v_fma_f32 v8, -v4, v7, v6
	v_fmac_f32_e32 v7, v8, v5
	v_fma_f32 v4, -v4, v7, v6
	v_div_fmas_f32 v4, v4, v5, v7
	v_div_fixup_f32 v5, v4, v2, v3
	v_fmac_f32_e32 v2, v3, v5
	v_div_scale_f32 v3, s[18:19], v2, v2, 1.0
	v_rcp_f32_e32 v4, v3
	s_nop 0
	v_fma_f32 v6, -v3, v4, 1.0
	v_fmac_f32_e32 v4, v6, v4
	v_div_scale_f32 v6, vcc, 1.0, v2, 1.0
	v_mul_f32_e32 v7, v6, v4
	v_fma_f32 v8, -v3, v7, v6
	v_fmac_f32_e32 v7, v8, v4
	v_fma_f32 v3, -v3, v7, v6
	v_div_fmas_f32 v3, v3, v4, v7
	v_div_fixup_f32 v2, v3, v2, 1.0
	v_mul_f32_e32 v3, 0, v5
	v_add_f32_e32 v4, 1.0, v3
	v_sub_f32_e32 v5, 0, v5
	v_pk_mul_f32 v[4:5], v[4:5], v[2:3] op_sel_hi:[1,0]
.LBB138_12:
	s_or_b64 exec, exec, s[16:17]
	s_mov_b64 s[16:17], 0
	ds_write_b64 v1, v[4:5]
.LBB138_13:
	s_and_b64 vcc, exec, s[16:17]
	s_cbranch_vccz .LBB138_15
; %bb.14:
	v_mov_b32_e32 v2, 1.0
	v_mov_b32_e32 v3, 0
	ds_write_b64 v1, v[2:3]
.LBB138_15:
	s_or_b64 exec, exec, s[14:15]
	s_load_dword s16, s[0:1], 0x50
	s_lshl_b64 s[0:1], s[10:11], 3
	s_waitcnt lgkmcnt(0)
	s_add_u32 s5, s8, s0
	s_addc_u32 s8, s9, s1
	s_lshl_b32 s0, s2, 3
	s_add_i32 s3, s3, -1
	s_sub_i32 s1, s7, s0
	s_cmp_ge_u32 s2, s3
	s_cselect_b32 s7, s1, 8
	s_mul_hi_i32 s1, s16, s0
	s_mul_i32 s0, s16, s0
	s_lshl_b64 s[0:1], s[0:1], 3
	s_add_u32 s2, s5, s0
	s_addc_u32 s3, s8, s1
	s_cmp_gt_i32 s6, 0
	v_cmp_gt_i32_e64 s[0:1], s7, v0
	s_cselect_b64 s[8:9], -1, 0
	s_and_b64 s[14:15], s[0:1], s[8:9]
	s_and_saveexec_b64 s[10:11], s[14:15]
	s_cbranch_execz .LBB138_18
; %bb.16:
	v_mad_i64_i32 v[2:3], s[14:15], s16, v0, 0
	v_mov_b32_e32 v1, 0x200
	v_lshl_add_u64 v[2:3], v[2:3], 3, s[2:3]
	v_lshl_or_b32 v1, v0, 3, v1
	s_mov_b32 s14, s13
	s_mov_b32 s15, s12
	s_mov_b32 s5, s22
.LBB138_17:                             ; =>This Inner Loop Header: Depth=1
	flat_load_dwordx2 v[4:5], v[2:3]
	s_add_i32 s5, s5, -1
	v_lshl_add_u64 v[2:3], v[2:3], 0, 8
	s_cmp_lg_u32 s5, 0
	s_waitcnt vmcnt(0) lgkmcnt(0)
	v_pk_mul_f32 v[6:7], s[14:15], v[4:5] op_sel:[0,1]
	s_nop 0
	v_pk_fma_f32 v[8:9], s[12:13], v[4:5], v[6:7] neg_lo:[0,0,1] neg_hi:[0,0,1]
	v_pk_fma_f32 v[4:5], s[12:13], v[4:5], v[6:7] op_sel_hi:[1,0,1]
	s_nop 0
	v_mov_b32_e32 v9, v5
	ds_write_b64 v1, v[8:9]
	v_add_u32_e32 v1, 64, v1
	s_cbranch_scc1 .LBB138_17
.LBB138_18:
	s_or_b64 exec, exec, s[10:11]
	v_mov_b32_e32 v1, 0x200
	s_cmpk_eq_i32 s4, 0x6f
	v_lshl_or_b32 v1, v0, 3, v1
	s_mov_b64 s[4:5], -1
	s_waitcnt lgkmcnt(0)
	; wave barrier
	s_cbranch_scc1 .LBB138_35
; %bb.19:
	s_cmp_gt_i32 s6, 7
	s_mov_b32 s4, 0
	s_cbranch_scc0 .LBB138_21
; %bb.20:
	ds_read2_b64 v[8:11], v1 offset1:8
	v_mov_b32_e32 v50, 0
	ds_read2_b64 v[12:15], v50 offset1:18
	ds_read2_b64 v[16:19], v1 offset0:16 offset1:24
	ds_read2_b64 v[20:23], v1 offset0:32 offset1:40
	;; [unrolled: 1-line block ×3, first 2 shown]
	ds_read_b128 v[24:27], v50 offset:64
	s_mov_b32 s4, 8
	s_waitcnt lgkmcnt(4)
	v_pk_mul_f32 v[28:29], v[12:13], v[8:9] op_sel:[1,1] op_sel_hi:[0,1]
	v_pk_fma_f32 v[6:7], v[12:13], v[8:9], v[28:29] op_sel_hi:[1,0,1] neg_lo:[0,0,1] neg_hi:[0,0,1]
	v_pk_fma_f32 v[8:9], v[12:13], v[8:9], v[28:29] op_sel_hi:[1,0,1]
	ds_read_b128 v[28:31], v50 offset:128
	s_waitcnt lgkmcnt(1)
	v_mul_f32_e32 v8, v25, v9
	v_mul_f32_e32 v12, v24, v9
	v_fma_f32 v8, v24, v6, -v8
	v_fmac_f32_e32 v12, v25, v6
	v_sub_f32_e32 v8, v10, v8
	v_sub_f32_e32 v10, v11, v12
	v_pk_mul_f32 v[10:11], v[26:27], v[10:11] op_sel:[1,0] op_sel_hi:[0,0]
	v_pk_fma_f32 v[32:33], v[26:27], v[8:9], v[10:11] op_sel_hi:[1,0,1] neg_lo:[0,0,1] neg_hi:[0,0,1]
	v_pk_fma_f32 v[34:35], v[26:27], v[8:9], v[10:11] op_sel_hi:[1,0,1]
	s_waitcnt lgkmcnt(0)
	v_mul_f32_e32 v8, v28, v9
	v_mov_b32_e32 v7, v9
	v_mov_b32_e32 v33, v35
	v_fmac_f32_e32 v8, v29, v6
	v_mul_f32_e32 v11, v30, v35
	ds_write2_b64 v1, v[6:7], v[32:33] offset1:8
	v_mul_f32_e32 v7, v29, v9
	v_sub_f32_e32 v10, v17, v8
	v_fmac_f32_e32 v11, v31, v32
	v_fma_f32 v7, v28, v6, -v7
	v_sub_f32_e32 v10, v10, v11
	v_sub_f32_e32 v7, v16, v7
	v_mul_f32_e32 v8, v31, v35
	v_pk_mul_f32 v[16:17], v[14:15], v[10:11] op_sel:[1,0] op_sel_hi:[0,0]
	ds_read_b128 v[10:13], v50 offset:192
	v_fma_f32 v8, v30, v32, -v8
	v_sub_f32_e32 v8, v7, v8
	v_pk_fma_f32 v[28:29], v[14:15], v[8:9], v[16:17] op_sel_hi:[1,0,1] neg_lo:[0,0,1] neg_hi:[0,0,1]
	v_pk_fma_f32 v[30:31], v[14:15], v[8:9], v[16:17] op_sel_hi:[1,0,1]
	ds_read_b128 v[14:17], v50 offset:208
	s_waitcnt lgkmcnt(1)
	v_mul_f32_e32 v7, v11, v9
	v_mul_f32_e32 v8, v10, v9
	v_fma_f32 v7, v10, v6, -v7
	v_fmac_f32_e32 v8, v11, v6
	v_mul_f32_e32 v10, v13, v35
	v_mul_f32_e32 v11, v12, v35
	v_sub_f32_e32 v7, v18, v7
	v_sub_f32_e32 v8, v19, v8
	v_fma_f32 v10, v12, v32, -v10
	v_fmac_f32_e32 v11, v13, v32
	v_sub_f32_e32 v7, v7, v10
	v_sub_f32_e32 v10, v8, v11
	s_waitcnt lgkmcnt(0)
	v_mul_f32_e32 v11, v14, v31
	v_mul_f32_e32 v8, v15, v31
	v_fmac_f32_e32 v11, v15, v28
	v_fma_f32 v8, v14, v28, -v8
	v_sub_f32_e32 v10, v10, v11
	v_sub_f32_e32 v8, v7, v8
	v_pk_mul_f32 v[10:11], v[16:17], v[10:11] op_sel:[1,0] op_sel_hi:[0,0]
	v_pk_fma_f32 v[36:37], v[16:17], v[8:9], v[10:11] op_sel_hi:[1,0,1] neg_lo:[0,0,1] neg_hi:[0,0,1]
	v_pk_fma_f32 v[38:39], v[16:17], v[8:9], v[10:11] op_sel_hi:[1,0,1]
	ds_read_b128 v[10:13], v50 offset:256
	v_mov_b32_e32 v29, v31
	v_mov_b32_e32 v37, v39
	ds_write2_b64 v1, v[28:29], v[36:37] offset0:16 offset1:24
	ds_read_b128 v[14:17], v50 offset:272
	ds_read2_b64 v[24:27], v50 offset0:36 offset1:54
	s_waitcnt lgkmcnt(3)
	v_mul_f32_e32 v7, v11, v9
	v_mul_f32_e32 v8, v10, v9
	v_fma_f32 v7, v10, v6, -v7
	v_fmac_f32_e32 v8, v11, v6
	v_mul_f32_e32 v10, v13, v35
	v_mul_f32_e32 v11, v12, v35
	v_sub_f32_e32 v7, v20, v7
	v_sub_f32_e32 v8, v21, v8
	v_fma_f32 v10, v12, v32, -v10
	v_fmac_f32_e32 v11, v13, v32
	v_sub_f32_e32 v7, v7, v10
	v_sub_f32_e32 v8, v8, v11
	s_waitcnt lgkmcnt(1)
	v_mul_f32_e32 v10, v15, v31
	v_mul_f32_e32 v11, v14, v31
	v_fma_f32 v10, v14, v28, -v10
	v_fmac_f32_e32 v11, v15, v28
	v_sub_f32_e32 v7, v7, v10
	v_sub_f32_e32 v10, v8, v11
	v_mul_f32_e32 v11, v16, v39
	v_fmac_f32_e32 v11, v17, v36
	v_sub_f32_e32 v10, v10, v11
	s_waitcnt lgkmcnt(0)
	v_pk_mul_f32 v[14:15], v[24:25], v[10:11] op_sel:[1,0] op_sel_hi:[0,0]
	ds_read_b128 v[10:13], v50 offset:320
	v_mul_f32_e32 v8, v17, v39
	v_fma_f32 v8, v16, v36, -v8
	v_sub_f32_e32 v8, v7, v8
	v_pk_fma_f32 v[40:41], v[24:25], v[8:9], v[14:15] op_sel_hi:[1,0,1] neg_lo:[0,0,1] neg_hi:[0,0,1]
	v_pk_fma_f32 v[42:43], v[24:25], v[8:9], v[14:15] op_sel_hi:[1,0,1]
	ds_read_b128 v[14:17], v50 offset:336
	ds_read_b128 v[18:21], v50 offset:352
	s_waitcnt lgkmcnt(2)
	v_mul_f32_e32 v8, v10, v9
	v_mul_f32_e32 v7, v11, v9
	v_fmac_f32_e32 v8, v11, v6
	v_mul_f32_e32 v11, v12, v35
	v_fma_f32 v7, v10, v6, -v7
	v_sub_f32_e32 v8, v23, v8
	v_mul_f32_e32 v10, v13, v35
	v_fmac_f32_e32 v11, v13, v32
	v_sub_f32_e32 v7, v22, v7
	v_fma_f32 v10, v12, v32, -v10
	v_sub_f32_e32 v8, v8, v11
	s_waitcnt lgkmcnt(1)
	v_mul_f32_e32 v11, v14, v31
	v_sub_f32_e32 v7, v7, v10
	v_mul_f32_e32 v10, v15, v31
	v_fmac_f32_e32 v11, v15, v28
	v_fma_f32 v10, v14, v28, -v10
	v_sub_f32_e32 v8, v8, v11
	v_mul_f32_e32 v11, v16, v39
	v_sub_f32_e32 v7, v7, v10
	v_mul_f32_e32 v10, v17, v39
	v_fmac_f32_e32 v11, v17, v36
	s_waitcnt lgkmcnt(0)
	v_mul_f32_e32 v15, v18, v43
	v_fma_f32 v10, v16, v36, -v10
	v_sub_f32_e32 v14, v8, v11
	v_mul_f32_e32 v8, v19, v43
	v_fmac_f32_e32 v15, v19, v40
	v_sub_f32_e32 v7, v7, v10
	ds_read_b128 v[10:13], v50 offset:384
	v_fma_f32 v8, v18, v40, -v8
	v_sub_f32_e32 v14, v14, v15
	v_sub_f32_e32 v8, v7, v8
	v_pk_mul_f32 v[14:15], v[20:21], v[14:15] op_sel:[1,0] op_sel_hi:[0,0]
	v_pk_fma_f32 v[44:45], v[20:21], v[8:9], v[14:15] op_sel_hi:[1,0,1] neg_lo:[0,0,1] neg_hi:[0,0,1]
	v_pk_fma_f32 v[46:47], v[20:21], v[8:9], v[14:15] op_sel_hi:[1,0,1]
	v_mov_b32_e32 v41, v43
	v_mov_b32_e32 v45, v47
	ds_write2_b64 v1, v[40:41], v[44:45] offset0:32 offset1:40
	ds_read_b128 v[14:17], v50 offset:400
	ds_read_b128 v[18:21], v50 offset:416
	s_waitcnt lgkmcnt(3)
	v_mul_f32_e32 v8, v10, v9
	v_mul_f32_e32 v7, v11, v9
	v_fmac_f32_e32 v8, v11, v6
	v_fma_f32 v7, v10, v6, -v7
	v_sub_f32_e32 v3, v3, v8
	v_mul_f32_e32 v8, v12, v35
	v_sub_f32_e32 v2, v2, v7
	v_mul_f32_e32 v7, v13, v35
	v_fmac_f32_e32 v8, v13, v32
	v_fma_f32 v7, v12, v32, -v7
	v_sub_f32_e32 v3, v3, v8
	s_waitcnt lgkmcnt(1)
	v_mul_f32_e32 v8, v14, v31
	v_sub_f32_e32 v2, v2, v7
	v_mul_f32_e32 v7, v15, v31
	v_fmac_f32_e32 v8, v15, v28
	v_fma_f32 v7, v14, v28, -v7
	v_sub_f32_e32 v3, v3, v8
	v_mul_f32_e32 v8, v16, v39
	v_sub_f32_e32 v2, v2, v7
	v_mul_f32_e32 v7, v17, v39
	v_fmac_f32_e32 v8, v17, v36
	v_fma_f32 v7, v16, v36, -v7
	v_sub_f32_e32 v3, v3, v8
	s_waitcnt lgkmcnt(0)
	v_mul_f32_e32 v8, v18, v43
	v_sub_f32_e32 v2, v2, v7
	v_mul_f32_e32 v7, v19, v43
	v_fmac_f32_e32 v8, v19, v40
	v_fma_f32 v7, v18, v40, -v7
	v_sub_f32_e32 v3, v3, v8
	v_mul_f32_e32 v8, v20, v47
	v_sub_f32_e32 v2, v2, v7
	v_mul_f32_e32 v7, v21, v47
	v_fmac_f32_e32 v8, v21, v44
	v_fma_f32 v7, v20, v44, -v7
	v_sub_f32_e32 v8, v3, v8
	v_sub_f32_e32 v2, v2, v7
	v_pk_mul_f32 v[10:11], v[26:27], v[8:9] op_sel:[1,0] op_sel_hi:[0,0]
	v_pk_fma_f32 v[48:49], v[26:27], v[2:3], v[10:11] op_sel_hi:[1,0,1] neg_lo:[0,0,1] neg_hi:[0,0,1]
	v_pk_fma_f32 v[2:3], v[26:27], v[2:3], v[10:11] op_sel_hi:[1,0,1]
	ds_read_b128 v[10:13], v50 offset:448
	ds_read_b128 v[14:17], v50 offset:464
	ds_read_b128 v[18:21], v50 offset:480
	ds_read_b128 v[22:25], v50 offset:496
	v_mov_b32_e32 v49, v3
	s_waitcnt lgkmcnt(3)
	v_mul_f32_e32 v2, v11, v9
	v_mul_f32_e32 v7, v10, v9
	v_fma_f32 v2, v10, v6, -v2
	v_fmac_f32_e32 v7, v11, v6
	v_sub_f32_e32 v2, v4, v2
	v_sub_f32_e32 v4, v5, v7
	v_mul_f32_e32 v5, v13, v35
	v_fma_f32 v5, v12, v32, -v5
	v_mul_f32_e32 v6, v12, v35
	v_fmac_f32_e32 v6, v13, v32
	v_sub_f32_e32 v2, v2, v5
	s_waitcnt lgkmcnt(2)
	v_mul_f32_e32 v5, v15, v31
	v_sub_f32_e32 v4, v4, v6
	v_fma_f32 v5, v14, v28, -v5
	v_mul_f32_e32 v6, v14, v31
	v_fmac_f32_e32 v6, v15, v28
	v_sub_f32_e32 v2, v2, v5
	v_mul_f32_e32 v5, v17, v39
	v_sub_f32_e32 v4, v4, v6
	v_fma_f32 v5, v16, v36, -v5
	v_mul_f32_e32 v6, v16, v39
	v_fmac_f32_e32 v6, v17, v36
	v_sub_f32_e32 v2, v2, v5
	s_waitcnt lgkmcnt(1)
	v_mul_f32_e32 v5, v19, v43
	v_sub_f32_e32 v4, v4, v6
	v_fma_f32 v5, v18, v40, -v5
	v_mul_f32_e32 v6, v18, v43
	v_fmac_f32_e32 v6, v19, v40
	v_sub_f32_e32 v2, v2, v5
	v_mul_f32_e32 v5, v21, v47
	v_sub_f32_e32 v4, v4, v6
	v_fma_f32 v5, v20, v44, -v5
	v_mul_f32_e32 v6, v20, v47
	v_fmac_f32_e32 v6, v21, v44
	v_sub_f32_e32 v2, v2, v5
	s_waitcnt lgkmcnt(0)
	v_mul_f32_e32 v5, v23, v3
	v_mul_f32_e32 v3, v22, v3
	v_sub_f32_e32 v4, v4, v6
	v_fmac_f32_e32 v3, v23, v48
	v_fma_f32 v5, v22, v48, -v5
	v_sub_f32_e32 v4, v4, v3
	v_sub_f32_e32 v2, v2, v5
	v_pk_mul_f32 v[4:5], v[24:25], v[4:5] op_sel:[1,0] op_sel_hi:[0,0]
	v_pk_fma_f32 v[6:7], v[24:25], v[2:3], v[4:5] neg_lo:[0,0,1] neg_hi:[0,0,1]
	v_pk_fma_f32 v[2:3], v[24:25], v[2:3], v[4:5] op_sel_hi:[1,0,1]
	s_nop 0
	v_mov_b32_e32 v7, v3
	ds_write2_b64 v1, v[48:49], v[6:7] offset0:48 offset1:56
.LBB138_21:
	s_cmp_lt_i32 s4, s22
	s_cbranch_scc0 .LBB138_34
; %bb.22:
	s_or_b32 s5, s4, 3
	s_cmp_ge_u32 s5, s22
	s_cbranch_scc1 .LBB138_28
; %bb.23:
	v_mov_b32_e32 v2, 0x200
	s_lshl_b32 s5, s4, 6
	v_lshl_or_b32 v10, v0, 3, v2
.LBB138_24:                             ; =>This Loop Header: Depth=1
                                        ;     Child Loop BB138_25 Depth 2
	s_lshl_b32 s7, s4, 6
	v_add_u32_e32 v11, s7, v1
	ds_read2_b64 v[6:9], v11 offset1:8
	ds_read2_b64 v[2:5], v11 offset0:16 offset1:24
	s_cmp_eq_u32 s4, 0
	s_mov_b32 s10, s4
	v_mov_b32_e32 v12, v10
	s_mov_b32 s11, s5
	s_cbranch_scc1 .LBB138_26
.LBB138_25:                             ;   Parent Loop BB138_24 Depth=1
                                        ; =>  This Inner Loop Header: Depth=2
	ds_read2_b64 v[14:17], v12 offset1:8
	v_mov_b32_e32 v13, s11
	ds_read_b128 v[18:21], v13
	ds_read_b128 v[22:25], v13 offset:16
	ds_read_b128 v[26:29], v13 offset:64
	;; [unrolled: 1-line block ×6, first 2 shown]
	s_add_i32 s11, s11, 32
	s_add_i32 s10, s10, -4
	s_waitcnt lgkmcnt(3)
	v_pk_mul_f32 v[50:51], v[30:31], v[14:15] op_sel:[0,1]
	v_pk_mul_f32 v[54:55], v[28:29], v[16:17] op_sel:[0,1]
	;; [unrolled: 1-line block ×5, first 2 shown]
	v_pk_fma_f32 v[62:63], v[30:31], v[14:15], v[50:51] op_sel:[0,0,1] op_sel_hi:[1,1,0] neg_lo:[0,0,1] neg_hi:[0,0,1]
	v_pk_fma_f32 v[30:31], v[30:31], v[14:15], v[50:51] op_sel:[0,0,1] op_sel_hi:[1,0,0]
	v_pk_fma_f32 v[50:51], v[28:29], v[16:17], v[54:55] op_sel:[0,0,1] op_sel_hi:[1,1,0] neg_lo:[0,0,1] neg_hi:[0,0,1]
	v_pk_fma_f32 v[28:29], v[28:29], v[16:17], v[54:55] op_sel:[0,0,1] op_sel_hi:[1,0,0]
	v_pk_fma_f32 v[54:55], v[32:33], v[16:17], v[56:57] op_sel:[0,0,1] op_sel_hi:[1,1,0] neg_lo:[0,0,1] neg_hi:[0,0,1]
	v_pk_fma_f32 v[32:33], v[32:33], v[16:17], v[56:57] op_sel:[0,0,1] op_sel_hi:[1,0,0]
	s_waitcnt lgkmcnt(2)
	v_pk_mul_f32 v[56:57], v[34:35], v[14:15] op_sel:[0,1]
	v_pk_mul_f32 v[52:53], v[20:21], v[16:17] op_sel:[0,1]
	v_pk_fma_f32 v[58:59], v[18:19], v[14:15], v[46:47] op_sel:[0,0,1] op_sel_hi:[1,1,0] neg_lo:[0,0,1] neg_hi:[0,0,1]
	v_pk_fma_f32 v[46:47], v[18:19], v[14:15], v[46:47] op_sel:[0,0,1] op_sel_hi:[1,0,0]
	v_pk_fma_f32 v[60:61], v[26:27], v[14:15], v[48:49] op_sel:[0,0,1] op_sel_hi:[1,1,0] neg_lo:[0,0,1] neg_hi:[0,0,1]
	v_pk_fma_f32 v[26:27], v[26:27], v[14:15], v[48:49] op_sel:[0,0,1] op_sel_hi:[1,0,0]
	;; [unrolled: 2-line block ×3, first 2 shown]
	v_pk_mul_f32 v[14:15], v[36:37], v[16:17] op_sel:[0,1]
	v_pk_fma_f32 v[48:49], v[20:21], v[16:17], v[52:53] op_sel:[0,0,1] op_sel_hi:[1,1,0] neg_lo:[0,0,1] neg_hi:[0,0,1]
	v_pk_fma_f32 v[52:53], v[20:21], v[16:17], v[52:53] op_sel:[0,0,1] op_sel_hi:[1,0,0]
	v_pk_fma_f32 v[56:57], v[36:37], v[16:17], v[14:15] op_sel:[0,0,1] op_sel_hi:[1,1,0] neg_lo:[0,0,1] neg_hi:[0,0,1]
	v_pk_fma_f32 v[36:37], v[36:37], v[16:17], v[14:15] op_sel:[0,0,1] op_sel_hi:[1,0,0]
	ds_read2_b64 v[14:17], v12 offset0:16 offset1:24
	ds_read_b128 v[18:21], v13 offset:208
	v_mov_b32_e32 v59, v47
	v_mov_b32_e32 v61, v27
	;; [unrolled: 1-line block ×3, first 2 shown]
	s_waitcnt lgkmcnt(1)
	v_pk_mul_f32 v[66:67], v[22:23], v[14:15] op_sel:[0,1]
	v_mov_b32_e32 v65, v35
	v_pk_fma_f32 v[68:69], v[22:23], v[14:15], v[66:67] op_sel:[0,0,1] op_sel_hi:[1,1,0] neg_lo:[0,0,1] neg_hi:[0,0,1]
	v_pk_fma_f32 v[22:23], v[22:23], v[14:15], v[66:67] op_sel:[0,0,1] op_sel_hi:[1,0,0]
	v_pk_mul_f32 v[66:67], v[24:25], v[16:17] op_sel:[0,1]
	v_mov_b32_e32 v49, v53
	v_pk_fma_f32 v[70:71], v[24:25], v[16:17], v[66:67] op_sel:[0,0,1] op_sel_hi:[1,1,0] neg_lo:[0,0,1] neg_hi:[0,0,1]
	v_pk_fma_f32 v[24:25], v[24:25], v[16:17], v[66:67] op_sel:[0,0,1] op_sel_hi:[1,0,0]
	;; [unrolled: 4-line block ×5, first 2 shown]
	v_pk_mul_f32 v[66:67], v[44:45], v[16:17] op_sel:[0,1]
	v_pk_add_f32 v[6:7], v[6:7], v[58:59] neg_lo:[0,1] neg_hi:[0,1]
	v_pk_fma_f32 v[78:79], v[44:45], v[16:17], v[66:67] op_sel:[0,0,1] op_sel_hi:[1,1,0] neg_lo:[0,0,1] neg_hi:[0,0,1]
	v_pk_fma_f32 v[44:45], v[44:45], v[16:17], v[66:67] op_sel:[0,0,1] op_sel_hi:[1,0,0]
	s_waitcnt lgkmcnt(0)
	v_pk_mul_f32 v[66:67], v[18:19], v[14:15] op_sel:[0,1]
	v_pk_add_f32 v[8:9], v[8:9], v[60:61] neg_lo:[0,1] neg_hi:[0,1]
	v_pk_fma_f32 v[80:81], v[18:19], v[14:15], v[66:67] op_sel:[0,0,1] op_sel_hi:[1,1,0] neg_lo:[0,0,1] neg_hi:[0,0,1]
	v_pk_fma_f32 v[14:15], v[18:19], v[14:15], v[66:67] op_sel:[0,0,1] op_sel_hi:[1,0,0]
	v_pk_mul_f32 v[18:19], v[20:21], v[16:17] op_sel:[0,1]
	v_pk_add_f32 v[2:3], v[2:3], v[62:63] neg_lo:[0,1] neg_hi:[0,1]
	v_pk_add_f32 v[4:5], v[4:5], v[64:65] neg_lo:[0,1] neg_hi:[0,1]
	v_pk_fma_f32 v[66:67], v[20:21], v[16:17], v[18:19] op_sel:[0,0,1] op_sel_hi:[1,1,0] neg_lo:[0,0,1] neg_hi:[0,0,1]
	v_pk_fma_f32 v[16:17], v[20:21], v[16:17], v[18:19] op_sel:[0,0,1] op_sel_hi:[1,0,0]
	v_mov_b32_e32 v69, v23
	v_mov_b32_e32 v73, v39
	;; [unrolled: 1-line block ×4, first 2 shown]
	v_pk_add_f32 v[6:7], v[6:7], v[48:49] neg_lo:[0,1] neg_hi:[0,1]
	v_pk_add_f32 v[8:9], v[8:9], v[50:51] neg_lo:[0,1] neg_hi:[0,1]
	;; [unrolled: 1-line block ×4, first 2 shown]
	v_mov_b32_e32 v71, v25
	v_mov_b32_e32 v75, v41
	;; [unrolled: 1-line block ×4, first 2 shown]
	v_pk_add_f32 v[6:7], v[6:7], v[68:69] neg_lo:[0,1] neg_hi:[0,1]
	v_pk_add_f32 v[8:9], v[8:9], v[72:73] neg_lo:[0,1] neg_hi:[0,1]
	;; [unrolled: 1-line block ×4, first 2 shown]
	v_add_u32_e32 v12, 0x100, v12
	s_cmp_lg_u32 s10, 0
	v_pk_add_f32 v[6:7], v[6:7], v[70:71] neg_lo:[0,1] neg_hi:[0,1]
	v_pk_add_f32 v[8:9], v[8:9], v[74:75] neg_lo:[0,1] neg_hi:[0,1]
	;; [unrolled: 1-line block ×4, first 2 shown]
	s_cbranch_scc1 .LBB138_25
.LBB138_26:                             ;   in Loop: Header=BB138_24 Depth=1
	s_lshl_b32 s10, s4, 3
	s_add_i32 s11, s10, s7
	v_mov_b32_e32 v12, s11
	ds_read2_b64 v[12:15], v12 offset1:18
	s_or_b32 s11, s7, 64
	s_add_i32 s12, s10, s11
	v_mov_b32_e32 v18, s12
	s_or_b32 s12, s7, 0x80
	s_waitcnt lgkmcnt(0)
	v_pk_mul_f32 v[16:17], v[12:13], v[6:7] op_sel:[1,1] op_sel_hi:[0,1]
	v_pk_fma_f32 v[24:25], v[12:13], v[6:7], v[16:17] op_sel_hi:[1,0,1] neg_lo:[0,0,1] neg_hi:[0,0,1]
	v_pk_fma_f32 v[26:27], v[12:13], v[6:7], v[16:17] op_sel_hi:[1,0,1]
	ds_read_b128 v[16:19], v18
	s_add_i32 s13, s10, s12
	v_mov_b32_e32 v6, s13
	ds_read_b128 v[20:23], v6
	s_or_b32 s7, s7, 0xc0
	s_waitcnt lgkmcnt(1)
	v_mul_f32_e32 v6, v17, v27
	v_mul_f32_e32 v7, v16, v27
	v_fma_f32 v6, v16, v24, -v6
	v_fmac_f32_e32 v7, v17, v24
	v_sub_f32_e32 v6, v8, v6
	v_sub_f32_e32 v8, v9, v7
	v_pk_mul_f32 v[8:9], v[18:19], v[8:9] op_sel:[1,0] op_sel_hi:[0,0]
	v_pk_fma_f32 v[16:17], v[18:19], v[6:7], v[8:9] op_sel_hi:[1,0,1] neg_lo:[0,0,1] neg_hi:[0,0,1]
	v_pk_fma_f32 v[18:19], v[18:19], v[6:7], v[8:9] op_sel_hi:[1,0,1]
	v_add_u32_e32 v6, s11, v1
	v_mov_b32_e32 v17, v19
	ds_write_b64 v6, v[16:17]
	s_waitcnt lgkmcnt(1)
	v_mul_f32_e32 v6, v21, v27
	v_mul_f32_e32 v7, v20, v27
	v_fma_f32 v6, v20, v24, -v6
	v_fmac_f32_e32 v7, v21, v24
	v_sub_f32_e32 v2, v2, v6
	v_sub_f32_e32 v3, v3, v7
	v_mul_f32_e32 v6, v23, v19
	v_mul_f32_e32 v7, v22, v19
	v_fma_f32 v6, v22, v16, -v6
	v_fmac_f32_e32 v7, v23, v16
	v_sub_f32_e32 v2, v2, v6
	v_sub_f32_e32 v6, v3, v7
	v_pk_mul_f32 v[6:7], v[14:15], v[6:7] op_sel:[1,0] op_sel_hi:[0,0]
	v_pk_fma_f32 v[20:21], v[14:15], v[2:3], v[6:7] op_sel_hi:[1,0,1] neg_lo:[0,0,1] neg_hi:[0,0,1]
	v_pk_fma_f32 v[2:3], v[14:15], v[2:3], v[6:7] op_sel_hi:[1,0,1]
	s_add_i32 s10, s10, s7
	v_mov_b32_e32 v2, s10
	ds_read_b128 v[6:9], v2
	ds_read_b128 v[12:15], v2 offset:16
	v_mov_b32_e32 v21, v3
	v_mov_b32_e32 v25, v27
	s_addk_i32 s5, 0x100
	s_waitcnt lgkmcnt(1)
	v_mul_f32_e32 v2, v7, v27
	v_fma_f32 v2, v6, v24, -v2
	v_mul_f32_e32 v6, v6, v27
	v_fmac_f32_e32 v6, v7, v24
	v_sub_f32_e32 v2, v4, v2
	v_sub_f32_e32 v4, v5, v6
	v_mul_f32_e32 v5, v9, v19
	v_fma_f32 v5, v8, v16, -v5
	v_mul_f32_e32 v6, v8, v19
	v_fmac_f32_e32 v6, v9, v16
	v_sub_f32_e32 v2, v2, v5
	s_waitcnt lgkmcnt(0)
	v_mul_f32_e32 v5, v13, v3
	v_mul_f32_e32 v3, v12, v3
	v_sub_f32_e32 v4, v4, v6
	v_fmac_f32_e32 v3, v13, v20
	v_fma_f32 v5, v12, v20, -v5
	v_sub_f32_e32 v4, v4, v3
	v_sub_f32_e32 v2, v2, v5
	v_pk_mul_f32 v[4:5], v[14:15], v[4:5] op_sel:[1,0] op_sel_hi:[0,0]
	v_pk_fma_f32 v[6:7], v[14:15], v[2:3], v[4:5] neg_lo:[0,0,1] neg_hi:[0,0,1]
	v_pk_fma_f32 v[2:3], v[14:15], v[2:3], v[4:5] op_sel_hi:[1,0,1]
	ds_write_b64 v11, v[24:25]
	v_add_u32_e32 v2, s7, v1
	s_add_i32 s7, s4, 4
	s_add_i32 s4, s4, 7
	v_add_u32_e32 v11, s12, v1
	v_mov_b32_e32 v7, v3
	s_cmp_lt_i32 s4, s22
	ds_write_b64 v11, v[20:21]
	ds_write_b64 v2, v[6:7]
	s_cbranch_scc0 .LBB138_29
; %bb.27:                               ;   in Loop: Header=BB138_24 Depth=1
	s_mov_b32 s4, s7
	s_branch .LBB138_24
.LBB138_28:
	s_mov_b32 s7, s4
.LBB138_29:
	s_cmp_ge_i32 s7, s22
	s_cbranch_scc1 .LBB138_34
; %bb.30:
	v_mov_b32_e32 v2, 0x200
	s_lshl_b32 s4, s7, 6
	v_lshl_or_b32 v4, v0, 3, v2
	s_branch .LBB138_32
.LBB138_31:                             ;   in Loop: Header=BB138_32 Depth=1
	s_mul_i32 s5, s7, 0x48
	v_mov_b32_e32 v6, s5
	ds_read_b64 v[6:7], v6
	s_add_i32 s7, s7, 1
	s_add_i32 s4, s4, 64
	s_cmp_ge_i32 s7, s22
	s_waitcnt lgkmcnt(0)
	v_pk_mul_f32 v[8:9], v[6:7], v[2:3] op_sel:[1,1] op_sel_hi:[0,1]
	v_pk_fma_f32 v[10:11], v[6:7], v[2:3], v[8:9] op_sel_hi:[1,0,1] neg_lo:[0,0,1] neg_hi:[0,0,1]
	v_pk_fma_f32 v[2:3], v[6:7], v[2:3], v[8:9] op_sel_hi:[1,0,1]
	s_nop 0
	v_mov_b32_e32 v11, v3
	ds_write_b64 v5, v[10:11]
	s_cbranch_scc1 .LBB138_34
.LBB138_32:                             ; =>This Loop Header: Depth=1
                                        ;     Child Loop BB138_33 Depth 2
	s_lshl_b32 s5, s7, 6
	v_add_u32_e32 v5, s5, v1
	ds_read_b64 v[2:3], v5
	s_cmp_eq_u32 s7, 0
	v_mov_b32_e32 v6, v4
	s_mov_b32 s5, s7
	s_mov_b32 s10, s4
	s_cbranch_scc1 .LBB138_31
.LBB138_33:                             ;   Parent Loop BB138_32 Depth=1
                                        ; =>  This Inner Loop Header: Depth=2
	v_mov_b32_e32 v7, s10
	ds_read_b64 v[8:9], v6
	ds_read_b64 v[10:11], v7
	s_add_i32 s10, s10, 8
	s_add_i32 s5, s5, -1
	v_add_u32_e32 v6, 64, v6
	s_cmp_lg_u32 s5, 0
	s_waitcnt lgkmcnt(0)
	v_pk_mul_f32 v[12:13], v[10:11], v[8:9] op_sel:[1,1] op_sel_hi:[0,1]
	v_pk_fma_f32 v[14:15], v[10:11], v[8:9], v[12:13] neg_lo:[0,0,1] neg_hi:[0,0,1]
	v_pk_fma_f32 v[8:9], v[10:11], v[8:9], v[12:13] op_sel_hi:[1,0,1]
	s_nop 0
	v_mov_b32_e32 v15, v9
	v_pk_add_f32 v[2:3], v[2:3], v[14:15] neg_lo:[0,1] neg_hi:[0,1]
	s_cbranch_scc1 .LBB138_33
	s_branch .LBB138_31
.LBB138_34:
	s_mov_b64 s[4:5], 0
.LBB138_35:
	s_and_b64 vcc, exec, s[4:5]
	s_cbranch_vccz .LBB138_57
; %bb.36:
	s_add_i32 s4, s22, -1
	s_cmp_gt_i32 s6, 7
	s_mov_b32 s5, s4
	s_cbranch_scc0 .LBB138_38
; %bb.37:
	ds_read2_b64 v[6:9], v1 offset0:48 offset1:56
	v_mov_b32_e32 v58, 0
	ds_read_b128 v[14:17], v58 offset:496
	ds_read2_b64 v[18:21], v1 offset0:32 offset1:40
	ds_read2_b64 v[2:5], v1 offset0:16 offset1:24
	ds_read_b128 v[22:25], v58 offset:480
	ds_read2_b64 v[26:29], v58 offset0:36 offset1:54
	ds_read_b128 v[32:35], v58 offset:352
	ds_read_b128 v[36:39], v58 offset:384
	s_waitcnt lgkmcnt(6)
	v_pk_mul_f32 v[12:13], v[16:17], v[8:9] op_sel:[1,1] op_sel_hi:[0,1]
	v_pk_fma_f32 v[10:11], v[16:17], v[8:9], v[12:13] op_sel_hi:[1,0,1] neg_lo:[0,0,1] neg_hi:[0,0,1]
	v_pk_fma_f32 v[12:13], v[16:17], v[8:9], v[12:13] op_sel_hi:[1,0,1]
	ds_read_b128 v[40:43], v58 offset:272
	v_mul_f32_e32 v8, v15, v13
	v_mul_f32_e32 v9, v14, v13
	v_fma_f32 v8, v14, v10, -v8
	v_fmac_f32_e32 v9, v15, v10
	v_sub_f32_e32 v8, v6, v8
	v_sub_f32_e32 v6, v7, v9
	s_waitcnt lgkmcnt(3)
	v_pk_mul_f32 v[14:15], v[28:29], v[6:7] op_sel:[1,0] op_sel_hi:[0,0]
	v_pk_fma_f32 v[6:7], v[28:29], v[8:9], v[14:15] op_sel_hi:[1,0,1] neg_lo:[0,0,1] neg_hi:[0,0,1]
	v_pk_fma_f32 v[8:9], v[28:29], v[8:9], v[14:15] op_sel_hi:[1,0,1]
	ds_read_b128 v[14:17], v58 offset:416
	ds_read_b128 v[28:31], v58 offset:400
	v_mul_f32_e32 v8, v24, v13
	v_mul_f32_e32 v7, v25, v13
	v_fmac_f32_e32 v8, v25, v10
	s_waitcnt lgkmcnt(1)
	v_mul_f32_e32 v12, v16, v9
	v_fma_f32 v7, v24, v10, -v7
	v_sub_f32_e32 v11, v21, v8
	v_mul_f32_e32 v8, v17, v9
	v_fmac_f32_e32 v12, v17, v6
	v_sub_f32_e32 v7, v20, v7
	v_fma_f32 v8, v16, v6, -v8
	v_sub_f32_e32 v12, v11, v12
	v_sub_f32_e32 v8, v7, v8
	v_pk_mul_f32 v[16:17], v[34:35], v[12:13] op_sel:[1,0] op_sel_hi:[0,0]
	v_pk_fma_f32 v[50:51], v[34:35], v[8:9], v[16:17] op_sel_hi:[1,0,1] neg_lo:[0,0,1] neg_hi:[0,0,1]
	v_pk_fma_f32 v[34:35], v[34:35], v[8:9], v[16:17] op_sel_hi:[1,0,1]
	v_mul_f32_e32 v7, v23, v13
	v_mul_f32_e32 v8, v22, v13
	v_fma_f32 v7, v22, v10, -v7
	v_fmac_f32_e32 v8, v23, v10
	v_mul_f32_e32 v11, v15, v9
	v_mul_f32_e32 v12, v14, v9
	v_sub_f32_e32 v7, v18, v7
	v_sub_f32_e32 v8, v19, v8
	v_fma_f32 v11, v14, v6, -v11
	v_fmac_f32_e32 v12, v15, v6
	ds_read_b128 v[14:17], v58 offset:464
	v_sub_f32_e32 v7, v7, v11
	v_sub_f32_e32 v11, v8, v12
	v_mul_f32_e32 v12, v32, v35
	v_mul_f32_e32 v8, v33, v35
	v_fmac_f32_e32 v12, v33, v50
	v_fma_f32 v8, v32, v50, -v8
	v_sub_f32_e32 v12, v11, v12
	v_sub_f32_e32 v8, v7, v8
	v_pk_mul_f32 v[18:19], v[26:27], v[12:13] op_sel:[1,0] op_sel_hi:[0,0]
	ds_read_b128 v[22:25], v58 offset:336
	v_pk_fma_f32 v[52:53], v[26:27], v[8:9], v[18:19] op_sel_hi:[1,0,1] neg_lo:[0,0,1] neg_hi:[0,0,1]
	v_pk_fma_f32 v[54:55], v[26:27], v[8:9], v[18:19] op_sel_hi:[1,0,1]
	ds_read_b128 v[18:21], v58 offset:448
	s_waitcnt lgkmcnt(2)
	v_mul_f32_e32 v7, v17, v13
	v_fma_f32 v7, v16, v10, -v7
	v_mul_f32_e32 v8, v16, v13
	v_fmac_f32_e32 v8, v17, v10
	v_sub_f32_e32 v4, v4, v7
	v_mul_f32_e32 v7, v31, v9
	v_sub_f32_e32 v5, v5, v8
	v_fma_f32 v7, v30, v6, -v7
	v_mul_f32_e32 v8, v30, v9
	v_fmac_f32_e32 v8, v31, v6
	v_sub_f32_e32 v4, v4, v7
	ds_read_b128 v[30:33], v58 offset:320
	s_waitcnt lgkmcnt(2)
	v_mul_f32_e32 v7, v25, v35
	v_sub_f32_e32 v5, v5, v8
	v_fma_f32 v7, v24, v50, -v7
	v_mul_f32_e32 v8, v24, v35
	v_fmac_f32_e32 v8, v25, v50
	v_sub_f32_e32 v4, v4, v7
	ds_read_b128 v[24:27], v58 offset:256
	v_mul_f32_e32 v7, v43, v55
	v_mul_f32_e32 v11, v42, v55
	v_sub_f32_e32 v5, v5, v8
	v_fma_f32 v7, v42, v52, -v7
	v_fmac_f32_e32 v11, v43, v52
	v_sub_f32_e32 v8, v4, v7
	v_sub_f32_e32 v12, v5, v11
	v_mul_f32_e32 v4, v15, v13
	v_mul_f32_e32 v5, v14, v13
	v_fma_f32 v4, v14, v10, -v4
	v_fmac_f32_e32 v5, v15, v10
	ds_read_b128 v[14:17], v58 offset:208
	v_sub_f32_e32 v34, v2, v4
	v_mul_f32_e32 v2, v29, v9
	v_mul_f32_e32 v48, v28, v9
	v_sub_f32_e32 v46, v3, v5
	v_fma_f32 v47, v28, v6, -v2
	v_fmac_f32_e32 v48, v29, v6
	ds_read_b128 v[2:5], v58 offset:192
	s_waitcnt lgkmcnt(1)
	v_pk_mul_f32 v[28:29], v[16:17], v[12:13] op_sel:[1,0] op_sel_hi:[0,0]
	v_mul_f32_e32 v7, v23, v35
	v_pk_fma_f32 v[56:57], v[16:17], v[8:9], v[28:29] op_sel_hi:[1,0,1] neg_lo:[0,0,1] neg_hi:[0,0,1]
	v_pk_fma_f32 v[28:29], v[16:17], v[8:9], v[28:29] op_sel_hi:[1,0,1]
	v_fma_f32 v8, v22, v50, -v7
	v_sub_f32_e32 v16, v34, v47
	v_mul_f32_e32 v12, v22, v35
	v_sub_f32_e32 v8, v16, v8
	v_mul_f32_e32 v16, v41, v55
	v_fmac_f32_e32 v12, v23, v50
	v_sub_f32_e32 v17, v46, v48
	v_fma_f32 v16, v40, v52, -v16
	ds_read2_b64 v[46:49], v58 offset1:18
	v_sub_f32_e32 v12, v17, v12
	v_mul_f32_e32 v17, v40, v55
	v_sub_f32_e32 v8, v8, v16
	v_mul_f32_e32 v16, v15, v29
	v_fmac_f32_e32 v17, v41, v52
	v_fma_f32 v16, v14, v56, -v16
	v_mul_f32_e32 v14, v14, v29
	ds_read2_b64 v[42:45], v1 offset1:8
	v_sub_f32_e32 v12, v12, v17
	v_fmac_f32_e32 v14, v15, v56
	v_sub_f32_e32 v12, v12, v14
	v_sub_f32_e32 v8, v8, v16
	s_waitcnt lgkmcnt(1)
	v_pk_mul_f32 v[14:15], v[48:49], v[12:13] op_sel:[1,0] op_sel_hi:[0,0]
	v_pk_fma_f32 v[22:23], v[48:49], v[8:9], v[14:15] op_sel_hi:[1,0,1] neg_lo:[0,0,1] neg_hi:[0,0,1]
	v_pk_fma_f32 v[40:41], v[48:49], v[8:9], v[14:15] op_sel_hi:[1,0,1]
	v_mul_f32_e32 v8, v21, v13
	v_fma_f32 v8, v20, v10, -v8
	v_mul_f32_e32 v14, v39, v9
	v_mul_f32_e32 v12, v20, v13
	s_waitcnt lgkmcnt(0)
	v_sub_f32_e32 v8, v44, v8
	v_fma_f32 v14, v38, v6, -v14
	v_fmac_f32_e32 v12, v21, v10
	v_mul_f32_e32 v15, v38, v9
	v_sub_f32_e32 v8, v8, v14
	v_mul_f32_e32 v14, v33, v35
	v_sub_f32_e32 v12, v45, v12
	v_fmac_f32_e32 v15, v39, v6
	v_fma_f32 v14, v32, v50, -v14
	v_sub_f32_e32 v12, v12, v15
	v_mul_f32_e32 v15, v32, v35
	v_sub_f32_e32 v8, v8, v14
	v_mul_f32_e32 v14, v27, v55
	v_fmac_f32_e32 v15, v33, v50
	v_fma_f32 v14, v26, v52, -v14
	v_sub_f32_e32 v12, v12, v15
	v_mul_f32_e32 v15, v26, v55
	v_sub_f32_e32 v8, v8, v14
	v_mul_f32_e32 v14, v5, v29
	v_fmac_f32_e32 v15, v27, v52
	v_fma_f32 v14, v4, v56, -v14
	v_mul_f32_e32 v4, v4, v29
	v_sub_f32_e32 v12, v12, v15
	v_fmac_f32_e32 v4, v5, v56
	v_mov_b32_e32 v11, v13
	v_sub_f32_e32 v5, v8, v14
	v_sub_f32_e32 v8, v12, v4
	v_mul_f32_e32 v4, v19, v13
	v_mul_f32_e32 v20, v18, v13
	ds_read_b128 v[12:15], v58 offset:128
	v_mov_b32_e32 v7, v9
	ds_write2_b64 v1, v[6:7], v[10:11] offset0:48 offset1:56
	v_fma_f32 v7, v18, v10, -v4
	v_fmac_f32_e32 v20, v19, v10
	ds_read_b128 v[16:19], v58 offset:64
	s_waitcnt lgkmcnt(2)
	v_mul_f32_e32 v10, v14, v41
	v_mul_f32_e32 v4, v15, v41
	v_fmac_f32_e32 v10, v15, v22
	v_fma_f32 v4, v14, v22, -v4
	v_sub_f32_e32 v8, v8, v10
	v_sub_f32_e32 v4, v5, v4
	s_waitcnt lgkmcnt(0)
	v_pk_mul_f32 v[10:11], v[18:19], v[8:9] op_sel:[1,0] op_sel_hi:[0,0]
	v_pk_fma_f32 v[14:15], v[18:19], v[4:5], v[10:11] op_sel_hi:[1,0,1] neg_lo:[0,0,1] neg_hi:[0,0,1]
	v_pk_fma_f32 v[4:5], v[18:19], v[4:5], v[10:11] op_sel_hi:[1,0,1]
	v_mul_f32_e32 v8, v37, v9
	v_mul_f32_e32 v9, v36, v9
	v_sub_f32_e32 v4, v42, v7
	v_sub_f32_e32 v7, v43, v20
	v_fmac_f32_e32 v9, v37, v6
	v_fma_f32 v8, v36, v6, -v8
	v_sub_f32_e32 v6, v7, v9
	v_mul_f32_e32 v7, v31, v35
	v_sub_f32_e32 v4, v4, v8
	v_fma_f32 v7, v30, v50, -v7
	v_mul_f32_e32 v8, v30, v35
	v_sub_f32_e32 v4, v4, v7
	v_mul_f32_e32 v7, v25, v55
	v_fmac_f32_e32 v8, v31, v50
	v_fma_f32 v7, v24, v52, -v7
	v_sub_f32_e32 v6, v6, v8
	v_mul_f32_e32 v8, v24, v55
	v_sub_f32_e32 v4, v4, v7
	v_mul_f32_e32 v7, v3, v29
	v_fmac_f32_e32 v8, v25, v52
	v_fma_f32 v7, v2, v56, -v7
	v_mul_f32_e32 v2, v2, v29
	v_sub_f32_e32 v6, v6, v8
	v_fmac_f32_e32 v2, v3, v56
	v_sub_f32_e32 v3, v4, v7
	v_sub_f32_e32 v2, v6, v2
	v_mul_f32_e32 v4, v13, v41
	v_mul_f32_e32 v6, v12, v41
	v_fma_f32 v4, v12, v22, -v4
	v_fmac_f32_e32 v6, v13, v22
	v_mov_b32_e32 v15, v5
	v_sub_f32_e32 v3, v3, v4
	v_sub_f32_e32 v4, v2, v6
	v_mul_f32_e32 v2, v17, v5
	v_mul_f32_e32 v5, v16, v5
	v_fmac_f32_e32 v5, v17, v14
	v_fma_f32 v2, v16, v14, -v2
	v_sub_f32_e32 v4, v4, v5
	v_sub_f32_e32 v2, v3, v2
	v_pk_mul_f32 v[4:5], v[46:47], v[4:5] op_sel:[1,0] op_sel_hi:[0,0]
	v_pk_fma_f32 v[6:7], v[46:47], v[2:3], v[4:5] neg_lo:[0,0,1] neg_hi:[0,0,1]
	v_pk_fma_f32 v[2:3], v[46:47], v[2:3], v[4:5] op_sel_hi:[1,0,1]
	v_mov_b32_e32 v51, v35
	v_mov_b32_e32 v53, v55
	;; [unrolled: 1-line block ×5, first 2 shown]
	s_mov_b32 s5, -1
	ds_write2_b64 v1, v[52:53], v[50:51] offset0:32 offset1:40
	ds_write2_b64 v1, v[22:23], v[56:57] offset0:16 offset1:24
	ds_write2_b64 v1, v[6:7], v[14:15] offset1:8
.LBB138_38:
	s_cmp_gt_i32 s5, -1
	s_cbranch_scc0 .LBB138_57
; %bb.39:
	s_cmp_lt_u32 s5, 3
	s_cbranch_scc1 .LBB138_44
; %bb.40:
	s_lshl_b32 s6, s5, 6
	v_add_u32_e32 v10, s6, v1
	v_subrev_u32_e32 v2, 64, v10
	v_add_u32_e32 v3, 0xffffff80, v10
	v_add_u32_e32 v11, 0xffffff40, v10
	ds_read_b64 v[8:9], v10
	ds_read_b64 v[6:7], v2
	;; [unrolled: 1-line block ×4, first 2 shown]
	s_cmp_le_i32 s4, s5
	s_cbranch_scc1 .LBB138_43
; %bb.41:
	s_lshl_b32 s7, s22, 6
	s_lshl_b32 s10, s5, 3
	v_lshl_or_b32 v11, v0, 3, s7
	s_add_i32 s7, s7, s10
	v_add_u32_e32 v11, 0x1c0, v11
	s_addk_i32 s7, 0xffa8
	s_mov_b32 s10, s4
.LBB138_42:                             ; =>This Inner Loop Header: Depth=1
	v_mov_b32_e32 v16, s7
	ds_read_b64 v[20:21], v11
	ds_read2_b64 v[12:15], v16 offset0:2 offset1:3
	ds_read2_b64 v[16:19], v16 offset1:1
	s_add_i32 s10, s10, -1
	s_sub_i32 s7, s7, 64
	v_subrev_u32_e32 v11, 64, v11
	s_waitcnt lgkmcnt(1)
	v_pk_mul_f32 v[22:23], v[14:15], v[20:21] op_sel:[0,1]
	v_pk_mul_f32 v[24:25], v[12:13], v[20:21] op_sel:[0,1]
	s_waitcnt lgkmcnt(0)
	v_pk_mul_f32 v[26:27], v[18:19], v[20:21] op_sel:[0,1]
	v_pk_mul_f32 v[28:29], v[16:17], v[20:21] op_sel:[0,1]
	v_pk_fma_f32 v[30:31], v[14:15], v[20:21], v[22:23] op_sel:[0,0,1] op_sel_hi:[1,1,0] neg_lo:[0,0,1] neg_hi:[0,0,1]
	v_pk_fma_f32 v[14:15], v[14:15], v[20:21], v[22:23] op_sel:[0,0,1] op_sel_hi:[1,0,0]
	v_pk_fma_f32 v[22:23], v[12:13], v[20:21], v[24:25] op_sel:[0,0,1] op_sel_hi:[1,1,0] neg_lo:[0,0,1] neg_hi:[0,0,1]
	v_pk_fma_f32 v[12:13], v[12:13], v[20:21], v[24:25] op_sel:[0,0,1] op_sel_hi:[1,0,0]
	v_pk_fma_f32 v[24:25], v[18:19], v[20:21], v[26:27] op_sel:[0,0,1] op_sel_hi:[1,1,0] neg_lo:[0,0,1] neg_hi:[0,0,1]
	v_pk_fma_f32 v[18:19], v[18:19], v[20:21], v[26:27] op_sel:[0,0,1] op_sel_hi:[1,0,0]
	v_pk_fma_f32 v[26:27], v[16:17], v[20:21], v[28:29] op_sel:[0,0,1] op_sel_hi:[1,1,0] neg_lo:[0,0,1] neg_hi:[0,0,1]
	v_pk_fma_f32 v[16:17], v[16:17], v[20:21], v[28:29] op_sel:[0,0,1] op_sel_hi:[1,0,0]
	v_mov_b32_e32 v31, v15
	v_mov_b32_e32 v23, v13
	;; [unrolled: 1-line block ×4, first 2 shown]
	s_cmp_gt_i32 s10, s5
	v_pk_add_f32 v[8:9], v[8:9], v[30:31] neg_lo:[0,1] neg_hi:[0,1]
	v_pk_add_f32 v[6:7], v[6:7], v[22:23] neg_lo:[0,1] neg_hi:[0,1]
	;; [unrolled: 1-line block ×4, first 2 shown]
	s_cbranch_scc1 .LBB138_42
.LBB138_43:
	s_add_i32 s7, s5, -1
	s_lshl_b32 s10, s7, 3
	s_add_i32 s11, s10, s6
	v_mov_b32_e32 v11, s11
	ds_read2_b64 v[12:15], v11 offset1:1
	s_lshl_b32 s7, s7, 6
	s_add_i32 s10, s10, s7
	v_mov_b32_e32 v11, s10
	ds_read_b64 v[16:17], v11
	s_waitcnt lgkmcnt(1)
	v_pk_mul_f32 v[18:19], v[14:15], v[8:9] op_sel:[1,1] op_sel_hi:[0,1]
	v_pk_fma_f32 v[20:21], v[14:15], v[8:9], v[18:19] op_sel_hi:[1,0,1] neg_lo:[0,0,1] neg_hi:[0,0,1]
	v_pk_fma_f32 v[18:19], v[14:15], v[8:9], v[18:19] op_sel_hi:[1,0,1]
	s_add_i32 s10, s5, -3
	v_mul_f32_e32 v8, v13, v19
	v_mul_f32_e32 v9, v12, v19
	v_fma_f32 v8, v12, v20, -v8
	v_fmac_f32_e32 v9, v13, v20
	v_sub_f32_e32 v6, v6, v8
	v_sub_f32_e32 v8, v7, v9
	s_lshl_b32 s11, s10, 3
	s_waitcnt lgkmcnt(0)
	v_pk_mul_f32 v[8:9], v[16:17], v[8:9] op_sel:[1,0] op_sel_hi:[0,0]
	s_add_i32 s12, s11, s6
	v_pk_fma_f32 v[22:23], v[16:17], v[6:7], v[8:9] op_sel_hi:[1,0,1] neg_lo:[0,0,1] neg_hi:[0,0,1]
	v_pk_fma_f32 v[16:17], v[16:17], v[6:7], v[8:9] op_sel_hi:[1,0,1]
	v_mov_b32_e32 v6, s12
	v_mov_b32_e32 v21, v19
	ds_read2_b64 v[6:9], v6 offset1:1
	ds_write_b64 v10, v[20:21]
	v_mov_b32_e32 v23, v17
	v_add_u32_e32 v10, s7, v1
	s_add_i32 s7, s11, s7
	ds_write_b64 v10, v[22:23]
	v_mov_b32_e32 v10, s7
	ds_read2_b64 v[10:13], v10 offset1:1
	s_waitcnt lgkmcnt(3)
	v_mul_f32_e32 v14, v9, v19
	v_fma_f32 v14, v8, v20, -v14
	v_mul_f32_e32 v8, v8, v19
	v_fmac_f32_e32 v8, v9, v20
	v_sub_f32_e32 v5, v5, v8
	s_waitcnt lgkmcnt(0)
	v_mul_f32_e32 v8, v13, v17
	v_mul_f32_e32 v9, v12, v17
	s_addk_i32 s6, 0xff80
	v_sub_f32_e32 v4, v4, v14
	v_fma_f32 v8, v12, v22, -v8
	v_fmac_f32_e32 v9, v13, v22
	s_add_i32 s7, s11, s6
	v_sub_f32_e32 v4, v4, v8
	v_sub_f32_e32 v8, v5, v9
	v_mov_b32_e32 v5, s7
	ds_read2_b64 v[12:15], v5 offset1:1
	s_lshl_b32 s7, s10, 6
	s_add_i32 s10, s11, s7
	v_mov_b32_e32 v5, s10
	ds_read_b64 v[24:25], v5
	s_waitcnt lgkmcnt(1)
	v_pk_mul_f32 v[8:9], v[14:15], v[8:9] op_sel:[1,0] op_sel_hi:[0,0]
	v_pk_fma_f32 v[26:27], v[14:15], v[4:5], v[8:9] op_sel_hi:[1,0,1] neg_lo:[0,0,1] neg_hi:[0,0,1]
	v_pk_fma_f32 v[4:5], v[14:15], v[4:5], v[8:9] op_sel_hi:[1,0,1]
	s_add_i32 s5, s5, -4
	v_mov_b32_e32 v27, v5
	v_add_u32_e32 v4, s6, v1
	ds_write_b64 v4, v[26:27]
	v_mul_f32_e32 v4, v7, v19
	v_fma_f32 v4, v6, v20, -v4
	v_mul_f32_e32 v6, v6, v19
	v_fmac_f32_e32 v6, v7, v20
	v_sub_f32_e32 v2, v2, v4
	v_mul_f32_e32 v4, v11, v17
	v_sub_f32_e32 v3, v3, v6
	v_fma_f32 v4, v10, v22, -v4
	v_mul_f32_e32 v6, v10, v17
	v_fmac_f32_e32 v6, v11, v22
	v_sub_f32_e32 v2, v2, v4
	v_mul_f32_e32 v4, v13, v5
	v_mul_f32_e32 v5, v12, v5
	v_sub_f32_e32 v3, v3, v6
	v_fma_f32 v4, v12, v26, -v4
	v_fmac_f32_e32 v5, v13, v26
	v_sub_f32_e32 v2, v2, v4
	v_sub_f32_e32 v4, v3, v5
	s_waitcnt lgkmcnt(1)
	v_pk_mul_f32 v[4:5], v[24:25], v[4:5] op_sel:[1,0] op_sel_hi:[0,0]
	v_pk_fma_f32 v[6:7], v[24:25], v[2:3], v[4:5] neg_lo:[0,0,1] neg_hi:[0,0,1]
	v_pk_fma_f32 v[2:3], v[24:25], v[2:3], v[4:5] op_sel_hi:[1,0,1]
	s_nop 0
	v_mov_b32_e32 v7, v3
	v_add_u32_e32 v2, s7, v1
	ds_write_b64 v2, v[6:7]
.LBB138_44:
	s_cmp_lt_i32 s5, 0
	s_cbranch_scc1 .LBB138_57
; %bb.45:
	s_bitcmp1_b32 s5, 0
	s_cselect_b64 s[6:7], -1, 0
	s_and_b64 vcc, exec, s[6:7]
	s_mov_b32 s6, s5
	s_cbranch_vccnz .LBB138_50
; %bb.46:
	s_lshl_b32 s6, s5, 6
	v_add_u32_e32 v4, s6, v1
	ds_read_b64 v[2:3], v4
	s_cmp_le_i32 s4, s5
	s_cbranch_scc1 .LBB138_49
; %bb.47:
	s_lshl_b32 s7, s22, 6
	s_lshl_b32 s6, s5, 3
	s_add_i32 s6, s7, s6
	v_lshl_or_b32 v5, v0, 3, s7
	s_sub_i32 s6, s6, 64
	v_add_u32_e32 v5, 0x1c0, v5
	s_mov_b32 s7, s4
.LBB138_48:                             ; =>This Inner Loop Header: Depth=1
	v_mov_b32_e32 v8, s6
	ds_read_b64 v[6:7], v5
	ds_read_b64 v[8:9], v8
	s_add_i32 s7, s7, -1
	s_sub_i32 s6, s6, 64
	v_subrev_u32_e32 v5, 64, v5
	s_cmp_gt_i32 s7, s5
	s_waitcnt lgkmcnt(0)
	v_pk_mul_f32 v[10:11], v[8:9], v[6:7] op_sel:[1,1] op_sel_hi:[0,1]
	v_pk_fma_f32 v[12:13], v[8:9], v[6:7], v[10:11] neg_lo:[0,0,1] neg_hi:[0,0,1]
	v_pk_fma_f32 v[6:7], v[8:9], v[6:7], v[10:11] op_sel_hi:[1,0,1]
	s_nop 0
	v_mov_b32_e32 v13, v7
	v_pk_add_f32 v[2:3], v[2:3], v[12:13] neg_lo:[0,1] neg_hi:[0,1]
	s_cbranch_scc1 .LBB138_48
.LBB138_49:
	s_mul_i32 s6, s5, 0x48
	v_mov_b32_e32 v5, s6
	ds_read_b64 v[6:7], v5
	s_add_i32 s6, s5, -1
	s_waitcnt lgkmcnt(0)
	v_pk_mul_f32 v[8:9], v[6:7], v[2:3] op_sel:[1,1] op_sel_hi:[0,1]
	v_pk_fma_f32 v[10:11], v[6:7], v[2:3], v[8:9] op_sel_hi:[1,0,1] neg_lo:[0,0,1] neg_hi:[0,0,1]
	v_pk_fma_f32 v[2:3], v[6:7], v[2:3], v[8:9] op_sel_hi:[1,0,1]
	s_nop 0
	v_mov_b32_e32 v11, v3
	ds_write_b64 v4, v[10:11]
.LBB138_50:
	s_cmp_eq_u32 s5, 0
	s_cbranch_scc1 .LBB138_57
; %bb.51:
	s_lshl_b32 s7, s22, 6
	s_lshl_b32 s5, s6, 3
	s_add_i32 s10, s7, s5
	v_lshl_or_b32 v2, v0, 3, s7
	s_sub_i32 s5, s10, 64
	v_add_u32_e32 v6, 0x1c0, v2
	s_add_i32 s7, s10, 0xffffffb8
	s_branch .LBB138_53
.LBB138_52:                             ;   in Loop: Header=BB138_53 Depth=1
	s_addk_i32 s10, 0xffb8
	v_mov_b32_e32 v4, s10
	ds_read_b64 v[4:5], v4
	s_add_i32 s10, s6, -2
	s_add_i32 s5, s5, -16
	;; [unrolled: 1-line block ×3, first 2 shown]
	s_cmp_lt_i32 s6, 2
	s_waitcnt lgkmcnt(0)
	v_pk_mul_f32 v[8:9], v[4:5], v[2:3] op_sel:[1,1] op_sel_hi:[0,1]
	v_pk_fma_f32 v[10:11], v[4:5], v[2:3], v[8:9] op_sel_hi:[1,0,1] neg_lo:[0,0,1] neg_hi:[0,0,1]
	v_pk_fma_f32 v[2:3], v[4:5], v[2:3], v[8:9] op_sel_hi:[1,0,1]
	s_mov_b32 s6, s10
	v_mov_b32_e32 v11, v3
	ds_write_b64 v7, v[10:11]
	s_cbranch_scc1 .LBB138_57
.LBB138_53:                             ; =>This Loop Header: Depth=1
                                        ;     Child Loop BB138_54 Depth 2
                                        ;     Child Loop BB138_56 Depth 2
	s_lshl_b32 s11, s6, 6
	v_add_u32_e32 v8, s11, v1
	ds_read_b64 v[4:5], v8
	s_cmp_le_i32 s4, s6
	v_mov_b32_e32 v2, v6
	s_mov_b32 s10, s5
	s_mov_b32 s12, s4
	s_cbranch_scc1 .LBB138_55
.LBB138_54:                             ;   Parent Loop BB138_53 Depth=1
                                        ; =>  This Inner Loop Header: Depth=2
	v_mov_b32_e32 v3, s10
	ds_read_b64 v[10:11], v2
	ds_read_b64 v[12:13], v3
	s_add_i32 s12, s12, -1
	s_sub_i32 s10, s10, 64
	v_subrev_u32_e32 v2, 64, v2
	s_cmp_gt_i32 s12, s6
	s_waitcnt lgkmcnt(0)
	v_pk_mul_f32 v[14:15], v[12:13], v[10:11] op_sel:[1,1] op_sel_hi:[0,1]
	v_pk_fma_f32 v[16:17], v[12:13], v[10:11], v[14:15] neg_lo:[0,0,1] neg_hi:[0,0,1]
	v_pk_fma_f32 v[10:11], v[12:13], v[10:11], v[14:15] op_sel_hi:[1,0,1]
	s_nop 0
	v_mov_b32_e32 v17, v11
	v_pk_add_f32 v[4:5], v[4:5], v[16:17] neg_lo:[0,1] neg_hi:[0,1]
	s_cbranch_scc1 .LBB138_54
.LBB138_55:                             ;   in Loop: Header=BB138_53 Depth=1
	s_mul_i32 s10, s6, 0x48
	v_mov_b32_e32 v2, s10
	ds_read_b64 v[10:11], v2
	s_sub_i32 s11, s11, 64
	v_add_u32_e32 v7, s11, v1
	ds_read_b64 v[2:3], v7
	s_cmp_le_i32 s22, s6
	s_waitcnt lgkmcnt(1)
	v_pk_mul_f32 v[12:13], v[10:11], v[4:5] op_sel:[1,1] op_sel_hi:[0,1]
	v_pk_fma_f32 v[14:15], v[10:11], v[4:5], v[12:13] op_sel_hi:[1,0,1] neg_lo:[0,0,1] neg_hi:[0,0,1]
	v_pk_fma_f32 v[4:5], v[10:11], v[4:5], v[12:13] op_sel_hi:[1,0,1]
	s_mov_b32 s11, s7
	v_mov_b32_e32 v15, v5
	v_mov_b32_e32 v4, v6
	s_mov_b32 s12, s22
	ds_write_b64 v8, v[14:15]
	s_cbranch_scc1 .LBB138_52
.LBB138_56:                             ;   Parent Loop BB138_53 Depth=1
                                        ; =>  This Inner Loop Header: Depth=2
	v_mov_b32_e32 v5, s11
	ds_read_b64 v[8:9], v4
	ds_read_b64 v[10:11], v5
	s_add_i32 s12, s12, -1
	s_sub_i32 s11, s11, 64
	v_subrev_u32_e32 v4, 64, v4
	s_cmp_gt_i32 s12, s6
	s_waitcnt lgkmcnt(0)
	v_pk_mul_f32 v[12:13], v[10:11], v[8:9] op_sel:[1,1] op_sel_hi:[0,1]
	v_pk_fma_f32 v[14:15], v[10:11], v[8:9], v[12:13] neg_lo:[0,0,1] neg_hi:[0,0,1]
	v_pk_fma_f32 v[8:9], v[10:11], v[8:9], v[12:13] op_sel_hi:[1,0,1]
	s_nop 0
	v_mov_b32_e32 v15, v9
	v_pk_add_f32 v[2:3], v[2:3], v[14:15] neg_lo:[0,1] neg_hi:[0,1]
	s_cbranch_scc1 .LBB138_56
	s_branch .LBB138_52
.LBB138_57:
	s_waitcnt lgkmcnt(0)
	; wave barrier
	s_and_saveexec_b64 s[4:5], s[0:1]
	s_cbranch_execz .LBB138_61
; %bb.58:
	s_andn2_b64 vcc, exec, s[8:9]
	s_cbranch_vccnz .LBB138_61
; %bb.59:
	v_mad_i64_i32 v[2:3], s[0:1], s16, v0, 0
	v_mov_b32_e32 v1, 0x200
	v_lshl_add_u64 v[2:3], v[2:3], 3, s[2:3]
	v_lshl_or_b32 v0, v0, 3, v1
.LBB138_60:                             ; =>This Inner Loop Header: Depth=1
	ds_read_b64 v[4:5], v0
	s_add_i32 s22, s22, -1
	v_add_u32_e32 v0, 64, v0
	s_cmp_lg_u32 s22, 0
	s_waitcnt lgkmcnt(0)
	flat_store_dwordx2 v[2:3], v[4:5]
	v_lshl_add_u64 v[2:3], v[2:3], 0, 8
	s_cbranch_scc1 .LBB138_60
.LBB138_61:
	s_endpgm
	.section	.rodata,"a",@progbits
	.p2align	6, 0x0
	.amdhsa_kernel _ZL38rocblas_trsm_small_left_device_sharedBILi8ELi8ELb0E19rocblas_complex_numIfES1_PKPKS1_PKPS1_Ev13rocblas_fill_18rocblas_operation_17rocblas_diagonal_iiT3_T4_lilT5_lili
		.amdhsa_group_segment_fixed_size 1024
		.amdhsa_private_segment_fixed_size 0
		.amdhsa_kernarg_size 360
		.amdhsa_user_sgpr_count 2
		.amdhsa_user_sgpr_dispatch_ptr 0
		.amdhsa_user_sgpr_queue_ptr 0
		.amdhsa_user_sgpr_kernarg_segment_ptr 1
		.amdhsa_user_sgpr_dispatch_id 0
		.amdhsa_user_sgpr_kernarg_preload_length 0
		.amdhsa_user_sgpr_kernarg_preload_offset 0
		.amdhsa_user_sgpr_private_segment_size 0
		.amdhsa_uses_dynamic_stack 0
		.amdhsa_enable_private_segment 0
		.amdhsa_system_sgpr_workgroup_id_x 1
		.amdhsa_system_sgpr_workgroup_id_y 0
		.amdhsa_system_sgpr_workgroup_id_z 1
		.amdhsa_system_sgpr_workgroup_info 0
		.amdhsa_system_vgpr_workitem_id 0
		.amdhsa_next_free_vgpr 82
		.amdhsa_next_free_sgpr 28
		.amdhsa_accum_offset 84
		.amdhsa_reserve_vcc 1
		.amdhsa_float_round_mode_32 0
		.amdhsa_float_round_mode_16_64 0
		.amdhsa_float_denorm_mode_32 3
		.amdhsa_float_denorm_mode_16_64 3
		.amdhsa_dx10_clamp 1
		.amdhsa_ieee_mode 1
		.amdhsa_fp16_overflow 0
		.amdhsa_tg_split 0
		.amdhsa_exception_fp_ieee_invalid_op 0
		.amdhsa_exception_fp_denorm_src 0
		.amdhsa_exception_fp_ieee_div_zero 0
		.amdhsa_exception_fp_ieee_overflow 0
		.amdhsa_exception_fp_ieee_underflow 0
		.amdhsa_exception_fp_ieee_inexact 0
		.amdhsa_exception_int_div_zero 0
	.end_amdhsa_kernel
	.section	.text._ZL38rocblas_trsm_small_left_device_sharedBILi8ELi8ELb0E19rocblas_complex_numIfES1_PKPKS1_PKPS1_Ev13rocblas_fill_18rocblas_operation_17rocblas_diagonal_iiT3_T4_lilT5_lili,"axG",@progbits,_ZL38rocblas_trsm_small_left_device_sharedBILi8ELi8ELb0E19rocblas_complex_numIfES1_PKPKS1_PKPS1_Ev13rocblas_fill_18rocblas_operation_17rocblas_diagonal_iiT3_T4_lilT5_lili,comdat
.Lfunc_end138:
	.size	_ZL38rocblas_trsm_small_left_device_sharedBILi8ELi8ELb0E19rocblas_complex_numIfES1_PKPKS1_PKPS1_Ev13rocblas_fill_18rocblas_operation_17rocblas_diagonal_iiT3_T4_lilT5_lili, .Lfunc_end138-_ZL38rocblas_trsm_small_left_device_sharedBILi8ELi8ELb0E19rocblas_complex_numIfES1_PKPKS1_PKPS1_Ev13rocblas_fill_18rocblas_operation_17rocblas_diagonal_iiT3_T4_lilT5_lili
                                        ; -- End function
	.set _ZL38rocblas_trsm_small_left_device_sharedBILi8ELi8ELb0E19rocblas_complex_numIfES1_PKPKS1_PKPS1_Ev13rocblas_fill_18rocblas_operation_17rocblas_diagonal_iiT3_T4_lilT5_lili.num_vgpr, 82
	.set _ZL38rocblas_trsm_small_left_device_sharedBILi8ELi8ELb0E19rocblas_complex_numIfES1_PKPKS1_PKPS1_Ev13rocblas_fill_18rocblas_operation_17rocblas_diagonal_iiT3_T4_lilT5_lili.num_agpr, 0
	.set _ZL38rocblas_trsm_small_left_device_sharedBILi8ELi8ELb0E19rocblas_complex_numIfES1_PKPKS1_PKPS1_Ev13rocblas_fill_18rocblas_operation_17rocblas_diagonal_iiT3_T4_lilT5_lili.numbered_sgpr, 28
	.set _ZL38rocblas_trsm_small_left_device_sharedBILi8ELi8ELb0E19rocblas_complex_numIfES1_PKPKS1_PKPS1_Ev13rocblas_fill_18rocblas_operation_17rocblas_diagonal_iiT3_T4_lilT5_lili.num_named_barrier, 0
	.set _ZL38rocblas_trsm_small_left_device_sharedBILi8ELi8ELb0E19rocblas_complex_numIfES1_PKPKS1_PKPS1_Ev13rocblas_fill_18rocblas_operation_17rocblas_diagonal_iiT3_T4_lilT5_lili.private_seg_size, 0
	.set _ZL38rocblas_trsm_small_left_device_sharedBILi8ELi8ELb0E19rocblas_complex_numIfES1_PKPKS1_PKPS1_Ev13rocblas_fill_18rocblas_operation_17rocblas_diagonal_iiT3_T4_lilT5_lili.uses_vcc, 1
	.set _ZL38rocblas_trsm_small_left_device_sharedBILi8ELi8ELb0E19rocblas_complex_numIfES1_PKPKS1_PKPS1_Ev13rocblas_fill_18rocblas_operation_17rocblas_diagonal_iiT3_T4_lilT5_lili.uses_flat_scratch, 0
	.set _ZL38rocblas_trsm_small_left_device_sharedBILi8ELi8ELb0E19rocblas_complex_numIfES1_PKPKS1_PKPS1_Ev13rocblas_fill_18rocblas_operation_17rocblas_diagonal_iiT3_T4_lilT5_lili.has_dyn_sized_stack, 0
	.set _ZL38rocblas_trsm_small_left_device_sharedBILi8ELi8ELb0E19rocblas_complex_numIfES1_PKPKS1_PKPS1_Ev13rocblas_fill_18rocblas_operation_17rocblas_diagonal_iiT3_T4_lilT5_lili.has_recursion, 0
	.set _ZL38rocblas_trsm_small_left_device_sharedBILi8ELi8ELb0E19rocblas_complex_numIfES1_PKPKS1_PKPS1_Ev13rocblas_fill_18rocblas_operation_17rocblas_diagonal_iiT3_T4_lilT5_lili.has_indirect_call, 0
	.section	.AMDGPU.csdata,"",@progbits
; Kernel info:
; codeLenInByte = 6656
; TotalNumSgprs: 34
; NumVgprs: 82
; NumAgprs: 0
; TotalNumVgprs: 82
; ScratchSize: 0
; MemoryBound: 0
; FloatMode: 240
; IeeeMode: 1
; LDSByteSize: 1024 bytes/workgroup (compile time only)
; SGPRBlocks: 4
; VGPRBlocks: 10
; NumSGPRsForWavesPerEU: 34
; NumVGPRsForWavesPerEU: 82
; AccumOffset: 84
; Occupancy: 5
; WaveLimiterHint : 0
; COMPUTE_PGM_RSRC2:SCRATCH_EN: 0
; COMPUTE_PGM_RSRC2:USER_SGPR: 2
; COMPUTE_PGM_RSRC2:TRAP_HANDLER: 0
; COMPUTE_PGM_RSRC2:TGID_X_EN: 1
; COMPUTE_PGM_RSRC2:TGID_Y_EN: 0
; COMPUTE_PGM_RSRC2:TGID_Z_EN: 1
; COMPUTE_PGM_RSRC2:TIDIG_COMP_CNT: 0
; COMPUTE_PGM_RSRC3_GFX90A:ACCUM_OFFSET: 20
; COMPUTE_PGM_RSRC3_GFX90A:TG_SPLIT: 0
	.section	.text._ZL30rocblas_trsm_small_left_deviceILi8ELi8ELb0E19rocblas_complex_numIfES1_PKPKS1_PKPS1_Ev13rocblas_fill_18rocblas_operation_17rocblas_diagonal_iiT3_T4_lilT5_lili,"axG",@progbits,_ZL30rocblas_trsm_small_left_deviceILi8ELi8ELb0E19rocblas_complex_numIfES1_PKPKS1_PKPS1_Ev13rocblas_fill_18rocblas_operation_17rocblas_diagonal_iiT3_T4_lilT5_lili,comdat
	.globl	_ZL30rocblas_trsm_small_left_deviceILi8ELi8ELb0E19rocblas_complex_numIfES1_PKPKS1_PKPS1_Ev13rocblas_fill_18rocblas_operation_17rocblas_diagonal_iiT3_T4_lilT5_lili ; -- Begin function _ZL30rocblas_trsm_small_left_deviceILi8ELi8ELb0E19rocblas_complex_numIfES1_PKPKS1_PKPS1_Ev13rocblas_fill_18rocblas_operation_17rocblas_diagonal_iiT3_T4_lilT5_lili
	.p2align	8
	.type	_ZL30rocblas_trsm_small_left_deviceILi8ELi8ELb0E19rocblas_complex_numIfES1_PKPKS1_PKPS1_Ev13rocblas_fill_18rocblas_operation_17rocblas_diagonal_iiT3_T4_lilT5_lili,@function
_ZL30rocblas_trsm_small_left_deviceILi8ELi8ELb0E19rocblas_complex_numIfES1_PKPKS1_PKPS1_Ev13rocblas_fill_18rocblas_operation_17rocblas_diagonal_iiT3_T4_lilT5_lili: ; @_ZL30rocblas_trsm_small_left_deviceILi8ELi8ELb0E19rocblas_complex_numIfES1_PKPKS1_PKPS1_Ev13rocblas_fill_18rocblas_operation_17rocblas_diagonal_iiT3_T4_lilT5_lili
; %bb.0:
	s_load_dwordx4 s[12:15], s[2:3], 0x40
	s_load_dwordx4 s[8:11], s[2:3], 0x4
	s_load_dwordx2 s[6:7], s[2:3], 0x14
	s_mov_b32 s16, s5
	s_mov_b32 s17, 0
	s_lshl_b64 s[20:21], s[16:17], 3
	s_waitcnt lgkmcnt(0)
	s_add_u32 s12, s12, s20
	s_addc_u32 s13, s13, s21
	s_load_dword s5, s[2:3], 0x68
	v_and_b32_e32 v1, 0x3ff, v0
	s_load_dwordx2 s[12:13], s[12:13], 0x0
	s_min_i32 s26, s10, 8
	v_cmp_gt_i32_e32 vcc, s26, v1
	s_and_saveexec_b64 s[16:17], vcc
	s_cbranch_execz .LBB139_15
; %bb.1:
	s_load_dword s22, s[2:3], 0x30
	s_load_dwordx4 s[28:31], s[2:3], 0x20
	v_lshlrev_b32_e32 v2, 3, v1
	v_mov_b32_e32 v3, 0
	v_mov_b32_e32 v8, v2
	s_waitcnt lgkmcnt(0)
	s_ashr_i32 s23, s22, 31
	s_cmpk_lg_i32 s8, 0x71
	s_cselect_b64 s[18:19], -1, 0
	s_add_u32 s20, s28, s20
	s_addc_u32 s21, s29, s21
	s_load_dwordx2 s[20:21], s[20:21], 0x0
	s_lshl_b64 s[24:25], s[30:31], 3
	s_mov_b32 s10, s26
	s_waitcnt lgkmcnt(0)
	s_add_u32 s24, s20, s24
	s_addc_u32 s25, s21, s25
	s_lshl_b64 s[20:21], s[22:23], 3
	v_lshl_add_u64 v[4:5], s[24:25], 0, v[2:3]
	s_branch .LBB139_3
.LBB139_2:                              ;   in Loop: Header=BB139_3 Depth=1
	flat_load_dword v6, v[4:5]
	s_add_i32 s10, s10, -1
	v_lshl_add_u64 v[4:5], v[4:5], 0, s[20:21]
	s_cmp_eq_u32 s10, 0
	s_waitcnt vmcnt(0) lgkmcnt(0)
	ds_write_b64 v8, v[6:7]
	v_add_u32_e32 v8, 64, v8
	s_cbranch_scc1 .LBB139_7
.LBB139_3:                              ; =>This Inner Loop Header: Depth=1
	s_mov_b64 s[22:23], -1
	s_and_b64 vcc, exec, s[18:19]
                                        ; implicit-def: $vgpr7
	s_cbranch_vccz .LBB139_5
; %bb.4:                                ;   in Loop: Header=BB139_3 Depth=1
	flat_load_dword v7, v[4:5] offset:4
	s_mov_b64 s[22:23], 0
.LBB139_5:                              ;   in Loop: Header=BB139_3 Depth=1
	s_andn2_b64 vcc, exec, s[22:23]
	s_cbranch_vccnz .LBB139_2
; %bb.6:                                ;   in Loop: Header=BB139_3 Depth=1
	flat_load_dword v3, v[4:5] offset:4
	s_waitcnt vmcnt(0) lgkmcnt(0)
	v_xor_b32_e32 v7, 0x80000000, v3
	s_branch .LBB139_2
.LBB139_7:
	s_cmpk_lg_i32 s9, 0x84
	v_lshlrev_b32_e32 v3, 6, v1
	s_mov_b64 s[18:19], -1
	s_cbranch_scc0 .LBB139_13
; %bb.8:
	v_add_u32_e32 v8, v2, v3
	ds_read_b64 v[4:5], v8
                                        ; implicit-def: $vgpr6_vgpr7
	s_waitcnt lgkmcnt(0)
	v_cmp_ngt_f32_e64 s[18:19], |v4|, |v5|
	s_and_saveexec_b64 s[20:21], s[18:19]
	s_xor_b64 s[18:19], exec, s[20:21]
	s_cbranch_execz .LBB139_10
; %bb.9:
	v_div_scale_f32 v6, s[20:21], v5, v5, v4
	v_rcp_f32_e32 v7, v6
	v_div_scale_f32 v9, vcc, v4, v5, v4
	v_fma_f32 v10, -v6, v7, 1.0
	v_fmac_f32_e32 v7, v10, v7
	v_mul_f32_e32 v10, v9, v7
	v_fma_f32 v11, -v6, v10, v9
	v_fmac_f32_e32 v10, v11, v7
	v_fma_f32 v6, -v6, v10, v9
	v_div_fmas_f32 v6, v6, v7, v10
	v_div_fixup_f32 v6, v6, v5, v4
	v_fmac_f32_e32 v5, v4, v6
	v_div_scale_f32 v4, s[20:21], v5, v5, 1.0
	v_rcp_f32_e32 v7, v4
	s_mov_b32 s20, 0
	s_mov_b32 s21, -1.0
	v_fma_f32 v9, -v4, v7, 1.0
	v_fmac_f32_e32 v7, v9, v7
	v_div_scale_f32 v9, vcc, 1.0, v5, 1.0
	v_mul_f32_e32 v10, v9, v7
	v_fma_f32 v11, -v4, v10, v9
	v_fmac_f32_e32 v10, v11, v7
	v_fma_f32 v4, -v4, v10, v9
	v_div_fmas_f32 v4, v4, v7, v10
	v_mul_f32_e32 v7, 0, v6
	v_div_fixup_f32 v4, v4, v5, 1.0
	v_pk_add_f32 v[6:7], v[6:7], s[20:21]
	s_nop 0
	v_pk_mul_f32 v[6:7], v[6:7], v[4:5] op_sel_hi:[1,0]
                                        ; implicit-def: $vgpr4_vgpr5
.LBB139_10:
	s_andn2_saveexec_b64 s[18:19], s[18:19]
	s_cbranch_execz .LBB139_12
; %bb.11:
	v_div_scale_f32 v6, s[20:21], v4, v4, v5
	v_rcp_f32_e32 v7, v6
	v_div_scale_f32 v9, vcc, v5, v4, v5
	v_fma_f32 v10, -v6, v7, 1.0
	v_fmac_f32_e32 v7, v10, v7
	v_mul_f32_e32 v10, v9, v7
	v_fma_f32 v11, -v6, v10, v9
	v_fmac_f32_e32 v10, v11, v7
	v_fma_f32 v6, -v6, v10, v9
	v_div_fmas_f32 v6, v6, v7, v10
	v_div_fixup_f32 v7, v6, v4, v5
	v_fmac_f32_e32 v4, v5, v7
	v_div_scale_f32 v5, s[20:21], v4, v4, 1.0
	v_rcp_f32_e32 v6, v5
	s_nop 0
	v_fma_f32 v9, -v5, v6, 1.0
	v_fmac_f32_e32 v6, v9, v6
	v_div_scale_f32 v9, vcc, 1.0, v4, 1.0
	v_mul_f32_e32 v10, v9, v6
	v_fma_f32 v11, -v5, v10, v9
	v_fmac_f32_e32 v10, v11, v6
	v_fma_f32 v5, -v5, v10, v9
	v_div_fmas_f32 v5, v5, v6, v10
	v_div_fixup_f32 v4, v5, v4, 1.0
	v_mul_f32_e32 v5, 0, v7
	v_add_f32_e32 v6, 1.0, v5
	v_sub_f32_e32 v7, 0, v7
	v_pk_mul_f32 v[6:7], v[6:7], v[4:5] op_sel_hi:[1,0]
.LBB139_12:
	s_or_b64 exec, exec, s[18:19]
	s_mov_b64 s[18:19], 0
	ds_write_b64 v8, v[6:7]
.LBB139_13:
	s_and_b64 vcc, exec, s[18:19]
	s_cbranch_vccz .LBB139_15
; %bb.14:
	v_add_u32_e32 v2, v2, v3
	v_mov_b32_e32 v4, 1.0
	v_mov_b32_e32 v5, 0
	ds_write_b64 v2, v[4:5]
.LBB139_15:
	s_or_b64 exec, exec, s[16:17]
	s_waitcnt lgkmcnt(0)
	s_add_i32 s9, s5, -1
	s_lshl_b32 s5, s4, 3
	s_sub_i32 s10, s11, s5
	s_cmp_ge_u32 s4, s9
	s_cselect_b32 s4, s10, 8
	v_cmp_gt_i32_e32 vcc, s4, v1
	; wave barrier
	s_and_saveexec_b64 s[10:11], vcc
	s_cbranch_execz .LBB139_83
; %bb.16:
	s_load_dwordx2 s[10:11], s[0:1], 0x4
	s_load_dword s4, s[2:3], 0x50
	v_bfe_u32 v2, v0, 10, 10
	v_bfe_u32 v0, v0, 20, 10
	s_lshl_b64 s[2:3], s[14:15], 3
	s_waitcnt lgkmcnt(0)
	s_lshr_b32 s0, s10, 16
	s_mul_i32 s0, s0, s11
	v_mul_u32_u24_e32 v2, s11, v2
	v_mul_u32_u24_e32 v3, s0, v1
	v_add3_u32 v15, v3, v2, v0
	s_add_u32 s0, s12, s2
	v_add_u32_e32 v0, s5, v1
	v_mov_b32_e32 v6, 0x200
	s_addc_u32 s1, s13, s3
	v_mad_i64_i32 v[2:3], s[4:5], s4, v0, 0
	v_lshl_add_u32 v14, v15, 6, v6
	v_lshl_add_u64 v[0:1], v[2:3], 3, s[0:1]
	s_cmpk_eq_i32 s8, 0x6f
	s_mov_b64 s[0:1], -1
	s_cbranch_scc1 .LBB139_50
; %bb.17:
	s_add_u32 s0, s12, s2
	s_addc_u32 s1, s13, s3
	s_mov_b32 s15, 0
	s_mov_b32 s4, s6
	;; [unrolled: 1-line block ×7, first 2 shown]
	v_lshl_add_u64 v[4:5], v[2:3], 3, s[0:1]
	v_lshl_add_u32 v16, v15, 6, v6
	s_mov_b32 s16, s15
	s_mov_b32 s27, s15
	s_branch .LBB139_19
.LBB139_18:                             ;   in Loop: Header=BB139_19 Depth=1
	s_cmp_ge_i32 s27, s26
	s_cselect_b64 s[0:1], -1, 0
	s_add_i32 s16, s16, 1
	s_cmp_eq_u32 s16, 3
	s_cselect_b64 s[18:19], -1, 0
	s_or_b64 s[0:1], s[0:1], s[18:19]
	s_andn2_b64 vcc, exec, s[0:1]
	s_cbranch_vccz .LBB139_49
.LBB139_19:                             ; =>This Loop Header: Depth=1
                                        ;     Child Loop BB139_22 Depth 2
                                        ;       Child Loop BB139_24 Depth 3
                                        ;       Child Loop BB139_28 Depth 3
	;; [unrolled: 1-line block ×3, first 2 shown]
                                        ;         Child Loop BB139_34 Depth 4
                                        ;         Child Loop BB139_40 Depth 4
                                        ;       Child Loop BB139_43 Depth 3
                                        ;         Child Loop BB139_45 Depth 4
	s_mov_b32 s17, s15
	s_lshl_b64 s[0:1], s[16:17], 2
	s_getpc_b64 s[18:19]
	s_add_u32 s18, s18, __const._ZL30rocblas_trsm_small_left_deviceILi8ELi8ELb0E19rocblas_complex_numIfES1_PKPKS1_PKPS1_Ev13rocblas_fill_18rocblas_operation_17rocblas_diagonal_iiT3_T4_lilT5_lili.step_sizes@rel32@lo+4
	s_addc_u32 s19, s19, __const._ZL30rocblas_trsm_small_left_deviceILi8ELi8ELb0E19rocblas_complex_numIfES1_PKPKS1_PKPS1_Ev13rocblas_fill_18rocblas_operation_17rocblas_diagonal_iiT3_T4_lilT5_lili.step_sizes@rel32@hi+12
	s_add_u32 s0, s18, s0
	s_addc_u32 s1, s19, s1
	s_load_dword s17, s[0:1], 0x0
	s_waitcnt lgkmcnt(0)
	s_add_i32 s28, s17, -1
	s_add_i32 s0, s28, s27
	s_cmp_ge_i32 s0, s26
	s_cbranch_scc1 .LBB139_18
; %bb.20:                               ;   in Loop: Header=BB139_19 Depth=1
	s_max_i32 s29, s17, 1
	s_cmp_lg_u32 s16, 2
	s_cselect_b64 s[18:19], -1, 0
	s_and_b32 s30, s29, 0x7ffffffe
	s_cmp_lg_u32 s29, s30
	v_cndmask_b32_e64 v6, 0, 1, s[18:19]
	s_cselect_b64 s[20:21], -1, 0
	s_ashr_i32 s31, s27, 31
	s_ashr_i32 s33, s17, 31
	s_mul_i32 s34, s27, 0x48
	s_mul_i32 s35, s17, 0x48
	v_cmp_ne_u32_e64 s[0:1], 1, v6
	s_branch .LBB139_22
.LBB139_21:                             ;   in Loop: Header=BB139_22 Depth=2
	s_add_u32 s27, s27, s17
	s_addc_u32 s31, s31, s33
	s_add_i32 s14, s28, s27
	s_add_i32 s34, s34, s35
	s_cmp_ge_i32 s14, s26
	s_cbranch_scc1 .LBB139_18
.LBB139_22:                             ;   Parent Loop BB139_19 Depth=1
                                        ; =>  This Loop Header: Depth=2
                                        ;       Child Loop BB139_24 Depth 3
                                        ;       Child Loop BB139_28 Depth 3
	;; [unrolled: 1-line block ×3, first 2 shown]
                                        ;         Child Loop BB139_34 Depth 4
                                        ;         Child Loop BB139_40 Depth 4
                                        ;       Child Loop BB139_43 Depth 3
                                        ;         Child Loop BB139_45 Depth 4
	s_and_b64 vcc, exec, s[0:1]
	s_cbranch_vccnz .LBB139_26
; %bb.23:                               ;   in Loop: Header=BB139_22 Depth=2
	s_mov_b32 s14, s27
	s_mov_b32 s24, s27
	;; [unrolled: 1-line block ×5, first 2 shown]
	v_mov_b32_e32 v6, v14
.LBB139_24:                             ;   Parent Loop BB139_19 Depth=1
                                        ;     Parent Loop BB139_22 Depth=2
                                        ; =>    This Inner Loop Header: Depth=3
	s_add_i32 s22, s36, s14
	s_add_i32 s38, s25, s24
	s_ashr_i32 s23, s22, 31
	s_ashr_i32 s39, s38, 31
	v_lshl_add_u64 v[8:9], s[22:23], 3, v[0:1]
	v_lshl_add_u64 v[10:11], s[38:39], 3, v[0:1]
	flat_load_dwordx2 v[18:19], v[8:9]
	flat_load_dwordx2 v[12:13], v[10:11]
	s_add_i32 s36, s36, 2
	s_add_i32 s25, s25, 2
	s_add_i32 s37, s37, -2
	s_mov_b32 s38, s30
	s_mov_b64 s[22:23], s[20:21]
	s_cmp_lg_u32 s37, 0
	s_waitcnt vmcnt(0) lgkmcnt(0)
	v_mov_b32_e32 v8, v18
	v_mov_b32_e32 v9, v12
	v_mov_b32_e32 v12, v19
	v_pk_mul_f32 v[10:11], v[12:13], s[8:9]
	v_pk_mul_f32 v[12:13], v[12:13], s[4:5]
	v_pk_fma_f32 v[18:19], v[8:9], s[4:5], v[10:11] neg_lo:[0,0,1] neg_hi:[0,0,1]
	v_pk_fma_f32 v[10:11], v[8:9], s[8:9], v[12:13]
	v_mov_b32_e32 v8, v18
	v_mov_b32_e32 v9, v10
	;; [unrolled: 1-line block ×3, first 2 shown]
	ds_write_b128 v6, v[8:11]
	v_add_u32_e32 v6, 16, v6
	s_cbranch_scc1 .LBB139_24
; %bb.25:                               ;   in Loop: Header=BB139_22 Depth=2
	s_and_b64 vcc, exec, s[22:23]
	s_cbranch_vccnz .LBB139_27
	s_branch .LBB139_29
.LBB139_26:                             ;   in Loop: Header=BB139_22 Depth=2
	s_mov_b32 s38, 0
	s_cbranch_execz .LBB139_29
.LBB139_27:                             ;   in Loop: Header=BB139_22 Depth=2
	s_sub_i32 s14, s29, s38
	s_add_u32 s22, s27, s38
	s_addc_u32 s23, s31, 0
	v_lshl_add_u64 v[6:7], s[22:23], 3, v[4:5]
	v_lshl_add_u32 v8, s38, 3, v16
.LBB139_28:                             ;   Parent Loop BB139_19 Depth=1
                                        ;     Parent Loop BB139_22 Depth=2
                                        ; =>    This Inner Loop Header: Depth=3
	flat_load_dwordx2 v[10:11], v[6:7]
	s_add_i32 s14, s14, -1
	v_lshl_add_u64 v[6:7], v[6:7], 0, 8
	s_cmp_eq_u32 s14, 0
	s_waitcnt vmcnt(0) lgkmcnt(0)
	v_pk_mul_f32 v[12:13], v[10:11], s[10:11] op_sel:[1,0]
	s_nop 0
	v_pk_fma_f32 v[18:19], v[10:11], s[6:7], v[12:13] neg_lo:[0,0,1] neg_hi:[0,0,1]
	v_pk_fma_f32 v[10:11], v[10:11], s[6:7], v[12:13] op_sel_hi:[0,1,1]
	v_mov_b32_e32 v19, v11
	ds_write_b64 v8, v[18:19]
	v_add_u32_e32 v8, 8, v8
	s_cbranch_scc0 .LBB139_28
.LBB139_29:                             ;   in Loop: Header=BB139_22 Depth=2
	s_cmp_lt_i32 s27, 1
	s_cbranch_scc1 .LBB139_41
; %bb.30:                               ;   in Loop: Header=BB139_22 Depth=2
	s_mov_b32 s38, 0
	s_mov_b32 s36, s27
	;; [unrolled: 1-line block ×4, first 2 shown]
	s_branch .LBB139_32
.LBB139_31:                             ;   in Loop: Header=BB139_32 Depth=3
	s_add_i32 s14, s14, 1
	s_add_i32 s38, s38, 8
	s_cmp_eq_u32 s14, s27
	s_cbranch_scc1 .LBB139_41
.LBB139_32:                             ;   Parent Loop BB139_19 Depth=1
                                        ;     Parent Loop BB139_22 Depth=2
                                        ; =>    This Loop Header: Depth=3
                                        ;         Child Loop BB139_34 Depth 4
                                        ;         Child Loop BB139_40 Depth 4
	v_lshl_add_u64 v[6:7], s[14:15], 3, v[0:1]
	flat_load_dwordx2 v[6:7], v[6:7]
	s_and_b64 vcc, exec, s[18:19]
	s_cbranch_vccz .LBB139_36
; %bb.33:                               ;   in Loop: Header=BB139_32 Depth=3
	s_lshl_b32 s22, s14, 3
	s_waitcnt vmcnt(0) lgkmcnt(0)
	v_mov_b32_e32 v10, v6
	v_mov_b32_e32 v11, v6
	;; [unrolled: 1-line block ×5, first 2 shown]
	s_mov_b32 s23, 1
	s_mov_b32 s24, 0
	;; [unrolled: 1-line block ×3, first 2 shown]
	v_mov_b32_e32 v9, v14
.LBB139_34:                             ;   Parent Loop BB139_19 Depth=1
                                        ;     Parent Loop BB139_22 Depth=2
                                        ;       Parent Loop BB139_32 Depth=3
                                        ; =>      This Inner Loop Header: Depth=4
	s_add_i32 s39, s24, s36
	s_add_i32 s40, s23, s37
	s_lshl_b32 s40, s40, 6
	s_lshl_b32 s39, s39, 6
	s_add_i32 s39, s22, s39
	s_add_i32 s40, s22, s40
	v_mov_b32_e32 v17, s39
	v_mov_b32_e32 v22, s40
	ds_read_b128 v[18:21], v9
	ds_read_b64 v[26:27], v17
	ds_read_b64 v[22:23], v22
	s_add_i32 s24, s24, 2
	s_add_i32 s23, s23, 2
	s_add_i32 s25, s25, -2
	s_waitcnt lgkmcnt(2)
	v_mov_b32_e32 v25, v20
	v_mov_b32_e32 v20, v19
	s_waitcnt lgkmcnt(0)
	v_mov_b32_e32 v19, v22
	v_mov_b32_e32 v22, v27
	;; [unrolled: 1-line block ×4, first 2 shown]
	v_pk_mul_f32 v[26:27], v[22:23], v[12:13]
	v_pk_mul_f32 v[22:23], v[22:23], v[10:11]
	v_pk_fma_f32 v[26:27], v[18:19], v[10:11], v[26:27] neg_lo:[0,0,1] neg_hi:[0,0,1]
	v_pk_fma_f32 v[18:19], v[18:19], v[12:13], v[22:23]
	v_pk_add_f32 v[22:23], v[24:25], v[26:27] neg_lo:[0,1] neg_hi:[0,1]
	v_pk_add_f32 v[20:21], v[20:21], v[18:19] neg_lo:[0,1] neg_hi:[0,1]
	v_mov_b32_e32 v18, v22
	v_mov_b32_e32 v19, v20
	;; [unrolled: 1-line block ×3, first 2 shown]
	s_cmp_lg_u32 s25, 0
	ds_write_b128 v9, v[18:21]
	v_add_u32_e32 v9, 16, v9
	s_cbranch_scc1 .LBB139_34
; %bb.35:                               ;   in Loop: Header=BB139_32 Depth=3
	s_mov_b64 s[22:23], s[20:21]
	s_mov_b32 s24, s30
	s_branch .LBB139_38
.LBB139_36:                             ;   in Loop: Header=BB139_32 Depth=3
	s_waitcnt vmcnt(0) lgkmcnt(0)
	v_mov_b32_e32 v8, v7
	s_mov_b64 s[22:23], 0
	s_mov_b32 s24, s30
	s_cbranch_execz .LBB139_38
; %bb.37:                               ;   in Loop: Header=BB139_32 Depth=3
	s_mov_b64 s[22:23], -1
	s_mov_b32 s24, 0
.LBB139_38:                             ;   in Loop: Header=BB139_32 Depth=3
	s_andn2_b64 vcc, exec, s[22:23]
	s_cbranch_vccnz .LBB139_31
; %bb.39:                               ;   in Loop: Header=BB139_32 Depth=3
	s_add_i32 s23, s27, s24
	s_lshl_b32 s23, s23, 6
	v_mov_b32_e32 v9, v7
	v_mov_b32_e32 v7, v6
	s_sub_i32 s22, s29, s24
	s_add_i32 s23, s38, s23
	v_lshl_add_u32 v10, s24, 3, v16
.LBB139_40:                             ;   Parent Loop BB139_19 Depth=1
                                        ;     Parent Loop BB139_22 Depth=2
                                        ;       Parent Loop BB139_32 Depth=3
                                        ; =>      This Inner Loop Header: Depth=4
	v_mov_b32_e32 v11, s23
	ds_read_b64 v[18:19], v11
	ds_read_b64 v[12:13], v10
	s_add_i32 s22, s22, -1
	s_add_i32 s23, s23, 64
	s_cmp_eq_u32 s22, 0
	s_waitcnt lgkmcnt(1)
	v_pk_mul_f32 v[20:21], v[18:19], v[8:9] op_sel:[1,0] op_sel_hi:[0,1]
	v_pk_fma_f32 v[22:23], v[18:19], v[6:7], v[20:21] neg_lo:[0,0,1] neg_hi:[0,0,1]
	v_pk_fma_f32 v[18:19], v[18:19], v[6:7], v[20:21]
	s_nop 0
	v_mov_b32_e32 v23, v19
	s_waitcnt lgkmcnt(0)
	v_pk_add_f32 v[12:13], v[12:13], v[22:23] neg_lo:[0,1] neg_hi:[0,1]
	ds_write_b64 v10, v[12:13]
	v_add_u32_e32 v10, 8, v10
	s_cbranch_scc0 .LBB139_40
	s_branch .LBB139_31
.LBB139_41:                             ;   in Loop: Header=BB139_22 Depth=2
	s_mov_b32 s14, 0
	s_mov_b32 s36, s34
	s_branch .LBB139_43
.LBB139_42:                             ;   in Loop: Header=BB139_43 Depth=3
	s_mul_i32 s23, s22, 0x48
	v_mov_b32_e32 v7, s23
	ds_read_b64 v[10:11], v7
	s_ashr_i32 s23, s22, 31
	s_add_i32 s14, s14, 1
	s_add_i32 s36, s36, 64
	v_lshl_add_u64 v[12:13], s[22:23], 3, v[0:1]
	s_waitcnt lgkmcnt(0)
	v_pk_mul_f32 v[18:19], v[10:11], v[8:9] op_sel:[1,0] op_sel_hi:[0,0]
	v_pk_fma_f32 v[20:21], v[10:11], v[6:7], v[18:19] neg_lo:[0,0,1] neg_hi:[0,0,1]
	v_pk_fma_f32 v[6:7], v[10:11], v[6:7], v[18:19] op_sel_hi:[1,0,1]
	s_cmp_eq_u32 s14, s29
	v_mov_b32_e32 v21, v7
	ds_write_b64 v9, v[20:21]
	flat_store_dwordx2 v[12:13], v[20:21]
	s_cbranch_scc1 .LBB139_21
.LBB139_43:                             ;   Parent Loop BB139_19 Depth=1
                                        ;     Parent Loop BB139_22 Depth=2
                                        ; =>    This Loop Header: Depth=3
                                        ;         Child Loop BB139_45 Depth 4
	s_cmp_lg_u32 s14, 0
	v_lshl_add_u32 v9, s14, 3, v14
	s_cbranch_scc0 .LBB139_47
; %bb.44:                               ;   in Loop: Header=BB139_43 Depth=3
	ds_read_b64 v[6:7], v9
	s_mov_b32 s22, s36
	v_mov_b32_e32 v8, v14
	s_mov_b32 s23, s14
.LBB139_45:                             ;   Parent Loop BB139_19 Depth=1
                                        ;     Parent Loop BB139_22 Depth=2
                                        ;       Parent Loop BB139_43 Depth=3
                                        ; =>      This Inner Loop Header: Depth=4
	v_mov_b32_e32 v12, s22
	ds_read_b64 v[10:11], v8
	ds_read_b64 v[12:13], v12
	s_add_i32 s23, s23, -1
	s_add_i32 s22, s22, 8
	v_add_u32_e32 v8, 8, v8
	s_cmp_eq_u32 s23, 0
	s_waitcnt lgkmcnt(0)
	v_pk_mul_f32 v[18:19], v[12:13], v[10:11] op_sel:[1,1] op_sel_hi:[0,1]
	v_pk_fma_f32 v[20:21], v[12:13], v[10:11], v[18:19] neg_lo:[0,0,1] neg_hi:[0,0,1]
	v_pk_fma_f32 v[10:11], v[12:13], v[10:11], v[18:19] op_sel_hi:[1,0,1]
	s_nop 0
	v_mov_b32_e32 v21, v11
	v_pk_add_f32 v[6:7], v[6:7], v[20:21] neg_lo:[0,1] neg_hi:[0,1]
	ds_write_b64 v9, v[6:7]
	s_cbranch_scc0 .LBB139_45
; %bb.46:                               ;   in Loop: Header=BB139_43 Depth=3
	s_add_i32 s22, s14, s27
	v_mov_b32_e32 v8, v7
	s_branch .LBB139_42
.LBB139_47:                             ;   in Loop: Header=BB139_43 Depth=3
                                        ; implicit-def: $vgpr6
                                        ; implicit-def: $vgpr8
                                        ; implicit-def: $sgpr22
	s_cbranch_execz .LBB139_42
; %bb.48:                               ;   in Loop: Header=BB139_43 Depth=3
	ds_read_b64 v[6:7], v14
	s_mov_b32 s22, s27
	s_waitcnt lgkmcnt(0)
	v_mov_b32_e32 v8, v7
	s_branch .LBB139_42
.LBB139_49:
	s_mov_b64 s[0:1], 0
.LBB139_50:
	s_and_b64 vcc, exec, s[0:1]
	s_cbranch_vccz .LBB139_83
; %bb.51:
	s_add_i32 s27, s26, -1
	s_add_u32 s0, s12, s2
	s_addc_u32 s1, s13, s3
	v_lshl_add_u64 v[2:3], v[2:3], 3, s[0:1]
	v_mov_b32_e32 v4, 0x200
	s_lshl_b32 s0, s26, 6
	s_mov_b32 s3, 0
	s_mov_b32 s4, s6
	;; [unrolled: 1-line block ×7, first 2 shown]
	v_lshl_add_u32 v12, v15, 6, v4
	s_sub_i32 s26, s0, 64
	s_mov_b32 s12, s27
	s_mov_b32 s14, s3
	s_branch .LBB139_53
.LBB139_52:                             ;   in Loop: Header=BB139_53 Depth=1
	s_cmp_lt_i32 s12, 0
	s_cselect_b64 s[0:1], -1, 0
	s_add_i32 s14, s14, 1
	s_cmp_eq_u32 s14, 3
	s_cselect_b64 s[16:17], -1, 0
	s_or_b64 s[0:1], s[0:1], s[16:17]
	s_and_b64 vcc, exec, s[0:1]
	s_cbranch_vccnz .LBB139_83
.LBB139_53:                             ; =>This Loop Header: Depth=1
                                        ;     Child Loop BB139_56 Depth 2
                                        ;       Child Loop BB139_58 Depth 3
                                        ;       Child Loop BB139_62 Depth 3
	;; [unrolled: 1-line block ×3, first 2 shown]
                                        ;         Child Loop BB139_68 Depth 4
                                        ;         Child Loop BB139_74 Depth 4
                                        ;       Child Loop BB139_77 Depth 3
                                        ;         Child Loop BB139_79 Depth 4
	s_mov_b32 s15, s3
	s_lshl_b64 s[0:1], s[14:15], 2
	s_getpc_b64 s[16:17]
	s_add_u32 s16, s16, __const._ZL30rocblas_trsm_small_left_deviceILi8ELi8ELb0E19rocblas_complex_numIfES1_PKPKS1_PKPS1_Ev13rocblas_fill_18rocblas_operation_17rocblas_diagonal_iiT3_T4_lilT5_lili.step_sizes@rel32@lo+4
	s_addc_u32 s17, s17, __const._ZL30rocblas_trsm_small_left_deviceILi8ELi8ELb0E19rocblas_complex_numIfES1_PKPKS1_PKPS1_Ev13rocblas_fill_18rocblas_operation_17rocblas_diagonal_iiT3_T4_lilT5_lili.step_sizes@rel32@hi+12
	s_add_u32 s0, s16, s0
	s_addc_u32 s1, s17, s1
	s_load_dword s15, s[0:1], 0x0
	s_waitcnt lgkmcnt(0)
	s_add_i32 s28, s15, -1
	s_cmp_lt_i32 s12, s28
	s_cbranch_scc1 .LBB139_52
; %bb.54:                               ;   in Loop: Header=BB139_53 Depth=1
	s_max_i32 s29, s15, 1
	s_cmp_lg_u32 s14, 2
	s_cselect_b64 s[16:17], -1, 0
	s_and_b32 s30, s29, 0x7ffffffe
	s_cmp_lg_u32 s29, s30
	s_cselect_b64 s[18:19], -1, 0
	s_lshl_b32 s0, s12, 3
	s_add_i32 s31, s26, s0
	s_lshl_b32 s0, s15, 3
	v_cndmask_b32_e64 v4, 0, 1, s[16:17]
	s_sub_i32 s33, 0, s0
	s_mul_i32 s34, s12, 0x48
	s_mul_i32 s35, s15, 0xffffffb8
	v_cmp_ne_u32_e64 s[0:1], 1, v4
	s_branch .LBB139_56
.LBB139_55:                             ;   in Loop: Header=BB139_56 Depth=2
	s_sub_i32 s12, s12, s15
	s_add_i32 s31, s31, s33
	s_add_i32 s34, s34, s35
	s_cmp_lt_i32 s12, s28
	s_cbranch_scc1 .LBB139_52
.LBB139_56:                             ;   Parent Loop BB139_53 Depth=1
                                        ; =>  This Loop Header: Depth=2
                                        ;       Child Loop BB139_58 Depth 3
                                        ;       Child Loop BB139_62 Depth 3
	;; [unrolled: 1-line block ×3, first 2 shown]
                                        ;         Child Loop BB139_68 Depth 4
                                        ;         Child Loop BB139_74 Depth 4
                                        ;       Child Loop BB139_77 Depth 3
                                        ;         Child Loop BB139_79 Depth 4
	s_and_b64 vcc, exec, s[0:1]
	s_cbranch_vccnz .LBB139_60
; %bb.57:                               ;   in Loop: Header=BB139_56 Depth=2
	s_mov_b32 s13, s12
	s_mov_b32 s22, 1
	;; [unrolled: 1-line block ×4, first 2 shown]
	v_mov_b32_e32 v4, v14
.LBB139_58:                             ;   Parent Loop BB139_53 Depth=1
                                        ;     Parent Loop BB139_56 Depth=2
                                        ; =>    This Inner Loop Header: Depth=3
	s_sub_i32 s20, s12, s23
	s_sub_i32 s36, s13, s22
	s_ashr_i32 s21, s20, 31
	s_ashr_i32 s37, s36, 31
	v_lshl_add_u64 v[6:7], s[20:21], 3, v[0:1]
	v_lshl_add_u64 v[8:9], s[36:37], 3, v[0:1]
	flat_load_dwordx2 v[16:17], v[6:7]
	flat_load_dwordx2 v[10:11], v[8:9]
	s_add_i32 s23, s23, 2
	s_add_i32 s22, s22, 2
	s_add_i32 s24, s24, -2
	s_mov_b32 s2, s30
	s_mov_b64 s[20:21], s[18:19]
	s_cmp_lg_u32 s24, 0
	s_waitcnt vmcnt(0) lgkmcnt(0)
	v_mov_b32_e32 v6, v16
	v_mov_b32_e32 v7, v10
	v_mov_b32_e32 v10, v17
	v_pk_mul_f32 v[8:9], v[10:11], s[8:9]
	v_pk_mul_f32 v[10:11], v[10:11], s[4:5]
	v_pk_fma_f32 v[16:17], v[6:7], s[4:5], v[8:9] neg_lo:[0,0,1] neg_hi:[0,0,1]
	v_pk_fma_f32 v[8:9], v[6:7], s[8:9], v[10:11]
	v_mov_b32_e32 v6, v16
	v_mov_b32_e32 v7, v8
	;; [unrolled: 1-line block ×3, first 2 shown]
	ds_write_b128 v4, v[6:9]
	v_add_u32_e32 v4, 16, v4
	s_cbranch_scc1 .LBB139_58
; %bb.59:                               ;   in Loop: Header=BB139_56 Depth=2
	s_ashr_i32 s13, s12, 31
	s_and_b64 vcc, exec, s[20:21]
	s_cbranch_vccnz .LBB139_61
	s_branch .LBB139_63
.LBB139_60:                             ;   in Loop: Header=BB139_56 Depth=2
	s_mov_b32 s2, 0
	s_ashr_i32 s13, s12, 31
	s_cbranch_execz .LBB139_63
.LBB139_61:                             ;   in Loop: Header=BB139_56 Depth=2
	s_lshl_b64 s[22:23], s[12:13], 3
	s_sub_i32 s20, s29, s2
	s_lshl_b64 s[24:25], s[2:3], 3
	s_sub_u32 s22, s22, s24
	s_subb_u32 s23, s23, s25
	v_lshl_add_u64 v[4:5], v[2:3], 0, s[22:23]
	v_lshl_add_u32 v6, s2, 3, v12
.LBB139_62:                             ;   Parent Loop BB139_53 Depth=1
                                        ;     Parent Loop BB139_56 Depth=2
                                        ; =>    This Inner Loop Header: Depth=3
	flat_load_dwordx2 v[8:9], v[4:5]
	s_add_i32 s20, s20, -1
	v_lshl_add_u64 v[4:5], v[4:5], 0, -8
	s_cmp_eq_u32 s20, 0
	s_waitcnt vmcnt(0) lgkmcnt(0)
	v_pk_mul_f32 v[10:11], v[8:9], s[10:11] op_sel:[1,0]
	s_nop 0
	v_pk_fma_f32 v[16:17], v[8:9], s[6:7], v[10:11] neg_lo:[0,0,1] neg_hi:[0,0,1]
	v_pk_fma_f32 v[8:9], v[8:9], s[6:7], v[10:11] op_sel_hi:[0,1,1]
	v_mov_b32_e32 v17, v9
	ds_write_b64 v6, v[16:17]
	v_add_u32_e32 v6, 8, v6
	s_cbranch_scc0 .LBB139_62
.LBB139_63:                             ;   in Loop: Header=BB139_56 Depth=2
	s_cmp_le_i32 s27, s12
	s_cbranch_scc1 .LBB139_75
; %bb.64:                               ;   in Loop: Header=BB139_56 Depth=2
	s_mov_b32 s2, s12
	s_mov_b32 s36, s12
	;; [unrolled: 1-line block ×4, first 2 shown]
	s_branch .LBB139_66
.LBB139_65:                             ;   in Loop: Header=BB139_66 Depth=3
	s_add_i32 s20, s20, -1
	s_sub_i32 s37, s37, 64
	s_cmp_le_i32 s20, s12
	s_cbranch_scc1 .LBB139_75
.LBB139_66:                             ;   Parent Loop BB139_53 Depth=1
                                        ;     Parent Loop BB139_56 Depth=2
                                        ; =>    This Loop Header: Depth=3
                                        ;         Child Loop BB139_68 Depth 4
                                        ;         Child Loop BB139_74 Depth 4
	s_ashr_i32 s21, s20, 31
	v_lshl_add_u64 v[4:5], s[20:21], 3, v[0:1]
	flat_load_dwordx2 v[4:5], v[4:5]
	s_and_b64 vcc, exec, s[16:17]
	s_cbranch_vccz .LBB139_70
; %bb.67:                               ;   in Loop: Header=BB139_66 Depth=3
	s_lshl_b32 s21, s20, 6
	s_waitcnt vmcnt(0) lgkmcnt(0)
	v_mov_b32_e32 v8, v4
	v_mov_b32_e32 v9, v4
	;; [unrolled: 1-line block ×5, first 2 shown]
	s_mov_b32 s22, 1
	s_mov_b32 s23, 0
	;; [unrolled: 1-line block ×3, first 2 shown]
	v_mov_b32_e32 v7, v14
.LBB139_68:                             ;   Parent Loop BB139_53 Depth=1
                                        ;     Parent Loop BB139_56 Depth=2
                                        ;       Parent Loop BB139_66 Depth=3
                                        ; =>      This Inner Loop Header: Depth=4
	s_sub_i32 s38, s2, s23
	s_sub_i32 s25, s36, s22
	s_lshl_b32 s38, s38, 3
	s_lshl_b32 s25, s25, 3
	s_add_i32 s38, s21, s38
	s_add_i32 s25, s21, s25
	v_mov_b32_e32 v13, s38
	ds_read_b128 v[16:19], v7
	v_mov_b32_e32 v15, s25
	ds_read_b64 v[24:25], v13
	ds_read_b64 v[20:21], v15
	s_add_i32 s23, s23, 2
	s_add_i32 s22, s22, 2
	s_waitcnt lgkmcnt(2)
	v_mov_b32_e32 v23, v18
	v_mov_b32_e32 v18, v17
	s_waitcnt lgkmcnt(0)
	v_mov_b32_e32 v17, v20
	v_mov_b32_e32 v20, v25
	v_mov_b32_e32 v22, v16
	v_mov_b32_e32 v16, v24
	v_pk_mul_f32 v[24:25], v[20:21], v[10:11]
	v_pk_mul_f32 v[20:21], v[20:21], v[8:9]
	v_pk_fma_f32 v[24:25], v[16:17], v[8:9], v[24:25] neg_lo:[0,0,1] neg_hi:[0,0,1]
	v_pk_fma_f32 v[16:17], v[16:17], v[10:11], v[20:21]
	v_pk_add_f32 v[20:21], v[22:23], v[24:25] neg_lo:[0,1] neg_hi:[0,1]
	v_pk_add_f32 v[18:19], v[18:19], v[16:17] neg_lo:[0,1] neg_hi:[0,1]
	s_add_i32 s24, s24, -2
	v_mov_b32_e32 v16, v20
	v_mov_b32_e32 v17, v18
	;; [unrolled: 1-line block ×3, first 2 shown]
	s_cmp_lg_u32 s24, 0
	ds_write_b128 v7, v[16:19]
	v_add_u32_e32 v7, 16, v7
	s_cbranch_scc1 .LBB139_68
; %bb.69:                               ;   in Loop: Header=BB139_66 Depth=3
	s_mov_b64 s[22:23], s[18:19]
	s_mov_b32 s24, s30
	s_branch .LBB139_72
.LBB139_70:                             ;   in Loop: Header=BB139_66 Depth=3
	s_waitcnt vmcnt(0) lgkmcnt(0)
	v_mov_b32_e32 v6, v5
	s_mov_b64 s[22:23], 0
	s_mov_b32 s24, s30
	s_cbranch_execz .LBB139_72
; %bb.71:                               ;   in Loop: Header=BB139_66 Depth=3
	s_mov_b64 s[22:23], -1
	s_mov_b32 s24, 0
.LBB139_72:                             ;   in Loop: Header=BB139_66 Depth=3
	s_andn2_b64 vcc, exec, s[22:23]
	s_cbranch_vccnz .LBB139_65
; %bb.73:                               ;   in Loop: Header=BB139_66 Depth=3
	s_lshl_b32 s23, s24, 3
	v_mov_b32_e32 v7, v5
	v_mov_b32_e32 v5, v4
	s_sub_i32 s21, s29, s24
	s_sub_i32 s22, s37, s23
	v_add_u32_e32 v8, s23, v12
.LBB139_74:                             ;   Parent Loop BB139_53 Depth=1
                                        ;     Parent Loop BB139_56 Depth=2
                                        ;       Parent Loop BB139_66 Depth=3
                                        ; =>      This Inner Loop Header: Depth=4
	v_mov_b32_e32 v9, s22
	ds_read_b64 v[16:17], v9
	ds_read_b64 v[10:11], v8
	s_add_i32 s21, s21, -1
	s_add_i32 s22, s22, -8
	s_cmp_eq_u32 s21, 0
	s_waitcnt lgkmcnt(1)
	v_pk_mul_f32 v[18:19], v[16:17], v[6:7] op_sel:[1,0] op_sel_hi:[0,1]
	v_pk_fma_f32 v[20:21], v[16:17], v[4:5], v[18:19] neg_lo:[0,0,1] neg_hi:[0,0,1]
	v_pk_fma_f32 v[16:17], v[16:17], v[4:5], v[18:19]
	s_nop 0
	v_mov_b32_e32 v21, v17
	s_waitcnt lgkmcnt(0)
	v_pk_add_f32 v[10:11], v[10:11], v[20:21] neg_lo:[0,1] neg_hi:[0,1]
	ds_write_b64 v8, v[10:11]
	v_add_u32_e32 v8, 8, v8
	s_cbranch_scc0 .LBB139_74
	s_branch .LBB139_65
.LBB139_75:                             ;   in Loop: Header=BB139_56 Depth=2
	s_mov_b32 s2, 0
	s_mov_b32 s36, s34
	s_branch .LBB139_77
.LBB139_76:                             ;   in Loop: Header=BB139_77 Depth=3
	s_mulk_i32 s22, 0x48
	v_mov_b32_e32 v5, s22
	ds_read_b64 v[8:9], v5
	s_add_i32 s2, s2, 1
	s_add_i32 s36, s36, -8
	v_lshl_add_u64 v[10:11], s[20:21], 3, v[0:1]
	s_cmp_eq_u32 s2, s29
	s_waitcnt lgkmcnt(0)
	v_pk_mul_f32 v[16:17], v[8:9], v[6:7] op_sel:[1,0] op_sel_hi:[0,0]
	v_pk_fma_f32 v[18:19], v[8:9], v[4:5], v[16:17] neg_lo:[0,0,1] neg_hi:[0,0,1]
	v_pk_fma_f32 v[4:5], v[8:9], v[4:5], v[16:17] op_sel_hi:[1,0,1]
	s_nop 0
	v_mov_b32_e32 v19, v5
	ds_write_b64 v7, v[18:19]
	flat_store_dwordx2 v[10:11], v[18:19]
	s_cbranch_scc1 .LBB139_55
.LBB139_77:                             ;   Parent Loop BB139_53 Depth=1
                                        ;     Parent Loop BB139_56 Depth=2
                                        ; =>    This Loop Header: Depth=3
                                        ;         Child Loop BB139_79 Depth 4
	s_cmp_lg_u32 s2, 0
	v_lshl_add_u32 v7, s2, 3, v14
	s_cbranch_scc0 .LBB139_81
; %bb.78:                               ;   in Loop: Header=BB139_77 Depth=3
	ds_read_b64 v[4:5], v7
	v_mov_b32_e32 v6, v14
	s_mov_b32 s20, s36
	s_mov_b32 s21, s2
.LBB139_79:                             ;   Parent Loop BB139_53 Depth=1
                                        ;     Parent Loop BB139_56 Depth=2
                                        ;       Parent Loop BB139_77 Depth=3
                                        ; =>      This Inner Loop Header: Depth=4
	v_mov_b32_e32 v10, s20
	ds_read_b64 v[8:9], v6
	ds_read_b64 v[10:11], v10
	s_add_i32 s21, s21, -1
	s_sub_i32 s20, s20, 64
	v_add_u32_e32 v6, 8, v6
	s_cmp_eq_u32 s21, 0
	s_waitcnt lgkmcnt(0)
	v_pk_mul_f32 v[16:17], v[10:11], v[8:9] op_sel:[1,1] op_sel_hi:[0,1]
	v_pk_fma_f32 v[18:19], v[10:11], v[8:9], v[16:17] neg_lo:[0,0,1] neg_hi:[0,0,1]
	v_pk_fma_f32 v[8:9], v[10:11], v[8:9], v[16:17] op_sel_hi:[1,0,1]
	s_nop 0
	v_mov_b32_e32 v19, v9
	v_pk_add_f32 v[4:5], v[4:5], v[18:19] neg_lo:[0,1] neg_hi:[0,1]
	ds_write_b64 v7, v[4:5]
	s_cbranch_scc0 .LBB139_79
; %bb.80:                               ;   in Loop: Header=BB139_77 Depth=3
	s_sub_i32 s22, s12, s2
	s_ashr_i32 s23, s22, 31
	v_mov_b32_e32 v6, v5
	s_mov_b64 s[20:21], s[22:23]
	s_branch .LBB139_76
.LBB139_81:                             ;   in Loop: Header=BB139_77 Depth=3
                                        ; implicit-def: $vgpr4
                                        ; implicit-def: $vgpr6
                                        ; implicit-def: $sgpr22
                                        ; implicit-def: $sgpr20_sgpr21
	s_cbranch_execz .LBB139_76
; %bb.82:                               ;   in Loop: Header=BB139_77 Depth=3
	ds_read_b64 v[4:5], v14
	s_mov_b64 s[20:21], s[12:13]
	s_mov_b32 s22, s12
	s_waitcnt lgkmcnt(0)
	v_mov_b32_e32 v6, v5
	s_branch .LBB139_76
.LBB139_83:
	s_endpgm
	.section	.rodata,"a",@progbits
	.p2align	6, 0x0
	.amdhsa_kernel _ZL30rocblas_trsm_small_left_deviceILi8ELi8ELb0E19rocblas_complex_numIfES1_PKPKS1_PKPS1_Ev13rocblas_fill_18rocblas_operation_17rocblas_diagonal_iiT3_T4_lilT5_lili
		.amdhsa_group_segment_fixed_size 1024
		.amdhsa_private_segment_fixed_size 0
		.amdhsa_kernarg_size 360
		.amdhsa_user_sgpr_count 4
		.amdhsa_user_sgpr_dispatch_ptr 1
		.amdhsa_user_sgpr_queue_ptr 0
		.amdhsa_user_sgpr_kernarg_segment_ptr 1
		.amdhsa_user_sgpr_dispatch_id 0
		.amdhsa_user_sgpr_kernarg_preload_length 0
		.amdhsa_user_sgpr_kernarg_preload_offset 0
		.amdhsa_user_sgpr_private_segment_size 0
		.amdhsa_uses_dynamic_stack 0
		.amdhsa_enable_private_segment 0
		.amdhsa_system_sgpr_workgroup_id_x 1
		.amdhsa_system_sgpr_workgroup_id_y 0
		.amdhsa_system_sgpr_workgroup_id_z 1
		.amdhsa_system_sgpr_workgroup_info 0
		.amdhsa_system_vgpr_workitem_id 2
		.amdhsa_next_free_vgpr 28
		.amdhsa_next_free_sgpr 41
		.amdhsa_accum_offset 28
		.amdhsa_reserve_vcc 1
		.amdhsa_float_round_mode_32 0
		.amdhsa_float_round_mode_16_64 0
		.amdhsa_float_denorm_mode_32 3
		.amdhsa_float_denorm_mode_16_64 3
		.amdhsa_dx10_clamp 1
		.amdhsa_ieee_mode 1
		.amdhsa_fp16_overflow 0
		.amdhsa_tg_split 0
		.amdhsa_exception_fp_ieee_invalid_op 0
		.amdhsa_exception_fp_denorm_src 0
		.amdhsa_exception_fp_ieee_div_zero 0
		.amdhsa_exception_fp_ieee_overflow 0
		.amdhsa_exception_fp_ieee_underflow 0
		.amdhsa_exception_fp_ieee_inexact 0
		.amdhsa_exception_int_div_zero 0
	.end_amdhsa_kernel
	.section	.text._ZL30rocblas_trsm_small_left_deviceILi8ELi8ELb0E19rocblas_complex_numIfES1_PKPKS1_PKPS1_Ev13rocblas_fill_18rocblas_operation_17rocblas_diagonal_iiT3_T4_lilT5_lili,"axG",@progbits,_ZL30rocblas_trsm_small_left_deviceILi8ELi8ELb0E19rocblas_complex_numIfES1_PKPKS1_PKPS1_Ev13rocblas_fill_18rocblas_operation_17rocblas_diagonal_iiT3_T4_lilT5_lili,comdat
.Lfunc_end139:
	.size	_ZL30rocblas_trsm_small_left_deviceILi8ELi8ELb0E19rocblas_complex_numIfES1_PKPKS1_PKPS1_Ev13rocblas_fill_18rocblas_operation_17rocblas_diagonal_iiT3_T4_lilT5_lili, .Lfunc_end139-_ZL30rocblas_trsm_small_left_deviceILi8ELi8ELb0E19rocblas_complex_numIfES1_PKPKS1_PKPS1_Ev13rocblas_fill_18rocblas_operation_17rocblas_diagonal_iiT3_T4_lilT5_lili
                                        ; -- End function
	.set _ZL30rocblas_trsm_small_left_deviceILi8ELi8ELb0E19rocblas_complex_numIfES1_PKPKS1_PKPS1_Ev13rocblas_fill_18rocblas_operation_17rocblas_diagonal_iiT3_T4_lilT5_lili.num_vgpr, 28
	.set _ZL30rocblas_trsm_small_left_deviceILi8ELi8ELb0E19rocblas_complex_numIfES1_PKPKS1_PKPS1_Ev13rocblas_fill_18rocblas_operation_17rocblas_diagonal_iiT3_T4_lilT5_lili.num_agpr, 0
	.set _ZL30rocblas_trsm_small_left_deviceILi8ELi8ELb0E19rocblas_complex_numIfES1_PKPKS1_PKPS1_Ev13rocblas_fill_18rocblas_operation_17rocblas_diagonal_iiT3_T4_lilT5_lili.numbered_sgpr, 41
	.set _ZL30rocblas_trsm_small_left_deviceILi8ELi8ELb0E19rocblas_complex_numIfES1_PKPKS1_PKPS1_Ev13rocblas_fill_18rocblas_operation_17rocblas_diagonal_iiT3_T4_lilT5_lili.num_named_barrier, 0
	.set _ZL30rocblas_trsm_small_left_deviceILi8ELi8ELb0E19rocblas_complex_numIfES1_PKPKS1_PKPS1_Ev13rocblas_fill_18rocblas_operation_17rocblas_diagonal_iiT3_T4_lilT5_lili.private_seg_size, 0
	.set _ZL30rocblas_trsm_small_left_deviceILi8ELi8ELb0E19rocblas_complex_numIfES1_PKPKS1_PKPS1_Ev13rocblas_fill_18rocblas_operation_17rocblas_diagonal_iiT3_T4_lilT5_lili.uses_vcc, 1
	.set _ZL30rocblas_trsm_small_left_deviceILi8ELi8ELb0E19rocblas_complex_numIfES1_PKPKS1_PKPS1_Ev13rocblas_fill_18rocblas_operation_17rocblas_diagonal_iiT3_T4_lilT5_lili.uses_flat_scratch, 0
	.set _ZL30rocblas_trsm_small_left_deviceILi8ELi8ELb0E19rocblas_complex_numIfES1_PKPKS1_PKPS1_Ev13rocblas_fill_18rocblas_operation_17rocblas_diagonal_iiT3_T4_lilT5_lili.has_dyn_sized_stack, 0
	.set _ZL30rocblas_trsm_small_left_deviceILi8ELi8ELb0E19rocblas_complex_numIfES1_PKPKS1_PKPS1_Ev13rocblas_fill_18rocblas_operation_17rocblas_diagonal_iiT3_T4_lilT5_lili.has_recursion, 0
	.set _ZL30rocblas_trsm_small_left_deviceILi8ELi8ELb0E19rocblas_complex_numIfES1_PKPKS1_PKPS1_Ev13rocblas_fill_18rocblas_operation_17rocblas_diagonal_iiT3_T4_lilT5_lili.has_indirect_call, 0
	.section	.AMDGPU.csdata,"",@progbits
; Kernel info:
; codeLenInByte = 3568
; TotalNumSgprs: 47
; NumVgprs: 28
; NumAgprs: 0
; TotalNumVgprs: 28
; ScratchSize: 0
; MemoryBound: 0
; FloatMode: 240
; IeeeMode: 1
; LDSByteSize: 1024 bytes/workgroup (compile time only)
; SGPRBlocks: 5
; VGPRBlocks: 3
; NumSGPRsForWavesPerEU: 47
; NumVGPRsForWavesPerEU: 28
; AccumOffset: 28
; Occupancy: 8
; WaveLimiterHint : 1
; COMPUTE_PGM_RSRC2:SCRATCH_EN: 0
; COMPUTE_PGM_RSRC2:USER_SGPR: 4
; COMPUTE_PGM_RSRC2:TRAP_HANDLER: 0
; COMPUTE_PGM_RSRC2:TGID_X_EN: 1
; COMPUTE_PGM_RSRC2:TGID_Y_EN: 0
; COMPUTE_PGM_RSRC2:TGID_Z_EN: 1
; COMPUTE_PGM_RSRC2:TIDIG_COMP_CNT: 2
; COMPUTE_PGM_RSRC3_GFX90A:ACCUM_OFFSET: 6
; COMPUTE_PGM_RSRC3_GFX90A:TG_SPLIT: 0
	.section	.text._ZL38rocblas_trsm_small_left_device_sharedBILi8ELi8ELb1E19rocblas_complex_numIfES1_PKPKS1_PKPS1_Ev13rocblas_fill_18rocblas_operation_17rocblas_diagonal_iiT3_T4_lilT5_lili,"axG",@progbits,_ZL38rocblas_trsm_small_left_device_sharedBILi8ELi8ELb1E19rocblas_complex_numIfES1_PKPKS1_PKPS1_Ev13rocblas_fill_18rocblas_operation_17rocblas_diagonal_iiT3_T4_lilT5_lili,comdat
	.globl	_ZL38rocblas_trsm_small_left_device_sharedBILi8ELi8ELb1E19rocblas_complex_numIfES1_PKPKS1_PKPS1_Ev13rocblas_fill_18rocblas_operation_17rocblas_diagonal_iiT3_T4_lilT5_lili ; -- Begin function _ZL38rocblas_trsm_small_left_device_sharedBILi8ELi8ELb1E19rocblas_complex_numIfES1_PKPKS1_PKPS1_Ev13rocblas_fill_18rocblas_operation_17rocblas_diagonal_iiT3_T4_lilT5_lili
	.p2align	8
	.type	_ZL38rocblas_trsm_small_left_device_sharedBILi8ELi8ELb1E19rocblas_complex_numIfES1_PKPKS1_PKPS1_Ev13rocblas_fill_18rocblas_operation_17rocblas_diagonal_iiT3_T4_lilT5_lili,@function
_ZL38rocblas_trsm_small_left_device_sharedBILi8ELi8ELb1E19rocblas_complex_numIfES1_PKPKS1_PKPS1_Ev13rocblas_fill_18rocblas_operation_17rocblas_diagonal_iiT3_T4_lilT5_lili: ; @_ZL38rocblas_trsm_small_left_device_sharedBILi8ELi8ELb1E19rocblas_complex_numIfES1_PKPKS1_PKPS1_Ev13rocblas_fill_18rocblas_operation_17rocblas_diagonal_iiT3_T4_lilT5_lili
; %bb.0:
	s_load_dwordx4 s[8:11], s[0:1], 0x40
	s_load_dwordx4 s[4:7], s[0:1], 0x4
	s_load_dwordx2 s[12:13], s[0:1], 0x14
	s_mov_b32 s14, s3
	s_mov_b32 s15, 0
	s_lshl_b64 s[18:19], s[14:15], 3
	s_waitcnt lgkmcnt(0)
	s_add_u32 s8, s8, s18
	s_addc_u32 s9, s9, s19
	s_load_dword s3, s[0:1], 0x68
	s_min_i32 s22, s6, 8
	s_load_dwordx2 s[8:9], s[8:9], 0x0
	v_cmp_gt_i32_e32 vcc, s22, v0
	s_and_saveexec_b64 s[14:15], vcc
	s_cbranch_execz .LBB140_15
; %bb.1:
	s_load_dword s20, s[0:1], 0x30
	s_load_dwordx4 s[24:27], s[0:1], 0x20
	v_lshlrev_b32_e32 v2, 3, v0
	v_mov_b32_e32 v3, 0
	v_mov_b32_e32 v1, v2
	s_waitcnt lgkmcnt(0)
	s_ashr_i32 s21, s20, 31
	s_cmpk_lg_i32 s4, 0x71
	s_cselect_b64 s[16:17], -1, 0
	s_add_u32 s18, s24, s18
	s_addc_u32 s19, s25, s19
	s_load_dwordx2 s[18:19], s[18:19], 0x0
	s_lshl_b64 s[24:25], s[26:27], 3
	s_mov_b32 s23, s22
	s_waitcnt lgkmcnt(0)
	s_add_u32 s24, s18, s24
	s_addc_u32 s25, s19, s25
	s_lshl_b64 s[18:19], s[20:21], 3
	v_lshl_add_u64 v[4:5], s[24:25], 0, v[2:3]
	s_branch .LBB140_3
.LBB140_2:                              ;   in Loop: Header=BB140_3 Depth=1
	flat_load_dword v6, v[4:5]
	s_add_i32 s23, s23, -1
	v_lshl_add_u64 v[4:5], v[4:5], 0, s[18:19]
	s_cmp_eq_u32 s23, 0
	s_waitcnt vmcnt(0) lgkmcnt(0)
	ds_write_b64 v1, v[6:7]
	v_add_u32_e32 v1, 64, v1
	s_cbranch_scc1 .LBB140_7
.LBB140_3:                              ; =>This Inner Loop Header: Depth=1
	s_mov_b64 s[20:21], -1
	s_and_b64 vcc, exec, s[16:17]
                                        ; implicit-def: $vgpr7
	s_cbranch_vccz .LBB140_5
; %bb.4:                                ;   in Loop: Header=BB140_3 Depth=1
	flat_load_dword v7, v[4:5] offset:4
	s_mov_b64 s[20:21], 0
.LBB140_5:                              ;   in Loop: Header=BB140_3 Depth=1
	s_andn2_b64 vcc, exec, s[20:21]
	s_cbranch_vccnz .LBB140_2
; %bb.6:                                ;   in Loop: Header=BB140_3 Depth=1
	flat_load_dword v3, v[4:5] offset:4
	s_waitcnt vmcnt(0) lgkmcnt(0)
	v_xor_b32_e32 v7, 0x80000000, v3
	s_branch .LBB140_2
.LBB140_7:
	v_lshlrev_b32_e32 v1, 6, v0
	s_cmpk_lg_i32 s5, 0x84
	s_mov_b64 s[16:17], -1
	v_add_u32_e32 v1, v2, v1
	s_cbranch_scc0 .LBB140_13
; %bb.8:
	ds_read_b64 v[2:3], v1
                                        ; implicit-def: $vgpr4_vgpr5
	s_waitcnt lgkmcnt(0)
	v_cmp_ngt_f32_e64 s[16:17], |v2|, |v3|
	s_and_saveexec_b64 s[18:19], s[16:17]
	s_xor_b64 s[16:17], exec, s[18:19]
	s_cbranch_execz .LBB140_10
; %bb.9:
	v_div_scale_f32 v4, s[18:19], v3, v3, v2
	v_rcp_f32_e32 v5, v4
	v_div_scale_f32 v6, vcc, v2, v3, v2
	v_fma_f32 v7, -v4, v5, 1.0
	v_fmac_f32_e32 v5, v7, v5
	v_mul_f32_e32 v7, v6, v5
	v_fma_f32 v8, -v4, v7, v6
	v_fmac_f32_e32 v7, v8, v5
	v_fma_f32 v4, -v4, v7, v6
	v_div_fmas_f32 v4, v4, v5, v7
	v_div_fixup_f32 v4, v4, v3, v2
	v_fmac_f32_e32 v3, v2, v4
	v_div_scale_f32 v2, s[18:19], v3, v3, 1.0
	v_rcp_f32_e32 v5, v2
	s_mov_b32 s18, 0
	s_mov_b32 s19, -1.0
	v_fma_f32 v6, -v2, v5, 1.0
	v_fmac_f32_e32 v5, v6, v5
	v_div_scale_f32 v6, vcc, 1.0, v3, 1.0
	v_mul_f32_e32 v7, v6, v5
	v_fma_f32 v8, -v2, v7, v6
	v_fmac_f32_e32 v7, v8, v5
	v_fma_f32 v2, -v2, v7, v6
	v_div_fmas_f32 v2, v2, v5, v7
	v_mul_f32_e32 v5, 0, v4
	v_div_fixup_f32 v2, v2, v3, 1.0
	v_pk_add_f32 v[4:5], v[4:5], s[18:19]
	s_nop 0
	v_pk_mul_f32 v[4:5], v[4:5], v[2:3] op_sel_hi:[1,0]
                                        ; implicit-def: $vgpr2_vgpr3
.LBB140_10:
	s_andn2_saveexec_b64 s[16:17], s[16:17]
	s_cbranch_execz .LBB140_12
; %bb.11:
	v_div_scale_f32 v4, s[18:19], v2, v2, v3
	v_rcp_f32_e32 v5, v4
	v_div_scale_f32 v6, vcc, v3, v2, v3
	v_fma_f32 v7, -v4, v5, 1.0
	v_fmac_f32_e32 v5, v7, v5
	v_mul_f32_e32 v7, v6, v5
	v_fma_f32 v8, -v4, v7, v6
	v_fmac_f32_e32 v7, v8, v5
	v_fma_f32 v4, -v4, v7, v6
	v_div_fmas_f32 v4, v4, v5, v7
	v_div_fixup_f32 v5, v4, v2, v3
	v_fmac_f32_e32 v2, v3, v5
	v_div_scale_f32 v3, s[18:19], v2, v2, 1.0
	v_rcp_f32_e32 v4, v3
	s_nop 0
	v_fma_f32 v6, -v3, v4, 1.0
	v_fmac_f32_e32 v4, v6, v4
	v_div_scale_f32 v6, vcc, 1.0, v2, 1.0
	v_mul_f32_e32 v7, v6, v4
	v_fma_f32 v8, -v3, v7, v6
	v_fmac_f32_e32 v7, v8, v4
	v_fma_f32 v3, -v3, v7, v6
	v_div_fmas_f32 v3, v3, v4, v7
	v_div_fixup_f32 v2, v3, v2, 1.0
	v_mul_f32_e32 v3, 0, v5
	v_add_f32_e32 v4, 1.0, v3
	v_sub_f32_e32 v5, 0, v5
	v_pk_mul_f32 v[4:5], v[4:5], v[2:3] op_sel_hi:[1,0]
.LBB140_12:
	s_or_b64 exec, exec, s[16:17]
	s_mov_b64 s[16:17], 0
	ds_write_b64 v1, v[4:5]
.LBB140_13:
	s_and_b64 vcc, exec, s[16:17]
	s_cbranch_vccz .LBB140_15
; %bb.14:
	v_mov_b32_e32 v2, 1.0
	v_mov_b32_e32 v3, 0
	ds_write_b64 v1, v[2:3]
.LBB140_15:
	s_or_b64 exec, exec, s[14:15]
	s_load_dword s16, s[0:1], 0x50
	s_lshl_b64 s[0:1], s[10:11], 3
	s_waitcnt lgkmcnt(0)
	s_add_u32 s5, s8, s0
	s_addc_u32 s8, s9, s1
	s_lshl_b32 s0, s2, 3
	s_add_i32 s3, s3, -1
	s_sub_i32 s1, s7, s0
	s_cmp_ge_u32 s2, s3
	s_cselect_b32 s7, s1, 8
	s_mul_hi_i32 s1, s16, s0
	s_mul_i32 s0, s16, s0
	s_lshl_b64 s[0:1], s[0:1], 3
	s_add_u32 s2, s5, s0
	s_addc_u32 s3, s8, s1
	s_cmp_gt_i32 s6, 0
	v_cmp_gt_i32_e64 s[0:1], s7, v0
	s_cselect_b64 s[8:9], -1, 0
	s_and_b64 s[14:15], s[0:1], s[8:9]
	s_and_saveexec_b64 s[10:11], s[14:15]
	s_cbranch_execz .LBB140_18
; %bb.16:
	v_mad_i64_i32 v[2:3], s[14:15], s16, v0, 0
	v_mov_b32_e32 v1, 0x200
	v_lshl_add_u64 v[2:3], v[2:3], 3, s[2:3]
	v_lshl_or_b32 v1, v0, 3, v1
	s_mov_b32 s14, s13
	s_mov_b32 s15, s12
	s_mov_b32 s5, s22
.LBB140_17:                             ; =>This Inner Loop Header: Depth=1
	flat_load_dwordx2 v[4:5], v[2:3]
	s_add_i32 s5, s5, -1
	v_lshl_add_u64 v[2:3], v[2:3], 0, 8
	s_cmp_lg_u32 s5, 0
	s_waitcnt vmcnt(0) lgkmcnt(0)
	v_pk_mul_f32 v[6:7], s[14:15], v[4:5] op_sel:[0,1]
	s_nop 0
	v_pk_fma_f32 v[8:9], s[12:13], v[4:5], v[6:7] neg_lo:[0,0,1] neg_hi:[0,0,1]
	v_pk_fma_f32 v[4:5], s[12:13], v[4:5], v[6:7] op_sel_hi:[1,0,1]
	s_nop 0
	v_mov_b32_e32 v9, v5
	ds_write_b64 v1, v[8:9]
	v_add_u32_e32 v1, 64, v1
	s_cbranch_scc1 .LBB140_17
.LBB140_18:
	s_or_b64 exec, exec, s[10:11]
	v_mov_b32_e32 v1, 0x200
	s_cmpk_eq_i32 s4, 0x6f
	v_lshl_or_b32 v1, v0, 3, v1
	s_mov_b64 s[4:5], -1
	s_waitcnt lgkmcnt(0)
	; wave barrier
	s_cbranch_scc1 .LBB140_41
; %bb.19:
	s_add_i32 s4, s22, -1
	s_cmp_gt_i32 s6, 7
	s_mov_b32 s5, s4
	s_cbranch_scc0 .LBB140_21
; %bb.20:
	ds_read2_b64 v[10:13], v1 offset0:48 offset1:56
	v_mov_b32_e32 v50, 0
	ds_read2_b64 v[14:17], v50 offset0:47 offset1:63
	ds_read2_b64 v[18:21], v1 offset0:32 offset1:40
	;; [unrolled: 1-line block ×3, first 2 shown]
	ds_read2_b64 v[2:5], v1 offset1:8
	ds_read_b128 v[26:29], v50 offset:432
	ds_read2_b64 v[30:33], v50 offset0:45 offset1:46
	s_waitcnt lgkmcnt(5)
	v_pk_mul_f32 v[8:9], v[16:17], v[12:13] op_sel:[1,1] op_sel_hi:[0,1]
	v_pk_fma_f32 v[6:7], v[16:17], v[12:13], v[8:9] op_sel_hi:[1,0,1] neg_lo:[0,0,1] neg_hi:[0,0,1]
	v_pk_fma_f32 v[8:9], v[16:17], v[12:13], v[8:9] op_sel_hi:[1,0,1]
	s_mov_b32 s5, -1
	s_waitcnt lgkmcnt(1)
	v_mul_f32_e32 v8, v29, v9
	v_mul_f32_e32 v12, v28, v9
	v_fma_f32 v8, v28, v6, -v8
	v_fmac_f32_e32 v12, v29, v6
	v_sub_f32_e32 v8, v10, v8
	v_sub_f32_e32 v10, v11, v12
	v_pk_mul_f32 v[12:13], v[26:27], v[10:11] op_sel:[1,0] op_sel_hi:[0,0]
	v_pk_fma_f32 v[10:11], v[26:27], v[8:9], v[12:13] op_sel_hi:[1,0,1] neg_lo:[0,0,1] neg_hi:[0,0,1]
	v_pk_fma_f32 v[12:13], v[26:27], v[8:9], v[12:13] op_sel_hi:[1,0,1]
	v_mul_f32_e32 v8, v14, v9
	v_mov_b32_e32 v7, v9
	v_mov_b32_e32 v11, v13
	v_fmac_f32_e32 v8, v15, v6
	ds_write2_b64 v1, v[10:11], v[6:7] offset0:48 offset1:56
	v_sub_f32_e32 v11, v21, v8
	s_waitcnt lgkmcnt(1)
	v_mul_f32_e32 v8, v33, v13
	v_mul_f32_e32 v12, v32, v13
	v_fma_f32 v8, v32, v10, -v8
	v_fmac_f32_e32 v12, v33, v10
	ds_read_b128 v[26:29], v50 offset:288
	ds_read_b128 v[32:35], v50 offset:304
	v_mul_f32_e32 v7, v15, v9
	v_fma_f32 v7, v14, v6, -v7
	v_sub_f32_e32 v7, v20, v7
	v_sub_f32_e32 v12, v11, v12
	;; [unrolled: 1-line block ×3, first 2 shown]
	v_pk_mul_f32 v[16:17], v[30:31], v[12:13] op_sel:[1,0] op_sel_hi:[0,0]
	v_pk_fma_f32 v[14:15], v[30:31], v[8:9], v[16:17] op_sel_hi:[1,0,1] neg_lo:[0,0,1] neg_hi:[0,0,1]
	v_pk_fma_f32 v[36:37], v[30:31], v[8:9], v[16:17] op_sel_hi:[1,0,1]
	s_waitcnt lgkmcnt(0)
	v_mul_f32_e32 v7, v35, v9
	v_mul_f32_e32 v8, v34, v9
	v_fma_f32 v7, v34, v6, -v7
	v_fmac_f32_e32 v8, v35, v6
	v_mul_f32_e32 v11, v33, v13
	v_mul_f32_e32 v12, v32, v13
	v_sub_f32_e32 v7, v18, v7
	v_sub_f32_e32 v8, v19, v8
	v_fma_f32 v11, v32, v10, -v11
	v_fmac_f32_e32 v12, v33, v10
	v_sub_f32_e32 v7, v7, v11
	v_sub_f32_e32 v11, v8, v12
	v_mul_f32_e32 v12, v28, v37
	v_mul_f32_e32 v8, v29, v37
	v_fmac_f32_e32 v12, v29, v14
	v_fma_f32 v8, v28, v14, -v8
	v_sub_f32_e32 v12, v11, v12
	ds_read2_b64 v[16:19], v50 offset0:15 offset1:31
	v_sub_f32_e32 v8, v7, v8
	v_pk_mul_f32 v[20:21], v[26:27], v[12:13] op_sel:[1,0] op_sel_hi:[0,0]
	v_pk_fma_f32 v[34:35], v[26:27], v[8:9], v[20:21] op_sel_hi:[1,0,1] neg_lo:[0,0,1] neg_hi:[0,0,1]
	v_pk_fma_f32 v[38:39], v[26:27], v[8:9], v[20:21] op_sel_hi:[1,0,1]
	ds_read2_b64 v[26:29], v50 offset0:29 offset1:30
	s_waitcnt lgkmcnt(1)
	v_mul_f32_e32 v7, v19, v9
	v_mul_f32_e32 v8, v18, v9
	v_fma_f32 v7, v18, v6, -v7
	v_fmac_f32_e32 v8, v19, v6
	ds_read2_b64 v[18:21], v50 offset0:27 offset1:28
	s_waitcnt lgkmcnt(1)
	v_mul_f32_e32 v11, v29, v13
	v_mul_f32_e32 v12, v28, v13
	v_mov_b32_e32 v15, v37
	v_mov_b32_e32 v35, v39
	v_sub_f32_e32 v7, v24, v7
	v_sub_f32_e32 v8, v25, v8
	v_fma_f32 v11, v28, v10, -v11
	v_fmac_f32_e32 v12, v29, v10
	ds_write2_b64 v1, v[34:35], v[14:15] offset0:32 offset1:40
	v_sub_f32_e32 v7, v7, v11
	v_sub_f32_e32 v8, v8, v12
	v_mul_f32_e32 v11, v27, v37
	v_mul_f32_e32 v12, v26, v37
	v_fma_f32 v11, v26, v14, -v11
	v_fmac_f32_e32 v12, v27, v14
	ds_read_b128 v[24:27], v50 offset:160
	ds_read_b128 v[28:31], v50 offset:176
	v_sub_f32_e32 v7, v7, v11
	v_sub_f32_e32 v11, v8, v12
	s_waitcnt lgkmcnt(3)
	v_mul_f32_e32 v12, v20, v39
	v_mul_f32_e32 v8, v21, v39
	v_fmac_f32_e32 v12, v21, v34
	v_fma_f32 v8, v20, v34, -v8
	v_sub_f32_e32 v12, v11, v12
	v_sub_f32_e32 v8, v7, v8
	v_pk_mul_f32 v[20:21], v[18:19], v[12:13] op_sel:[1,0] op_sel_hi:[0,0]
	v_pk_fma_f32 v[40:41], v[18:19], v[8:9], v[20:21] op_sel_hi:[1,0,1] neg_lo:[0,0,1] neg_hi:[0,0,1]
	v_pk_fma_f32 v[42:43], v[18:19], v[8:9], v[20:21] op_sel_hi:[1,0,1]
	s_waitcnt lgkmcnt(0)
	v_mul_f32_e32 v7, v31, v9
	v_mul_f32_e32 v8, v30, v9
	v_fma_f32 v7, v30, v6, -v7
	v_fmac_f32_e32 v8, v31, v6
	v_mul_f32_e32 v11, v29, v13
	v_mul_f32_e32 v12, v28, v13
	ds_read_b128 v[18:21], v50 offset:144
	v_sub_f32_e32 v7, v22, v7
	v_sub_f32_e32 v8, v23, v8
	v_fma_f32 v11, v28, v10, -v11
	v_fmac_f32_e32 v12, v29, v10
	v_sub_f32_e32 v7, v7, v11
	v_sub_f32_e32 v8, v8, v12
	v_mul_f32_e32 v11, v27, v37
	v_mul_f32_e32 v12, v26, v37
	v_fma_f32 v11, v26, v14, -v11
	v_fmac_f32_e32 v12, v27, v14
	v_sub_f32_e32 v7, v7, v11
	v_sub_f32_e32 v8, v8, v12
	v_mul_f32_e32 v11, v25, v39
	v_mul_f32_e32 v12, v24, v39
	v_fma_f32 v11, v24, v34, -v11
	v_fmac_f32_e32 v12, v25, v34
	v_sub_f32_e32 v7, v7, v11
	v_sub_f32_e32 v11, v8, v12
	ds_read2_b64 v[22:25], v50 offset0:13 offset1:14
	s_waitcnt lgkmcnt(1)
	v_mul_f32_e32 v12, v20, v43
	v_mul_f32_e32 v8, v21, v43
	v_fmac_f32_e32 v12, v21, v40
	v_fma_f32 v8, v20, v40, -v8
	v_sub_f32_e32 v12, v11, v12
	v_sub_f32_e32 v8, v7, v8
	v_pk_mul_f32 v[20:21], v[18:19], v[12:13] op_sel:[1,0] op_sel_hi:[0,0]
	v_pk_fma_f32 v[44:45], v[18:19], v[8:9], v[20:21] op_sel_hi:[1,0,1] neg_lo:[0,0,1] neg_hi:[0,0,1]
	v_pk_fma_f32 v[46:47], v[18:19], v[8:9], v[20:21] op_sel_hi:[1,0,1]
	v_mul_f32_e32 v7, v17, v9
	v_mul_f32_e32 v8, v16, v9
	v_fma_f32 v7, v16, v6, -v7
	v_fmac_f32_e32 v8, v17, v6
	ds_read2_b64 v[16:19], v50 offset0:11 offset1:12
	v_sub_f32_e32 v4, v4, v7
	v_sub_f32_e32 v5, v5, v8
	s_waitcnt lgkmcnt(1)
	v_mul_f32_e32 v7, v25, v13
	v_mul_f32_e32 v8, v24, v13
	v_fma_f32 v7, v24, v10, -v7
	v_fmac_f32_e32 v8, v25, v10
	v_sub_f32_e32 v4, v4, v7
	v_sub_f32_e32 v5, v5, v8
	v_mul_f32_e32 v7, v23, v37
	v_mul_f32_e32 v8, v22, v37
	v_fma_f32 v7, v22, v14, -v7
	v_fmac_f32_e32 v8, v23, v14
	ds_read2_b64 v[20:23], v50 offset0:9 offset1:10
	v_sub_f32_e32 v4, v4, v7
	v_sub_f32_e32 v5, v5, v8
	s_waitcnt lgkmcnt(1)
	v_mul_f32_e32 v7, v19, v39
	v_mul_f32_e32 v8, v18, v39
	v_fma_f32 v7, v18, v34, -v7
	v_fmac_f32_e32 v8, v19, v34
	v_sub_f32_e32 v4, v4, v7
	v_sub_f32_e32 v5, v5, v8
	v_mul_f32_e32 v7, v17, v43
	v_mul_f32_e32 v8, v16, v43
	v_mov_b32_e32 v41, v43
	v_mov_b32_e32 v45, v47
	v_fma_f32 v7, v16, v40, -v7
	v_fmac_f32_e32 v8, v17, v40
	ds_write2_b64 v1, v[44:45], v[40:41] offset0:16 offset1:24
	v_sub_f32_e32 v4, v4, v7
	v_sub_f32_e32 v5, v5, v8
	s_waitcnt lgkmcnt(1)
	v_mul_f32_e32 v7, v23, v47
	v_mul_f32_e32 v8, v22, v47
	v_fma_f32 v7, v22, v44, -v7
	v_fmac_f32_e32 v8, v23, v44
	ds_read_b128 v[16:19], v50 offset:32
	ds_read_b128 v[22:25], v50 offset:48
	v_sub_f32_e32 v8, v5, v8
	v_sub_f32_e32 v4, v4, v7
	v_pk_mul_f32 v[26:27], v[20:21], v[8:9] op_sel:[1,0] op_sel_hi:[0,0]
	v_pk_fma_f32 v[48:49], v[20:21], v[4:5], v[26:27] op_sel_hi:[1,0,1] neg_lo:[0,0,1] neg_hi:[0,0,1]
	v_pk_fma_f32 v[4:5], v[20:21], v[4:5], v[26:27] op_sel_hi:[1,0,1]
	s_waitcnt lgkmcnt(0)
	v_mul_f32_e32 v7, v24, v9
	v_mul_f32_e32 v4, v25, v9
	v_fma_f32 v4, v24, v6, -v4
	v_sub_f32_e32 v2, v2, v4
	v_mul_f32_e32 v4, v23, v13
	ds_read_b128 v[26:29], v50
	ds_read_b128 v[30:33], v50 offset:16
	v_fmac_f32_e32 v7, v25, v6
	v_fma_f32 v4, v22, v10, -v4
	v_mul_f32_e32 v6, v22, v13
	v_sub_f32_e32 v3, v3, v7
	v_fmac_f32_e32 v6, v23, v10
	v_sub_f32_e32 v2, v2, v4
	v_mul_f32_e32 v4, v19, v37
	v_sub_f32_e32 v3, v3, v6
	v_fma_f32 v4, v18, v14, -v4
	v_mul_f32_e32 v6, v18, v37
	v_fmac_f32_e32 v6, v19, v14
	v_sub_f32_e32 v2, v2, v4
	v_mul_f32_e32 v4, v17, v39
	v_sub_f32_e32 v3, v3, v6
	v_fma_f32 v4, v16, v34, -v4
	v_mul_f32_e32 v6, v16, v39
	v_fmac_f32_e32 v6, v17, v34
	v_sub_f32_e32 v2, v2, v4
	s_waitcnt lgkmcnt(0)
	v_mul_f32_e32 v4, v33, v43
	v_sub_f32_e32 v3, v3, v6
	v_fma_f32 v4, v32, v40, -v4
	v_mul_f32_e32 v6, v32, v43
	v_fmac_f32_e32 v6, v33, v40
	v_sub_f32_e32 v2, v2, v4
	v_mul_f32_e32 v4, v31, v47
	v_sub_f32_e32 v3, v3, v6
	v_fma_f32 v4, v30, v44, -v4
	v_mul_f32_e32 v6, v30, v47
	v_mov_b32_e32 v49, v5
	v_fmac_f32_e32 v6, v31, v44
	v_sub_f32_e32 v2, v2, v4
	v_mul_f32_e32 v4, v29, v5
	v_mul_f32_e32 v5, v28, v5
	v_sub_f32_e32 v3, v3, v6
	v_fma_f32 v4, v28, v48, -v4
	v_fmac_f32_e32 v5, v29, v48
	v_sub_f32_e32 v2, v2, v4
	v_sub_f32_e32 v4, v3, v5
	v_pk_mul_f32 v[4:5], v[26:27], v[4:5] op_sel:[1,0] op_sel_hi:[0,0]
	v_pk_fma_f32 v[6:7], v[26:27], v[2:3], v[4:5] neg_lo:[0,0,1] neg_hi:[0,0,1]
	v_pk_fma_f32 v[2:3], v[26:27], v[2:3], v[4:5] op_sel_hi:[1,0,1]
	s_nop 0
	v_mov_b32_e32 v7, v3
	ds_write2_b64 v1, v[6:7], v[48:49] offset1:8
.LBB140_21:
	s_cmp_gt_i32 s5, -1
	s_cbranch_scc0 .LBB140_40
; %bb.22:
	s_cmp_lt_u32 s5, 3
	s_cbranch_scc1 .LBB140_27
; %bb.23:
	s_lshl_b32 s7, s5, 6
	v_add_u32_e32 v10, s7, v1
	v_subrev_u32_e32 v2, 64, v10
	v_add_u32_e32 v3, 0xffffff80, v10
	v_add_u32_e32 v11, 0xffffff40, v10
	ds_read_b64 v[8:9], v10
	ds_read_b64 v[6:7], v2
	;; [unrolled: 1-line block ×4, first 2 shown]
	s_cmp_le_i32 s4, s5
	s_cbranch_scc1 .LBB140_26
; %bb.24:
	v_lshlrev_b32_e32 v11, 3, v0
	s_lshl_b32 s10, s22, 3
	v_lshl_or_b32 v11, s22, 6, v11
	s_add_i32 s7, s7, s10
	v_add_u32_e32 v11, 0x1c0, v11
	s_addk_i32 s7, 0xff38
	s_mov_b32 s10, s4
.LBB140_25:                             ; =>This Inner Loop Header: Depth=1
	v_mov_b32_e32 v16, s7
	ds_read_b64 v[20:21], v11
	ds_read2_b64 v[12:15], v16 offset0:16 offset1:24
	ds_read2_b64 v[16:19], v16 offset1:8
	s_add_i32 s10, s10, -1
	s_add_i32 s7, s7, -8
	v_subrev_u32_e32 v11, 64, v11
	s_waitcnt lgkmcnt(1)
	v_pk_mul_f32 v[22:23], v[14:15], v[20:21] op_sel:[0,1]
	v_pk_mul_f32 v[24:25], v[12:13], v[20:21] op_sel:[0,1]
	s_waitcnt lgkmcnt(0)
	v_pk_mul_f32 v[26:27], v[18:19], v[20:21] op_sel:[0,1]
	v_pk_mul_f32 v[28:29], v[16:17], v[20:21] op_sel:[0,1]
	v_pk_fma_f32 v[30:31], v[14:15], v[20:21], v[22:23] op_sel:[0,0,1] op_sel_hi:[1,1,0] neg_lo:[0,0,1] neg_hi:[0,0,1]
	v_pk_fma_f32 v[14:15], v[14:15], v[20:21], v[22:23] op_sel:[0,0,1] op_sel_hi:[1,0,0]
	v_pk_fma_f32 v[22:23], v[12:13], v[20:21], v[24:25] op_sel:[0,0,1] op_sel_hi:[1,1,0] neg_lo:[0,0,1] neg_hi:[0,0,1]
	v_pk_fma_f32 v[12:13], v[12:13], v[20:21], v[24:25] op_sel:[0,0,1] op_sel_hi:[1,0,0]
	;; [unrolled: 2-line block ×4, first 2 shown]
	v_mov_b32_e32 v31, v15
	v_mov_b32_e32 v23, v13
	;; [unrolled: 1-line block ×4, first 2 shown]
	s_cmp_gt_i32 s10, s5
	v_pk_add_f32 v[8:9], v[8:9], v[30:31] neg_lo:[0,1] neg_hi:[0,1]
	v_pk_add_f32 v[6:7], v[6:7], v[22:23] neg_lo:[0,1] neg_hi:[0,1]
	;; [unrolled: 1-line block ×4, first 2 shown]
	s_cbranch_scc1 .LBB140_25
.LBB140_26:
	s_mul_i32 s7, s5, 0x48
	v_mov_b32_e32 v11, s7
	s_add_i32 s7, s5, -1
	s_lshl_b32 s10, s7, 6
	s_lshl_b32 s7, s7, 3
	ds_read_b64 v[16:17], v11
	s_add_i32 s7, s10, s7
	v_mov_b32_e32 v11, s7
	ds_read2_b64 v[12:15], v11 offset1:1
	s_add_i32 s7, s5, -2
	s_waitcnt lgkmcnt(1)
	v_pk_mul_f32 v[18:19], v[16:17], v[8:9] op_sel:[1,1] op_sel_hi:[0,1]
	v_pk_fma_f32 v[20:21], v[16:17], v[8:9], v[18:19] op_sel_hi:[1,0,1] neg_lo:[0,0,1] neg_hi:[0,0,1]
	v_pk_fma_f32 v[16:17], v[16:17], v[8:9], v[18:19] op_sel_hi:[1,0,1]
	s_lshl_b32 s11, s5, 3
	s_waitcnt lgkmcnt(0)
	v_mul_f32_e32 v8, v15, v17
	v_mul_f32_e32 v9, v14, v17
	v_fma_f32 v8, v14, v20, -v8
	v_fmac_f32_e32 v9, v15, v20
	v_sub_f32_e32 v6, v6, v8
	v_sub_f32_e32 v8, v7, v9
	v_pk_mul_f32 v[8:9], v[12:13], v[8:9] op_sel:[1,0] op_sel_hi:[0,0]
	v_pk_fma_f32 v[14:15], v[12:13], v[6:7], v[8:9] op_sel_hi:[1,0,1] neg_lo:[0,0,1] neg_hi:[0,0,1]
	v_pk_fma_f32 v[12:13], v[12:13], v[6:7], v[8:9] op_sel_hi:[1,0,1]
	v_add_u32_e32 v6, s10, v1
	s_lshl_b32 s10, s7, 6
	v_mov_b32_e32 v15, v13
	s_add_i32 s12, s10, s11
	v_mov_b32_e32 v21, v17
	ds_write_b64 v6, v[14:15]
	v_mov_b32_e32 v6, s12
	ds_write_b64 v10, v[20:21]
	ds_read_b64 v[10:11], v6
	s_lshl_b32 s7, s7, 3
	s_add_i32 s7, s10, s7
	v_mov_b32_e32 v6, s7
	ds_read2_b64 v[6:9], v6 offset1:1
	s_waitcnt lgkmcnt(1)
	v_mul_f32_e32 v12, v11, v17
	v_fma_f32 v12, v10, v20, -v12
	v_mul_f32_e32 v10, v10, v17
	v_fmac_f32_e32 v10, v11, v20
	v_sub_f32_e32 v5, v5, v10
	s_waitcnt lgkmcnt(0)
	v_mul_f32_e32 v10, v9, v13
	v_fma_f32 v10, v8, v14, -v10
	v_mul_f32_e32 v8, v8, v13
	v_fmac_f32_e32 v8, v9, v14
	v_sub_f32_e32 v4, v4, v12
	v_sub_f32_e32 v8, v5, v8
	;; [unrolled: 1-line block ×3, first 2 shown]
	v_pk_mul_f32 v[8:9], v[6:7], v[8:9] op_sel:[1,0] op_sel_hi:[0,0]
	s_add_i32 s7, s5, -3
	v_pk_fma_f32 v[18:19], v[6:7], v[4:5], v[8:9] op_sel_hi:[1,0,1] neg_lo:[0,0,1] neg_hi:[0,0,1]
	v_pk_fma_f32 v[22:23], v[6:7], v[4:5], v[8:9] op_sel_hi:[1,0,1]
	v_add_u32_e32 v4, s10, v1
	s_lshl_b32 s10, s7, 6
	s_add_i32 s11, s10, s11
	v_mov_b32_e32 v19, v23
	s_add_i32 s11, s11, -8
	ds_write_b64 v4, v[18:19]
	v_mov_b32_e32 v4, s11
	ds_read2_b64 v[4:7], v4 offset1:1
	s_lshl_b32 s7, s7, 3
	s_add_i32 s7, s10, s7
	v_mov_b32_e32 v8, s7
	ds_read2_b64 v[8:11], v8 offset1:1
	s_waitcnt lgkmcnt(1)
	v_mul_f32_e32 v12, v7, v17
	v_fma_f32 v12, v6, v20, -v12
	v_mul_f32_e32 v6, v6, v17
	v_fmac_f32_e32 v6, v7, v20
	v_sub_f32_e32 v3, v3, v6
	v_mul_f32_e32 v6, v5, v13
	v_fma_f32 v6, v4, v14, -v6
	v_mul_f32_e32 v4, v4, v13
	v_fmac_f32_e32 v4, v5, v14
	v_sub_f32_e32 v2, v2, v12
	v_sub_f32_e32 v3, v3, v4
	s_waitcnt lgkmcnt(0)
	v_mul_f32_e32 v4, v11, v23
	v_mul_f32_e32 v5, v10, v23
	v_sub_f32_e32 v2, v2, v6
	v_fma_f32 v4, v10, v18, -v4
	v_fmac_f32_e32 v5, v11, v18
	v_sub_f32_e32 v2, v2, v4
	v_sub_f32_e32 v4, v3, v5
	v_pk_mul_f32 v[4:5], v[8:9], v[4:5] op_sel:[1,0] op_sel_hi:[0,0]
	v_pk_fma_f32 v[6:7], v[8:9], v[2:3], v[4:5] neg_lo:[0,0,1] neg_hi:[0,0,1]
	v_pk_fma_f32 v[2:3], v[8:9], v[2:3], v[4:5] op_sel_hi:[1,0,1]
	s_add_i32 s5, s5, -4
	v_mov_b32_e32 v7, v3
	v_add_u32_e32 v2, s10, v1
	ds_write_b64 v2, v[6:7]
.LBB140_27:
	s_cmp_lt_i32 s5, 0
	s_cbranch_scc1 .LBB140_40
; %bb.28:
	s_bitcmp1_b32 s5, 0
	s_cselect_b64 s[10:11], -1, 0
	s_and_b64 vcc, exec, s[10:11]
	s_mov_b32 s7, s5
	s_cbranch_vccnz .LBB140_33
; %bb.29:
	s_lshl_b32 s7, s5, 6
	v_add_u32_e32 v4, s7, v1
	ds_read_b64 v[2:3], v4
	s_cmp_le_i32 s4, s5
	s_cbranch_scc1 .LBB140_32
; %bb.30:
	s_lshl_b32 s10, s22, 3
	v_lshlrev_b32_e32 v5, 3, v0
	s_add_i32 s7, s7, s10
	v_lshl_or_b32 v5, s22, 6, v5
	s_add_i32 s7, s7, -8
	v_add_u32_e32 v5, 0x1c0, v5
	s_mov_b32 s10, s4
.LBB140_31:                             ; =>This Inner Loop Header: Depth=1
	v_mov_b32_e32 v8, s7
	ds_read_b64 v[6:7], v5
	ds_read_b64 v[8:9], v8
	s_add_i32 s10, s10, -1
	s_add_i32 s7, s7, -8
	v_subrev_u32_e32 v5, 64, v5
	s_cmp_gt_i32 s10, s5
	s_waitcnt lgkmcnt(0)
	v_pk_mul_f32 v[10:11], v[8:9], v[6:7] op_sel:[1,1] op_sel_hi:[0,1]
	v_pk_fma_f32 v[12:13], v[8:9], v[6:7], v[10:11] neg_lo:[0,0,1] neg_hi:[0,0,1]
	v_pk_fma_f32 v[6:7], v[8:9], v[6:7], v[10:11] op_sel_hi:[1,0,1]
	s_nop 0
	v_mov_b32_e32 v13, v7
	v_pk_add_f32 v[2:3], v[2:3], v[12:13] neg_lo:[0,1] neg_hi:[0,1]
	s_cbranch_scc1 .LBB140_31
.LBB140_32:
	s_mul_i32 s7, s5, 0x48
	v_mov_b32_e32 v5, s7
	ds_read_b64 v[6:7], v5
	s_add_i32 s7, s5, -1
	s_waitcnt lgkmcnt(0)
	v_pk_mul_f32 v[8:9], v[6:7], v[2:3] op_sel:[1,1] op_sel_hi:[0,1]
	v_pk_fma_f32 v[10:11], v[6:7], v[2:3], v[8:9] op_sel_hi:[1,0,1] neg_lo:[0,0,1] neg_hi:[0,0,1]
	v_pk_fma_f32 v[2:3], v[6:7], v[2:3], v[8:9] op_sel_hi:[1,0,1]
	s_nop 0
	v_mov_b32_e32 v11, v3
	ds_write_b64 v4, v[10:11]
.LBB140_33:
	s_cmp_eq_u32 s5, 0
	s_cbranch_scc1 .LBB140_40
; %bb.34:
	s_lshl_b32 s5, s7, 6
	s_lshl_b32 s10, s22, 3
	v_lshlrev_b32_e32 v2, 3, v0
	s_add_i32 s10, s5, s10
	v_lshl_or_b32 v2, s22, 6, v2
	s_add_i32 s5, s10, -8
	v_add_u32_e32 v6, 0x1c0, v2
	s_addk_i32 s10, 0xffb8
	s_branch .LBB140_36
.LBB140_35:                             ;   in Loop: Header=BB140_36 Depth=1
	s_addk_i32 s11, 0xffb8
	v_mov_b32_e32 v4, s11
	ds_read_b64 v[4:5], v4
	s_add_i32 s11, s7, -2
	s_addk_i32 s5, 0xff80
	s_addk_i32 s10, 0xff80
	s_cmp_lt_i32 s7, 2
	s_waitcnt lgkmcnt(0)
	v_pk_mul_f32 v[8:9], v[4:5], v[2:3] op_sel:[1,1] op_sel_hi:[0,1]
	v_pk_fma_f32 v[10:11], v[4:5], v[2:3], v[8:9] op_sel_hi:[1,0,1] neg_lo:[0,0,1] neg_hi:[0,0,1]
	v_pk_fma_f32 v[2:3], v[4:5], v[2:3], v[8:9] op_sel_hi:[1,0,1]
	s_mov_b32 s7, s11
	v_mov_b32_e32 v11, v3
	ds_write_b64 v7, v[10:11]
	s_cbranch_scc1 .LBB140_40
.LBB140_36:                             ; =>This Loop Header: Depth=1
                                        ;     Child Loop BB140_37 Depth 2
                                        ;     Child Loop BB140_39 Depth 2
	s_lshl_b32 s12, s7, 6
	v_add_u32_e32 v8, s12, v1
	ds_read_b64 v[4:5], v8
	s_cmp_le_i32 s4, s7
	v_mov_b32_e32 v2, v6
	s_mov_b32 s11, s5
	s_mov_b32 s13, s4
	s_cbranch_scc1 .LBB140_38
.LBB140_37:                             ;   Parent Loop BB140_36 Depth=1
                                        ; =>  This Inner Loop Header: Depth=2
	v_mov_b32_e32 v3, s11
	ds_read_b64 v[10:11], v2
	ds_read_b64 v[12:13], v3
	s_add_i32 s13, s13, -1
	s_add_i32 s11, s11, -8
	v_subrev_u32_e32 v2, 64, v2
	s_cmp_gt_i32 s13, s7
	s_waitcnt lgkmcnt(0)
	v_pk_mul_f32 v[14:15], v[12:13], v[10:11] op_sel:[1,1] op_sel_hi:[0,1]
	v_pk_fma_f32 v[16:17], v[12:13], v[10:11], v[14:15] neg_lo:[0,0,1] neg_hi:[0,0,1]
	v_pk_fma_f32 v[10:11], v[12:13], v[10:11], v[14:15] op_sel_hi:[1,0,1]
	s_nop 0
	v_mov_b32_e32 v17, v11
	v_pk_add_f32 v[4:5], v[4:5], v[16:17] neg_lo:[0,1] neg_hi:[0,1]
	s_cbranch_scc1 .LBB140_37
.LBB140_38:                             ;   in Loop: Header=BB140_36 Depth=1
	s_mul_i32 s11, s7, 0x48
	v_mov_b32_e32 v2, s11
	ds_read_b64 v[10:11], v2
	s_sub_i32 s12, s12, 64
	v_add_u32_e32 v7, s12, v1
	ds_read_b64 v[2:3], v7
	s_cmp_le_i32 s22, s7
	s_waitcnt lgkmcnt(1)
	v_pk_mul_f32 v[12:13], v[10:11], v[4:5] op_sel:[1,1] op_sel_hi:[0,1]
	v_pk_fma_f32 v[14:15], v[10:11], v[4:5], v[12:13] op_sel_hi:[1,0,1] neg_lo:[0,0,1] neg_hi:[0,0,1]
	v_pk_fma_f32 v[4:5], v[10:11], v[4:5], v[12:13] op_sel_hi:[1,0,1]
	s_mov_b32 s12, s10
	v_mov_b32_e32 v15, v5
	v_mov_b32_e32 v4, v6
	s_mov_b32 s13, s22
	ds_write_b64 v8, v[14:15]
	s_cbranch_scc1 .LBB140_35
.LBB140_39:                             ;   Parent Loop BB140_36 Depth=1
                                        ; =>  This Inner Loop Header: Depth=2
	v_mov_b32_e32 v5, s12
	ds_read_b64 v[8:9], v4
	ds_read_b64 v[10:11], v5
	s_add_i32 s13, s13, -1
	s_add_i32 s12, s12, -8
	v_subrev_u32_e32 v4, 64, v4
	s_cmp_gt_i32 s13, s7
	s_waitcnt lgkmcnt(0)
	v_pk_mul_f32 v[12:13], v[10:11], v[8:9] op_sel:[1,1] op_sel_hi:[0,1]
	v_pk_fma_f32 v[14:15], v[10:11], v[8:9], v[12:13] neg_lo:[0,0,1] neg_hi:[0,0,1]
	v_pk_fma_f32 v[8:9], v[10:11], v[8:9], v[12:13] op_sel_hi:[1,0,1]
	s_nop 0
	v_mov_b32_e32 v15, v9
	v_pk_add_f32 v[2:3], v[2:3], v[14:15] neg_lo:[0,1] neg_hi:[0,1]
	s_cbranch_scc1 .LBB140_39
	s_branch .LBB140_35
.LBB140_40:
	s_mov_b64 s[4:5], 0
.LBB140_41:
	s_and_b64 vcc, exec, s[4:5]
	s_cbranch_vccz .LBB140_57
; %bb.42:
	s_cmp_gt_i32 s6, 7
	s_mov_b32 s4, 0
	s_cbranch_scc0 .LBB140_44
; %bb.43:
	ds_read2_b64 v[8:11], v1 offset1:8
	v_mov_b32_e32 v56, 0
	ds_read_b128 v[12:15], v56
	ds_read2_b64 v[16:19], v1 offset0:16 offset1:24
	ds_read2_b64 v[2:5], v1 offset0:32 offset1:40
	ds_read_b128 v[20:23], v56 offset:16
	s_mov_b32 s4, 8
	ds_read2_b64 v[28:31], v56 offset0:11 offset1:12
	s_waitcnt lgkmcnt(4)
	v_pk_mul_f32 v[24:25], v[12:13], v[8:9] op_sel:[1,1] op_sel_hi:[0,1]
	v_pk_fma_f32 v[6:7], v[12:13], v[8:9], v[24:25] op_sel_hi:[1,0,1] neg_lo:[0,0,1] neg_hi:[0,0,1]
	v_pk_fma_f32 v[8:9], v[12:13], v[8:9], v[24:25] op_sel_hi:[1,0,1]
	ds_read2_b64 v[24:27], v56 offset0:9 offset1:10
	v_mul_f32_e32 v7, v15, v9
	v_mul_f32_e32 v12, v14, v9
	v_fma_f32 v7, v14, v6, -v7
	v_fmac_f32_e32 v12, v15, v6
	v_sub_f32_e32 v8, v10, v7
	v_sub_f32_e32 v10, v11, v12
	s_waitcnt lgkmcnt(0)
	v_pk_mul_f32 v[12:13], v[24:25], v[10:11] op_sel:[1,0] op_sel_hi:[0,0]
	v_pk_fma_f32 v[10:11], v[24:25], v[8:9], v[12:13] op_sel_hi:[1,0,1] neg_lo:[0,0,1] neg_hi:[0,0,1]
	v_pk_fma_f32 v[12:13], v[24:25], v[8:9], v[12:13] op_sel_hi:[1,0,1]
	v_mul_f32_e32 v7, v21, v9
	v_mul_f32_e32 v8, v20, v9
	v_fma_f32 v7, v20, v6, -v7
	v_fmac_f32_e32 v8, v21, v6
	v_sub_f32_e32 v7, v16, v7
	v_sub_f32_e32 v11, v17, v8
	ds_read_b128 v[14:17], v56 offset:144
	v_mul_f32_e32 v12, v26, v13
	v_mul_f32_e32 v8, v27, v13
	v_fmac_f32_e32 v12, v27, v10
	v_fma_f32 v8, v26, v10, -v8
	v_sub_f32_e32 v12, v11, v12
	v_sub_f32_e32 v8, v7, v8
	ds_read2_b64 v[24:27], v56 offset0:13 offset1:14
	s_waitcnt lgkmcnt(1)
	v_pk_mul_f32 v[20:21], v[14:15], v[12:13] op_sel:[1,0] op_sel_hi:[0,0]
	v_pk_fma_f32 v[48:49], v[14:15], v[8:9], v[20:21] op_sel_hi:[1,0,1] neg_lo:[0,0,1] neg_hi:[0,0,1]
	v_pk_fma_f32 v[50:51], v[14:15], v[8:9], v[20:21] op_sel_hi:[1,0,1]
	v_mul_f32_e32 v7, v23, v9
	v_mul_f32_e32 v8, v22, v9
	v_fma_f32 v7, v22, v6, -v7
	v_fmac_f32_e32 v8, v23, v6
	v_mul_f32_e32 v11, v29, v13
	v_mul_f32_e32 v12, v28, v13
	v_sub_f32_e32 v7, v18, v7
	v_sub_f32_e32 v8, v19, v8
	v_fma_f32 v11, v28, v10, -v11
	v_fmac_f32_e32 v12, v29, v10
	v_sub_f32_e32 v7, v7, v11
	v_sub_f32_e32 v11, v8, v12
	v_mul_f32_e32 v8, v17, v51
	v_mul_f32_e32 v12, v16, v51
	v_fma_f32 v8, v16, v48, -v8
	v_fmac_f32_e32 v12, v17, v48
	ds_read2_b64 v[14:17], v56 offset0:27 offset1:28
	ds_read_b128 v[18:21], v56 offset:32
	ds_read2_b64 v[32:35], v56 offset0:29 offset1:30
	v_sub_f32_e32 v12, v11, v12
	v_sub_f32_e32 v8, v7, v8
	ds_read_b128 v[36:39], v56 offset:48
	ds_read_b128 v[40:43], v56 offset:160
	s_waitcnt lgkmcnt(4)
	v_pk_mul_f32 v[22:23], v[14:15], v[12:13] op_sel:[1,0] op_sel_hi:[0,0]
	v_pk_fma_f32 v[52:53], v[14:15], v[8:9], v[22:23] op_sel_hi:[1,0,1] neg_lo:[0,0,1] neg_hi:[0,0,1]
	v_pk_fma_f32 v[54:55], v[14:15], v[8:9], v[22:23] op_sel_hi:[1,0,1]
	s_waitcnt lgkmcnt(3)
	v_mul_f32_e32 v8, v18, v9
	v_mul_f32_e32 v7, v19, v9
	v_fmac_f32_e32 v8, v19, v6
	v_fma_f32 v7, v18, v6, -v7
	v_sub_f32_e32 v3, v3, v8
	v_mul_f32_e32 v8, v30, v13
	v_sub_f32_e32 v2, v2, v7
	v_mul_f32_e32 v7, v31, v13
	v_fmac_f32_e32 v8, v31, v10
	v_fma_f32 v7, v30, v10, -v7
	v_sub_f32_e32 v3, v3, v8
	ds_read_b128 v[28:31], v56 offset:176
	ds_read_b128 v[44:47], v56 offset:288
	s_waitcnt lgkmcnt(2)
	v_mul_f32_e32 v8, v40, v51
	v_sub_f32_e32 v2, v2, v7
	v_mul_f32_e32 v7, v41, v51
	v_fmac_f32_e32 v8, v41, v48
	v_fma_f32 v7, v40, v48, -v7
	v_sub_f32_e32 v3, v3, v8
	v_mul_f32_e32 v8, v16, v55
	v_sub_f32_e32 v2, v2, v7
	v_mul_f32_e32 v7, v17, v55
	v_fmac_f32_e32 v8, v17, v52
	v_fma_f32 v7, v16, v52, -v7
	v_sub_f32_e32 v8, v3, v8
	v_sub_f32_e32 v2, v2, v7
	s_waitcnt lgkmcnt(0)
	v_pk_mul_f32 v[18:19], v[44:45], v[8:9] op_sel:[1,0] op_sel_hi:[0,0]
	v_pk_fma_f32 v[40:41], v[44:45], v[2:3], v[18:19] op_sel_hi:[1,0,1] neg_lo:[0,0,1] neg_hi:[0,0,1]
	v_pk_fma_f32 v[44:45], v[44:45], v[2:3], v[18:19] op_sel_hi:[1,0,1]
	v_mul_f32_e32 v2, v21, v9
	v_fma_f32 v2, v20, v6, -v2
	v_mul_f32_e32 v3, v20, v9
	v_fmac_f32_e32 v3, v21, v6
	v_sub_f32_e32 v2, v4, v2
	v_mul_f32_e32 v4, v25, v13
	v_sub_f32_e32 v3, v5, v3
	v_fma_f32 v4, v24, v10, -v4
	v_mul_f32_e32 v5, v24, v13
	v_fmac_f32_e32 v5, v25, v10
	v_sub_f32_e32 v2, v2, v4
	v_mul_f32_e32 v4, v43, v51
	v_sub_f32_e32 v3, v3, v5
	v_fma_f32 v4, v42, v48, -v4
	v_mul_f32_e32 v5, v42, v51
	v_fmac_f32_e32 v5, v43, v48
	v_sub_f32_e32 v2, v2, v4
	v_mul_f32_e32 v4, v33, v55
	v_mov_b32_e32 v7, v9
	v_mov_b32_e32 v11, v13
	v_sub_f32_e32 v3, v3, v5
	v_fma_f32 v4, v32, v52, -v4
	v_mul_f32_e32 v5, v32, v55
	ds_write2_b64 v1, v[6:7], v[10:11] offset1:8
	v_fmac_f32_e32 v5, v33, v52
	v_sub_f32_e32 v7, v2, v4
	v_mul_f32_e32 v2, v47, v45
	ds_read_b128 v[14:17], v56 offset:304
	v_sub_f32_e32 v11, v3, v5
	v_fma_f32 v8, v46, v40, -v2
	ds_read2_b64 v[2:5], v56 offset0:45 offset1:46
	ds_read2_b64 v[18:21], v1 offset0:48 offset1:56
	v_mul_f32_e32 v12, v46, v45
	v_fmac_f32_e32 v12, v47, v40
	v_sub_f32_e32 v12, v11, v12
	v_sub_f32_e32 v8, v7, v8
	s_waitcnt lgkmcnt(1)
	v_pk_mul_f32 v[32:33], v[2:3], v[12:13] op_sel:[1,0] op_sel_hi:[0,0]
	v_mul_f32_e32 v7, v37, v9
	v_pk_fma_f32 v[42:43], v[2:3], v[8:9], v[32:33] op_sel_hi:[1,0,1] neg_lo:[0,0,1] neg_hi:[0,0,1]
	v_pk_fma_f32 v[32:33], v[2:3], v[8:9], v[32:33] op_sel_hi:[1,0,1]
	v_mul_f32_e32 v2, v27, v13
	v_fma_f32 v7, v36, v6, -v7
	v_fma_f32 v2, v26, v10, -v2
	v_mul_f32_e32 v8, v36, v9
	s_waitcnt lgkmcnt(0)
	v_sub_f32_e32 v7, v18, v7
	v_mul_f32_e32 v3, v26, v13
	v_fmac_f32_e32 v8, v37, v6
	v_sub_f32_e32 v2, v7, v2
	v_mul_f32_e32 v7, v29, v51
	v_fmac_f32_e32 v3, v27, v10
	v_sub_f32_e32 v8, v19, v8
	v_fma_f32 v7, v28, v48, -v7
	v_sub_f32_e32 v3, v8, v3
	v_mul_f32_e32 v8, v28, v51
	v_sub_f32_e32 v2, v2, v7
	v_mul_f32_e32 v7, v35, v55
	v_fmac_f32_e32 v8, v29, v48
	v_fma_f32 v7, v34, v52, -v7
	v_sub_f32_e32 v3, v3, v8
	v_mul_f32_e32 v8, v34, v55
	v_sub_f32_e32 v2, v2, v7
	v_mul_f32_e32 v7, v15, v45
	ds_read_b128 v[22:25], v56 offset:432
	v_fmac_f32_e32 v8, v35, v52
	v_fma_f32 v7, v14, v40, -v7
	v_sub_f32_e32 v3, v3, v8
	v_mul_f32_e32 v8, v14, v45
	v_sub_f32_e32 v2, v2, v7
	v_mul_f32_e32 v7, v5, v33
	v_fmac_f32_e32 v8, v15, v40
	v_fma_f32 v7, v4, v42, -v7
	v_mul_f32_e32 v4, v4, v33
	v_sub_f32_e32 v3, v3, v8
	v_fmac_f32_e32 v4, v5, v42
	v_sub_f32_e32 v4, v3, v4
	v_sub_f32_e32 v2, v2, v7
	s_waitcnt lgkmcnt(0)
	v_pk_mul_f32 v[4:5], v[22:23], v[4:5] op_sel:[1,0] op_sel_hi:[0,0]
	v_pk_fma_f32 v[14:15], v[22:23], v[2:3], v[4:5] op_sel_hi:[1,0,1] neg_lo:[0,0,1] neg_hi:[0,0,1]
	v_pk_fma_f32 v[18:19], v[22:23], v[2:3], v[4:5] op_sel_hi:[1,0,1]
	v_mul_f32_e32 v2, v39, v9
	v_fma_f32 v7, v38, v6, -v2
	ds_read2_b64 v[2:5], v56 offset0:15 offset1:31
	v_mul_f32_e32 v8, v38, v9
	v_fmac_f32_e32 v8, v39, v6
	v_sub_f32_e32 v6, v20, v7
	v_sub_f32_e32 v7, v21, v8
	s_waitcnt lgkmcnt(0)
	v_mul_f32_e32 v8, v3, v13
	v_fma_f32 v8, v2, v10, -v8
	v_mul_f32_e32 v2, v2, v13
	v_fmac_f32_e32 v2, v3, v10
	v_sub_f32_e32 v3, v6, v8
	v_mul_f32_e32 v6, v31, v51
	v_fma_f32 v6, v30, v48, -v6
	v_sub_f32_e32 v2, v7, v2
	v_mul_f32_e32 v7, v30, v51
	v_sub_f32_e32 v3, v3, v6
	v_mul_f32_e32 v6, v5, v55
	v_fmac_f32_e32 v7, v31, v48
	v_fma_f32 v6, v4, v52, -v6
	v_mul_f32_e32 v4, v4, v55
	v_sub_f32_e32 v2, v2, v7
	v_fmac_f32_e32 v4, v5, v52
	v_sub_f32_e32 v7, v2, v4
	v_mul_f32_e32 v2, v17, v45
	v_sub_f32_e32 v6, v3, v6
	v_fma_f32 v8, v16, v40, -v2
	ds_read2_b64 v[2:5], v56 offset0:47 offset1:63
	v_mul_f32_e32 v9, v16, v45
	v_sub_f32_e32 v6, v6, v8
	v_fmac_f32_e32 v9, v17, v40
	v_sub_f32_e32 v7, v7, v9
	s_waitcnt lgkmcnt(0)
	v_mul_f32_e32 v8, v3, v33
	v_fma_f32 v8, v2, v42, -v8
	v_mul_f32_e32 v2, v2, v33
	v_fmac_f32_e32 v2, v3, v42
	v_sub_f32_e32 v3, v6, v8
	v_sub_f32_e32 v6, v7, v2
	v_mul_f32_e32 v7, v24, v19
	v_mul_f32_e32 v2, v25, v19
	v_fmac_f32_e32 v7, v25, v14
	v_fma_f32 v2, v24, v14, -v2
	v_sub_f32_e32 v6, v6, v7
	v_sub_f32_e32 v2, v3, v2
	v_pk_mul_f32 v[6:7], v[4:5], v[6:7] op_sel:[1,0] op_sel_hi:[0,0]
	v_pk_fma_f32 v[8:9], v[4:5], v[2:3], v[6:7] neg_lo:[0,0,1] neg_hi:[0,0,1]
	v_pk_fma_f32 v[2:3], v[4:5], v[2:3], v[6:7] op_sel_hi:[1,0,1]
	v_mov_b32_e32 v49, v51
	v_mov_b32_e32 v53, v55
	;; [unrolled: 1-line block ×6, first 2 shown]
	ds_write2_b64 v1, v[48:49], v[52:53] offset0:16 offset1:24
	ds_write2_b64 v1, v[40:41], v[42:43] offset0:32 offset1:40
	;; [unrolled: 1-line block ×3, first 2 shown]
.LBB140_44:
	s_cmp_lt_i32 s4, s22
	s_cbranch_scc0 .LBB140_57
; %bb.45:
	s_or_b32 s5, s4, 3
	s_cmp_ge_u32 s5, s22
	s_cbranch_scc1 .LBB140_51
; %bb.46:
	v_mov_b32_e32 v2, 0x200
	s_lshl_b32 s5, s4, 3
	v_lshl_or_b32 v10, v0, 3, v2
.LBB140_47:                             ; =>This Loop Header: Depth=1
                                        ;     Child Loop BB140_48 Depth 2
	s_lshl_b32 s6, s4, 6
	v_add_u32_e32 v11, s6, v1
	ds_read2_b64 v[6:9], v11 offset1:8
	ds_read2_b64 v[2:5], v11 offset0:16 offset1:24
	s_cmp_eq_u32 s4, 0
	v_mov_b32_e32 v12, v10
	s_mov_b32 s7, s5
	s_mov_b32 s10, s4
	s_cbranch_scc1 .LBB140_49
.LBB140_48:                             ;   Parent Loop BB140_47 Depth=1
                                        ; =>  This Inner Loop Header: Depth=2
	v_mov_b32_e32 v13, s7
	ds_read_b64 v[22:23], v12
	ds_read_b128 v[14:17], v13
	ds_read_b128 v[18:21], v13 offset:16
	s_add_i32 s10, s10, -1
	s_add_i32 s7, s7, 64
	v_add_u32_e32 v12, 64, v12
	s_waitcnt lgkmcnt(1)
	v_pk_mul_f32 v[24:25], v[14:15], v[22:23] op_sel:[0,1]
	v_pk_mul_f32 v[26:27], v[16:17], v[22:23] op_sel:[0,1]
	s_waitcnt lgkmcnt(0)
	v_pk_mul_f32 v[28:29], v[18:19], v[22:23] op_sel:[0,1]
	v_pk_mul_f32 v[30:31], v[20:21], v[22:23] op_sel:[0,1]
	v_pk_fma_f32 v[32:33], v[14:15], v[22:23], v[24:25] op_sel:[0,0,1] op_sel_hi:[1,1,0] neg_lo:[0,0,1] neg_hi:[0,0,1]
	v_pk_fma_f32 v[14:15], v[14:15], v[22:23], v[24:25] op_sel:[0,0,1] op_sel_hi:[1,0,0]
	v_pk_fma_f32 v[24:25], v[16:17], v[22:23], v[26:27] op_sel:[0,0,1] op_sel_hi:[1,1,0] neg_lo:[0,0,1] neg_hi:[0,0,1]
	v_pk_fma_f32 v[16:17], v[16:17], v[22:23], v[26:27] op_sel:[0,0,1] op_sel_hi:[1,0,0]
	;; [unrolled: 2-line block ×4, first 2 shown]
	v_mov_b32_e32 v33, v15
	v_mov_b32_e32 v25, v17
	;; [unrolled: 1-line block ×4, first 2 shown]
	s_cmp_lg_u32 s10, 0
	v_pk_add_f32 v[6:7], v[6:7], v[32:33] neg_lo:[0,1] neg_hi:[0,1]
	v_pk_add_f32 v[8:9], v[8:9], v[24:25] neg_lo:[0,1] neg_hi:[0,1]
	;; [unrolled: 1-line block ×4, first 2 shown]
	s_cbranch_scc1 .LBB140_48
.LBB140_49:                             ;   in Loop: Header=BB140_47 Depth=1
	s_lshl_b32 s7, s4, 3
	s_add_i32 s10, s7, s6
	v_mov_b32_e32 v28, s10
	ds_read_b128 v[12:15], v28
	ds_read_b128 v[16:19], v28 offset:16
	s_or_b32 s6, s6, 64
	s_add_i32 s5, s5, 32
	s_waitcnt lgkmcnt(1)
	v_pk_mul_f32 v[20:21], v[12:13], v[6:7] op_sel:[1,1] op_sel_hi:[0,1]
	v_pk_fma_f32 v[24:25], v[12:13], v[6:7], v[20:21] op_sel_hi:[1,0,1] neg_lo:[0,0,1] neg_hi:[0,0,1]
	v_pk_fma_f32 v[12:13], v[12:13], v[6:7], v[20:21] op_sel_hi:[1,0,1]
	ds_read2_b64 v[20:23], v28 offset0:9 offset1:10
	v_mul_f32_e32 v7, v14, v13
	v_mul_f32_e32 v6, v15, v13
	v_fmac_f32_e32 v7, v15, v24
	v_fma_f32 v6, v14, v24, -v6
	v_sub_f32_e32 v14, v9, v7
	v_sub_f32_e32 v12, v8, v6
	ds_read_b128 v[6:9], v28 offset:144
	s_waitcnt lgkmcnt(1)
	v_pk_mul_f32 v[14:15], v[20:21], v[14:15] op_sel:[1,0] op_sel_hi:[0,0]
	v_pk_fma_f32 v[26:27], v[20:21], v[12:13], v[14:15] op_sel_hi:[1,0,1] neg_lo:[0,0,1] neg_hi:[0,0,1]
	v_pk_fma_f32 v[14:15], v[20:21], v[12:13], v[14:15] op_sel_hi:[1,0,1]
	v_add_u32_e32 v12, s6, v1
	v_mov_b32_e32 v27, v15
	ds_write_b64 v12, v[26:27]
	v_mul_f32_e32 v12, v17, v13
	v_mul_f32_e32 v14, v16, v13
	v_fma_f32 v12, v16, v24, -v12
	v_fmac_f32_e32 v14, v17, v24
	v_sub_f32_e32 v2, v2, v12
	v_sub_f32_e32 v3, v3, v14
	v_mul_f32_e32 v12, v23, v15
	v_mul_f32_e32 v14, v22, v15
	v_fma_f32 v12, v22, v26, -v12
	v_fmac_f32_e32 v14, v23, v26
	v_sub_f32_e32 v2, v2, v12
	v_sub_f32_e32 v12, v3, v14
	s_add_i32 s6, s7, s6
	s_waitcnt lgkmcnt(1)
	v_pk_mul_f32 v[16:17], v[6:7], v[12:13] op_sel:[1,0] op_sel_hi:[0,0]
	v_pk_fma_f32 v[20:21], v[6:7], v[2:3], v[16:17] op_sel_hi:[1,0,1] neg_lo:[0,0,1] neg_hi:[0,0,1]
	v_pk_fma_f32 v[2:3], v[6:7], v[2:3], v[16:17] op_sel_hi:[1,0,1]
	v_mov_b32_e32 v6, s6
	ds_read_b64 v[6:7], v6 offset:24
	v_mul_f32_e32 v2, v19, v13
	v_mul_f32_e32 v12, v18, v13
	v_fma_f32 v2, v18, v24, -v2
	v_fmac_f32_e32 v12, v19, v24
	v_mov_b32_e32 v25, v13
	v_sub_f32_e32 v2, v4, v2
	v_sub_f32_e32 v12, v5, v12
	ds_read_b64 v[4:5], v28 offset:216
	s_waitcnt lgkmcnt(1)
	v_mul_f32_e32 v13, v7, v15
	v_fma_f32 v13, v6, v26, -v13
	v_mul_f32_e32 v6, v6, v15
	v_mov_b32_e32 v21, v3
	v_fmac_f32_e32 v6, v7, v26
	v_mul_f32_e32 v7, v9, v3
	v_mul_f32_e32 v3, v8, v3
	v_sub_f32_e32 v6, v12, v6
	v_fmac_f32_e32 v3, v9, v20
	v_sub_f32_e32 v2, v2, v13
	v_fma_f32 v7, v8, v20, -v7
	v_sub_f32_e32 v6, v6, v3
	v_sub_f32_e32 v2, v2, v7
	s_waitcnt lgkmcnt(0)
	v_pk_mul_f32 v[6:7], v[4:5], v[6:7] op_sel:[1,0] op_sel_hi:[0,0]
	v_pk_fma_f32 v[8:9], v[4:5], v[2:3], v[6:7] neg_lo:[0,0,1] neg_hi:[0,0,1]
	v_pk_fma_f32 v[2:3], v[4:5], v[2:3], v[6:7] op_sel_hi:[1,0,1]
	s_add_i32 s6, s4, 4
	s_add_i32 s4, s4, 7
	v_mov_b32_e32 v9, v3
	s_cmp_lt_i32 s4, s22
	ds_write2_b64 v11, v[24:25], v[20:21] offset1:16
	ds_write_b64 v11, v[8:9] offset:192
	s_cbranch_scc0 .LBB140_52
; %bb.50:                               ;   in Loop: Header=BB140_47 Depth=1
	s_mov_b32 s4, s6
	s_branch .LBB140_47
.LBB140_51:
	s_mov_b32 s6, s4
.LBB140_52:
	s_cmp_ge_i32 s6, s22
	s_cbranch_scc1 .LBB140_57
; %bb.53:
	v_mov_b32_e32 v2, 0x200
	s_lshl_b32 s4, s6, 3
	v_lshl_or_b32 v4, v0, 3, v2
	s_branch .LBB140_55
.LBB140_54:                             ;   in Loop: Header=BB140_55 Depth=1
	s_lshl_b32 s7, s6, 3
	s_add_i32 s5, s7, s5
	v_mov_b32_e32 v6, s5
	ds_read_b64 v[6:7], v6
	s_add_i32 s6, s6, 1
	s_add_i32 s4, s4, 8
	s_cmp_ge_i32 s6, s22
	s_waitcnt lgkmcnt(0)
	v_pk_mul_f32 v[8:9], v[6:7], v[2:3] op_sel:[1,1] op_sel_hi:[0,1]
	v_pk_fma_f32 v[10:11], v[6:7], v[2:3], v[8:9] op_sel_hi:[1,0,1] neg_lo:[0,0,1] neg_hi:[0,0,1]
	v_pk_fma_f32 v[2:3], v[6:7], v[2:3], v[8:9] op_sel_hi:[1,0,1]
	s_nop 0
	v_mov_b32_e32 v11, v3
	ds_write_b64 v5, v[10:11]
	s_cbranch_scc1 .LBB140_57
.LBB140_55:                             ; =>This Loop Header: Depth=1
                                        ;     Child Loop BB140_56 Depth 2
	s_lshl_b32 s5, s6, 6
	v_add_u32_e32 v5, s5, v1
	ds_read_b64 v[2:3], v5
	s_cmp_eq_u32 s6, 0
	v_mov_b32_e32 v6, v4
	s_mov_b32 s7, s4
	s_mov_b32 s10, s6
	s_cbranch_scc1 .LBB140_54
.LBB140_56:                             ;   Parent Loop BB140_55 Depth=1
                                        ; =>  This Inner Loop Header: Depth=2
	v_mov_b32_e32 v7, s7
	ds_read_b64 v[8:9], v6
	ds_read_b64 v[10:11], v7
	s_add_i32 s10, s10, -1
	s_add_i32 s7, s7, 64
	v_add_u32_e32 v6, 64, v6
	s_cmp_lg_u32 s10, 0
	s_waitcnt lgkmcnt(0)
	v_pk_mul_f32 v[12:13], v[10:11], v[8:9] op_sel:[1,1] op_sel_hi:[0,1]
	v_pk_fma_f32 v[14:15], v[10:11], v[8:9], v[12:13] neg_lo:[0,0,1] neg_hi:[0,0,1]
	v_pk_fma_f32 v[8:9], v[10:11], v[8:9], v[12:13] op_sel_hi:[1,0,1]
	s_nop 0
	v_mov_b32_e32 v15, v9
	v_pk_add_f32 v[2:3], v[2:3], v[14:15] neg_lo:[0,1] neg_hi:[0,1]
	s_cbranch_scc1 .LBB140_56
	s_branch .LBB140_54
.LBB140_57:
	s_waitcnt lgkmcnt(0)
	; wave barrier
	s_and_saveexec_b64 s[4:5], s[0:1]
	s_cbranch_execz .LBB140_61
; %bb.58:
	s_andn2_b64 vcc, exec, s[8:9]
	s_cbranch_vccnz .LBB140_61
; %bb.59:
	v_mad_i64_i32 v[2:3], s[0:1], s16, v0, 0
	v_mov_b32_e32 v1, 0x200
	v_lshl_add_u64 v[2:3], v[2:3], 3, s[2:3]
	v_lshl_or_b32 v0, v0, 3, v1
.LBB140_60:                             ; =>This Inner Loop Header: Depth=1
	ds_read_b64 v[4:5], v0
	s_add_i32 s22, s22, -1
	v_add_u32_e32 v0, 64, v0
	s_cmp_lg_u32 s22, 0
	s_waitcnt lgkmcnt(0)
	flat_store_dwordx2 v[2:3], v[4:5]
	v_lshl_add_u64 v[2:3], v[2:3], 0, 8
	s_cbranch_scc1 .LBB140_60
.LBB140_61:
	s_endpgm
	.section	.rodata,"a",@progbits
	.p2align	6, 0x0
	.amdhsa_kernel _ZL38rocblas_trsm_small_left_device_sharedBILi8ELi8ELb1E19rocblas_complex_numIfES1_PKPKS1_PKPS1_Ev13rocblas_fill_18rocblas_operation_17rocblas_diagonal_iiT3_T4_lilT5_lili
		.amdhsa_group_segment_fixed_size 1024
		.amdhsa_private_segment_fixed_size 0
		.amdhsa_kernarg_size 360
		.amdhsa_user_sgpr_count 2
		.amdhsa_user_sgpr_dispatch_ptr 0
		.amdhsa_user_sgpr_queue_ptr 0
		.amdhsa_user_sgpr_kernarg_segment_ptr 1
		.amdhsa_user_sgpr_dispatch_id 0
		.amdhsa_user_sgpr_kernarg_preload_length 0
		.amdhsa_user_sgpr_kernarg_preload_offset 0
		.amdhsa_user_sgpr_private_segment_size 0
		.amdhsa_uses_dynamic_stack 0
		.amdhsa_enable_private_segment 0
		.amdhsa_system_sgpr_workgroup_id_x 1
		.amdhsa_system_sgpr_workgroup_id_y 0
		.amdhsa_system_sgpr_workgroup_id_z 1
		.amdhsa_system_sgpr_workgroup_info 0
		.amdhsa_system_vgpr_workitem_id 0
		.amdhsa_next_free_vgpr 57
		.amdhsa_next_free_sgpr 28
		.amdhsa_accum_offset 60
		.amdhsa_reserve_vcc 1
		.amdhsa_float_round_mode_32 0
		.amdhsa_float_round_mode_16_64 0
		.amdhsa_float_denorm_mode_32 3
		.amdhsa_float_denorm_mode_16_64 3
		.amdhsa_dx10_clamp 1
		.amdhsa_ieee_mode 1
		.amdhsa_fp16_overflow 0
		.amdhsa_tg_split 0
		.amdhsa_exception_fp_ieee_invalid_op 0
		.amdhsa_exception_fp_denorm_src 0
		.amdhsa_exception_fp_ieee_div_zero 0
		.amdhsa_exception_fp_ieee_overflow 0
		.amdhsa_exception_fp_ieee_underflow 0
		.amdhsa_exception_fp_ieee_inexact 0
		.amdhsa_exception_int_div_zero 0
	.end_amdhsa_kernel
	.section	.text._ZL38rocblas_trsm_small_left_device_sharedBILi8ELi8ELb1E19rocblas_complex_numIfES1_PKPKS1_PKPS1_Ev13rocblas_fill_18rocblas_operation_17rocblas_diagonal_iiT3_T4_lilT5_lili,"axG",@progbits,_ZL38rocblas_trsm_small_left_device_sharedBILi8ELi8ELb1E19rocblas_complex_numIfES1_PKPKS1_PKPS1_Ev13rocblas_fill_18rocblas_operation_17rocblas_diagonal_iiT3_T4_lilT5_lili,comdat
.Lfunc_end140:
	.size	_ZL38rocblas_trsm_small_left_device_sharedBILi8ELi8ELb1E19rocblas_complex_numIfES1_PKPKS1_PKPS1_Ev13rocblas_fill_18rocblas_operation_17rocblas_diagonal_iiT3_T4_lilT5_lili, .Lfunc_end140-_ZL38rocblas_trsm_small_left_device_sharedBILi8ELi8ELb1E19rocblas_complex_numIfES1_PKPKS1_PKPS1_Ev13rocblas_fill_18rocblas_operation_17rocblas_diagonal_iiT3_T4_lilT5_lili
                                        ; -- End function
	.set _ZL38rocblas_trsm_small_left_device_sharedBILi8ELi8ELb1E19rocblas_complex_numIfES1_PKPKS1_PKPS1_Ev13rocblas_fill_18rocblas_operation_17rocblas_diagonal_iiT3_T4_lilT5_lili.num_vgpr, 57
	.set _ZL38rocblas_trsm_small_left_device_sharedBILi8ELi8ELb1E19rocblas_complex_numIfES1_PKPKS1_PKPS1_Ev13rocblas_fill_18rocblas_operation_17rocblas_diagonal_iiT3_T4_lilT5_lili.num_agpr, 0
	.set _ZL38rocblas_trsm_small_left_device_sharedBILi8ELi8ELb1E19rocblas_complex_numIfES1_PKPKS1_PKPS1_Ev13rocblas_fill_18rocblas_operation_17rocblas_diagonal_iiT3_T4_lilT5_lili.numbered_sgpr, 28
	.set _ZL38rocblas_trsm_small_left_device_sharedBILi8ELi8ELb1E19rocblas_complex_numIfES1_PKPKS1_PKPS1_Ev13rocblas_fill_18rocblas_operation_17rocblas_diagonal_iiT3_T4_lilT5_lili.num_named_barrier, 0
	.set _ZL38rocblas_trsm_small_left_device_sharedBILi8ELi8ELb1E19rocblas_complex_numIfES1_PKPKS1_PKPS1_Ev13rocblas_fill_18rocblas_operation_17rocblas_diagonal_iiT3_T4_lilT5_lili.private_seg_size, 0
	.set _ZL38rocblas_trsm_small_left_device_sharedBILi8ELi8ELb1E19rocblas_complex_numIfES1_PKPKS1_PKPS1_Ev13rocblas_fill_18rocblas_operation_17rocblas_diagonal_iiT3_T4_lilT5_lili.uses_vcc, 1
	.set _ZL38rocblas_trsm_small_left_device_sharedBILi8ELi8ELb1E19rocblas_complex_numIfES1_PKPKS1_PKPS1_Ev13rocblas_fill_18rocblas_operation_17rocblas_diagonal_iiT3_T4_lilT5_lili.uses_flat_scratch, 0
	.set _ZL38rocblas_trsm_small_left_device_sharedBILi8ELi8ELb1E19rocblas_complex_numIfES1_PKPKS1_PKPS1_Ev13rocblas_fill_18rocblas_operation_17rocblas_diagonal_iiT3_T4_lilT5_lili.has_dyn_sized_stack, 0
	.set _ZL38rocblas_trsm_small_left_device_sharedBILi8ELi8ELb1E19rocblas_complex_numIfES1_PKPKS1_PKPS1_Ev13rocblas_fill_18rocblas_operation_17rocblas_diagonal_iiT3_T4_lilT5_lili.has_recursion, 0
	.set _ZL38rocblas_trsm_small_left_device_sharedBILi8ELi8ELb1E19rocblas_complex_numIfES1_PKPKS1_PKPS1_Ev13rocblas_fill_18rocblas_operation_17rocblas_diagonal_iiT3_T4_lilT5_lili.has_indirect_call, 0
	.section	.AMDGPU.csdata,"",@progbits
; Kernel info:
; codeLenInByte = 6124
; TotalNumSgprs: 34
; NumVgprs: 57
; NumAgprs: 0
; TotalNumVgprs: 57
; ScratchSize: 0
; MemoryBound: 0
; FloatMode: 240
; IeeeMode: 1
; LDSByteSize: 1024 bytes/workgroup (compile time only)
; SGPRBlocks: 4
; VGPRBlocks: 7
; NumSGPRsForWavesPerEU: 34
; NumVGPRsForWavesPerEU: 57
; AccumOffset: 60
; Occupancy: 8
; WaveLimiterHint : 0
; COMPUTE_PGM_RSRC2:SCRATCH_EN: 0
; COMPUTE_PGM_RSRC2:USER_SGPR: 2
; COMPUTE_PGM_RSRC2:TRAP_HANDLER: 0
; COMPUTE_PGM_RSRC2:TGID_X_EN: 1
; COMPUTE_PGM_RSRC2:TGID_Y_EN: 0
; COMPUTE_PGM_RSRC2:TGID_Z_EN: 1
; COMPUTE_PGM_RSRC2:TIDIG_COMP_CNT: 0
; COMPUTE_PGM_RSRC3_GFX90A:ACCUM_OFFSET: 14
; COMPUTE_PGM_RSRC3_GFX90A:TG_SPLIT: 0
	.section	.text._ZL30rocblas_trsm_small_left_deviceILi8ELi8ELb1E19rocblas_complex_numIfES1_PKPKS1_PKPS1_Ev13rocblas_fill_18rocblas_operation_17rocblas_diagonal_iiT3_T4_lilT5_lili,"axG",@progbits,_ZL30rocblas_trsm_small_left_deviceILi8ELi8ELb1E19rocblas_complex_numIfES1_PKPKS1_PKPS1_Ev13rocblas_fill_18rocblas_operation_17rocblas_diagonal_iiT3_T4_lilT5_lili,comdat
	.globl	_ZL30rocblas_trsm_small_left_deviceILi8ELi8ELb1E19rocblas_complex_numIfES1_PKPKS1_PKPS1_Ev13rocblas_fill_18rocblas_operation_17rocblas_diagonal_iiT3_T4_lilT5_lili ; -- Begin function _ZL30rocblas_trsm_small_left_deviceILi8ELi8ELb1E19rocblas_complex_numIfES1_PKPKS1_PKPS1_Ev13rocblas_fill_18rocblas_operation_17rocblas_diagonal_iiT3_T4_lilT5_lili
	.p2align	8
	.type	_ZL30rocblas_trsm_small_left_deviceILi8ELi8ELb1E19rocblas_complex_numIfES1_PKPKS1_PKPS1_Ev13rocblas_fill_18rocblas_operation_17rocblas_diagonal_iiT3_T4_lilT5_lili,@function
_ZL30rocblas_trsm_small_left_deviceILi8ELi8ELb1E19rocblas_complex_numIfES1_PKPKS1_PKPS1_Ev13rocblas_fill_18rocblas_operation_17rocblas_diagonal_iiT3_T4_lilT5_lili: ; @_ZL30rocblas_trsm_small_left_deviceILi8ELi8ELb1E19rocblas_complex_numIfES1_PKPKS1_PKPS1_Ev13rocblas_fill_18rocblas_operation_17rocblas_diagonal_iiT3_T4_lilT5_lili
; %bb.0:
	s_load_dwordx4 s[12:15], s[2:3], 0x40
	s_load_dwordx4 s[8:11], s[2:3], 0x4
	s_load_dwordx2 s[6:7], s[2:3], 0x14
	s_mov_b32 s16, s5
	s_mov_b32 s17, 0
	s_lshl_b64 s[20:21], s[16:17], 3
	s_waitcnt lgkmcnt(0)
	s_add_u32 s12, s12, s20
	s_addc_u32 s13, s13, s21
	s_load_dword s5, s[2:3], 0x68
	v_and_b32_e32 v1, 0x3ff, v0
	s_load_dwordx2 s[12:13], s[12:13], 0x0
	s_min_i32 s30, s10, 8
	v_cmp_gt_i32_e32 vcc, s30, v1
	s_and_saveexec_b64 s[16:17], vcc
	s_cbranch_execz .LBB141_15
; %bb.1:
	s_load_dword s22, s[2:3], 0x30
	s_load_dwordx4 s[24:27], s[2:3], 0x20
	v_lshlrev_b32_e32 v2, 3, v1
	v_mov_b32_e32 v3, 0
	v_mov_b32_e32 v8, v2
	s_waitcnt lgkmcnt(0)
	s_ashr_i32 s23, s22, 31
	s_cmpk_lg_i32 s8, 0x71
	s_cselect_b64 s[18:19], -1, 0
	s_add_u32 s20, s24, s20
	s_addc_u32 s21, s25, s21
	s_load_dwordx2 s[20:21], s[20:21], 0x0
	s_lshl_b64 s[24:25], s[26:27], 3
	s_mov_b32 s10, s30
	s_waitcnt lgkmcnt(0)
	s_add_u32 s24, s20, s24
	s_addc_u32 s25, s21, s25
	s_lshl_b64 s[20:21], s[22:23], 3
	v_lshl_add_u64 v[4:5], s[24:25], 0, v[2:3]
	s_branch .LBB141_3
.LBB141_2:                              ;   in Loop: Header=BB141_3 Depth=1
	flat_load_dword v6, v[4:5]
	s_add_i32 s10, s10, -1
	v_lshl_add_u64 v[4:5], v[4:5], 0, s[20:21]
	s_cmp_eq_u32 s10, 0
	s_waitcnt vmcnt(0) lgkmcnt(0)
	ds_write_b64 v8, v[6:7]
	v_add_u32_e32 v8, 64, v8
	s_cbranch_scc1 .LBB141_7
.LBB141_3:                              ; =>This Inner Loop Header: Depth=1
	s_mov_b64 s[22:23], -1
	s_and_b64 vcc, exec, s[18:19]
                                        ; implicit-def: $vgpr7
	s_cbranch_vccz .LBB141_5
; %bb.4:                                ;   in Loop: Header=BB141_3 Depth=1
	flat_load_dword v7, v[4:5] offset:4
	s_mov_b64 s[22:23], 0
.LBB141_5:                              ;   in Loop: Header=BB141_3 Depth=1
	s_andn2_b64 vcc, exec, s[22:23]
	s_cbranch_vccnz .LBB141_2
; %bb.6:                                ;   in Loop: Header=BB141_3 Depth=1
	flat_load_dword v3, v[4:5] offset:4
	s_waitcnt vmcnt(0) lgkmcnt(0)
	v_xor_b32_e32 v7, 0x80000000, v3
	s_branch .LBB141_2
.LBB141_7:
	s_cmpk_lg_i32 s9, 0x84
	v_lshlrev_b32_e32 v3, 6, v1
	s_mov_b64 s[18:19], -1
	s_cbranch_scc0 .LBB141_13
; %bb.8:
	v_add_u32_e32 v8, v2, v3
	ds_read_b64 v[4:5], v8
                                        ; implicit-def: $vgpr6_vgpr7
	s_waitcnt lgkmcnt(0)
	v_cmp_ngt_f32_e64 s[18:19], |v4|, |v5|
	s_and_saveexec_b64 s[20:21], s[18:19]
	s_xor_b64 s[18:19], exec, s[20:21]
	s_cbranch_execz .LBB141_10
; %bb.9:
	v_div_scale_f32 v6, s[20:21], v5, v5, v4
	v_rcp_f32_e32 v7, v6
	v_div_scale_f32 v9, vcc, v4, v5, v4
	v_fma_f32 v10, -v6, v7, 1.0
	v_fmac_f32_e32 v7, v10, v7
	v_mul_f32_e32 v10, v9, v7
	v_fma_f32 v11, -v6, v10, v9
	v_fmac_f32_e32 v10, v11, v7
	v_fma_f32 v6, -v6, v10, v9
	v_div_fmas_f32 v6, v6, v7, v10
	v_div_fixup_f32 v6, v6, v5, v4
	v_fmac_f32_e32 v5, v4, v6
	v_div_scale_f32 v4, s[20:21], v5, v5, 1.0
	v_rcp_f32_e32 v7, v4
	s_mov_b32 s20, 0
	s_mov_b32 s21, -1.0
	v_fma_f32 v9, -v4, v7, 1.0
	v_fmac_f32_e32 v7, v9, v7
	v_div_scale_f32 v9, vcc, 1.0, v5, 1.0
	v_mul_f32_e32 v10, v9, v7
	v_fma_f32 v11, -v4, v10, v9
	v_fmac_f32_e32 v10, v11, v7
	v_fma_f32 v4, -v4, v10, v9
	v_div_fmas_f32 v4, v4, v7, v10
	v_mul_f32_e32 v7, 0, v6
	v_div_fixup_f32 v4, v4, v5, 1.0
	v_pk_add_f32 v[6:7], v[6:7], s[20:21]
	s_nop 0
	v_pk_mul_f32 v[6:7], v[6:7], v[4:5] op_sel_hi:[1,0]
                                        ; implicit-def: $vgpr4_vgpr5
.LBB141_10:
	s_andn2_saveexec_b64 s[18:19], s[18:19]
	s_cbranch_execz .LBB141_12
; %bb.11:
	v_div_scale_f32 v6, s[20:21], v4, v4, v5
	v_rcp_f32_e32 v7, v6
	v_div_scale_f32 v9, vcc, v5, v4, v5
	v_fma_f32 v10, -v6, v7, 1.0
	v_fmac_f32_e32 v7, v10, v7
	v_mul_f32_e32 v10, v9, v7
	v_fma_f32 v11, -v6, v10, v9
	v_fmac_f32_e32 v10, v11, v7
	v_fma_f32 v6, -v6, v10, v9
	v_div_fmas_f32 v6, v6, v7, v10
	v_div_fixup_f32 v7, v6, v4, v5
	v_fmac_f32_e32 v4, v5, v7
	v_div_scale_f32 v5, s[20:21], v4, v4, 1.0
	v_rcp_f32_e32 v6, v5
	s_nop 0
	v_fma_f32 v9, -v5, v6, 1.0
	v_fmac_f32_e32 v6, v9, v6
	v_div_scale_f32 v9, vcc, 1.0, v4, 1.0
	v_mul_f32_e32 v10, v9, v6
	v_fma_f32 v11, -v5, v10, v9
	v_fmac_f32_e32 v10, v11, v6
	v_fma_f32 v5, -v5, v10, v9
	v_div_fmas_f32 v5, v5, v6, v10
	v_div_fixup_f32 v4, v5, v4, 1.0
	v_mul_f32_e32 v5, 0, v7
	v_add_f32_e32 v6, 1.0, v5
	v_sub_f32_e32 v7, 0, v7
	v_pk_mul_f32 v[6:7], v[6:7], v[4:5] op_sel_hi:[1,0]
.LBB141_12:
	s_or_b64 exec, exec, s[18:19]
	s_mov_b64 s[18:19], 0
	ds_write_b64 v8, v[6:7]
.LBB141_13:
	s_and_b64 vcc, exec, s[18:19]
	s_cbranch_vccz .LBB141_15
; %bb.14:
	v_add_u32_e32 v2, v2, v3
	v_mov_b32_e32 v4, 1.0
	v_mov_b32_e32 v5, 0
	ds_write_b64 v2, v[4:5]
.LBB141_15:
	s_or_b64 exec, exec, s[16:17]
	s_waitcnt lgkmcnt(0)
	s_add_i32 s9, s5, -1
	s_lshl_b32 s5, s4, 3
	s_sub_i32 s10, s11, s5
	s_cmp_ge_u32 s4, s9
	s_cselect_b32 s4, s10, 8
	v_cmp_gt_i32_e32 vcc, s4, v1
	; wave barrier
	s_and_saveexec_b64 s[10:11], vcc
	s_cbranch_execz .LBB141_83
; %bb.16:
	s_load_dwordx2 s[10:11], s[0:1], 0x4
	s_load_dword s4, s[2:3], 0x50
	v_bfe_u32 v2, v0, 10, 10
	v_bfe_u32 v0, v0, 20, 10
	s_lshl_b64 s[2:3], s[14:15], 3
	s_waitcnt lgkmcnt(0)
	s_lshr_b32 s0, s10, 16
	s_mul_i32 s0, s0, s11
	v_mul_u32_u24_e32 v2, s11, v2
	v_mul_u32_u24_e32 v3, s0, v1
	v_add3_u32 v15, v3, v2, v0
	s_add_u32 s0, s12, s2
	v_add_u32_e32 v0, s5, v1
	v_mov_b32_e32 v6, 0x200
	s_addc_u32 s1, s13, s3
	v_mad_i64_i32 v[2:3], s[4:5], s4, v0, 0
	v_lshl_add_u32 v14, v15, 6, v6
	v_lshl_add_u64 v[0:1], v[2:3], 3, s[0:1]
	s_cmpk_eq_i32 s8, 0x6f
	s_mov_b64 s[0:1], -1
	s_cbranch_scc1 .LBB141_50
; %bb.17:
	s_add_i32 s31, s30, -1
	s_add_u32 s0, s12, s2
	s_addc_u32 s1, s13, s3
	s_lshl_b32 s33, s30, 3
	s_mov_b32 s15, 0
	s_mov_b32 s4, s6
	;; [unrolled: 1-line block ×7, first 2 shown]
	v_lshl_add_u64 v[4:5], v[2:3], 3, s[0:1]
	v_lshl_add_u32 v16, v15, 6, v6
	s_add_i32 s33, s33, -8
	s_mov_b32 s16, s15
	s_mov_b32 s18, s31
	s_branch .LBB141_19
.LBB141_18:                             ;   in Loop: Header=BB141_19 Depth=1
	s_cmp_lt_i32 s18, 0
	s_cselect_b64 s[0:1], -1, 0
	s_add_i32 s16, s16, 1
	s_cmp_eq_u32 s16, 3
	s_cselect_b64 s[20:21], -1, 0
	s_or_b64 s[0:1], s[0:1], s[20:21]
	s_andn2_b64 vcc, exec, s[0:1]
	s_cbranch_vccz .LBB141_49
.LBB141_19:                             ; =>This Loop Header: Depth=1
                                        ;     Child Loop BB141_22 Depth 2
                                        ;       Child Loop BB141_24 Depth 3
                                        ;       Child Loop BB141_28 Depth 3
	;; [unrolled: 1-line block ×3, first 2 shown]
                                        ;         Child Loop BB141_34 Depth 4
                                        ;         Child Loop BB141_40 Depth 4
                                        ;       Child Loop BB141_43 Depth 3
                                        ;         Child Loop BB141_45 Depth 4
	s_mov_b32 s17, s15
	s_lshl_b64 s[0:1], s[16:17], 2
	s_getpc_b64 s[20:21]
	s_add_u32 s20, s20, __const._ZL30rocblas_trsm_small_left_deviceILi8ELi8ELb1E19rocblas_complex_numIfES1_PKPKS1_PKPS1_Ev13rocblas_fill_18rocblas_operation_17rocblas_diagonal_iiT3_T4_lilT5_lili.step_sizes@rel32@lo+4
	s_addc_u32 s21, s21, __const._ZL30rocblas_trsm_small_left_deviceILi8ELi8ELb1E19rocblas_complex_numIfES1_PKPKS1_PKPS1_Ev13rocblas_fill_18rocblas_operation_17rocblas_diagonal_iiT3_T4_lilT5_lili.step_sizes@rel32@hi+12
	s_add_u32 s0, s20, s0
	s_addc_u32 s1, s21, s1
	s_load_dword s17, s[0:1], 0x0
	s_waitcnt lgkmcnt(0)
	s_add_i32 s34, s17, -1
	s_cmp_lt_i32 s18, s34
	s_cbranch_scc1 .LBB141_18
; %bb.20:                               ;   in Loop: Header=BB141_19 Depth=1
	s_max_i32 s35, s17, 1
	s_cmp_lg_u32 s16, 2
	s_cselect_b64 s[20:21], -1, 0
	s_and_b32 s36, s35, 0x7ffffffe
	s_cmp_lg_u32 s35, s36
	s_cselect_b64 s[22:23], -1, 0
	s_lshl_b32 s0, s18, 6
	s_add_i32 s37, s33, s0
	s_lshl_b32 s0, s17, 6
	v_cndmask_b32_e64 v6, 0, 1, s[20:21]
	s_sub_i32 s38, 0, s0
	s_mul_i32 s39, s18, 0x48
	s_mul_i32 s40, s17, 0xffffffb8
	v_cmp_ne_u32_e64 s[0:1], 1, v6
	s_branch .LBB141_22
.LBB141_21:                             ;   in Loop: Header=BB141_22 Depth=2
	s_sub_i32 s18, s18, s17
	s_add_i32 s37, s37, s38
	s_add_i32 s39, s39, s40
	s_cmp_lt_i32 s18, s34
	s_cbranch_scc1 .LBB141_18
.LBB141_22:                             ;   Parent Loop BB141_19 Depth=1
                                        ; =>  This Loop Header: Depth=2
                                        ;       Child Loop BB141_24 Depth 3
                                        ;       Child Loop BB141_28 Depth 3
                                        ;       Child Loop BB141_32 Depth 3
                                        ;         Child Loop BB141_34 Depth 4
                                        ;         Child Loop BB141_40 Depth 4
                                        ;       Child Loop BB141_43 Depth 3
                                        ;         Child Loop BB141_45 Depth 4
	s_and_b64 vcc, exec, s[0:1]
	s_cbranch_vccnz .LBB141_26
; %bb.23:                               ;   in Loop: Header=BB141_22 Depth=2
	s_mov_b32 s19, s18
	s_mov_b32 s26, 1
	;; [unrolled: 1-line block ×4, first 2 shown]
	v_mov_b32_e32 v6, v14
.LBB141_24:                             ;   Parent Loop BB141_19 Depth=1
                                        ;     Parent Loop BB141_22 Depth=2
                                        ; =>    This Inner Loop Header: Depth=3
	s_sub_i32 s24, s18, s27
	s_sub_i32 s42, s19, s26
	s_ashr_i32 s25, s24, 31
	s_ashr_i32 s43, s42, 31
	v_lshl_add_u64 v[8:9], s[24:25], 3, v[0:1]
	v_lshl_add_u64 v[10:11], s[42:43], 3, v[0:1]
	flat_load_dwordx2 v[18:19], v[8:9]
	flat_load_dwordx2 v[12:13], v[10:11]
	s_add_i32 s27, s27, 2
	s_add_i32 s26, s26, 2
	s_add_i32 s28, s28, -2
	s_mov_b32 s14, s36
	s_mov_b64 s[24:25], s[22:23]
	s_cmp_lg_u32 s28, 0
	s_waitcnt vmcnt(0) lgkmcnt(0)
	v_mov_b32_e32 v8, v18
	v_mov_b32_e32 v9, v12
	;; [unrolled: 1-line block ×3, first 2 shown]
	v_pk_mul_f32 v[10:11], v[12:13], s[8:9]
	v_pk_mul_f32 v[12:13], v[12:13], s[4:5]
	v_pk_fma_f32 v[18:19], v[8:9], s[4:5], v[10:11] neg_lo:[0,0,1] neg_hi:[0,0,1]
	v_pk_fma_f32 v[10:11], v[8:9], s[8:9], v[12:13]
	v_mov_b32_e32 v8, v18
	v_mov_b32_e32 v9, v10
	;; [unrolled: 1-line block ×3, first 2 shown]
	ds_write_b128 v6, v[8:11]
	v_add_u32_e32 v6, 16, v6
	s_cbranch_scc1 .LBB141_24
; %bb.25:                               ;   in Loop: Header=BB141_22 Depth=2
	s_ashr_i32 s19, s18, 31
	s_and_b64 vcc, exec, s[24:25]
	s_cbranch_vccnz .LBB141_27
	s_branch .LBB141_29
.LBB141_26:                             ;   in Loop: Header=BB141_22 Depth=2
	s_mov_b32 s14, 0
	s_ashr_i32 s19, s18, 31
	s_cbranch_execz .LBB141_29
.LBB141_27:                             ;   in Loop: Header=BB141_22 Depth=2
	s_lshl_b64 s[26:27], s[18:19], 3
	s_sub_i32 s24, s35, s14
	s_lshl_b64 s[28:29], s[14:15], 3
	s_sub_u32 s26, s26, s28
	s_subb_u32 s27, s27, s29
	v_lshl_add_u64 v[6:7], v[4:5], 0, s[26:27]
	v_lshl_add_u32 v8, s14, 3, v16
.LBB141_28:                             ;   Parent Loop BB141_19 Depth=1
                                        ;     Parent Loop BB141_22 Depth=2
                                        ; =>    This Inner Loop Header: Depth=3
	flat_load_dwordx2 v[10:11], v[6:7]
	s_add_i32 s24, s24, -1
	v_lshl_add_u64 v[6:7], v[6:7], 0, -8
	s_cmp_eq_u32 s24, 0
	s_waitcnt vmcnt(0) lgkmcnt(0)
	v_pk_mul_f32 v[12:13], v[10:11], s[10:11] op_sel:[1,0]
	s_nop 0
	v_pk_fma_f32 v[18:19], v[10:11], s[6:7], v[12:13] neg_lo:[0,0,1] neg_hi:[0,0,1]
	v_pk_fma_f32 v[10:11], v[10:11], s[6:7], v[12:13] op_sel_hi:[0,1,1]
	v_mov_b32_e32 v19, v11
	ds_write_b64 v8, v[18:19]
	v_add_u32_e32 v8, 8, v8
	s_cbranch_scc0 .LBB141_28
.LBB141_29:                             ;   in Loop: Header=BB141_22 Depth=2
	s_cmp_le_i32 s31, s18
	s_cbranch_scc1 .LBB141_41
; %bb.30:                               ;   in Loop: Header=BB141_22 Depth=2
	s_mov_b32 s14, s18
	s_mov_b32 s41, s18
	;; [unrolled: 1-line block ×4, first 2 shown]
	s_branch .LBB141_32
.LBB141_31:                             ;   in Loop: Header=BB141_32 Depth=3
	s_add_i32 s24, s24, -1
	s_add_i32 s42, s42, -8
	s_cmp_le_i32 s24, s18
	s_cbranch_scc1 .LBB141_41
.LBB141_32:                             ;   Parent Loop BB141_19 Depth=1
                                        ;     Parent Loop BB141_22 Depth=2
                                        ; =>    This Loop Header: Depth=3
                                        ;         Child Loop BB141_34 Depth 4
                                        ;         Child Loop BB141_40 Depth 4
	s_ashr_i32 s25, s24, 31
	v_lshl_add_u64 v[6:7], s[24:25], 3, v[0:1]
	flat_load_dwordx2 v[6:7], v[6:7]
	s_and_b64 vcc, exec, s[20:21]
	s_cbranch_vccz .LBB141_36
; %bb.33:                               ;   in Loop: Header=BB141_32 Depth=3
	s_lshl_b32 s25, s24, 3
	s_waitcnt vmcnt(0) lgkmcnt(0)
	v_mov_b32_e32 v10, v6
	v_mov_b32_e32 v11, v6
	;; [unrolled: 1-line block ×5, first 2 shown]
	s_mov_b32 s26, 1
	s_mov_b32 s27, 0
	s_mov_b32 s28, s36
	v_mov_b32_e32 v9, v14
.LBB141_34:                             ;   Parent Loop BB141_19 Depth=1
                                        ;     Parent Loop BB141_22 Depth=2
                                        ;       Parent Loop BB141_32 Depth=3
                                        ; =>      This Inner Loop Header: Depth=4
	s_sub_i32 s29, s14, s27
	s_sub_i32 s43, s41, s26
	s_lshl_b32 s43, s43, 6
	s_lshl_b32 s29, s29, 6
	s_add_i32 s29, s25, s29
	s_add_i32 s43, s25, s43
	v_mov_b32_e32 v17, s29
	v_mov_b32_e32 v22, s43
	ds_read_b128 v[18:21], v9
	ds_read_b64 v[26:27], v17
	ds_read_b64 v[22:23], v22
	s_add_i32 s27, s27, 2
	s_add_i32 s26, s26, 2
	s_add_i32 s28, s28, -2
	s_waitcnt lgkmcnt(2)
	v_mov_b32_e32 v25, v20
	v_mov_b32_e32 v20, v19
	s_waitcnt lgkmcnt(0)
	v_mov_b32_e32 v19, v22
	v_mov_b32_e32 v22, v27
	;; [unrolled: 1-line block ×4, first 2 shown]
	v_pk_mul_f32 v[26:27], v[22:23], v[12:13]
	v_pk_mul_f32 v[22:23], v[22:23], v[10:11]
	v_pk_fma_f32 v[26:27], v[18:19], v[10:11], v[26:27] neg_lo:[0,0,1] neg_hi:[0,0,1]
	v_pk_fma_f32 v[18:19], v[18:19], v[12:13], v[22:23]
	v_pk_add_f32 v[22:23], v[24:25], v[26:27] neg_lo:[0,1] neg_hi:[0,1]
	v_pk_add_f32 v[20:21], v[20:21], v[18:19] neg_lo:[0,1] neg_hi:[0,1]
	v_mov_b32_e32 v18, v22
	v_mov_b32_e32 v19, v20
	;; [unrolled: 1-line block ×3, first 2 shown]
	s_cmp_lg_u32 s28, 0
	ds_write_b128 v9, v[18:21]
	v_add_u32_e32 v9, 16, v9
	s_cbranch_scc1 .LBB141_34
; %bb.35:                               ;   in Loop: Header=BB141_32 Depth=3
	s_mov_b64 s[26:27], s[22:23]
	s_mov_b32 s28, s36
	s_branch .LBB141_38
.LBB141_36:                             ;   in Loop: Header=BB141_32 Depth=3
	s_waitcnt vmcnt(0) lgkmcnt(0)
	v_mov_b32_e32 v8, v7
	s_mov_b64 s[26:27], 0
	s_mov_b32 s28, s36
	s_cbranch_execz .LBB141_38
; %bb.37:                               ;   in Loop: Header=BB141_32 Depth=3
	s_mov_b64 s[26:27], -1
	s_mov_b32 s28, 0
.LBB141_38:                             ;   in Loop: Header=BB141_32 Depth=3
	s_andn2_b64 vcc, exec, s[26:27]
	s_cbranch_vccnz .LBB141_31
; %bb.39:                               ;   in Loop: Header=BB141_32 Depth=3
	s_lshl_b32 s26, s28, 6
	v_mov_b32_e32 v9, v7
	v_mov_b32_e32 v7, v6
	s_sub_i32 s25, s35, s28
	s_sub_i32 s26, s42, s26
	v_lshl_add_u32 v10, s28, 3, v16
.LBB141_40:                             ;   Parent Loop BB141_19 Depth=1
                                        ;     Parent Loop BB141_22 Depth=2
                                        ;       Parent Loop BB141_32 Depth=3
                                        ; =>      This Inner Loop Header: Depth=4
	v_mov_b32_e32 v11, s26
	ds_read_b64 v[18:19], v11
	ds_read_b64 v[12:13], v10
	s_add_i32 s25, s25, -1
	s_sub_i32 s26, s26, 64
	s_cmp_eq_u32 s25, 0
	s_waitcnt lgkmcnt(1)
	v_pk_mul_f32 v[20:21], v[18:19], v[8:9] op_sel:[1,0] op_sel_hi:[0,1]
	v_pk_fma_f32 v[22:23], v[18:19], v[6:7], v[20:21] neg_lo:[0,0,1] neg_hi:[0,0,1]
	v_pk_fma_f32 v[18:19], v[18:19], v[6:7], v[20:21]
	s_nop 0
	v_mov_b32_e32 v23, v19
	s_waitcnt lgkmcnt(0)
	v_pk_add_f32 v[12:13], v[12:13], v[22:23] neg_lo:[0,1] neg_hi:[0,1]
	ds_write_b64 v10, v[12:13]
	v_add_u32_e32 v10, 8, v10
	s_cbranch_scc0 .LBB141_40
	s_branch .LBB141_31
.LBB141_41:                             ;   in Loop: Header=BB141_22 Depth=2
	s_mov_b32 s14, 0
	s_mov_b32 s41, s39
	s_branch .LBB141_43
.LBB141_42:                             ;   in Loop: Header=BB141_43 Depth=3
	s_mulk_i32 s26, 0x48
	v_mov_b32_e32 v7, s26
	ds_read_b64 v[10:11], v7
	s_add_i32 s14, s14, 1
	s_sub_i32 s41, s41, 64
	v_lshl_add_u64 v[12:13], s[24:25], 3, v[0:1]
	s_cmp_eq_u32 s14, s35
	s_waitcnt lgkmcnt(0)
	v_pk_mul_f32 v[18:19], v[10:11], v[8:9] op_sel:[1,0] op_sel_hi:[0,0]
	v_pk_fma_f32 v[20:21], v[10:11], v[6:7], v[18:19] neg_lo:[0,0,1] neg_hi:[0,0,1]
	v_pk_fma_f32 v[6:7], v[10:11], v[6:7], v[18:19] op_sel_hi:[1,0,1]
	s_nop 0
	v_mov_b32_e32 v21, v7
	ds_write_b64 v9, v[20:21]
	flat_store_dwordx2 v[12:13], v[20:21]
	s_cbranch_scc1 .LBB141_21
.LBB141_43:                             ;   Parent Loop BB141_19 Depth=1
                                        ;     Parent Loop BB141_22 Depth=2
                                        ; =>    This Loop Header: Depth=3
                                        ;         Child Loop BB141_45 Depth 4
	s_cmp_lg_u32 s14, 0
	v_lshl_add_u32 v9, s14, 3, v14
	s_cbranch_scc0 .LBB141_47
; %bb.44:                               ;   in Loop: Header=BB141_43 Depth=3
	ds_read_b64 v[6:7], v9
	v_mov_b32_e32 v8, v14
	s_mov_b32 s24, s41
	s_mov_b32 s25, s14
.LBB141_45:                             ;   Parent Loop BB141_19 Depth=1
                                        ;     Parent Loop BB141_22 Depth=2
                                        ;       Parent Loop BB141_43 Depth=3
                                        ; =>      This Inner Loop Header: Depth=4
	v_mov_b32_e32 v12, s24
	ds_read_b64 v[10:11], v8
	ds_read_b64 v[12:13], v12
	s_add_i32 s25, s25, -1
	s_add_i32 s24, s24, -8
	v_add_u32_e32 v8, 8, v8
	s_cmp_eq_u32 s25, 0
	s_waitcnt lgkmcnt(0)
	v_pk_mul_f32 v[18:19], v[12:13], v[10:11] op_sel:[1,1] op_sel_hi:[0,1]
	v_pk_fma_f32 v[20:21], v[12:13], v[10:11], v[18:19] neg_lo:[0,0,1] neg_hi:[0,0,1]
	v_pk_fma_f32 v[10:11], v[12:13], v[10:11], v[18:19] op_sel_hi:[1,0,1]
	s_nop 0
	v_mov_b32_e32 v21, v11
	v_pk_add_f32 v[6:7], v[6:7], v[20:21] neg_lo:[0,1] neg_hi:[0,1]
	ds_write_b64 v9, v[6:7]
	s_cbranch_scc0 .LBB141_45
; %bb.46:                               ;   in Loop: Header=BB141_43 Depth=3
	s_sub_i32 s26, s18, s14
	s_ashr_i32 s27, s26, 31
	v_mov_b32_e32 v8, v7
	s_mov_b64 s[24:25], s[26:27]
	s_branch .LBB141_42
.LBB141_47:                             ;   in Loop: Header=BB141_43 Depth=3
                                        ; implicit-def: $vgpr6
                                        ; implicit-def: $vgpr8
                                        ; implicit-def: $sgpr26
                                        ; implicit-def: $sgpr24_sgpr25
	s_cbranch_execz .LBB141_42
; %bb.48:                               ;   in Loop: Header=BB141_43 Depth=3
	ds_read_b64 v[6:7], v14
	s_mov_b64 s[24:25], s[18:19]
	s_mov_b32 s26, s18
	s_waitcnt lgkmcnt(0)
	v_mov_b32_e32 v8, v7
	s_branch .LBB141_42
.LBB141_49:
	s_mov_b64 s[0:1], 0
.LBB141_50:
	s_and_b64 vcc, exec, s[0:1]
	s_cbranch_vccz .LBB141_83
; %bb.51:
	s_add_u32 s0, s12, s2
	s_addc_u32 s1, s13, s3
	v_mov_b32_e32 v4, 0x200
	s_mov_b32 s3, 0
	s_mov_b32 s4, s6
	;; [unrolled: 1-line block ×7, first 2 shown]
	v_lshl_add_u64 v[2:3], v[2:3], 3, s[0:1]
	v_lshl_add_u32 v12, v15, 6, v4
	s_mov_b32 s22, s3
	s_mov_b32 s12, s3
	s_branch .LBB141_53
.LBB141_52:                             ;   in Loop: Header=BB141_53 Depth=1
	s_cmp_ge_i32 s22, s30
	s_cselect_b64 s[0:1], -1, 0
	s_add_i32 s12, s12, 1
	s_cmp_eq_u32 s12, 3
	s_cselect_b64 s[14:15], -1, 0
	s_or_b64 s[0:1], s[0:1], s[14:15]
	s_and_b64 vcc, exec, s[0:1]
	s_cbranch_vccnz .LBB141_83
.LBB141_53:                             ; =>This Loop Header: Depth=1
                                        ;     Child Loop BB141_56 Depth 2
                                        ;       Child Loop BB141_58 Depth 3
                                        ;       Child Loop BB141_62 Depth 3
	;; [unrolled: 1-line block ×3, first 2 shown]
                                        ;         Child Loop BB141_68 Depth 4
                                        ;         Child Loop BB141_74 Depth 4
                                        ;       Child Loop BB141_77 Depth 3
                                        ;         Child Loop BB141_79 Depth 4
	s_mov_b32 s13, s3
	s_lshl_b64 s[0:1], s[12:13], 2
	s_getpc_b64 s[14:15]
	s_add_u32 s14, s14, __const._ZL30rocblas_trsm_small_left_deviceILi8ELi8ELb1E19rocblas_complex_numIfES1_PKPKS1_PKPS1_Ev13rocblas_fill_18rocblas_operation_17rocblas_diagonal_iiT3_T4_lilT5_lili.step_sizes@rel32@lo+4
	s_addc_u32 s15, s15, __const._ZL30rocblas_trsm_small_left_deviceILi8ELi8ELb1E19rocblas_complex_numIfES1_PKPKS1_PKPS1_Ev13rocblas_fill_18rocblas_operation_17rocblas_diagonal_iiT3_T4_lilT5_lili.step_sizes@rel32@hi+12
	s_add_u32 s0, s14, s0
	s_addc_u32 s1, s15, s1
	s_load_dword s13, s[0:1], 0x0
	s_waitcnt lgkmcnt(0)
	s_add_i32 s23, s13, -1
	s_add_i32 s0, s23, s22
	s_cmp_ge_i32 s0, s30
	s_cbranch_scc1 .LBB141_52
; %bb.54:                               ;   in Loop: Header=BB141_53 Depth=1
	s_max_i32 s24, s13, 1
	s_cmp_lg_u32 s12, 2
	s_cselect_b64 s[14:15], -1, 0
	s_and_b32 s25, s24, 0x7ffffffe
	s_cmp_lg_u32 s24, s25
	v_cndmask_b32_e64 v4, 0, 1, s[14:15]
	s_cselect_b64 s[16:17], -1, 0
	s_ashr_i32 s26, s22, 31
	s_ashr_i32 s27, s13, 31
	s_lshl_b32 s28, s22, 3
	s_lshl_b32 s29, s13, 3
	s_mul_i32 s31, s22, 0x48
	s_mul_i32 s33, s13, 0x48
	v_cmp_ne_u32_e64 s[0:1], 1, v4
	s_branch .LBB141_56
.LBB141_55:                             ;   in Loop: Header=BB141_56 Depth=2
	s_add_u32 s22, s22, s13
	s_addc_u32 s26, s26, s27
	s_add_i32 s2, s23, s22
	s_add_i32 s28, s28, s29
	;; [unrolled: 1-line block ×3, first 2 shown]
	s_cmp_ge_i32 s2, s30
	s_cbranch_scc1 .LBB141_52
.LBB141_56:                             ;   Parent Loop BB141_53 Depth=1
                                        ; =>  This Loop Header: Depth=2
                                        ;       Child Loop BB141_58 Depth 3
                                        ;       Child Loop BB141_62 Depth 3
	;; [unrolled: 1-line block ×3, first 2 shown]
                                        ;         Child Loop BB141_68 Depth 4
                                        ;         Child Loop BB141_74 Depth 4
                                        ;       Child Loop BB141_77 Depth 3
                                        ;         Child Loop BB141_79 Depth 4
	s_and_b64 vcc, exec, s[0:1]
	s_cbranch_vccnz .LBB141_60
; %bb.57:                               ;   in Loop: Header=BB141_56 Depth=2
	s_mov_b32 s2, s22
	s_mov_b32 s20, s22
	;; [unrolled: 1-line block ×5, first 2 shown]
	v_mov_b32_e32 v4, v14
.LBB141_58:                             ;   Parent Loop BB141_53 Depth=1
                                        ;     Parent Loop BB141_56 Depth=2
                                        ; =>    This Inner Loop Header: Depth=3
	s_add_i32 s18, s34, s2
	s_add_i32 s36, s21, s20
	s_ashr_i32 s19, s18, 31
	s_ashr_i32 s37, s36, 31
	v_lshl_add_u64 v[6:7], s[18:19], 3, v[0:1]
	v_lshl_add_u64 v[8:9], s[36:37], 3, v[0:1]
	flat_load_dwordx2 v[16:17], v[6:7]
	flat_load_dwordx2 v[10:11], v[8:9]
	s_add_i32 s34, s34, 2
	s_add_i32 s21, s21, 2
	s_add_i32 s35, s35, -2
	s_mov_b32 s36, s25
	s_mov_b64 s[18:19], s[16:17]
	s_cmp_lg_u32 s35, 0
	s_waitcnt vmcnt(0) lgkmcnt(0)
	v_mov_b32_e32 v6, v16
	v_mov_b32_e32 v7, v10
	v_mov_b32_e32 v10, v17
	v_pk_mul_f32 v[8:9], v[10:11], s[8:9]
	v_pk_mul_f32 v[10:11], v[10:11], s[4:5]
	v_pk_fma_f32 v[16:17], v[6:7], s[4:5], v[8:9] neg_lo:[0,0,1] neg_hi:[0,0,1]
	v_pk_fma_f32 v[8:9], v[6:7], s[8:9], v[10:11]
	v_mov_b32_e32 v6, v16
	v_mov_b32_e32 v7, v8
	;; [unrolled: 1-line block ×3, first 2 shown]
	ds_write_b128 v4, v[6:9]
	v_add_u32_e32 v4, 16, v4
	s_cbranch_scc1 .LBB141_58
; %bb.59:                               ;   in Loop: Header=BB141_56 Depth=2
	s_and_b64 vcc, exec, s[18:19]
	s_cbranch_vccnz .LBB141_61
	s_branch .LBB141_63
.LBB141_60:                             ;   in Loop: Header=BB141_56 Depth=2
	s_mov_b32 s36, 0
	s_cbranch_execz .LBB141_63
.LBB141_61:                             ;   in Loop: Header=BB141_56 Depth=2
	s_sub_i32 s2, s24, s36
	s_add_u32 s18, s22, s36
	s_addc_u32 s19, s26, 0
	v_lshl_add_u64 v[4:5], s[18:19], 3, v[2:3]
	v_lshl_add_u32 v6, s36, 3, v12
.LBB141_62:                             ;   Parent Loop BB141_53 Depth=1
                                        ;     Parent Loop BB141_56 Depth=2
                                        ; =>    This Inner Loop Header: Depth=3
	flat_load_dwordx2 v[8:9], v[4:5]
	s_add_i32 s2, s2, -1
	v_lshl_add_u64 v[4:5], v[4:5], 0, 8
	s_cmp_eq_u32 s2, 0
	s_waitcnt vmcnt(0) lgkmcnt(0)
	v_pk_mul_f32 v[10:11], v[8:9], s[10:11] op_sel:[1,0]
	s_nop 0
	v_pk_fma_f32 v[16:17], v[8:9], s[6:7], v[10:11] neg_lo:[0,0,1] neg_hi:[0,0,1]
	v_pk_fma_f32 v[8:9], v[8:9], s[6:7], v[10:11] op_sel_hi:[0,1,1]
	v_mov_b32_e32 v17, v9
	ds_write_b64 v6, v[16:17]
	v_add_u32_e32 v6, 8, v6
	s_cbranch_scc0 .LBB141_62
.LBB141_63:                             ;   in Loop: Header=BB141_56 Depth=2
	s_cmp_lt_i32 s22, 1
	s_cbranch_scc1 .LBB141_75
; %bb.64:                               ;   in Loop: Header=BB141_56 Depth=2
	s_mov_b32 s2, 0
	s_mov_b32 s34, s28
	s_branch .LBB141_66
.LBB141_65:                             ;   in Loop: Header=BB141_66 Depth=3
	s_add_i32 s2, s2, 1
	s_add_i32 s34, s34, 64
	s_cmp_eq_u32 s2, s22
	s_cbranch_scc1 .LBB141_75
.LBB141_66:                             ;   Parent Loop BB141_53 Depth=1
                                        ;     Parent Loop BB141_56 Depth=2
                                        ; =>    This Loop Header: Depth=3
                                        ;         Child Loop BB141_68 Depth 4
                                        ;         Child Loop BB141_74 Depth 4
	v_lshl_add_u64 v[4:5], s[2:3], 3, v[0:1]
	flat_load_dwordx2 v[4:5], v[4:5]
	s_and_b64 vcc, exec, s[14:15]
	s_cbranch_vccz .LBB141_70
; %bb.67:                               ;   in Loop: Header=BB141_66 Depth=3
	s_waitcnt vmcnt(0) lgkmcnt(0)
	v_mov_b32_e32 v8, v4
	v_mov_b32_e32 v9, v4
	;; [unrolled: 1-line block ×5, first 2 shown]
	s_mov_b32 s18, s25
	v_mov_b32_e32 v7, v14
	s_mov_b32 s19, s34
.LBB141_68:                             ;   Parent Loop BB141_53 Depth=1
                                        ;     Parent Loop BB141_56 Depth=2
                                        ;       Parent Loop BB141_66 Depth=3
                                        ; =>      This Inner Loop Header: Depth=4
	v_mov_b32_e32 v13, s19
	ds_read_b128 v[16:19], v7
	ds_read2_b64 v[20:23], v13 offset1:1
	s_add_i32 s19, s19, 16
	s_add_i32 s18, s18, -2
	s_cmp_lg_u32 s18, 0
	s_waitcnt lgkmcnt(1)
	v_mov_b32_e32 v25, v18
	v_mov_b32_e32 v18, v17
	s_waitcnt lgkmcnt(0)
	v_mov_b32_e32 v17, v22
	v_mov_b32_e32 v22, v21
	;; [unrolled: 1-line block ×4, first 2 shown]
	v_pk_mul_f32 v[20:21], v[22:23], v[10:11]
	v_pk_mul_f32 v[22:23], v[22:23], v[8:9]
	v_pk_fma_f32 v[20:21], v[16:17], v[8:9], v[20:21] neg_lo:[0,0,1] neg_hi:[0,0,1]
	v_pk_fma_f32 v[16:17], v[16:17], v[10:11], v[22:23]
	v_pk_add_f32 v[20:21], v[24:25], v[20:21] neg_lo:[0,1] neg_hi:[0,1]
	v_pk_add_f32 v[18:19], v[18:19], v[16:17] neg_lo:[0,1] neg_hi:[0,1]
	v_mov_b32_e32 v16, v20
	v_mov_b32_e32 v17, v18
	;; [unrolled: 1-line block ×3, first 2 shown]
	ds_write_b128 v7, v[16:19]
	v_add_u32_e32 v7, 16, v7
	s_cbranch_scc1 .LBB141_68
; %bb.69:                               ;   in Loop: Header=BB141_66 Depth=3
	s_mov_b64 s[18:19], s[16:17]
	s_mov_b32 s20, s25
	s_branch .LBB141_72
.LBB141_70:                             ;   in Loop: Header=BB141_66 Depth=3
	s_waitcnt vmcnt(0) lgkmcnt(0)
	v_mov_b32_e32 v6, v5
	s_mov_b64 s[18:19], 0
	s_mov_b32 s20, s25
	s_cbranch_execz .LBB141_72
; %bb.71:                               ;   in Loop: Header=BB141_66 Depth=3
	s_mov_b64 s[18:19], -1
	s_mov_b32 s20, 0
.LBB141_72:                             ;   in Loop: Header=BB141_66 Depth=3
	s_andn2_b64 vcc, exec, s[18:19]
	s_cbranch_vccnz .LBB141_65
; %bb.73:                               ;   in Loop: Header=BB141_66 Depth=3
	v_mov_b32_e32 v7, v5
	v_mov_b32_e32 v5, v4
	s_sub_i32 s18, s24, s20
	s_lshl_b32 s19, s20, 3
.LBB141_74:                             ;   Parent Loop BB141_53 Depth=1
                                        ;     Parent Loop BB141_56 Depth=2
                                        ;       Parent Loop BB141_66 Depth=3
                                        ; =>      This Inner Loop Header: Depth=4
	s_add_i32 s20, s34, s19
	v_mov_b32_e32 v8, s20
	ds_read_b64 v[8:9], v8
	v_add_u32_e32 v13, s19, v14
	ds_read_b64 v[10:11], v13
	s_add_i32 s18, s18, -1
	s_add_i32 s19, s19, 8
	s_waitcnt lgkmcnt(1)
	v_pk_mul_f32 v[16:17], v[8:9], v[6:7] op_sel:[1,0] op_sel_hi:[0,1]
	v_pk_fma_f32 v[18:19], v[8:9], v[4:5], v[16:17] neg_lo:[0,0,1] neg_hi:[0,0,1]
	v_pk_fma_f32 v[8:9], v[8:9], v[4:5], v[16:17]
	s_cmp_eq_u32 s18, 0
	v_mov_b32_e32 v19, v9
	s_waitcnt lgkmcnt(0)
	v_pk_add_f32 v[8:9], v[10:11], v[18:19] neg_lo:[0,1] neg_hi:[0,1]
	ds_write_b64 v13, v[8:9]
	s_cbranch_scc0 .LBB141_74
	s_branch .LBB141_65
.LBB141_75:                             ;   in Loop: Header=BB141_56 Depth=2
	s_mov_b32 s2, 0
	s_mov_b32 s20, s31
	s_branch .LBB141_77
.LBB141_76:                             ;   in Loop: Header=BB141_77 Depth=3
	s_add_i32 s18, s2, s22
	s_mul_i32 s19, s18, 0x48
	v_mov_b32_e32 v5, s19
	ds_read_b64 v[8:9], v5
	s_add_i32 s2, s2, 1
	s_ashr_i32 s19, s18, 31
	s_add_i32 s20, s20, 8
	v_lshl_add_u64 v[10:11], s[18:19], 3, v[0:1]
	s_waitcnt lgkmcnt(0)
	v_pk_mul_f32 v[16:17], v[8:9], v[6:7] op_sel:[1,0] op_sel_hi:[0,0]
	v_pk_fma_f32 v[18:19], v[8:9], v[4:5], v[16:17] neg_lo:[0,0,1] neg_hi:[0,0,1]
	v_pk_fma_f32 v[4:5], v[8:9], v[4:5], v[16:17] op_sel_hi:[1,0,1]
	s_cmp_eq_u32 s2, s24
	v_mov_b32_e32 v19, v5
	ds_write_b64 v7, v[18:19]
	flat_store_dwordx2 v[10:11], v[18:19]
	s_cbranch_scc1 .LBB141_55
.LBB141_77:                             ;   Parent Loop BB141_53 Depth=1
                                        ;     Parent Loop BB141_56 Depth=2
                                        ; =>    This Loop Header: Depth=3
                                        ;         Child Loop BB141_79 Depth 4
	s_cmp_lg_u32 s2, 0
	v_lshl_add_u32 v7, s2, 3, v14
	s_cbranch_scc0 .LBB141_81
; %bb.78:                               ;   in Loop: Header=BB141_77 Depth=3
	ds_read_b64 v[4:5], v7
	v_mov_b32_e32 v6, v14
	s_mov_b32 s18, s20
	s_mov_b32 s19, s2
.LBB141_79:                             ;   Parent Loop BB141_53 Depth=1
                                        ;     Parent Loop BB141_56 Depth=2
                                        ;       Parent Loop BB141_77 Depth=3
                                        ; =>      This Inner Loop Header: Depth=4
	v_mov_b32_e32 v10, s18
	ds_read_b64 v[8:9], v6
	ds_read_b64 v[10:11], v10
	s_add_i32 s19, s19, -1
	s_add_i32 s18, s18, 64
	v_add_u32_e32 v6, 8, v6
	s_cmp_eq_u32 s19, 0
	s_waitcnt lgkmcnt(0)
	v_pk_mul_f32 v[16:17], v[10:11], v[8:9] op_sel:[1,1] op_sel_hi:[0,1]
	v_pk_fma_f32 v[18:19], v[10:11], v[8:9], v[16:17] neg_lo:[0,0,1] neg_hi:[0,0,1]
	v_pk_fma_f32 v[8:9], v[10:11], v[8:9], v[16:17] op_sel_hi:[1,0,1]
	s_nop 0
	v_mov_b32_e32 v19, v9
	v_pk_add_f32 v[4:5], v[4:5], v[18:19] neg_lo:[0,1] neg_hi:[0,1]
	ds_write_b64 v7, v[4:5]
	s_cbranch_scc0 .LBB141_79
; %bb.80:                               ;   in Loop: Header=BB141_77 Depth=3
	v_mov_b32_e32 v6, v5
	s_branch .LBB141_76
.LBB141_81:                             ;   in Loop: Header=BB141_77 Depth=3
                                        ; implicit-def: $vgpr4
                                        ; implicit-def: $vgpr6
	s_cbranch_execz .LBB141_76
; %bb.82:                               ;   in Loop: Header=BB141_77 Depth=3
	ds_read_b64 v[4:5], v14
	s_waitcnt lgkmcnt(0)
	v_mov_b32_e32 v6, v5
	s_branch .LBB141_76
.LBB141_83:
	s_endpgm
	.section	.rodata,"a",@progbits
	.p2align	6, 0x0
	.amdhsa_kernel _ZL30rocblas_trsm_small_left_deviceILi8ELi8ELb1E19rocblas_complex_numIfES1_PKPKS1_PKPS1_Ev13rocblas_fill_18rocblas_operation_17rocblas_diagonal_iiT3_T4_lilT5_lili
		.amdhsa_group_segment_fixed_size 1024
		.amdhsa_private_segment_fixed_size 0
		.amdhsa_kernarg_size 360
		.amdhsa_user_sgpr_count 4
		.amdhsa_user_sgpr_dispatch_ptr 1
		.amdhsa_user_sgpr_queue_ptr 0
		.amdhsa_user_sgpr_kernarg_segment_ptr 1
		.amdhsa_user_sgpr_dispatch_id 0
		.amdhsa_user_sgpr_kernarg_preload_length 0
		.amdhsa_user_sgpr_kernarg_preload_offset 0
		.amdhsa_user_sgpr_private_segment_size 0
		.amdhsa_uses_dynamic_stack 0
		.amdhsa_enable_private_segment 0
		.amdhsa_system_sgpr_workgroup_id_x 1
		.amdhsa_system_sgpr_workgroup_id_y 0
		.amdhsa_system_sgpr_workgroup_id_z 1
		.amdhsa_system_sgpr_workgroup_info 0
		.amdhsa_system_vgpr_workitem_id 2
		.amdhsa_next_free_vgpr 28
		.amdhsa_next_free_sgpr 44
		.amdhsa_accum_offset 28
		.amdhsa_reserve_vcc 1
		.amdhsa_float_round_mode_32 0
		.amdhsa_float_round_mode_16_64 0
		.amdhsa_float_denorm_mode_32 3
		.amdhsa_float_denorm_mode_16_64 3
		.amdhsa_dx10_clamp 1
		.amdhsa_ieee_mode 1
		.amdhsa_fp16_overflow 0
		.amdhsa_tg_split 0
		.amdhsa_exception_fp_ieee_invalid_op 0
		.amdhsa_exception_fp_denorm_src 0
		.amdhsa_exception_fp_ieee_div_zero 0
		.amdhsa_exception_fp_ieee_overflow 0
		.amdhsa_exception_fp_ieee_underflow 0
		.amdhsa_exception_fp_ieee_inexact 0
		.amdhsa_exception_int_div_zero 0
	.end_amdhsa_kernel
	.section	.text._ZL30rocblas_trsm_small_left_deviceILi8ELi8ELb1E19rocblas_complex_numIfES1_PKPKS1_PKPS1_Ev13rocblas_fill_18rocblas_operation_17rocblas_diagonal_iiT3_T4_lilT5_lili,"axG",@progbits,_ZL30rocblas_trsm_small_left_deviceILi8ELi8ELb1E19rocblas_complex_numIfES1_PKPKS1_PKPS1_Ev13rocblas_fill_18rocblas_operation_17rocblas_diagonal_iiT3_T4_lilT5_lili,comdat
.Lfunc_end141:
	.size	_ZL30rocblas_trsm_small_left_deviceILi8ELi8ELb1E19rocblas_complex_numIfES1_PKPKS1_PKPS1_Ev13rocblas_fill_18rocblas_operation_17rocblas_diagonal_iiT3_T4_lilT5_lili, .Lfunc_end141-_ZL30rocblas_trsm_small_left_deviceILi8ELi8ELb1E19rocblas_complex_numIfES1_PKPKS1_PKPS1_Ev13rocblas_fill_18rocblas_operation_17rocblas_diagonal_iiT3_T4_lilT5_lili
                                        ; -- End function
	.set _ZL30rocblas_trsm_small_left_deviceILi8ELi8ELb1E19rocblas_complex_numIfES1_PKPKS1_PKPS1_Ev13rocblas_fill_18rocblas_operation_17rocblas_diagonal_iiT3_T4_lilT5_lili.num_vgpr, 28
	.set _ZL30rocblas_trsm_small_left_deviceILi8ELi8ELb1E19rocblas_complex_numIfES1_PKPKS1_PKPS1_Ev13rocblas_fill_18rocblas_operation_17rocblas_diagonal_iiT3_T4_lilT5_lili.num_agpr, 0
	.set _ZL30rocblas_trsm_small_left_deviceILi8ELi8ELb1E19rocblas_complex_numIfES1_PKPKS1_PKPS1_Ev13rocblas_fill_18rocblas_operation_17rocblas_diagonal_iiT3_T4_lilT5_lili.numbered_sgpr, 44
	.set _ZL30rocblas_trsm_small_left_deviceILi8ELi8ELb1E19rocblas_complex_numIfES1_PKPKS1_PKPS1_Ev13rocblas_fill_18rocblas_operation_17rocblas_diagonal_iiT3_T4_lilT5_lili.num_named_barrier, 0
	.set _ZL30rocblas_trsm_small_left_deviceILi8ELi8ELb1E19rocblas_complex_numIfES1_PKPKS1_PKPS1_Ev13rocblas_fill_18rocblas_operation_17rocblas_diagonal_iiT3_T4_lilT5_lili.private_seg_size, 0
	.set _ZL30rocblas_trsm_small_left_deviceILi8ELi8ELb1E19rocblas_complex_numIfES1_PKPKS1_PKPS1_Ev13rocblas_fill_18rocblas_operation_17rocblas_diagonal_iiT3_T4_lilT5_lili.uses_vcc, 1
	.set _ZL30rocblas_trsm_small_left_deviceILi8ELi8ELb1E19rocblas_complex_numIfES1_PKPKS1_PKPS1_Ev13rocblas_fill_18rocblas_operation_17rocblas_diagonal_iiT3_T4_lilT5_lili.uses_flat_scratch, 0
	.set _ZL30rocblas_trsm_small_left_deviceILi8ELi8ELb1E19rocblas_complex_numIfES1_PKPKS1_PKPS1_Ev13rocblas_fill_18rocblas_operation_17rocblas_diagonal_iiT3_T4_lilT5_lili.has_dyn_sized_stack, 0
	.set _ZL30rocblas_trsm_small_left_deviceILi8ELi8ELb1E19rocblas_complex_numIfES1_PKPKS1_PKPS1_Ev13rocblas_fill_18rocblas_operation_17rocblas_diagonal_iiT3_T4_lilT5_lili.has_recursion, 0
	.set _ZL30rocblas_trsm_small_left_deviceILi8ELi8ELb1E19rocblas_complex_numIfES1_PKPKS1_PKPS1_Ev13rocblas_fill_18rocblas_operation_17rocblas_diagonal_iiT3_T4_lilT5_lili.has_indirect_call, 0
	.section	.AMDGPU.csdata,"",@progbits
; Kernel info:
; codeLenInByte = 3508
; TotalNumSgprs: 50
; NumVgprs: 28
; NumAgprs: 0
; TotalNumVgprs: 28
; ScratchSize: 0
; MemoryBound: 0
; FloatMode: 240
; IeeeMode: 1
; LDSByteSize: 1024 bytes/workgroup (compile time only)
; SGPRBlocks: 6
; VGPRBlocks: 3
; NumSGPRsForWavesPerEU: 50
; NumVGPRsForWavesPerEU: 28
; AccumOffset: 28
; Occupancy: 8
; WaveLimiterHint : 1
; COMPUTE_PGM_RSRC2:SCRATCH_EN: 0
; COMPUTE_PGM_RSRC2:USER_SGPR: 4
; COMPUTE_PGM_RSRC2:TRAP_HANDLER: 0
; COMPUTE_PGM_RSRC2:TGID_X_EN: 1
; COMPUTE_PGM_RSRC2:TGID_Y_EN: 0
; COMPUTE_PGM_RSRC2:TGID_Z_EN: 1
; COMPUTE_PGM_RSRC2:TIDIG_COMP_CNT: 2
; COMPUTE_PGM_RSRC3_GFX90A:ACCUM_OFFSET: 6
; COMPUTE_PGM_RSRC3_GFX90A:TG_SPLIT: 0
	.section	.text._ZL31rocblas_trsm_small_right_deviceI19rocblas_complex_numIfES1_PKPKS1_PKPS1_Li8EEv13rocblas_fill_18rocblas_operation_17rocblas_diagonal_iiT0_T1_lilT2_lili,"axG",@progbits,_ZL31rocblas_trsm_small_right_deviceI19rocblas_complex_numIfES1_PKPKS1_PKPS1_Li8EEv13rocblas_fill_18rocblas_operation_17rocblas_diagonal_iiT0_T1_lilT2_lili,comdat
	.globl	_ZL31rocblas_trsm_small_right_deviceI19rocblas_complex_numIfES1_PKPKS1_PKPS1_Li8EEv13rocblas_fill_18rocblas_operation_17rocblas_diagonal_iiT0_T1_lilT2_lili ; -- Begin function _ZL31rocblas_trsm_small_right_deviceI19rocblas_complex_numIfES1_PKPKS1_PKPS1_Li8EEv13rocblas_fill_18rocblas_operation_17rocblas_diagonal_iiT0_T1_lilT2_lili
	.p2align	8
	.type	_ZL31rocblas_trsm_small_right_deviceI19rocblas_complex_numIfES1_PKPKS1_PKPS1_Li8EEv13rocblas_fill_18rocblas_operation_17rocblas_diagonal_iiT0_T1_lilT2_lili,@function
_ZL31rocblas_trsm_small_right_deviceI19rocblas_complex_numIfES1_PKPKS1_PKPS1_Li8EEv13rocblas_fill_18rocblas_operation_17rocblas_diagonal_iiT0_T1_lilT2_lili: ; @_ZL31rocblas_trsm_small_right_deviceI19rocblas_complex_numIfES1_PKPKS1_PKPS1_Li8EEv13rocblas_fill_18rocblas_operation_17rocblas_diagonal_iiT0_T1_lilT2_lili
; %bb.0:
	s_load_dwordx4 s[12:15], s[0:1], 0x40
	s_load_dwordx8 s[4:11], s[0:1], 0x0
	s_mov_b32 s16, s3
	s_mov_b32 s17, 0
	s_lshl_b64 s[20:21], s[16:17], 3
	s_waitcnt lgkmcnt(0)
	s_add_u32 s12, s12, s20
	s_addc_u32 s13, s13, s21
	s_load_dwordx2 s[12:13], s[12:13], 0x0
	s_min_i32 s28, s8, 8
	v_cmp_gt_i32_e32 vcc, s28, v0
	s_and_saveexec_b64 s[16:17], vcc
	s_cbranch_execz .LBB142_9
; %bb.1:
	s_load_dword s22, s[0:1], 0x30
	s_load_dwordx4 s[24:27], s[0:1], 0x20
	v_lshlrev_b32_e32 v2, 3, v0
	v_mov_b32_e32 v3, 0
	v_mov_b32_e32 v1, v2
	s_waitcnt lgkmcnt(0)
	s_ashr_i32 s23, s22, 31
	s_cmpk_lg_i32 s5, 0x71
	s_cselect_b64 s[18:19], -1, 0
	s_add_u32 s20, s24, s20
	s_addc_u32 s21, s25, s21
	s_load_dwordx2 s[20:21], s[20:21], 0x0
	s_lshl_b64 s[24:25], s[26:27], 3
	s_mov_b32 s3, s28
	s_waitcnt lgkmcnt(0)
	s_add_u32 s24, s20, s24
	s_addc_u32 s25, s21, s25
	s_lshl_b64 s[20:21], s[22:23], 3
	v_lshl_add_u64 v[4:5], s[24:25], 0, v[2:3]
	s_branch .LBB142_3
.LBB142_2:                              ;   in Loop: Header=BB142_3 Depth=1
	flat_load_dword v6, v[4:5]
	s_add_i32 s3, s3, -1
	v_lshl_add_u64 v[4:5], v[4:5], 0, s[20:21]
	s_cmp_eq_u32 s3, 0
	s_waitcnt vmcnt(0) lgkmcnt(0)
	ds_write_b64 v1, v[6:7]
	v_add_u32_e32 v1, 64, v1
	s_cbranch_scc1 .LBB142_7
.LBB142_3:                              ; =>This Inner Loop Header: Depth=1
	s_mov_b64 s[22:23], -1
	s_and_b64 vcc, exec, s[18:19]
                                        ; implicit-def: $vgpr7
	s_cbranch_vccz .LBB142_5
; %bb.4:                                ;   in Loop: Header=BB142_3 Depth=1
	flat_load_dword v7, v[4:5] offset:4
	s_mov_b64 s[22:23], 0
.LBB142_5:                              ;   in Loop: Header=BB142_3 Depth=1
	s_andn2_b64 vcc, exec, s[22:23]
	s_cbranch_vccnz .LBB142_2
; %bb.6:                                ;   in Loop: Header=BB142_3 Depth=1
	flat_load_dword v3, v[4:5] offset:4
	s_waitcnt vmcnt(0) lgkmcnt(0)
	v_xor_b32_e32 v7, 0x80000000, v3
	s_branch .LBB142_2
.LBB142_7:
	s_cmpk_eq_i32 s6, 0x84
	s_cbranch_scc0 .LBB142_9
; %bb.8:
	v_lshl_or_b32 v1, v0, 6, v2
	v_mov_b32_e32 v2, 1.0
	v_mov_b32_e32 v3, 0
	ds_write_b64 v1, v[2:3]
.LBB142_9:
	s_or_b64 exec, exec, s[16:17]
	s_load_dword s3, s[0:1], 0x68
	s_load_dword s6, s[0:1], 0x50
	s_lshl_b64 s[18:19], s[14:15], 3
	s_waitcnt lgkmcnt(0)
	s_add_u32 s0, s12, s18
	s_addc_u32 s1, s13, s19
	s_lshl_b32 s11, s2, 3
	s_add_i32 s3, s3, -1
	s_sub_i32 s7, s7, s11
	s_cmp_ge_u32 s2, s3
	s_cselect_b32 s7, s7, 8
	s_ashr_i32 s3, s2, 31
	s_lshl_b64 s[20:21], s[2:3], 6
	s_add_u32 s2, s0, s20
	s_addc_u32 s3, s1, s21
	v_cmp_gt_i32_e64 s[0:1], s7, v0
	s_and_saveexec_b64 s[14:15], s[0:1]
	s_cbranch_execz .LBB142_18
; %bb.10:
	s_cmp_lt_i32 s8, 1
	s_cbranch_scc1 .LBB142_18
; %bb.11:
	s_cmp_eq_u32 s8, 1
	s_cselect_b64 s[22:23], -1, 0
	s_cmp_lg_u32 s6, 1
	s_cselect_b64 s[24:25], -1, 0
	s_or_b64 s[22:23], s[22:23], s[24:25]
	s_mov_b32 s16, s9
	s_mov_b32 s17, s10
	v_mov_b32_e32 v3, 0
	s_and_b64 vcc, exec, s[22:23]
	s_cbranch_vccnz .LBB142_15
; %bb.12:
	v_lshlrev_b32_e32 v2, 3, v0
	v_mov_b32_e32 v1, 0x200
	s_and_b32 s29, s8, 0x7ffffffe
	s_mov_b32 s27, 0
	v_lshl_add_u64 v[2:3], s[2:3], 0, v[2:3]
	v_lshl_or_b32 v1, v0, 3, v1
	s_mov_b32 s22, s16
	s_mov_b32 s23, s9
	;; [unrolled: 1-line block ×6, first 2 shown]
.LBB142_13:                             ; =>This Inner Loop Header: Depth=1
	v_lshl_add_u64 v[4:5], s[26:27], 3, v[2:3]
	s_mov_b32 s25, s27
	v_lshl_add_u64 v[6:7], s[24:25], 3, v[2:3]
	flat_load_dwordx2 v[12:13], v[4:5]
	flat_load_dwordx2 v[8:9], v[6:7]
	v_lshl_add_u32 v10, s26, 6, v1
	v_lshl_add_u32 v11, s24, 6, v1
	s_add_i32 s26, s26, 2
	s_add_i32 s7, s7, -2
	s_add_i32 s24, s24, 2
	s_cmp_lg_u32 s7, 0
	s_waitcnt vmcnt(0) lgkmcnt(0)
	v_mov_b32_e32 v4, v12
	v_mov_b32_e32 v5, v8
	;; [unrolled: 1-line block ×3, first 2 shown]
	v_pk_mul_f32 v[6:7], s[10:11], v[8:9]
	v_pk_mul_f32 v[8:9], s[22:23], v[8:9]
	v_pk_fma_f32 v[6:7], s[22:23], v[4:5], v[6:7] neg_lo:[0,0,1] neg_hi:[0,0,1]
	v_pk_fma_f32 v[4:5], s[10:11], v[4:5], v[8:9]
	ds_write_b32 v10, v6
	ds_write_b32 v11, v7
	ds_write_b32 v10, v4 offset:4
	ds_write_b32 v11, v5 offset:4
	s_cbranch_scc1 .LBB142_13
; %bb.14:
	s_cmp_lg_u32 s8, s29
	s_cselect_b64 s[22:23], -1, 0
	s_and_b64 vcc, exec, s[22:23]
	s_cbranch_vccnz .LBB142_16
	s_branch .LBB142_18
.LBB142_15:
	s_mov_b32 s29, 0
	s_cbranch_execz .LBB142_18
.LBB142_16:
	s_mul_hi_i32 s23, s6, s29
	s_mul_i32 s22, s6, s29
	s_ashr_i32 s7, s6, 31
	s_mov_b32 s11, s9
	s_sub_i32 s9, s8, s29
	s_lshl_b64 s[22:23], s[22:23], 3
	s_add_u32 s20, s22, s20
	s_addc_u32 s21, s23, s21
	s_add_u32 s18, s20, s18
	s_addc_u32 s19, s21, s19
	v_lshlrev_b32_e32 v4, 3, v0
	s_add_u32 s12, s12, s18
	v_mov_b32_e32 v5, 0
	s_addc_u32 s13, s13, s19
	v_lshl_or_b32 v1, s29, 6, v4
	v_lshl_add_u64 v[2:3], s[12:13], 0, v[4:5]
	s_lshl_b64 s[12:13], s[6:7], 3
	v_add_u32_e32 v1, 0x200, v1
.LBB142_17:                             ; =>This Inner Loop Header: Depth=1
	flat_load_dwordx2 v[4:5], v[2:3]
	s_add_i32 s9, s9, -1
	v_lshl_add_u64 v[2:3], v[2:3], 0, s[12:13]
	s_cmp_lg_u32 s9, 0
	s_waitcnt vmcnt(0) lgkmcnt(0)
	v_pk_mul_f32 v[6:7], s[10:11], v[4:5] op_sel:[0,1]
	s_nop 0
	v_pk_fma_f32 v[8:9], s[16:17], v[4:5], v[6:7] neg_lo:[0,0,1] neg_hi:[0,0,1]
	v_pk_fma_f32 v[4:5], s[16:17], v[4:5], v[6:7] op_sel_hi:[1,0,1]
	s_nop 0
	v_mov_b32_e32 v9, v5
	ds_write_b64 v1, v[8:9]
	v_add_u32_e32 v1, 64, v1
	s_cbranch_scc1 .LBB142_17
.LBB142_18:
	s_or_b64 exec, exec, s[14:15]
	s_cmpk_eq_i32 s5, 0x6f
	s_cselect_b64 s[12:13], -1, 0
	s_cmpk_lg_i32 s4, 0x79
	s_cselect_b64 s[10:11], -1, 0
	s_cmpk_eq_i32 s4, 0x79
	s_cselect_b64 s[14:15], -1, 0
	s_and_b64 s[14:15], s[14:15], s[12:13]
	s_andn2_b64 vcc, exec, s[14:15]
	s_mov_b64 s[14:15], -1
	s_waitcnt lgkmcnt(0)
	; wave barrier
	s_cbranch_vccz .LBB142_119
; %bb.19:
	s_cmpk_lg_i32 s4, 0x7a
	s_cselect_b64 s[4:5], -1, 0
	s_xor_b64 s[12:13], s[12:13], -1
	s_add_i32 s7, s28, -1
	s_or_b64 s[12:13], s[4:5], s[12:13]
	v_mov_b32_e32 v1, 0x200
	s_cmp_gt_i32 s8, 3
	v_lshl_or_b32 v1, v0, 3, v1
	s_cselect_b64 s[4:5], -1, 0
	s_and_b64 vcc, exec, s[12:13]
	s_cbranch_vccz .LBB142_86
; %bb.20:
	s_andn2_b64 vcc, exec, s[10:11]
	s_mov_b64 s[10:11], -1
	s_cbranch_vccnz .LBB142_53
; %bb.21:
	s_andn2_b64 vcc, exec, s[4:5]
	s_mov_b32 s13, 0
	s_cbranch_vccnz .LBB142_43
; %bb.22:
	v_mov_b32_e32 v2, 0x200
	v_lshl_or_b32 v14, v0, 3, v2
	s_mov_b32 s9, 0
	s_mov_b32 s12, 0
.LBB142_23:                             ; =>This Loop Header: Depth=1
                                        ;     Child Loop BB142_24 Depth 2
	s_lshl_b32 s10, s12, 6
	v_add_u32_e32 v18, s10, v1
	s_or_b32 s11, s12, 1
	s_or_b32 s14, s12, 2
	s_or_b32 s13, s10, 0xc0
	v_lshl_add_u32 v17, s11, 6, v1
	v_lshl_add_u32 v16, s14, 6, v1
	v_add_u32_e32 v15, s13, v1
	ds_read_b64 v[2:3], v18
	ds_read_b64 v[12:13], v17
	;; [unrolled: 1-line block ×4, first 2 shown]
	s_cmp_eq_u32 s12, 0
	v_mov_b32_e32 v4, v14
	s_mov_b32 s13, s9
	s_mov_b32 s15, s12
	s_cbranch_scc1 .LBB142_25
.LBB142_24:                             ;   Parent Loop BB142_23 Depth=1
                                        ; =>  This Inner Loop Header: Depth=2
	v_mov_b32_e32 v5, s13
	ds_read_b64 v[10:11], v4
	ds_read_b128 v[20:23], v5
	ds_read_b128 v[24:27], v5 offset:16
	s_add_i32 s15, s15, -1
	s_add_i32 s13, s13, 64
	v_add_u32_e32 v4, 64, v4
	s_waitcnt lgkmcnt(1)
	v_mul_f32_e32 v5, v21, v11
	v_mul_f32_e32 v19, v20, v11
	;; [unrolled: 1-line block ×4, first 2 shown]
	s_waitcnt lgkmcnt(0)
	v_pk_mul_f32 v[28:29], v[24:25], v[10:11] op_sel:[0,1]
	v_pk_mul_f32 v[30:31], v[26:27], v[10:11] op_sel:[0,1]
	v_fma_f32 v5, v20, v10, -v5
	v_fmac_f32_e32 v19, v21, v10
	v_fma_f32 v32, v22, v10, -v32
	v_fmac_f32_e32 v33, v22, v11
	v_pk_fma_f32 v[20:21], v[24:25], v[10:11], v[28:29] op_sel:[0,0,1] op_sel_hi:[1,1,0] neg_lo:[0,0,1] neg_hi:[0,0,1]
	v_pk_fma_f32 v[22:23], v[24:25], v[10:11], v[28:29] op_sel:[0,0,1] op_sel_hi:[1,0,0]
	v_pk_fma_f32 v[24:25], v[26:27], v[10:11], v[30:31] op_sel:[0,0,1] op_sel_hi:[1,1,0] neg_lo:[0,0,1] neg_hi:[0,0,1]
	v_pk_fma_f32 v[10:11], v[26:27], v[10:11], v[30:31] op_sel:[0,0,1] op_sel_hi:[1,0,0]
	v_mov_b32_e32 v21, v23
	v_mov_b32_e32 v25, v11
	s_cmp_eq_u32 s15, 0
	v_sub_f32_e32 v2, v2, v5
	v_sub_f32_e32 v3, v3, v19
	;; [unrolled: 1-line block ×4, first 2 shown]
	v_pk_add_f32 v[8:9], v[8:9], v[20:21] neg_lo:[0,1] neg_hi:[0,1]
	v_pk_add_f32 v[6:7], v[6:7], v[24:25] neg_lo:[0,1] neg_hi:[0,1]
	s_cbranch_scc0 .LBB142_24
.LBB142_25:                             ;   in Loop: Header=BB142_23 Depth=1
	s_lshl_b32 s13, s12, 3
	s_add_i32 s15, s13, s10
	v_mov_b32_e32 v4, s15
	ds_read_b64 v[4:5], v4
	s_lshl_b32 s16, s11, 3
	s_lshl_b32 s14, s14, 3
	s_mov_b64 s[10:11], -1
                                        ; implicit-def: $vgpr11
	s_waitcnt lgkmcnt(0)
	v_cmp_ngt_f32_e64 s[18:19], |v4|, |v5|
	s_and_b64 vcc, exec, s[18:19]
	s_cbranch_vccz .LBB142_27
; %bb.26:                               ;   in Loop: Header=BB142_23 Depth=1
	v_div_scale_f32 v10, s[10:11], v5, v5, v4
	v_rcp_f32_e32 v11, v10
	v_div_scale_f32 v19, vcc, v4, v5, v4
	v_fma_f32 v20, -v10, v11, 1.0
	v_fmac_f32_e32 v11, v20, v11
	v_mul_f32_e32 v20, v19, v11
	v_fma_f32 v21, -v10, v20, v19
	v_fmac_f32_e32 v20, v21, v11
	v_fma_f32 v10, -v10, v20, v19
	v_div_fmas_f32 v10, v10, v11, v20
	v_div_fixup_f32 v11, v10, v5, v4
	v_fma_f32 v10, v4, v11, v5
	v_div_scale_f32 v19, s[10:11], v10, v10, 1.0
	v_rcp_f32_e32 v20, v19
	s_mov_b64 s[10:11], 0
	v_fma_f32 v21, -v19, v20, 1.0
	v_fmac_f32_e32 v20, v21, v20
	v_div_scale_f32 v21, vcc, 1.0, v10, 1.0
	v_mul_f32_e32 v22, v21, v20
	v_fma_f32 v23, -v19, v22, v21
	v_fmac_f32_e32 v22, v23, v20
	v_fma_f32 v19, -v19, v22, v21
	v_div_fmas_f32 v19, v19, v20, v22
	v_div_fixup_f32 v19, v19, v10, 1.0
	v_fma_f32 v10, v2, v11, v3
	v_fma_f32 v11, v3, v11, -v2
	v_mul_f32_e32 v10, v10, v19
	v_mul_f32_e32 v11, v11, v19
.LBB142_27:                             ;   in Loop: Header=BB142_23 Depth=1
	s_andn2_b64 vcc, exec, s[10:11]
	s_cbranch_vccnz .LBB142_29
; %bb.28:                               ;   in Loop: Header=BB142_23 Depth=1
	v_div_scale_f32 v10, s[10:11], v4, v4, v5
	v_rcp_f32_e32 v11, v10
	v_div_scale_f32 v19, vcc, v5, v4, v5
	v_fma_f32 v20, -v10, v11, 1.0
	v_fmac_f32_e32 v11, v20, v11
	v_mul_f32_e32 v20, v19, v11
	v_fma_f32 v21, -v10, v20, v19
	v_fmac_f32_e32 v20, v21, v11
	v_fma_f32 v10, -v10, v20, v19
	v_div_fmas_f32 v10, v10, v11, v20
	v_div_fixup_f32 v11, v10, v4, v5
	v_fmac_f32_e32 v4, v5, v11
	v_div_scale_f32 v5, s[10:11], v4, v4, 1.0
	v_rcp_f32_e32 v10, v5
	s_nop 0
	v_fma_f32 v19, -v5, v10, 1.0
	v_fmac_f32_e32 v10, v19, v10
	v_div_scale_f32 v19, vcc, 1.0, v4, 1.0
	v_mul_f32_e32 v20, v19, v10
	v_fma_f32 v21, -v5, v20, v19
	v_fmac_f32_e32 v20, v21, v10
	v_fma_f32 v5, -v5, v20, v19
	v_div_fmas_f32 v5, v5, v10, v20
	v_div_fixup_f32 v4, v5, v4, 1.0
	v_fma_f32 v5, v3, v11, v2
	v_fma_f32 v2, -v2, v11, v3
	v_mul_f32_e32 v10, v5, v4
	v_mul_f32_e32 v11, v2, v4
.LBB142_29:                             ;   in Loop: Header=BB142_23 Depth=1
	s_sub_i32 s15, s15, s13
	s_add_i32 s15, s15, s13
	v_mov_b32_e32 v2, s15
	ds_read2_b64 v[2:5], v2 offset0:1 offset1:9
	ds_write_b64 v18, v[10:11]
	s_mov_b64 s[10:11], -1
	s_waitcnt lgkmcnt(1)
	v_mul_f32_e32 v18, v11, v3
	v_mul_f32_e32 v3, v10, v3
	v_fma_f32 v18, v10, v2, -v18
	v_fmac_f32_e32 v3, v11, v2
	v_cmp_ngt_f32_e64 s[18:19], |v4|, |v5|
	v_sub_f32_e32 v2, v12, v18
	v_sub_f32_e32 v3, v13, v3
	s_and_b64 vcc, exec, s[18:19]
                                        ; implicit-def: $vgpr13
	s_cbranch_vccz .LBB142_31
; %bb.30:                               ;   in Loop: Header=BB142_23 Depth=1
	v_div_scale_f32 v12, s[10:11], v5, v5, v4
	v_rcp_f32_e32 v13, v12
	v_div_scale_f32 v18, vcc, v4, v5, v4
	v_fma_f32 v19, -v12, v13, 1.0
	v_fmac_f32_e32 v13, v19, v13
	v_mul_f32_e32 v19, v18, v13
	v_fma_f32 v20, -v12, v19, v18
	v_fmac_f32_e32 v19, v20, v13
	v_fma_f32 v12, -v12, v19, v18
	v_div_fmas_f32 v12, v12, v13, v19
	v_div_fixup_f32 v13, v12, v5, v4
	v_fma_f32 v12, v4, v13, v5
	v_div_scale_f32 v18, s[10:11], v12, v12, 1.0
	v_rcp_f32_e32 v19, v18
	s_mov_b64 s[10:11], 0
	v_fma_f32 v20, -v18, v19, 1.0
	v_fmac_f32_e32 v19, v20, v19
	v_div_scale_f32 v20, vcc, 1.0, v12, 1.0
	v_mul_f32_e32 v21, v20, v19
	v_fma_f32 v22, -v18, v21, v20
	v_fmac_f32_e32 v21, v22, v19
	v_fma_f32 v18, -v18, v21, v20
	v_div_fmas_f32 v18, v18, v19, v21
	v_div_fixup_f32 v18, v18, v12, 1.0
	v_fma_f32 v12, v13, v2, v3
	v_fma_f32 v13, v13, v3, -v2
	v_mul_f32_e32 v12, v12, v18
	v_mul_f32_e32 v13, v13, v18
.LBB142_31:                             ;   in Loop: Header=BB142_23 Depth=1
	s_andn2_b64 vcc, exec, s[10:11]
	s_cbranch_vccnz .LBB142_33
; %bb.32:                               ;   in Loop: Header=BB142_23 Depth=1
	v_div_scale_f32 v12, s[10:11], v4, v4, v5
	v_rcp_f32_e32 v13, v12
	v_div_scale_f32 v18, vcc, v5, v4, v5
	v_fma_f32 v19, -v12, v13, 1.0
	v_fmac_f32_e32 v13, v19, v13
	v_mul_f32_e32 v19, v18, v13
	v_fma_f32 v20, -v12, v19, v18
	v_fmac_f32_e32 v19, v20, v13
	v_fma_f32 v12, -v12, v19, v18
	v_div_fmas_f32 v12, v12, v13, v19
	v_div_fixup_f32 v13, v12, v4, v5
	v_fmac_f32_e32 v4, v5, v13
	v_div_scale_f32 v5, s[10:11], v4, v4, 1.0
	v_rcp_f32_e32 v12, v5
	s_nop 0
	v_fma_f32 v18, -v5, v12, 1.0
	v_fmac_f32_e32 v12, v18, v12
	v_div_scale_f32 v18, vcc, 1.0, v4, 1.0
	v_mul_f32_e32 v19, v18, v12
	v_fma_f32 v20, -v5, v19, v18
	v_fmac_f32_e32 v19, v20, v12
	v_fma_f32 v5, -v5, v19, v18
	v_div_fmas_f32 v5, v5, v12, v19
	v_div_fixup_f32 v4, v5, v4, 1.0
	v_fma_f32 v5, v13, v3, v2
	v_fma_f32 v2, -v13, v2, v3
	v_mul_f32_e32 v12, v5, v4
	v_mul_f32_e32 v13, v2, v4
.LBB142_33:                             ;   in Loop: Header=BB142_23 Depth=1
	v_mov_b32_e32 v2, s15
	s_add_i32 s17, s15, 0x48
	ds_read2_b64 v[2:5], v2 offset0:2 offset1:18
	s_sub_i32 s16, s17, s16
	s_add_i32 s16, s16, s13
	ds_write_b64 v17, v[12:13]
	v_mov_b32_e32 v17, s16
	v_mov_b32_e32 v18, v11
	ds_read_b64 v[22:23], v17 offset:16
	s_waitcnt lgkmcnt(2)
	v_pk_mul_f32 v[18:19], v[18:19], v[2:3] op_sel_hi:[0,1]
	v_pk_fma_f32 v[20:21], v[10:11], v[2:3], v[18:19] op_sel:[0,0,1] op_sel_hi:[1,1,0] neg_lo:[0,0,1] neg_hi:[0,0,1]
	v_pk_fma_f32 v[2:3], v[10:11], v[2:3], v[18:19] op_sel:[0,0,1] op_sel_hi:[0,1,0]
	v_mov_b32_e32 v21, v3
	v_pk_add_f32 v[2:3], v[8:9], v[20:21] neg_lo:[0,1] neg_hi:[0,1]
	v_mov_b32_e32 v8, v13
	s_waitcnt lgkmcnt(0)
	v_pk_mul_f32 v[8:9], v[8:9], v[22:23] op_sel_hi:[0,1]
	v_pk_fma_f32 v[18:19], v[12:13], v[22:23], v[8:9] op_sel:[0,0,1] op_sel_hi:[1,1,0] neg_lo:[0,0,1] neg_hi:[0,0,1]
	v_pk_fma_f32 v[8:9], v[12:13], v[22:23], v[8:9] op_sel:[0,0,1] op_sel_hi:[0,1,0]
	v_mov_b32_e32 v19, v9
	v_cmp_ngt_f32_e64 s[18:19], |v4|, |v5|
	v_pk_add_f32 v[2:3], v[2:3], v[18:19] neg_lo:[0,1] neg_hi:[0,1]
	s_mov_b64 s[10:11], -1
	s_and_b64 vcc, exec, s[18:19]
                                        ; implicit-def: $vgpr8_vgpr9
	s_cbranch_vccz .LBB142_35
; %bb.34:                               ;   in Loop: Header=BB142_23 Depth=1
	v_div_scale_f32 v8, s[10:11], v5, v5, v4
	v_rcp_f32_e32 v9, v8
	v_div_scale_f32 v17, vcc, v4, v5, v4
	v_fma_f32 v18, -v8, v9, 1.0
	v_fmac_f32_e32 v9, v18, v9
	v_mul_f32_e32 v18, v17, v9
	v_fma_f32 v19, -v8, v18, v17
	v_fmac_f32_e32 v18, v19, v9
	v_fma_f32 v8, -v8, v18, v17
	v_div_fmas_f32 v8, v8, v9, v18
	v_div_fixup_f32 v8, v8, v5, v4
	v_fma_f32 v9, v4, v8, v5
	v_div_scale_f32 v17, s[10:11], v9, v9, 1.0
	v_rcp_f32_e32 v20, v17
	v_pk_fma_f32 v[18:19], v[8:9], v[2:3], v[2:3] op_sel:[0,0,1] op_sel_hi:[1,1,0]
	s_mov_b64 s[10:11], 0
	v_fma_f32 v19, -v17, v20, 1.0
	v_fmac_f32_e32 v20, v19, v20
	v_div_scale_f32 v19, vcc, 1.0, v9, 1.0
	v_mul_f32_e32 v21, v19, v20
	v_fma_f32 v22, -v17, v21, v19
	v_fmac_f32_e32 v21, v22, v20
	v_fma_f32 v17, -v17, v21, v19
	v_div_fmas_f32 v17, v17, v20, v21
	v_div_fixup_f32 v19, v17, v9, 1.0
	v_fma_f32 v9, v8, v3, -v2
	v_mov_b32_e32 v8, v19
	v_pk_mul_f32 v[8:9], v[18:19], v[8:9]
.LBB142_35:                             ;   in Loop: Header=BB142_23 Depth=1
	s_andn2_b64 vcc, exec, s[10:11]
	s_cbranch_vccnz .LBB142_37
; %bb.36:                               ;   in Loop: Header=BB142_23 Depth=1
	v_div_scale_f32 v8, s[10:11], v4, v4, v5
	v_rcp_f32_e32 v9, v8
	v_div_scale_f32 v17, vcc, v5, v4, v5
	v_fma_f32 v18, -v8, v9, 1.0
	v_fmac_f32_e32 v9, v18, v9
	v_mul_f32_e32 v18, v17, v9
	v_fma_f32 v19, -v8, v18, v17
	v_fmac_f32_e32 v18, v19, v9
	v_fma_f32 v8, -v8, v18, v17
	v_div_fmas_f32 v8, v8, v9, v18
	v_div_fixup_f32 v8, v8, v4, v5
	v_fma_f32 v4, v5, v8, v4
	v_div_scale_f32 v5, s[10:11], v4, v4, 1.0
	v_rcp_f32_e32 v9, v5
	s_nop 0
	v_fma_f32 v17, -v5, v9, 1.0
	v_fmac_f32_e32 v9, v17, v9
	v_div_scale_f32 v17, vcc, 1.0, v4, 1.0
	v_mul_f32_e32 v18, v17, v9
	v_fma_f32 v19, -v5, v18, v17
	v_fmac_f32_e32 v18, v19, v9
	v_fma_f32 v5, -v5, v18, v17
	v_div_fmas_f32 v5, v5, v9, v18
	v_pk_fma_f32 v[18:19], v[8:9], v[2:3], v[2:3] op_sel:[0,1,0] op_sel_hi:[1,0,1]
	v_pk_fma_f32 v[2:3], v[8:9], v[2:3], v[2:3] op_sel:[0,1,0] op_sel_hi:[0,0,1] neg_lo:[1,0,0] neg_hi:[1,0,0]
	v_div_fixup_f32 v4, v5, v4, 1.0
	v_mov_b32_e32 v19, v3
	v_pk_mul_f32 v[8:9], v[18:19], v[4:5] op_sel_hi:[1,0]
.LBB142_37:                             ;   in Loop: Header=BB142_23 Depth=1
	v_mov_b32_e32 v2, s15
	ds_read2_b64 v[2:5], v2 offset0:3 offset1:27
	v_mov_b32_e32 v18, v11
	v_mov_b32_e32 v19, v11
	;; [unrolled: 1-line block ×3, first 2 shown]
	ds_write_b64 v16, v[8:9]
	s_waitcnt lgkmcnt(1)
	v_pk_mul_f32 v[16:17], v[18:19], v[2:3]
	s_sub_i32 s10, s17, s14
	v_pk_fma_f32 v[18:19], v[10:11], v[2:3], v[16:17] op_sel:[0,0,1] op_sel_hi:[1,1,0] neg_lo:[0,0,1] neg_hi:[0,0,1]
	v_pk_fma_f32 v[2:3], v[10:11], v[2:3], v[16:17] op_sel:[0,0,1] op_sel_hi:[1,1,0]
	s_add_i32 s10, s10, s13
	v_mov_b32_e32 v2, s16
	ds_read_b64 v[10:11], v2 offset:24
	v_mov_b32_e32 v19, v3
	v_pk_add_f32 v[2:3], v[6:7], v[18:19] neg_lo:[0,1] neg_hi:[0,1]
	v_mov_b32_e32 v6, s10
	ds_read_b64 v[6:7], v6 offset:96
	v_mov_b32_e32 v20, v13
	v_mov_b32_e32 v21, v13
	;; [unrolled: 1-line block ×3, first 2 shown]
	s_waitcnt lgkmcnt(1)
	v_pk_mul_f32 v[16:17], v[20:21], v[10:11]
	v_cmp_ngt_f32_e64 s[14:15], |v4|, |v5|
	v_pk_fma_f32 v[18:19], v[12:13], v[10:11], v[16:17] op_sel:[0,0,1] op_sel_hi:[1,1,0] neg_lo:[0,0,1] neg_hi:[0,0,1]
	v_pk_fma_f32 v[10:11], v[12:13], v[10:11], v[16:17] op_sel:[0,0,1] op_sel_hi:[1,1,0]
	s_mov_b64 s[10:11], -1
	v_mov_b32_e32 v19, v11
	s_waitcnt lgkmcnt(0)
	v_pk_mul_f32 v[10:11], v[8:9], v[6:7] op_sel:[1,1] op_sel_hi:[1,0]
	v_pk_add_f32 v[2:3], v[2:3], v[18:19] neg_lo:[0,1] neg_hi:[0,1]
	v_pk_fma_f32 v[12:13], v[8:9], v[6:7], v[10:11] neg_lo:[0,0,1] neg_hi:[0,0,1]
	v_pk_fma_f32 v[6:7], v[8:9], v[6:7], v[10:11] op_sel_hi:[0,1,1]
	v_mov_b32_e32 v13, v7
	v_pk_add_f32 v[2:3], v[2:3], v[12:13] neg_lo:[0,1] neg_hi:[0,1]
	s_and_b64 vcc, exec, s[14:15]
                                        ; implicit-def: $vgpr6_vgpr7
	s_cbranch_vccz .LBB142_39
; %bb.38:                               ;   in Loop: Header=BB142_23 Depth=1
	v_div_scale_f32 v6, s[10:11], v5, v5, v4
	v_rcp_f32_e32 v7, v6
	v_div_scale_f32 v8, vcc, v4, v5, v4
	v_fma_f32 v9, -v6, v7, 1.0
	v_fmac_f32_e32 v7, v9, v7
	v_mul_f32_e32 v9, v8, v7
	v_fma_f32 v10, -v6, v9, v8
	v_fmac_f32_e32 v9, v10, v7
	v_fma_f32 v6, -v6, v9, v8
	v_div_fmas_f32 v6, v6, v7, v9
	v_div_fixup_f32 v6, v6, v5, v4
	v_fma_f32 v7, v4, v6, v5
	v_div_scale_f32 v10, s[10:11], v7, v7, 1.0
	v_rcp_f32_e32 v11, v10
	v_pk_fma_f32 v[8:9], v[6:7], v[2:3], v[2:3] op_sel:[0,0,1] op_sel_hi:[1,1,0]
	s_mov_b64 s[10:11], 0
	v_fma_f32 v9, -v10, v11, 1.0
	v_fmac_f32_e32 v11, v9, v11
	v_div_scale_f32 v9, vcc, 1.0, v7, 1.0
	v_mul_f32_e32 v12, v9, v11
	v_fma_f32 v13, -v10, v12, v9
	v_fmac_f32_e32 v12, v13, v11
	v_fma_f32 v9, -v10, v12, v9
	v_div_fmas_f32 v9, v9, v11, v12
	v_div_fixup_f32 v9, v9, v7, 1.0
	v_fma_f32 v7, v6, v3, -v2
	v_mov_b32_e32 v6, v9
	v_pk_mul_f32 v[6:7], v[8:9], v[6:7]
.LBB142_39:                             ;   in Loop: Header=BB142_23 Depth=1
	s_andn2_b64 vcc, exec, s[10:11]
	s_cbranch_vccnz .LBB142_41
; %bb.40:                               ;   in Loop: Header=BB142_23 Depth=1
	v_div_scale_f32 v6, s[10:11], v4, v4, v5
	v_rcp_f32_e32 v7, v6
	v_div_scale_f32 v8, vcc, v5, v4, v5
	v_fma_f32 v9, -v6, v7, 1.0
	v_fmac_f32_e32 v7, v9, v7
	v_mul_f32_e32 v9, v8, v7
	v_fma_f32 v10, -v6, v9, v8
	v_fmac_f32_e32 v9, v10, v7
	v_fma_f32 v6, -v6, v9, v8
	v_div_fmas_f32 v6, v6, v7, v9
	v_div_fixup_f32 v6, v6, v4, v5
	v_fma_f32 v4, v5, v6, v4
	v_div_scale_f32 v5, s[10:11], v4, v4, 1.0
	v_rcp_f32_e32 v7, v5
	s_nop 0
	v_fma_f32 v8, -v5, v7, 1.0
	v_fmac_f32_e32 v7, v8, v7
	v_div_scale_f32 v8, vcc, 1.0, v4, 1.0
	v_mul_f32_e32 v9, v8, v7
	v_fma_f32 v10, -v5, v9, v8
	v_fmac_f32_e32 v9, v10, v7
	v_fma_f32 v5, -v5, v9, v8
	v_div_fmas_f32 v5, v5, v7, v9
	v_pk_fma_f32 v[8:9], v[6:7], v[2:3], v[2:3] op_sel:[0,1,0] op_sel_hi:[1,0,1]
	v_pk_fma_f32 v[2:3], v[6:7], v[2:3], v[2:3] op_sel:[0,1,0] op_sel_hi:[0,0,1] neg_lo:[1,0,0] neg_hi:[1,0,0]
	v_div_fixup_f32 v4, v5, v4, 1.0
	v_mov_b32_e32 v9, v3
	v_pk_mul_f32 v[6:7], v[8:9], v[4:5] op_sel_hi:[1,0]
.LBB142_41:                             ;   in Loop: Header=BB142_23 Depth=1
	s_add_i32 s13, s12, 4
	s_add_i32 s10, s12, 7
	;; [unrolled: 1-line block ×3, first 2 shown]
	s_cmp_ge_i32 s10, s28
	ds_write_b64 v15, v[6:7]
	s_cbranch_scc1 .LBB142_43
; %bb.42:                               ;   in Loop: Header=BB142_23 Depth=1
	s_mov_b32 s12, s13
	s_branch .LBB142_23
.LBB142_43:
	s_cmp_ge_i32 s13, s28
	s_cbranch_scc1 .LBB142_52
; %bb.44:
	v_mov_b32_e32 v2, 0x200
	s_lshl_b32 s9, s13, 3
	v_lshl_or_b32 v8, v0, 3, v2
	s_branch .LBB142_46
.LBB142_45:                             ;   in Loop: Header=BB142_46 Depth=1
	s_add_i32 s13, s13, 1
	s_add_i32 s9, s9, 8
	s_cmp_ge_i32 s13, s28
	ds_write_b64 v9, v[6:7]
	s_cbranch_scc1 .LBB142_52
.LBB142_46:                             ; =>This Loop Header: Depth=1
                                        ;     Child Loop BB142_47 Depth 2
	s_lshl_b32 s10, s13, 6
	v_add_u32_e32 v9, s10, v1
	ds_read_b64 v[2:3], v9
	s_cmp_eq_u32 s13, 0
	v_mov_b32_e32 v4, v8
	s_mov_b32 s11, s9
	s_mov_b32 s12, s13
	s_cbranch_scc1 .LBB142_48
.LBB142_47:                             ;   Parent Loop BB142_46 Depth=1
                                        ; =>  This Inner Loop Header: Depth=2
	v_mov_b32_e32 v5, s11
	ds_read_b64 v[6:7], v4
	ds_read_b64 v[10:11], v5
	s_add_i32 s12, s12, -1
	s_add_i32 s11, s11, 64
	v_add_u32_e32 v4, 64, v4
	s_cmp_eq_u32 s12, 0
	s_waitcnt lgkmcnt(0)
	v_pk_mul_f32 v[12:13], v[10:11], v[6:7] op_sel:[1,1] op_sel_hi:[0,1]
	v_pk_fma_f32 v[14:15], v[10:11], v[6:7], v[12:13] op_sel_hi:[1,0,1]
	v_pk_fma_f32 v[6:7], v[10:11], v[6:7], v[12:13] op_sel_hi:[1,0,1] neg_lo:[0,0,1] neg_hi:[0,0,1]
	s_nop 0
	v_mov_b32_e32 v7, v15
	v_pk_add_f32 v[2:3], v[2:3], v[6:7] neg_lo:[0,1] neg_hi:[0,1]
	s_cbranch_scc0 .LBB142_47
.LBB142_48:                             ;   in Loop: Header=BB142_46 Depth=1
	s_lshl_b32 s11, s13, 3
	s_add_i32 s10, s11, s10
	v_mov_b32_e32 v4, s10
	ds_read_b64 v[4:5], v4
	s_mov_b64 s[10:11], -1
                                        ; implicit-def: $vgpr6_vgpr7
	s_waitcnt lgkmcnt(0)
	v_cmp_ngt_f32_e64 s[14:15], |v4|, |v5|
	s_and_b64 vcc, exec, s[14:15]
	s_cbranch_vccz .LBB142_50
; %bb.49:                               ;   in Loop: Header=BB142_46 Depth=1
	v_div_scale_f32 v6, s[10:11], v5, v5, v4
	v_rcp_f32_e32 v7, v6
	v_div_scale_f32 v10, vcc, v4, v5, v4
	v_fma_f32 v11, -v6, v7, 1.0
	v_fmac_f32_e32 v7, v11, v7
	v_mul_f32_e32 v11, v10, v7
	v_fma_f32 v12, -v6, v11, v10
	v_fmac_f32_e32 v11, v12, v7
	v_fma_f32 v6, -v6, v11, v10
	v_div_fmas_f32 v6, v6, v7, v11
	v_div_fixup_f32 v6, v6, v5, v4
	v_fma_f32 v7, v4, v6, v5
	v_div_scale_f32 v10, s[10:11], v7, v7, 1.0
	v_rcp_f32_e32 v11, v10
	s_mov_b64 s[10:11], 0
	v_fma_f32 v12, -v10, v11, 1.0
	v_fmac_f32_e32 v11, v12, v11
	v_div_scale_f32 v12, vcc, 1.0, v7, 1.0
	v_mul_f32_e32 v13, v12, v11
	v_fma_f32 v14, -v10, v13, v12
	v_fmac_f32_e32 v13, v14, v11
	v_fma_f32 v10, -v10, v13, v12
	v_div_fmas_f32 v10, v10, v11, v13
	v_div_fixup_f32 v10, v10, v7, 1.0
	v_pk_fma_f32 v[12:13], v[2:3], v[6:7], v[2:3] op_sel:[0,0,1] op_sel_hi:[1,0,0] neg_lo:[0,0,1] neg_hi:[0,0,1]
	v_pk_fma_f32 v[6:7], v[2:3], v[6:7], v[2:3] op_sel:[0,0,1] op_sel_hi:[1,0,0]
	s_nop 0
	v_mov_b32_e32 v7, v13
	v_pk_mul_f32 v[6:7], v[6:7], v[10:11] op_sel_hi:[1,0]
.LBB142_50:                             ;   in Loop: Header=BB142_46 Depth=1
	s_andn2_b64 vcc, exec, s[10:11]
	s_cbranch_vccnz .LBB142_45
; %bb.51:                               ;   in Loop: Header=BB142_46 Depth=1
	v_div_scale_f32 v6, s[10:11], v4, v4, v5
	v_rcp_f32_e32 v7, v6
	v_div_scale_f32 v10, vcc, v5, v4, v5
	v_fma_f32 v11, -v6, v7, 1.0
	v_fmac_f32_e32 v7, v11, v7
	v_mul_f32_e32 v11, v10, v7
	v_fma_f32 v12, -v6, v11, v10
	v_fmac_f32_e32 v11, v12, v7
	v_fma_f32 v6, -v6, v11, v10
	v_div_fmas_f32 v6, v6, v7, v11
	v_div_fixup_f32 v6, v6, v4, v5
	v_fmac_f32_e32 v4, v5, v6
	v_div_scale_f32 v5, s[10:11], v4, v4, 1.0
	v_rcp_f32_e32 v7, v5
	s_nop 0
	v_fma_f32 v10, -v5, v7, 1.0
	v_fmac_f32_e32 v7, v10, v7
	v_div_scale_f32 v10, vcc, 1.0, v4, 1.0
	v_mul_f32_e32 v11, v10, v7
	v_fma_f32 v12, -v5, v11, v10
	v_fmac_f32_e32 v11, v12, v7
	v_fma_f32 v5, -v5, v11, v10
	v_div_fmas_f32 v5, v5, v7, v11
	v_pk_fma_f32 v[10:11], v[2:3], v[6:7], v[2:3] op_sel:[1,0,0] op_sel_hi:[0,0,1] neg_lo:[1,0,0] neg_hi:[1,0,0]
	v_pk_fma_f32 v[2:3], v[2:3], v[6:7], v[2:3] op_sel:[1,0,0] op_sel_hi:[0,0,1]
	v_div_fixup_f32 v4, v5, v4, 1.0
	v_mov_b32_e32 v3, v11
	v_pk_mul_f32 v[6:7], v[2:3], v[4:5] op_sel_hi:[1,0]
	s_branch .LBB142_45
.LBB142_52:
	s_mov_b64 s[10:11], 0
.LBB142_53:
	s_and_b64 vcc, exec, s[10:11]
	s_cbranch_vccz .LBB142_85
; %bb.54:
	s_andn2_b64 vcc, exec, s[4:5]
	s_mov_b32 s13, s7
	s_cbranch_vccnz .LBB142_76
; %bb.55:
	v_lshlrev_b32_e32 v2, 3, v0
	v_lshl_or_b32 v2, s28, 6, v2
	s_mul_i32 s9, s28, 0x48
	v_add_u32_e32 v14, 0x1c0, v2
	s_mov_b32 s12, s7
.LBB142_56:                             ; =>This Loop Header: Depth=1
                                        ;     Child Loop BB142_57 Depth 2
	s_add_i32 s13, s12, -3
	v_lshl_add_u32 v18, s12, 6, v1
	s_add_i32 s20, s12, -1
	s_add_i32 s18, s12, -2
	s_lshl_b32 s14, s13, 6
	v_lshl_add_u32 v17, s20, 6, v1
	v_lshl_add_u32 v16, s18, 6, v1
	v_add_u32_e32 v15, s14, v1
	ds_read_b64 v[10:11], v18
	ds_read_b64 v[8:9], v17
	ds_read_b64 v[4:5], v16
	ds_read_b64 v[2:3], v15
	s_cmp_le_i32 s7, s12
	v_mov_b32_e32 v6, v14
	s_mov_b32 s10, s9
	s_mov_b32 s11, s7
	s_cbranch_scc1 .LBB142_58
.LBB142_57:                             ;   Parent Loop BB142_56 Depth=1
                                        ; =>  This Inner Loop Header: Depth=2
	s_add_i32 s15, s10, 0xffffffb0
	s_add_i32 s16, s10, 0xffffffa0
	v_mov_b32_e32 v7, s15
	ds_read_b64 v[12:13], v6
	v_mov_b32_e32 v19, s16
	ds_read2_b64 v[20:23], v7 offset1:1
	ds_read2_b64 v[24:27], v19 offset1:1
	s_add_i32 s11, s11, -1
	s_sub_i32 s10, s10, 64
	v_subrev_u32_e32 v6, 64, v6
	s_waitcnt lgkmcnt(1)
	v_mul_f32_e32 v7, v23, v13
	v_mul_f32_e32 v19, v22, v13
	;; [unrolled: 1-line block ×4, first 2 shown]
	s_waitcnt lgkmcnt(0)
	v_pk_mul_f32 v[28:29], v[26:27], v[12:13] op_sel:[0,1]
	v_pk_mul_f32 v[30:31], v[24:25], v[12:13] op_sel:[0,1]
	v_fma_f32 v7, v22, v12, -v7
	v_fmac_f32_e32 v19, v23, v12
	v_fma_f32 v32, v20, v12, -v32
	v_fmac_f32_e32 v33, v20, v13
	v_pk_fma_f32 v[20:21], v[26:27], v[12:13], v[28:29] op_sel:[0,0,1] op_sel_hi:[1,1,0] neg_lo:[0,0,1] neg_hi:[0,0,1]
	v_pk_fma_f32 v[22:23], v[26:27], v[12:13], v[28:29] op_sel:[0,0,1] op_sel_hi:[1,0,0]
	v_pk_fma_f32 v[26:27], v[24:25], v[12:13], v[30:31] op_sel:[0,0,1] op_sel_hi:[1,1,0] neg_lo:[0,0,1] neg_hi:[0,0,1]
	v_pk_fma_f32 v[12:13], v[24:25], v[12:13], v[30:31] op_sel:[0,0,1] op_sel_hi:[1,0,0]
	v_mov_b32_e32 v21, v23
	v_mov_b32_e32 v27, v13
	s_cmp_le_i32 s11, s12
	v_sub_f32_e32 v10, v10, v7
	v_sub_f32_e32 v11, v11, v19
	;; [unrolled: 1-line block ×4, first 2 shown]
	v_pk_add_f32 v[4:5], v[4:5], v[20:21] neg_lo:[0,1] neg_hi:[0,1]
	v_pk_add_f32 v[2:3], v[2:3], v[26:27] neg_lo:[0,1] neg_hi:[0,1]
	s_cbranch_scc0 .LBB142_57
.LBB142_58:                             ;   in Loop: Header=BB142_56 Depth=1
	s_lshl_b32 s17, s12, 3
	s_lshl_b32 s10, s12, 6
	s_add_i32 s16, s17, s10
	v_mov_b32_e32 v6, s16
	ds_read_b64 v[12:13], v6
	s_lshl_b32 s19, s20, 3
	s_lshl_b32 s15, s18, 3
	s_mov_b64 s[10:11], -1
                                        ; implicit-def: $vgpr7
	s_waitcnt lgkmcnt(0)
	v_cmp_ngt_f32_e64 s[22:23], |v12|, |v13|
	s_and_b64 vcc, exec, s[22:23]
	s_cbranch_vccz .LBB142_60
; %bb.59:                               ;   in Loop: Header=BB142_56 Depth=1
	v_div_scale_f32 v6, s[10:11], v13, v13, v12
	v_rcp_f32_e32 v7, v6
	v_div_scale_f32 v19, vcc, v12, v13, v12
	v_fma_f32 v20, -v6, v7, 1.0
	v_fmac_f32_e32 v7, v20, v7
	v_mul_f32_e32 v20, v19, v7
	v_fma_f32 v21, -v6, v20, v19
	v_fmac_f32_e32 v20, v21, v7
	v_fma_f32 v6, -v6, v20, v19
	v_div_fmas_f32 v6, v6, v7, v20
	v_div_fixup_f32 v7, v6, v13, v12
	v_fma_f32 v6, v12, v7, v13
	v_div_scale_f32 v19, s[10:11], v6, v6, 1.0
	v_rcp_f32_e32 v20, v19
	s_mov_b64 s[10:11], 0
	v_fma_f32 v21, -v19, v20, 1.0
	v_fmac_f32_e32 v20, v21, v20
	v_div_scale_f32 v21, vcc, 1.0, v6, 1.0
	v_mul_f32_e32 v22, v21, v20
	v_fma_f32 v23, -v19, v22, v21
	v_fmac_f32_e32 v22, v23, v20
	v_fma_f32 v19, -v19, v22, v21
	v_div_fmas_f32 v19, v19, v20, v22
	v_div_fixup_f32 v19, v19, v6, 1.0
	v_fma_f32 v6, v10, v7, v11
	v_fma_f32 v7, v11, v7, -v10
	v_mul_f32_e32 v6, v6, v19
	v_mul_f32_e32 v7, v7, v19
.LBB142_60:                             ;   in Loop: Header=BB142_56 Depth=1
	s_andn2_b64 vcc, exec, s[10:11]
	s_cbranch_vccnz .LBB142_62
; %bb.61:                               ;   in Loop: Header=BB142_56 Depth=1
	v_div_scale_f32 v6, s[10:11], v12, v12, v13
	v_rcp_f32_e32 v7, v6
	v_div_scale_f32 v19, vcc, v13, v12, v13
	v_fma_f32 v20, -v6, v7, 1.0
	v_fmac_f32_e32 v7, v20, v7
	v_mul_f32_e32 v20, v19, v7
	v_fma_f32 v21, -v6, v20, v19
	v_fmac_f32_e32 v20, v21, v7
	v_fma_f32 v6, -v6, v20, v19
	v_div_fmas_f32 v6, v6, v7, v20
	v_div_fixup_f32 v7, v6, v12, v13
	v_fmac_f32_e32 v12, v13, v7
	v_div_scale_f32 v6, s[10:11], v12, v12, 1.0
	v_rcp_f32_e32 v13, v6
	s_nop 0
	v_fma_f32 v19, -v6, v13, 1.0
	v_fmac_f32_e32 v13, v19, v13
	v_div_scale_f32 v19, vcc, 1.0, v12, 1.0
	v_mul_f32_e32 v20, v19, v13
	v_fma_f32 v21, -v6, v20, v19
	v_fmac_f32_e32 v20, v21, v13
	v_fma_f32 v6, -v6, v20, v19
	v_div_fmas_f32 v6, v6, v13, v20
	v_div_fixup_f32 v12, v6, v12, 1.0
	v_fma_f32 v6, v11, v7, v10
	v_fma_f32 v7, -v10, v7, v11
	v_mul_f32_e32 v6, v6, v12
	v_mul_f32_e32 v7, v7, v12
.LBB142_62:                             ;   in Loop: Header=BB142_56 Depth=1
	s_lshl_b32 s10, s20, 6
	s_add_i32 s20, s17, s10
	s_add_i32 s10, s16, -8
	v_mov_b32_e32 v10, s10
	s_add_i32 s20, s20, -8
	ds_read_b64 v[12:13], v10
	v_mov_b32_e32 v10, s20
	ds_read_b64 v[10:11], v10
	ds_write_b64 v18, v[6:7]
	s_mov_b64 s[10:11], -1
	s_waitcnt lgkmcnt(2)
	v_mul_f32_e32 v18, v7, v13
	v_mul_f32_e32 v13, v6, v13
	v_fma_f32 v18, v6, v12, -v18
	v_fmac_f32_e32 v13, v7, v12
	s_waitcnt lgkmcnt(1)
	v_cmp_ngt_f32_e64 s[22:23], |v10|, |v11|
	v_sub_f32_e32 v12, v8, v18
	v_sub_f32_e32 v13, v9, v13
	s_and_b64 vcc, exec, s[22:23]
                                        ; implicit-def: $vgpr9
	s_cbranch_vccz .LBB142_64
; %bb.63:                               ;   in Loop: Header=BB142_56 Depth=1
	v_div_scale_f32 v8, s[10:11], v11, v11, v10
	v_rcp_f32_e32 v9, v8
	v_div_scale_f32 v18, vcc, v10, v11, v10
	v_fma_f32 v19, -v8, v9, 1.0
	v_fmac_f32_e32 v9, v19, v9
	v_mul_f32_e32 v19, v18, v9
	v_fma_f32 v20, -v8, v19, v18
	v_fmac_f32_e32 v19, v20, v9
	v_fma_f32 v8, -v8, v19, v18
	v_div_fmas_f32 v8, v8, v9, v19
	v_div_fixup_f32 v9, v8, v11, v10
	v_fma_f32 v8, v10, v9, v11
	v_div_scale_f32 v18, s[10:11], v8, v8, 1.0
	v_rcp_f32_e32 v19, v18
	s_mov_b64 s[10:11], 0
	v_fma_f32 v20, -v18, v19, 1.0
	v_fmac_f32_e32 v19, v20, v19
	v_div_scale_f32 v20, vcc, 1.0, v8, 1.0
	v_mul_f32_e32 v21, v20, v19
	v_fma_f32 v22, -v18, v21, v20
	v_fmac_f32_e32 v21, v22, v19
	v_fma_f32 v18, -v18, v21, v20
	v_div_fmas_f32 v18, v18, v19, v21
	v_div_fixup_f32 v18, v18, v8, 1.0
	v_fma_f32 v8, v9, v12, v13
	v_fma_f32 v9, v9, v13, -v12
	v_mul_f32_e32 v8, v8, v18
	v_mul_f32_e32 v9, v9, v18
.LBB142_64:                             ;   in Loop: Header=BB142_56 Depth=1
	s_andn2_b64 vcc, exec, s[10:11]
	s_cbranch_vccnz .LBB142_66
; %bb.65:                               ;   in Loop: Header=BB142_56 Depth=1
	v_div_scale_f32 v8, s[10:11], v10, v10, v11
	v_rcp_f32_e32 v9, v8
	v_div_scale_f32 v18, vcc, v11, v10, v11
	v_fma_f32 v19, -v8, v9, 1.0
	v_fmac_f32_e32 v9, v19, v9
	v_mul_f32_e32 v19, v18, v9
	v_fma_f32 v20, -v8, v19, v18
	v_fmac_f32_e32 v19, v20, v9
	v_fma_f32 v8, -v8, v19, v18
	v_div_fmas_f32 v8, v8, v9, v19
	v_div_fixup_f32 v9, v8, v10, v11
	v_fmac_f32_e32 v10, v11, v9
	v_div_scale_f32 v8, s[10:11], v10, v10, 1.0
	v_rcp_f32_e32 v11, v8
	s_nop 0
	v_fma_f32 v18, -v8, v11, 1.0
	v_fmac_f32_e32 v11, v18, v11
	v_div_scale_f32 v18, vcc, 1.0, v10, 1.0
	v_mul_f32_e32 v19, v18, v11
	v_fma_f32 v20, -v8, v19, v18
	v_fmac_f32_e32 v19, v20, v11
	v_fma_f32 v8, -v8, v19, v18
	v_div_fmas_f32 v8, v8, v11, v19
	v_div_fixup_f32 v10, v8, v10, 1.0
	v_fma_f32 v8, v9, v13, v12
	v_fma_f32 v9, -v9, v12, v13
	v_mul_f32_e32 v8, v8, v10
	v_mul_f32_e32 v9, v9, v10
.LBB142_66:                             ;   in Loop: Header=BB142_56 Depth=1
	s_add_i32 s11, s16, -16
	v_mov_b32_e32 v10, s11
	s_lshl_b32 s10, s18, 6
	s_sub_i32 s18, s20, s19
	ds_read_b64 v[12:13], v10
	s_add_i32 s10, s17, s10
	s_add_i32 s19, s18, s15
	v_mov_b32_e32 v10, s19
	s_add_i32 s19, s10, -16
	ds_write_b64 v17, v[8:9]
	v_mov_b32_e32 v11, s19
	v_mov_b32_e32 v18, v7
	ds_read_b64 v[20:21], v10
	ds_read_b64 v[10:11], v11
	s_waitcnt lgkmcnt(3)
	v_pk_mul_f32 v[18:19], v[18:19], v[12:13] op_sel_hi:[0,1]
	v_pk_fma_f32 v[22:23], v[6:7], v[12:13], v[18:19] op_sel:[0,0,1] op_sel_hi:[1,1,0] neg_lo:[0,0,1] neg_hi:[0,0,1]
	v_pk_fma_f32 v[12:13], v[6:7], v[12:13], v[18:19] op_sel:[0,0,1] op_sel_hi:[0,1,0]
	v_mov_b32_e32 v12, v9
	v_mov_b32_e32 v23, v13
	s_waitcnt lgkmcnt(1)
	v_pk_mul_f32 v[12:13], v[12:13], v[20:21] op_sel_hi:[0,1]
	v_pk_fma_f32 v[18:19], v[8:9], v[20:21], v[12:13] op_sel:[0,0,1] op_sel_hi:[1,1,0] neg_lo:[0,0,1] neg_hi:[0,0,1]
	v_pk_fma_f32 v[12:13], v[8:9], v[20:21], v[12:13] op_sel:[0,0,1] op_sel_hi:[0,1,0]
	v_pk_add_f32 v[4:5], v[4:5], v[22:23] neg_lo:[0,1] neg_hi:[0,1]
	v_mov_b32_e32 v19, v13
	s_waitcnt lgkmcnt(0)
	v_cmp_ngt_f32_e64 s[20:21], |v10|, |v11|
	v_pk_add_f32 v[4:5], v[4:5], v[18:19] neg_lo:[0,1] neg_hi:[0,1]
	s_mov_b64 s[10:11], -1
	s_and_b64 vcc, exec, s[20:21]
                                        ; implicit-def: $vgpr12_vgpr13
	s_cbranch_vccz .LBB142_68
; %bb.67:                               ;   in Loop: Header=BB142_56 Depth=1
	v_div_scale_f32 v12, s[10:11], v11, v11, v10
	v_rcp_f32_e32 v13, v12
	v_div_scale_f32 v17, vcc, v10, v11, v10
	v_fma_f32 v18, -v12, v13, 1.0
	v_fmac_f32_e32 v13, v18, v13
	v_mul_f32_e32 v18, v17, v13
	v_fma_f32 v19, -v12, v18, v17
	v_fmac_f32_e32 v18, v19, v13
	v_fma_f32 v12, -v12, v18, v17
	v_div_fmas_f32 v12, v12, v13, v18
	v_div_fixup_f32 v12, v12, v11, v10
	v_fma_f32 v13, v10, v12, v11
	v_div_scale_f32 v17, s[10:11], v13, v13, 1.0
	v_rcp_f32_e32 v20, v17
	v_pk_fma_f32 v[18:19], v[12:13], v[4:5], v[4:5] op_sel:[0,0,1] op_sel_hi:[1,1,0]
	s_mov_b64 s[10:11], 0
	v_fma_f32 v19, -v17, v20, 1.0
	v_fmac_f32_e32 v20, v19, v20
	v_div_scale_f32 v19, vcc, 1.0, v13, 1.0
	v_mul_f32_e32 v21, v19, v20
	v_fma_f32 v22, -v17, v21, v19
	v_fmac_f32_e32 v21, v22, v20
	v_fma_f32 v17, -v17, v21, v19
	v_div_fmas_f32 v17, v17, v20, v21
	v_div_fixup_f32 v19, v17, v13, 1.0
	v_fma_f32 v13, v12, v5, -v4
	v_mov_b32_e32 v12, v19
	v_pk_mul_f32 v[12:13], v[18:19], v[12:13]
.LBB142_68:                             ;   in Loop: Header=BB142_56 Depth=1
	s_andn2_b64 vcc, exec, s[10:11]
	s_cbranch_vccnz .LBB142_70
; %bb.69:                               ;   in Loop: Header=BB142_56 Depth=1
	v_div_scale_f32 v12, s[10:11], v10, v10, v11
	v_rcp_f32_e32 v13, v12
	v_div_scale_f32 v17, vcc, v11, v10, v11
	v_fma_f32 v18, -v12, v13, 1.0
	v_fmac_f32_e32 v13, v18, v13
	v_mul_f32_e32 v18, v17, v13
	v_fma_f32 v19, -v12, v18, v17
	v_fmac_f32_e32 v18, v19, v13
	v_fma_f32 v12, -v12, v18, v17
	v_div_fmas_f32 v12, v12, v13, v18
	v_div_fixup_f32 v12, v12, v10, v11
	v_fmac_f32_e32 v10, v11, v12
	v_div_scale_f32 v11, s[10:11], v10, v10, 1.0
	v_rcp_f32_e32 v13, v11
	s_nop 0
	v_fma_f32 v17, -v11, v13, 1.0
	v_fmac_f32_e32 v13, v17, v13
	v_div_scale_f32 v17, vcc, 1.0, v10, 1.0
	v_mul_f32_e32 v18, v17, v13
	v_fma_f32 v19, -v11, v18, v17
	v_fmac_f32_e32 v18, v19, v13
	v_fma_f32 v11, -v11, v18, v17
	v_div_fmas_f32 v11, v11, v13, v18
	v_pk_fma_f32 v[18:19], v[12:13], v[4:5], v[4:5] op_sel:[0,1,0] op_sel_hi:[1,0,1]
	v_pk_fma_f32 v[4:5], v[12:13], v[4:5], v[4:5] op_sel:[0,1,0] op_sel_hi:[0,0,1] neg_lo:[1,0,0] neg_hi:[1,0,0]
	v_div_fixup_f32 v10, v11, v10, 1.0
	v_mov_b32_e32 v19, v5
	v_pk_mul_f32 v[12:13], v[18:19], v[10:11] op_sel_hi:[1,0]
.LBB142_70:                             ;   in Loop: Header=BB142_56 Depth=1
	s_sub_i32 s10, s16, 24
	v_mov_b32_e32 v4, s10
	ds_write_b64 v16, v[12:13]
	ds_read_b64 v[16:17], v4
	s_add_i32 s17, s17, s14
	s_lshl_b32 s11, s13, 3
	s_sub_i32 s14, s19, s15
	s_add_i32 s13, s18, s11
	s_add_i32 s11, s14, s11
	v_mov_b32_e32 v4, s13
	v_mov_b32_e32 v5, s11
	s_sub_i32 s10, s17, 24
	v_mov_b32_e32 v10, v7
	v_mov_b32_e32 v11, v7
	;; [unrolled: 1-line block ×3, first 2 shown]
	ds_read_b64 v[20:21], v4
	ds_read_b64 v[22:23], v5
	ds_read_b64 v[4:5], v24
	v_mov_b32_e32 v7, v6
	s_waitcnt lgkmcnt(3)
	v_pk_mul_f32 v[10:11], v[10:11], v[16:17]
	v_mov_b32_e32 v18, v9
	v_mov_b32_e32 v19, v9
	v_pk_fma_f32 v[24:25], v[6:7], v[16:17], v[10:11] op_sel:[0,0,1] op_sel_hi:[1,1,0] neg_lo:[0,0,1] neg_hi:[0,0,1]
	v_pk_fma_f32 v[6:7], v[6:7], v[16:17], v[10:11] op_sel:[0,0,1] op_sel_hi:[1,1,0]
	v_mov_b32_e32 v9, v8
	v_mov_b32_e32 v25, v7
	s_waitcnt lgkmcnt(2)
	v_pk_mul_f32 v[6:7], v[18:19], v[20:21]
	v_pk_add_f32 v[2:3], v[2:3], v[24:25] neg_lo:[0,1] neg_hi:[0,1]
	v_pk_fma_f32 v[10:11], v[8:9], v[20:21], v[6:7] op_sel:[0,0,1] op_sel_hi:[1,1,0] neg_lo:[0,0,1] neg_hi:[0,0,1]
	v_pk_fma_f32 v[6:7], v[8:9], v[20:21], v[6:7] op_sel:[0,0,1] op_sel_hi:[1,1,0]
	s_waitcnt lgkmcnt(0)
	v_cmp_ngt_f32_e64 s[14:15], |v4|, |v5|
	v_mov_b32_e32 v11, v7
	v_pk_mul_f32 v[6:7], v[12:13], v[22:23] op_sel:[1,1] op_sel_hi:[1,0]
	v_pk_add_f32 v[2:3], v[2:3], v[10:11] neg_lo:[0,1] neg_hi:[0,1]
	v_pk_fma_f32 v[8:9], v[12:13], v[22:23], v[6:7] neg_lo:[0,0,1] neg_hi:[0,0,1]
	v_pk_fma_f32 v[6:7], v[12:13], v[22:23], v[6:7] op_sel_hi:[0,1,1]
	v_mov_b32_e32 v9, v7
	v_pk_add_f32 v[2:3], v[2:3], v[8:9] neg_lo:[0,1] neg_hi:[0,1]
	s_mov_b64 s[10:11], -1
	s_and_b64 vcc, exec, s[14:15]
                                        ; implicit-def: $vgpr6_vgpr7
	s_cbranch_vccz .LBB142_72
; %bb.71:                               ;   in Loop: Header=BB142_56 Depth=1
	v_div_scale_f32 v6, s[10:11], v5, v5, v4
	v_rcp_f32_e32 v7, v6
	v_div_scale_f32 v8, vcc, v4, v5, v4
	v_fma_f32 v9, -v6, v7, 1.0
	v_fmac_f32_e32 v7, v9, v7
	v_mul_f32_e32 v9, v8, v7
	v_fma_f32 v10, -v6, v9, v8
	v_fmac_f32_e32 v9, v10, v7
	v_fma_f32 v6, -v6, v9, v8
	v_div_fmas_f32 v6, v6, v7, v9
	v_div_fixup_f32 v6, v6, v5, v4
	v_fma_f32 v7, v4, v6, v5
	v_div_scale_f32 v10, s[10:11], v7, v7, 1.0
	v_rcp_f32_e32 v11, v10
	v_pk_fma_f32 v[8:9], v[6:7], v[2:3], v[2:3] op_sel:[0,0,1] op_sel_hi:[1,1,0]
	s_mov_b64 s[10:11], 0
	v_fma_f32 v9, -v10, v11, 1.0
	v_fmac_f32_e32 v11, v9, v11
	v_div_scale_f32 v9, vcc, 1.0, v7, 1.0
	v_mul_f32_e32 v12, v9, v11
	v_fma_f32 v13, -v10, v12, v9
	v_fmac_f32_e32 v12, v13, v11
	v_fma_f32 v9, -v10, v12, v9
	v_div_fmas_f32 v9, v9, v11, v12
	v_div_fixup_f32 v9, v9, v7, 1.0
	v_fma_f32 v7, v6, v3, -v2
	v_mov_b32_e32 v6, v9
	v_pk_mul_f32 v[6:7], v[8:9], v[6:7]
.LBB142_72:                             ;   in Loop: Header=BB142_56 Depth=1
	s_andn2_b64 vcc, exec, s[10:11]
	s_cbranch_vccnz .LBB142_74
; %bb.73:                               ;   in Loop: Header=BB142_56 Depth=1
	v_div_scale_f32 v6, s[10:11], v4, v4, v5
	v_rcp_f32_e32 v7, v6
	v_div_scale_f32 v8, vcc, v5, v4, v5
	v_fma_f32 v9, -v6, v7, 1.0
	v_fmac_f32_e32 v7, v9, v7
	v_mul_f32_e32 v9, v8, v7
	v_fma_f32 v10, -v6, v9, v8
	v_fmac_f32_e32 v9, v10, v7
	v_fma_f32 v6, -v6, v9, v8
	v_div_fmas_f32 v6, v6, v7, v9
	v_div_fixup_f32 v6, v6, v4, v5
	v_fmac_f32_e32 v4, v5, v6
	v_div_scale_f32 v5, s[10:11], v4, v4, 1.0
	v_rcp_f32_e32 v7, v5
	s_nop 0
	v_fma_f32 v8, -v5, v7, 1.0
	v_fmac_f32_e32 v7, v8, v7
	v_div_scale_f32 v8, vcc, 1.0, v4, 1.0
	v_mul_f32_e32 v9, v8, v7
	v_fma_f32 v10, -v5, v9, v8
	v_fmac_f32_e32 v9, v10, v7
	v_fma_f32 v5, -v5, v9, v8
	v_div_fmas_f32 v5, v5, v7, v9
	v_pk_fma_f32 v[8:9], v[6:7], v[2:3], v[2:3] op_sel:[0,1,0] op_sel_hi:[1,0,1]
	v_pk_fma_f32 v[2:3], v[6:7], v[2:3], v[2:3] op_sel:[0,1,0] op_sel_hi:[0,0,1] neg_lo:[1,0,0] neg_hi:[1,0,0]
	v_div_fixup_f32 v4, v5, v4, 1.0
	v_mov_b32_e32 v9, v3
	v_pk_mul_f32 v[6:7], v[8:9], v[4:5] op_sel_hi:[1,0]
.LBB142_74:                             ;   in Loop: Header=BB142_56 Depth=1
	s_add_i32 s13, s12, -4
	s_sub_i32 s9, s9, 32
	s_cmp_lt_i32 s12, 7
	ds_write_b64 v15, v[6:7]
	s_cbranch_scc1 .LBB142_76
; %bb.75:                               ;   in Loop: Header=BB142_56 Depth=1
	s_mov_b32 s12, s13
	s_branch .LBB142_56
.LBB142_76:
	s_cmp_lt_i32 s13, 0
	s_cbranch_scc1 .LBB142_85
; %bb.77:
	s_lshl_b32 s10, s28, 6
	s_lshl_b32 s9, s13, 3
	s_add_i32 s9, s10, s9
	v_lshl_or_b32 v2, v0, 3, s10
	s_sub_i32 s9, s9, 64
	v_add_u32_e32 v8, 0x1c0, v2
	s_branch .LBB142_79
.LBB142_78:                             ;   in Loop: Header=BB142_79 Depth=1
	v_sub_co_u32_e64 v2, s[10:11], s13, 1
	s_nop 0
	v_readfirstlane_b32 s13, v2
	s_add_i32 s9, s9, -8
	s_and_b64 vcc, exec, s[10:11]
	ds_write_b64 v9, v[6:7]
	s_cbranch_vccnz .LBB142_85
.LBB142_79:                             ; =>This Loop Header: Depth=1
                                        ;     Child Loop BB142_80 Depth 2
	s_lshl_b32 s10, s13, 6
	v_add_u32_e32 v9, s10, v1
	ds_read_b64 v[2:3], v9
	s_cmp_le_i32 s7, s13
	v_mov_b32_e32 v4, v8
	s_mov_b32 s11, s9
	s_mov_b32 s12, s7
	s_cbranch_scc1 .LBB142_81
.LBB142_80:                             ;   Parent Loop BB142_79 Depth=1
                                        ; =>  This Inner Loop Header: Depth=2
	v_mov_b32_e32 v5, s11
	ds_read_b64 v[6:7], v4
	ds_read_b64 v[10:11], v5
	s_add_i32 s12, s12, -1
	s_sub_i32 s11, s11, 64
	v_subrev_u32_e32 v4, 64, v4
	s_cmp_le_u32 s12, s13
	s_waitcnt lgkmcnt(0)
	v_pk_mul_f32 v[12:13], v[10:11], v[6:7] op_sel:[1,1] op_sel_hi:[0,1]
	v_pk_fma_f32 v[14:15], v[10:11], v[6:7], v[12:13] op_sel_hi:[1,0,1]
	v_pk_fma_f32 v[6:7], v[10:11], v[6:7], v[12:13] op_sel_hi:[1,0,1] neg_lo:[0,0,1] neg_hi:[0,0,1]
	s_nop 0
	v_mov_b32_e32 v7, v15
	v_pk_add_f32 v[2:3], v[2:3], v[6:7] neg_lo:[0,1] neg_hi:[0,1]
	s_cbranch_scc0 .LBB142_80
.LBB142_81:                             ;   in Loop: Header=BB142_79 Depth=1
	s_lshl_b32 s11, s13, 3
	s_add_i32 s10, s11, s10
	v_mov_b32_e32 v4, s10
	ds_read_b64 v[4:5], v4
	s_mov_b64 s[10:11], -1
                                        ; implicit-def: $vgpr6_vgpr7
	s_waitcnt lgkmcnt(0)
	v_cmp_ngt_f32_e64 s[14:15], |v4|, |v5|
	s_and_b64 vcc, exec, s[14:15]
	s_cbranch_vccz .LBB142_83
; %bb.82:                               ;   in Loop: Header=BB142_79 Depth=1
	v_div_scale_f32 v6, s[10:11], v5, v5, v4
	v_rcp_f32_e32 v7, v6
	v_div_scale_f32 v10, vcc, v4, v5, v4
	v_fma_f32 v11, -v6, v7, 1.0
	v_fmac_f32_e32 v7, v11, v7
	v_mul_f32_e32 v11, v10, v7
	v_fma_f32 v12, -v6, v11, v10
	v_fmac_f32_e32 v11, v12, v7
	v_fma_f32 v6, -v6, v11, v10
	v_div_fmas_f32 v6, v6, v7, v11
	v_div_fixup_f32 v6, v6, v5, v4
	v_fma_f32 v7, v4, v6, v5
	v_div_scale_f32 v10, s[10:11], v7, v7, 1.0
	v_rcp_f32_e32 v11, v10
	s_mov_b64 s[10:11], 0
	v_fma_f32 v12, -v10, v11, 1.0
	v_fmac_f32_e32 v11, v12, v11
	v_div_scale_f32 v12, vcc, 1.0, v7, 1.0
	v_mul_f32_e32 v13, v12, v11
	v_fma_f32 v14, -v10, v13, v12
	v_fmac_f32_e32 v13, v14, v11
	v_fma_f32 v10, -v10, v13, v12
	v_div_fmas_f32 v10, v10, v11, v13
	v_div_fixup_f32 v10, v10, v7, 1.0
	v_pk_fma_f32 v[12:13], v[2:3], v[6:7], v[2:3] op_sel:[0,0,1] op_sel_hi:[1,0,0] neg_lo:[0,0,1] neg_hi:[0,0,1]
	v_pk_fma_f32 v[6:7], v[2:3], v[6:7], v[2:3] op_sel:[0,0,1] op_sel_hi:[1,0,0]
	s_nop 0
	v_mov_b32_e32 v7, v13
	v_pk_mul_f32 v[6:7], v[6:7], v[10:11] op_sel_hi:[1,0]
.LBB142_83:                             ;   in Loop: Header=BB142_79 Depth=1
	s_andn2_b64 vcc, exec, s[10:11]
	s_cbranch_vccnz .LBB142_78
; %bb.84:                               ;   in Loop: Header=BB142_79 Depth=1
	v_div_scale_f32 v6, s[10:11], v4, v4, v5
	v_rcp_f32_e32 v7, v6
	v_div_scale_f32 v10, vcc, v5, v4, v5
	v_fma_f32 v11, -v6, v7, 1.0
	v_fmac_f32_e32 v7, v11, v7
	v_mul_f32_e32 v11, v10, v7
	v_fma_f32 v12, -v6, v11, v10
	v_fmac_f32_e32 v11, v12, v7
	v_fma_f32 v6, -v6, v11, v10
	v_div_fmas_f32 v6, v6, v7, v11
	v_div_fixup_f32 v6, v6, v4, v5
	v_fmac_f32_e32 v4, v5, v6
	v_div_scale_f32 v5, s[10:11], v4, v4, 1.0
	v_rcp_f32_e32 v7, v5
	s_nop 0
	v_fma_f32 v10, -v5, v7, 1.0
	v_fmac_f32_e32 v7, v10, v7
	v_div_scale_f32 v10, vcc, 1.0, v4, 1.0
	v_mul_f32_e32 v11, v10, v7
	v_fma_f32 v12, -v5, v11, v10
	v_fmac_f32_e32 v11, v12, v7
	v_fma_f32 v5, -v5, v11, v10
	v_div_fmas_f32 v5, v5, v7, v11
	v_pk_fma_f32 v[10:11], v[2:3], v[6:7], v[2:3] op_sel:[1,0,0] op_sel_hi:[0,0,1] neg_lo:[1,0,0] neg_hi:[1,0,0]
	v_pk_fma_f32 v[2:3], v[2:3], v[6:7], v[2:3] op_sel:[1,0,0] op_sel_hi:[0,0,1]
	v_div_fixup_f32 v4, v5, v4, 1.0
	v_mov_b32_e32 v3, v11
	v_pk_mul_f32 v[6:7], v[2:3], v[4:5] op_sel_hi:[1,0]
	s_branch .LBB142_78
.LBB142_85:
	s_mov_b64 s[14:15], 0
.LBB142_86:
	s_andn2_b64 vcc, exec, s[14:15]
	s_cbranch_vccnz .LBB142_118
; %bb.87:
	s_andn2_b64 vcc, exec, s[4:5]
	s_mov_b32 s11, s7
	s_cbranch_vccnz .LBB142_109
; %bb.88:
	v_lshlrev_b32_e32 v2, 3, v0
	v_lshl_or_b32 v2, s28, 6, v2
	s_mul_i32 s4, s28, 0x48
	v_add_u32_e32 v14, 0x1c0, v2
	s_add_i32 s9, s4, 0xfffffef8
	s_mov_b32 s10, s7
.LBB142_89:                             ; =>This Loop Header: Depth=1
                                        ;     Child Loop BB142_90 Depth 2
	v_lshl_add_u32 v18, s10, 6, v1
	s_add_i32 s4, s10, -1
	s_add_i32 s5, s10, -2
	;; [unrolled: 1-line block ×3, first 2 shown]
	v_lshl_add_u32 v17, s4, 6, v1
	v_lshl_add_u32 v16, s5, 6, v1
	;; [unrolled: 1-line block ×3, first 2 shown]
	ds_read_b64 v[2:3], v18
	ds_read_b64 v[12:13], v17
	;; [unrolled: 1-line block ×4, first 2 shown]
	s_cmp_le_i32 s7, s10
	s_mov_b32 s12, s9
	v_mov_b32_e32 v4, v14
	s_mov_b32 s13, s7
	s_cbranch_scc1 .LBB142_91
.LBB142_90:                             ;   Parent Loop BB142_89 Depth=1
                                        ; =>  This Inner Loop Header: Depth=2
	v_mov_b32_e32 v5, s12
	ds_read_b64 v[10:11], v4
	ds_read2_b64 v[20:23], v5 offset0:16 offset1:24
	ds_read2_b64 v[24:27], v5 offset1:8
	s_add_i32 s13, s13, -1
	s_add_i32 s12, s12, -8
	v_subrev_u32_e32 v4, 64, v4
	s_waitcnt lgkmcnt(1)
	v_mul_f32_e32 v5, v23, v11
	v_mul_f32_e32 v19, v22, v11
	;; [unrolled: 1-line block ×4, first 2 shown]
	s_waitcnt lgkmcnt(0)
	v_pk_mul_f32 v[28:29], v[26:27], v[10:11] op_sel:[0,1]
	v_pk_mul_f32 v[30:31], v[24:25], v[10:11] op_sel:[0,1]
	v_fma_f32 v5, v22, v10, -v5
	v_fmac_f32_e32 v19, v23, v10
	v_fma_f32 v32, v20, v10, -v32
	v_fmac_f32_e32 v33, v20, v11
	v_pk_fma_f32 v[20:21], v[26:27], v[10:11], v[28:29] op_sel:[0,0,1] op_sel_hi:[1,1,0] neg_lo:[0,0,1] neg_hi:[0,0,1]
	v_pk_fma_f32 v[22:23], v[26:27], v[10:11], v[28:29] op_sel:[0,0,1] op_sel_hi:[1,0,0]
	v_pk_fma_f32 v[26:27], v[24:25], v[10:11], v[30:31] op_sel:[0,0,1] op_sel_hi:[1,1,0] neg_lo:[0,0,1] neg_hi:[0,0,1]
	v_pk_fma_f32 v[10:11], v[24:25], v[10:11], v[30:31] op_sel:[0,0,1] op_sel_hi:[1,0,0]
	v_mov_b32_e32 v21, v23
	v_mov_b32_e32 v27, v11
	s_cmp_le_i32 s13, s10
	v_sub_f32_e32 v2, v2, v5
	v_sub_f32_e32 v3, v3, v19
	;; [unrolled: 1-line block ×4, first 2 shown]
	v_pk_add_f32 v[8:9], v[8:9], v[20:21] neg_lo:[0,1] neg_hi:[0,1]
	v_pk_add_f32 v[6:7], v[6:7], v[26:27] neg_lo:[0,1] neg_hi:[0,1]
	s_cbranch_scc0 .LBB142_90
.LBB142_91:                             ;   in Loop: Header=BB142_89 Depth=1
	s_lshl_b32 s13, s4, 3
	s_mul_i32 s4, s10, 0x48
	v_mov_b32_e32 v4, s4
	ds_read_b64 v[4:5], v4
	s_lshl_b32 s12, s5, 3
	s_lshl_b32 s11, s11, 3
	s_mov_b64 s[4:5], -1
                                        ; implicit-def: $vgpr11
	s_waitcnt lgkmcnt(0)
	v_cmp_ngt_f32_e64 s[14:15], |v4|, |v5|
	s_and_b64 vcc, exec, s[14:15]
	s_cbranch_vccz .LBB142_93
; %bb.92:                               ;   in Loop: Header=BB142_89 Depth=1
	v_div_scale_f32 v10, s[4:5], v5, v5, v4
	v_rcp_f32_e32 v11, v10
	v_div_scale_f32 v19, vcc, v4, v5, v4
	v_fma_f32 v20, -v10, v11, 1.0
	v_fmac_f32_e32 v11, v20, v11
	v_mul_f32_e32 v20, v19, v11
	v_fma_f32 v21, -v10, v20, v19
	v_fmac_f32_e32 v20, v21, v11
	v_fma_f32 v10, -v10, v20, v19
	v_div_fmas_f32 v10, v10, v11, v20
	v_div_fixup_f32 v11, v10, v5, v4
	v_fma_f32 v10, v4, v11, v5
	v_div_scale_f32 v19, s[4:5], v10, v10, 1.0
	v_rcp_f32_e32 v20, v19
	s_mov_b64 s[4:5], 0
	v_fma_f32 v21, -v19, v20, 1.0
	v_fmac_f32_e32 v20, v21, v20
	v_div_scale_f32 v21, vcc, 1.0, v10, 1.0
	v_mul_f32_e32 v22, v21, v20
	v_fma_f32 v23, -v19, v22, v21
	v_fmac_f32_e32 v22, v23, v20
	v_fma_f32 v19, -v19, v22, v21
	v_div_fmas_f32 v19, v19, v20, v22
	v_div_fixup_f32 v19, v19, v10, 1.0
	v_fma_f32 v10, v2, v11, v3
	v_fma_f32 v11, v3, v11, -v2
	v_mul_f32_e32 v10, v10, v19
	v_mul_f32_e32 v11, v11, v19
.LBB142_93:                             ;   in Loop: Header=BB142_89 Depth=1
	s_andn2_b64 vcc, exec, s[4:5]
	s_cbranch_vccnz .LBB142_95
; %bb.94:                               ;   in Loop: Header=BB142_89 Depth=1
	v_div_scale_f32 v10, s[4:5], v4, v4, v5
	v_rcp_f32_e32 v11, v10
	v_div_scale_f32 v19, vcc, v5, v4, v5
	v_fma_f32 v20, -v10, v11, 1.0
	v_fmac_f32_e32 v11, v20, v11
	v_mul_f32_e32 v20, v19, v11
	v_fma_f32 v21, -v10, v20, v19
	v_fmac_f32_e32 v20, v21, v11
	v_fma_f32 v10, -v10, v20, v19
	v_div_fmas_f32 v10, v10, v11, v20
	v_div_fixup_f32 v11, v10, v4, v5
	v_fmac_f32_e32 v4, v5, v11
	v_div_scale_f32 v5, s[4:5], v4, v4, 1.0
	v_rcp_f32_e32 v10, v5
	s_nop 0
	v_fma_f32 v19, -v5, v10, 1.0
	v_fmac_f32_e32 v10, v19, v10
	v_div_scale_f32 v19, vcc, 1.0, v4, 1.0
	v_mul_f32_e32 v20, v19, v10
	v_fma_f32 v21, -v5, v20, v19
	v_fmac_f32_e32 v20, v21, v10
	v_fma_f32 v5, -v5, v20, v19
	v_div_fmas_f32 v5, v5, v10, v20
	v_div_fixup_f32 v4, v5, v4, 1.0
	v_fma_f32 v5, v3, v11, v2
	v_fma_f32 v2, -v2, v11, v3
	v_mul_f32_e32 v10, v5, v4
	v_mul_f32_e32 v11, v2, v4
.LBB142_95:                             ;   in Loop: Header=BB142_89 Depth=1
	s_lshl_b32 s4, s13, 3
	s_add_i32 s4, s4, s13
	v_mov_b32_e32 v2, s4
	ds_read2_b64 v[2:5], v2 offset1:1
	ds_write_b64 v18, v[10:11]
	s_mov_b64 s[4:5], -1
	s_waitcnt lgkmcnt(1)
	v_mul_f32_e32 v18, v11, v5
	v_mul_f32_e32 v5, v10, v5
	v_fma_f32 v18, v10, v4, -v18
	v_fmac_f32_e32 v5, v11, v4
	v_cmp_ngt_f32_e64 s[14:15], |v2|, |v3|
	v_sub_f32_e32 v4, v12, v18
	v_sub_f32_e32 v5, v13, v5
	s_and_b64 vcc, exec, s[14:15]
                                        ; implicit-def: $vgpr13
	s_cbranch_vccz .LBB142_97
; %bb.96:                               ;   in Loop: Header=BB142_89 Depth=1
	v_div_scale_f32 v12, s[4:5], v3, v3, v2
	v_rcp_f32_e32 v13, v12
	v_div_scale_f32 v18, vcc, v2, v3, v2
	v_fma_f32 v19, -v12, v13, 1.0
	v_fmac_f32_e32 v13, v19, v13
	v_mul_f32_e32 v19, v18, v13
	v_fma_f32 v20, -v12, v19, v18
	v_fmac_f32_e32 v19, v20, v13
	v_fma_f32 v12, -v12, v19, v18
	v_div_fmas_f32 v12, v12, v13, v19
	v_div_fixup_f32 v13, v12, v3, v2
	v_fma_f32 v12, v2, v13, v3
	v_div_scale_f32 v18, s[4:5], v12, v12, 1.0
	v_rcp_f32_e32 v19, v18
	s_mov_b64 s[4:5], 0
	v_fma_f32 v20, -v18, v19, 1.0
	v_fmac_f32_e32 v19, v20, v19
	v_div_scale_f32 v20, vcc, 1.0, v12, 1.0
	v_mul_f32_e32 v21, v20, v19
	v_fma_f32 v22, -v18, v21, v20
	v_fmac_f32_e32 v21, v22, v19
	v_fma_f32 v18, -v18, v21, v20
	v_div_fmas_f32 v18, v18, v19, v21
	v_div_fixup_f32 v18, v18, v12, 1.0
	v_fma_f32 v12, v13, v4, v5
	v_fma_f32 v13, v13, v5, -v4
	v_mul_f32_e32 v12, v12, v18
	v_mul_f32_e32 v13, v13, v18
.LBB142_97:                             ;   in Loop: Header=BB142_89 Depth=1
	s_andn2_b64 vcc, exec, s[4:5]
	s_cbranch_vccnz .LBB142_99
; %bb.98:                               ;   in Loop: Header=BB142_89 Depth=1
	v_div_scale_f32 v12, s[4:5], v2, v2, v3
	v_rcp_f32_e32 v13, v12
	v_div_scale_f32 v18, vcc, v3, v2, v3
	v_fma_f32 v19, -v12, v13, 1.0
	v_fmac_f32_e32 v13, v19, v13
	v_mul_f32_e32 v19, v18, v13
	v_fma_f32 v20, -v12, v19, v18
	v_fmac_f32_e32 v19, v20, v13
	v_fma_f32 v12, -v12, v19, v18
	v_div_fmas_f32 v12, v12, v13, v19
	v_div_fixup_f32 v13, v12, v2, v3
	v_fmac_f32_e32 v2, v3, v13
	v_div_scale_f32 v3, s[4:5], v2, v2, 1.0
	v_rcp_f32_e32 v12, v3
	s_nop 0
	v_fma_f32 v18, -v3, v12, 1.0
	v_fmac_f32_e32 v12, v18, v12
	v_div_scale_f32 v18, vcc, 1.0, v2, 1.0
	v_mul_f32_e32 v19, v18, v12
	v_fma_f32 v20, -v3, v19, v18
	v_fmac_f32_e32 v19, v20, v12
	v_fma_f32 v3, -v3, v19, v18
	v_div_fmas_f32 v3, v3, v12, v19
	v_div_fixup_f32 v2, v3, v2, 1.0
	v_fma_f32 v3, v13, v5, v4
	v_mul_f32_e32 v12, v3, v2
	v_fma_f32 v3, -v13, v4, v5
	v_mul_f32_e32 v13, v3, v2
.LBB142_99:                             ;   in Loop: Header=BB142_89 Depth=1
	s_lshl_b32 s4, s12, 3
	s_lshl_b32 s13, s10, 3
	s_add_i32 s5, s4, s13
	v_mov_b32_e32 v2, s5
	ds_read_b64 v[18:19], v2
	s_add_i32 s4, s4, s12
	v_mov_b32_e32 v2, s4
	ds_read2_b64 v[2:5], v2 offset1:1
	v_mov_b32_e32 v20, v11
	s_waitcnt lgkmcnt(1)
	v_pk_mul_f32 v[20:21], v[20:21], v[18:19] op_sel_hi:[0,1]
	v_pk_fma_f32 v[22:23], v[10:11], v[18:19], v[20:21] op_sel:[0,0,1] op_sel_hi:[1,1,0] neg_lo:[0,0,1] neg_hi:[0,0,1]
	v_pk_fma_f32 v[18:19], v[10:11], v[18:19], v[20:21] op_sel:[0,0,1] op_sel_hi:[0,1,0]
	v_mov_b32_e32 v18, v13
	v_mov_b32_e32 v23, v19
	s_waitcnt lgkmcnt(0)
	v_pk_mul_f32 v[18:19], v[18:19], v[4:5] op_sel_hi:[0,1]
	v_pk_fma_f32 v[20:21], v[12:13], v[4:5], v[18:19] op_sel:[0,0,1] op_sel_hi:[1,1,0] neg_lo:[0,0,1] neg_hi:[0,0,1]
	v_pk_fma_f32 v[4:5], v[12:13], v[4:5], v[18:19] op_sel:[0,0,1] op_sel_hi:[0,1,0]
	v_pk_add_f32 v[8:9], v[8:9], v[22:23] neg_lo:[0,1] neg_hi:[0,1]
	v_mov_b32_e32 v21, v5
	v_cmp_ngt_f32_e64 s[14:15], |v2|, |v3|
	v_pk_add_f32 v[4:5], v[8:9], v[20:21] neg_lo:[0,1] neg_hi:[0,1]
	s_mov_b64 s[4:5], -1
	s_and_b64 vcc, exec, s[14:15]
	ds_write_b64 v17, v[12:13]
                                        ; implicit-def: $vgpr8_vgpr9
	s_cbranch_vccz .LBB142_101
; %bb.100:                              ;   in Loop: Header=BB142_89 Depth=1
	v_div_scale_f32 v8, s[4:5], v3, v3, v2
	v_rcp_f32_e32 v9, v8
	v_div_scale_f32 v17, vcc, v2, v3, v2
	v_fma_f32 v18, -v8, v9, 1.0
	v_fmac_f32_e32 v9, v18, v9
	v_mul_f32_e32 v18, v17, v9
	v_fma_f32 v19, -v8, v18, v17
	v_fmac_f32_e32 v18, v19, v9
	v_fma_f32 v8, -v8, v18, v17
	v_div_fmas_f32 v8, v8, v9, v18
	v_div_fixup_f32 v8, v8, v3, v2
	v_fma_f32 v9, v2, v8, v3
	v_div_scale_f32 v17, s[4:5], v9, v9, 1.0
	v_rcp_f32_e32 v20, v17
	v_pk_fma_f32 v[18:19], v[8:9], v[4:5], v[4:5] op_sel:[0,0,1] op_sel_hi:[1,1,0]
	s_mov_b64 s[4:5], 0
	v_fma_f32 v19, -v17, v20, 1.0
	v_fmac_f32_e32 v20, v19, v20
	v_div_scale_f32 v19, vcc, 1.0, v9, 1.0
	v_mul_f32_e32 v21, v19, v20
	v_fma_f32 v22, -v17, v21, v19
	v_fmac_f32_e32 v21, v22, v20
	v_fma_f32 v17, -v17, v21, v19
	v_div_fmas_f32 v17, v17, v20, v21
	v_div_fixup_f32 v19, v17, v9, 1.0
	v_fma_f32 v9, v8, v5, -v4
	v_mov_b32_e32 v8, v19
	v_pk_mul_f32 v[8:9], v[18:19], v[8:9]
.LBB142_101:                            ;   in Loop: Header=BB142_89 Depth=1
	s_andn2_b64 vcc, exec, s[4:5]
	s_cbranch_vccnz .LBB142_103
; %bb.102:                              ;   in Loop: Header=BB142_89 Depth=1
	v_div_scale_f32 v8, s[4:5], v2, v2, v3
	v_rcp_f32_e32 v9, v8
	v_div_scale_f32 v17, vcc, v3, v2, v3
	v_fma_f32 v18, -v8, v9, 1.0
	v_fmac_f32_e32 v9, v18, v9
	v_mul_f32_e32 v18, v17, v9
	v_fma_f32 v19, -v8, v18, v17
	v_fmac_f32_e32 v18, v19, v9
	v_fma_f32 v8, -v8, v18, v17
	v_div_fmas_f32 v8, v8, v9, v18
	v_div_fixup_f32 v8, v8, v2, v3
	v_fmac_f32_e32 v2, v3, v8
	v_div_scale_f32 v3, s[4:5], v2, v2, 1.0
	v_rcp_f32_e32 v9, v3
	s_nop 0
	v_fma_f32 v17, -v3, v9, 1.0
	v_fmac_f32_e32 v9, v17, v9
	v_div_scale_f32 v17, vcc, 1.0, v2, 1.0
	v_mul_f32_e32 v18, v17, v9
	v_fma_f32 v19, -v3, v18, v17
	v_fmac_f32_e32 v18, v19, v9
	v_fma_f32 v3, -v3, v18, v17
	v_div_fmas_f32 v3, v3, v9, v18
	v_pk_fma_f32 v[18:19], v[8:9], v[4:5], v[4:5] op_sel:[0,1,0] op_sel_hi:[1,0,1]
	v_pk_fma_f32 v[4:5], v[8:9], v[4:5], v[4:5] op_sel:[0,1,0] op_sel_hi:[0,0,1] neg_lo:[1,0,0] neg_hi:[1,0,0]
	v_div_fixup_f32 v2, v3, v2, 1.0
	v_mov_b32_e32 v19, v5
	v_pk_mul_f32 v[8:9], v[18:19], v[2:3] op_sel_hi:[1,0]
.LBB142_103:                            ;   in Loop: Header=BB142_89 Depth=1
	s_lshl_b32 s4, s11, 3
	s_add_i32 s5, s4, s13
	s_add_i32 s5, s5, -8
	v_mov_b32_e32 v2, s5
	ds_read2_b64 v[18:21], v2 offset1:1
	s_add_i32 s4, s4, s11
	v_mov_b32_e32 v2, s4
	v_mov_b32_e32 v22, v11
	;; [unrolled: 1-line block ×3, first 2 shown]
	ds_read2_b64 v[2:5], v2 offset1:1
	v_mov_b32_e32 v11, v10
	ds_write_b64 v16, v[8:9]
	s_waitcnt lgkmcnt(2)
	v_pk_mul_f32 v[16:17], v[22:23], v[20:21]
	v_mov_b32_e32 v24, v13
	v_mov_b32_e32 v25, v13
	v_pk_fma_f32 v[22:23], v[10:11], v[20:21], v[16:17] op_sel:[0,0,1] op_sel_hi:[1,1,0] neg_lo:[0,0,1] neg_hi:[0,0,1]
	v_pk_fma_f32 v[10:11], v[10:11], v[20:21], v[16:17] op_sel:[0,0,1] op_sel_hi:[1,1,0]
	v_mov_b32_e32 v13, v12
	v_mov_b32_e32 v23, v11
	v_pk_mul_f32 v[10:11], v[24:25], v[18:19]
	v_pk_add_f32 v[6:7], v[6:7], v[22:23] neg_lo:[0,1] neg_hi:[0,1]
	v_pk_fma_f32 v[16:17], v[12:13], v[18:19], v[10:11] op_sel:[0,0,1] op_sel_hi:[1,1,0] neg_lo:[0,0,1] neg_hi:[0,0,1]
	v_pk_fma_f32 v[10:11], v[12:13], v[18:19], v[10:11] op_sel:[0,0,1] op_sel_hi:[1,1,0]
	s_waitcnt lgkmcnt(1)
	v_cmp_ngt_f32_e64 s[12:13], |v2|, |v3|
	v_mov_b32_e32 v17, v11
	v_pk_mul_f32 v[10:11], v[8:9], v[4:5] op_sel:[1,1] op_sel_hi:[1,0]
	v_pk_add_f32 v[6:7], v[6:7], v[16:17] neg_lo:[0,1] neg_hi:[0,1]
	v_pk_fma_f32 v[12:13], v[8:9], v[4:5], v[10:11] neg_lo:[0,0,1] neg_hi:[0,0,1]
	v_pk_fma_f32 v[4:5], v[8:9], v[4:5], v[10:11] op_sel_hi:[0,1,1]
	v_mov_b32_e32 v13, v5
	v_pk_add_f32 v[4:5], v[6:7], v[12:13] neg_lo:[0,1] neg_hi:[0,1]
	s_mov_b64 s[4:5], -1
	s_and_b64 vcc, exec, s[12:13]
                                        ; implicit-def: $vgpr6_vgpr7
	s_cbranch_vccz .LBB142_105
; %bb.104:                              ;   in Loop: Header=BB142_89 Depth=1
	v_div_scale_f32 v6, s[4:5], v3, v3, v2
	v_rcp_f32_e32 v7, v6
	v_div_scale_f32 v8, vcc, v2, v3, v2
	v_fma_f32 v9, -v6, v7, 1.0
	v_fmac_f32_e32 v7, v9, v7
	v_mul_f32_e32 v9, v8, v7
	v_fma_f32 v10, -v6, v9, v8
	v_fmac_f32_e32 v9, v10, v7
	v_fma_f32 v6, -v6, v9, v8
	v_div_fmas_f32 v6, v6, v7, v9
	v_div_fixup_f32 v6, v6, v3, v2
	v_fma_f32 v7, v2, v6, v3
	v_div_scale_f32 v10, s[4:5], v7, v7, 1.0
	v_rcp_f32_e32 v11, v10
	v_pk_fma_f32 v[8:9], v[6:7], v[4:5], v[4:5] op_sel:[0,0,1] op_sel_hi:[1,1,0]
	s_mov_b64 s[4:5], 0
	v_fma_f32 v9, -v10, v11, 1.0
	v_fmac_f32_e32 v11, v9, v11
	v_div_scale_f32 v9, vcc, 1.0, v7, 1.0
	v_mul_f32_e32 v12, v9, v11
	v_fma_f32 v13, -v10, v12, v9
	v_fmac_f32_e32 v12, v13, v11
	v_fma_f32 v9, -v10, v12, v9
	v_div_fmas_f32 v9, v9, v11, v12
	v_div_fixup_f32 v9, v9, v7, 1.0
	v_fma_f32 v7, v6, v5, -v4
	v_mov_b32_e32 v6, v9
	v_pk_mul_f32 v[6:7], v[8:9], v[6:7]
.LBB142_105:                            ;   in Loop: Header=BB142_89 Depth=1
	s_andn2_b64 vcc, exec, s[4:5]
	s_cbranch_vccnz .LBB142_107
; %bb.106:                              ;   in Loop: Header=BB142_89 Depth=1
	v_div_scale_f32 v6, s[4:5], v2, v2, v3
	v_rcp_f32_e32 v7, v6
	v_div_scale_f32 v8, vcc, v3, v2, v3
	v_fma_f32 v9, -v6, v7, 1.0
	v_fmac_f32_e32 v7, v9, v7
	v_mul_f32_e32 v9, v8, v7
	v_fma_f32 v10, -v6, v9, v8
	v_fmac_f32_e32 v9, v10, v7
	v_fma_f32 v6, -v6, v9, v8
	v_div_fmas_f32 v6, v6, v7, v9
	v_div_fixup_f32 v6, v6, v2, v3
	v_fmac_f32_e32 v2, v3, v6
	v_div_scale_f32 v3, s[4:5], v2, v2, 1.0
	v_rcp_f32_e32 v7, v3
	s_nop 0
	v_fma_f32 v8, -v3, v7, 1.0
	v_fmac_f32_e32 v7, v8, v7
	v_div_scale_f32 v8, vcc, 1.0, v2, 1.0
	v_mul_f32_e32 v9, v8, v7
	v_fma_f32 v10, -v3, v9, v8
	v_fmac_f32_e32 v9, v10, v7
	v_fma_f32 v3, -v3, v9, v8
	v_div_fmas_f32 v3, v3, v7, v9
	v_pk_fma_f32 v[8:9], v[6:7], v[4:5], v[4:5] op_sel:[0,1,0] op_sel_hi:[1,0,1]
	v_pk_fma_f32 v[4:5], v[6:7], v[4:5], v[4:5] op_sel:[0,1,0] op_sel_hi:[0,0,1] neg_lo:[1,0,0] neg_hi:[1,0,0]
	v_div_fixup_f32 v2, v3, v2, 1.0
	v_mov_b32_e32 v9, v5
	v_pk_mul_f32 v[6:7], v[8:9], v[2:3] op_sel_hi:[1,0]
.LBB142_107:                            ;   in Loop: Header=BB142_89 Depth=1
	s_add_i32 s11, s10, -4
	s_addk_i32 s9, 0xff00
	s_cmp_lt_i32 s10, 7
	ds_write_b64 v15, v[6:7]
	s_cbranch_scc1 .LBB142_109
; %bb.108:                              ;   in Loop: Header=BB142_89 Depth=1
	s_mov_b32 s10, s11
	s_branch .LBB142_89
.LBB142_109:
	s_cmp_lt_i32 s11, 0
	s_cbranch_scc1 .LBB142_118
; %bb.110:
	v_lshlrev_b32_e32 v2, 3, v0
	s_lshl_b32 s4, s11, 6
	s_lshl_b32 s5, s28, 3
	v_lshl_or_b32 v2, s28, 6, v2
	s_add_i32 s4, s4, s5
	v_add_u32_e32 v8, 0x1c0, v2
	s_add_i32 s9, s4, -8
	s_branch .LBB142_112
.LBB142_111:                            ;   in Loop: Header=BB142_112 Depth=1
	v_sub_co_u32_e64 v2, s[4:5], s11, 1
	s_nop 0
	v_readfirstlane_b32 s11, v2
	s_sub_i32 s9, s9, 64
	s_and_b64 vcc, exec, s[4:5]
	ds_write_b64 v9, v[6:7]
	s_cbranch_vccnz .LBB142_118
.LBB142_112:                            ; =>This Loop Header: Depth=1
                                        ;     Child Loop BB142_113 Depth 2
	v_lshl_add_u32 v9, s11, 6, v1
	ds_read_b64 v[2:3], v9
	s_cmp_le_i32 s7, s11
	s_mov_b32 s4, s9
	v_mov_b32_e32 v4, v8
	s_mov_b32 s5, s7
	s_cbranch_scc1 .LBB142_114
.LBB142_113:                            ;   Parent Loop BB142_112 Depth=1
                                        ; =>  This Inner Loop Header: Depth=2
	v_mov_b32_e32 v5, s4
	ds_read_b64 v[6:7], v4
	ds_read_b64 v[10:11], v5
	s_add_i32 s5, s5, -1
	s_add_i32 s4, s4, -8
	v_subrev_u32_e32 v4, 64, v4
	s_cmp_le_u32 s5, s11
	s_waitcnt lgkmcnt(0)
	v_pk_mul_f32 v[12:13], v[10:11], v[6:7] op_sel:[1,1] op_sel_hi:[0,1]
	v_pk_fma_f32 v[14:15], v[10:11], v[6:7], v[12:13] op_sel_hi:[1,0,1]
	v_pk_fma_f32 v[6:7], v[10:11], v[6:7], v[12:13] op_sel_hi:[1,0,1] neg_lo:[0,0,1] neg_hi:[0,0,1]
	s_nop 0
	v_mov_b32_e32 v7, v15
	v_pk_add_f32 v[2:3], v[2:3], v[6:7] neg_lo:[0,1] neg_hi:[0,1]
	s_cbranch_scc0 .LBB142_113
.LBB142_114:                            ;   in Loop: Header=BB142_112 Depth=1
	s_mul_i32 s4, s11, 0x48
	v_mov_b32_e32 v4, s4
	ds_read_b64 v[4:5], v4
	s_mov_b64 s[4:5], -1
                                        ; implicit-def: $vgpr6_vgpr7
	s_waitcnt lgkmcnt(0)
	v_cmp_ngt_f32_e64 s[12:13], |v4|, |v5|
	s_and_b64 vcc, exec, s[12:13]
	s_cbranch_vccz .LBB142_116
; %bb.115:                              ;   in Loop: Header=BB142_112 Depth=1
	v_div_scale_f32 v6, s[4:5], v5, v5, v4
	v_rcp_f32_e32 v7, v6
	v_div_scale_f32 v10, vcc, v4, v5, v4
	v_fma_f32 v11, -v6, v7, 1.0
	v_fmac_f32_e32 v7, v11, v7
	v_mul_f32_e32 v11, v10, v7
	v_fma_f32 v12, -v6, v11, v10
	v_fmac_f32_e32 v11, v12, v7
	v_fma_f32 v6, -v6, v11, v10
	v_div_fmas_f32 v6, v6, v7, v11
	v_div_fixup_f32 v6, v6, v5, v4
	v_fma_f32 v7, v4, v6, v5
	v_div_scale_f32 v10, s[4:5], v7, v7, 1.0
	v_rcp_f32_e32 v11, v10
	s_mov_b64 s[4:5], 0
	v_fma_f32 v12, -v10, v11, 1.0
	v_fmac_f32_e32 v11, v12, v11
	v_div_scale_f32 v12, vcc, 1.0, v7, 1.0
	v_mul_f32_e32 v13, v12, v11
	v_fma_f32 v14, -v10, v13, v12
	v_fmac_f32_e32 v13, v14, v11
	v_fma_f32 v10, -v10, v13, v12
	v_div_fmas_f32 v10, v10, v11, v13
	v_div_fixup_f32 v10, v10, v7, 1.0
	v_pk_fma_f32 v[12:13], v[2:3], v[6:7], v[2:3] op_sel:[0,0,1] op_sel_hi:[1,0,0] neg_lo:[0,0,1] neg_hi:[0,0,1]
	v_pk_fma_f32 v[6:7], v[2:3], v[6:7], v[2:3] op_sel:[0,0,1] op_sel_hi:[1,0,0]
	s_nop 0
	v_mov_b32_e32 v7, v13
	v_pk_mul_f32 v[6:7], v[6:7], v[10:11] op_sel_hi:[1,0]
.LBB142_116:                            ;   in Loop: Header=BB142_112 Depth=1
	s_andn2_b64 vcc, exec, s[4:5]
	s_cbranch_vccnz .LBB142_111
; %bb.117:                              ;   in Loop: Header=BB142_112 Depth=1
	v_div_scale_f32 v6, s[4:5], v4, v4, v5
	v_rcp_f32_e32 v7, v6
	v_div_scale_f32 v10, vcc, v5, v4, v5
	v_fma_f32 v11, -v6, v7, 1.0
	v_fmac_f32_e32 v7, v11, v7
	v_mul_f32_e32 v11, v10, v7
	v_fma_f32 v12, -v6, v11, v10
	v_fmac_f32_e32 v11, v12, v7
	v_fma_f32 v6, -v6, v11, v10
	v_div_fmas_f32 v6, v6, v7, v11
	v_div_fixup_f32 v6, v6, v4, v5
	v_fmac_f32_e32 v4, v5, v6
	v_div_scale_f32 v5, s[4:5], v4, v4, 1.0
	v_rcp_f32_e32 v7, v5
	s_nop 0
	v_fma_f32 v10, -v5, v7, 1.0
	v_fmac_f32_e32 v7, v10, v7
	v_div_scale_f32 v10, vcc, 1.0, v4, 1.0
	v_mul_f32_e32 v11, v10, v7
	v_fma_f32 v12, -v5, v11, v10
	v_fmac_f32_e32 v11, v12, v7
	v_fma_f32 v5, -v5, v11, v10
	v_div_fmas_f32 v5, v5, v7, v11
	v_pk_fma_f32 v[10:11], v[2:3], v[6:7], v[2:3] op_sel:[1,0,0] op_sel_hi:[0,0,1] neg_lo:[1,0,0] neg_hi:[1,0,0]
	v_pk_fma_f32 v[2:3], v[2:3], v[6:7], v[2:3] op_sel:[1,0,0] op_sel_hi:[0,0,1]
	v_div_fixup_f32 v4, v5, v4, 1.0
	v_mov_b32_e32 v3, v11
	v_pk_mul_f32 v[6:7], v[2:3], v[4:5] op_sel_hi:[1,0]
	s_branch .LBB142_111
.LBB142_118:
	s_mov_b64 s[14:15], 0
.LBB142_119:
	s_andn2_b64 vcc, exec, s[14:15]
	s_cbranch_vccnz .LBB142_151
; %bb.120:
	v_mov_b32_e32 v1, 0x200
	v_lshl_or_b32 v1, v0, 3, v1
	s_cmp_lt_i32 s8, 4
	s_mov_b32 s10, 0
	s_cbranch_scc1 .LBB142_142
; %bb.121:
	s_mov_b32 s7, 0
	s_mov_b32 s9, 0
.LBB142_122:                            ; =>This Loop Header: Depth=1
                                        ;     Child Loop BB142_123 Depth 2
	s_or_b32 s4, s9, 3
	v_lshl_add_u32 v17, s9, 6, v1
	s_or_b32 s5, s9, 1
	s_or_b32 s10, s9, 2
	v_lshl_add_u32 v16, s5, 6, v1
	v_lshl_add_u32 v15, s10, 6, v1
	;; [unrolled: 1-line block ×3, first 2 shown]
	ds_read_b64 v[2:3], v17
	ds_read_b64 v[12:13], v16
	;; [unrolled: 1-line block ×4, first 2 shown]
	s_cmp_eq_u32 s9, 0
	s_mov_b32 s11, s7
	v_mov_b32_e32 v4, v1
	s_mov_b32 s12, s9
	s_cbranch_scc1 .LBB142_124
.LBB142_123:                            ;   Parent Loop BB142_122 Depth=1
                                        ; =>  This Inner Loop Header: Depth=2
	v_mov_b32_e32 v5, s11
	ds_read_b64 v[10:11], v4
	ds_read2_b64 v[18:21], v5 offset1:8
	ds_read2_b64 v[22:25], v5 offset0:16 offset1:24
	s_add_i32 s12, s12, -1
	s_add_i32 s11, s11, 8
	v_add_u32_e32 v4, 64, v4
	s_waitcnt lgkmcnt(1)
	v_mul_f32_e32 v5, v19, v11
	v_mul_f32_e32 v30, v18, v11
	;; [unrolled: 1-line block ×4, first 2 shown]
	s_waitcnt lgkmcnt(0)
	v_pk_mul_f32 v[26:27], v[22:23], v[10:11] op_sel:[0,1]
	v_pk_mul_f32 v[28:29], v[24:25], v[10:11] op_sel:[0,1]
	v_fma_f32 v5, v18, v10, -v5
	v_fmac_f32_e32 v30, v19, v10
	v_fma_f32 v31, v20, v10, -v31
	v_fmac_f32_e32 v32, v20, v11
	v_pk_fma_f32 v[18:19], v[22:23], v[10:11], v[26:27] op_sel:[0,0,1] op_sel_hi:[1,1,0] neg_lo:[0,0,1] neg_hi:[0,0,1]
	v_pk_fma_f32 v[20:21], v[22:23], v[10:11], v[26:27] op_sel:[0,0,1] op_sel_hi:[1,0,0]
	v_pk_fma_f32 v[22:23], v[24:25], v[10:11], v[28:29] op_sel:[0,0,1] op_sel_hi:[1,1,0] neg_lo:[0,0,1] neg_hi:[0,0,1]
	v_pk_fma_f32 v[10:11], v[24:25], v[10:11], v[28:29] op_sel:[0,0,1] op_sel_hi:[1,0,0]
	v_mov_b32_e32 v19, v21
	v_mov_b32_e32 v23, v11
	s_cmp_eq_u32 s12, 0
	v_sub_f32_e32 v2, v2, v5
	v_sub_f32_e32 v3, v3, v30
	;; [unrolled: 1-line block ×4, first 2 shown]
	v_pk_add_f32 v[8:9], v[8:9], v[18:19] neg_lo:[0,1] neg_hi:[0,1]
	v_pk_add_f32 v[6:7], v[6:7], v[22:23] neg_lo:[0,1] neg_hi:[0,1]
	s_cbranch_scc0 .LBB142_123
.LBB142_124:                            ;   in Loop: Header=BB142_122 Depth=1
	s_lshl_b32 s12, s10, 3
	s_lshl_b32 s10, s4, 3
	s_mul_i32 s4, s9, 0x48
	v_mov_b32_e32 v4, s4
	ds_read_b64 v[4:5], v4
	s_lshl_b32 s11, s5, 3
	s_mov_b64 s[4:5], -1
                                        ; implicit-def: $vgpr11
	s_waitcnt lgkmcnt(0)
	v_cmp_ngt_f32_e64 s[14:15], |v4|, |v5|
	s_and_b64 vcc, exec, s[14:15]
	s_cbranch_vccz .LBB142_126
; %bb.125:                              ;   in Loop: Header=BB142_122 Depth=1
	v_div_scale_f32 v10, s[4:5], v5, v5, v4
	v_rcp_f32_e32 v11, v10
	v_div_scale_f32 v18, vcc, v4, v5, v4
	v_fma_f32 v19, -v10, v11, 1.0
	v_fmac_f32_e32 v11, v19, v11
	v_mul_f32_e32 v19, v18, v11
	v_fma_f32 v20, -v10, v19, v18
	v_fmac_f32_e32 v19, v20, v11
	v_fma_f32 v10, -v10, v19, v18
	v_div_fmas_f32 v10, v10, v11, v19
	v_div_fixup_f32 v11, v10, v5, v4
	v_fma_f32 v10, v4, v11, v5
	v_div_scale_f32 v18, s[4:5], v10, v10, 1.0
	v_rcp_f32_e32 v19, v18
	s_mov_b64 s[4:5], 0
	v_fma_f32 v20, -v18, v19, 1.0
	v_fmac_f32_e32 v19, v20, v19
	v_div_scale_f32 v20, vcc, 1.0, v10, 1.0
	v_mul_f32_e32 v21, v20, v19
	v_fma_f32 v22, -v18, v21, v20
	v_fmac_f32_e32 v21, v22, v19
	v_fma_f32 v18, -v18, v21, v20
	v_div_fmas_f32 v18, v18, v19, v21
	v_div_fixup_f32 v18, v18, v10, 1.0
	v_fma_f32 v10, v2, v11, v3
	v_fma_f32 v11, v3, v11, -v2
	v_mul_f32_e32 v10, v10, v18
	v_mul_f32_e32 v11, v11, v18
.LBB142_126:                            ;   in Loop: Header=BB142_122 Depth=1
	s_andn2_b64 vcc, exec, s[4:5]
	s_cbranch_vccnz .LBB142_128
; %bb.127:                              ;   in Loop: Header=BB142_122 Depth=1
	v_div_scale_f32 v10, s[4:5], v4, v4, v5
	v_rcp_f32_e32 v11, v10
	v_div_scale_f32 v18, vcc, v5, v4, v5
	v_fma_f32 v19, -v10, v11, 1.0
	v_fmac_f32_e32 v11, v19, v11
	v_mul_f32_e32 v19, v18, v11
	v_fma_f32 v20, -v10, v19, v18
	v_fmac_f32_e32 v19, v20, v11
	v_fma_f32 v10, -v10, v19, v18
	v_div_fmas_f32 v10, v10, v11, v19
	v_div_fixup_f32 v11, v10, v4, v5
	v_fmac_f32_e32 v4, v5, v11
	v_div_scale_f32 v5, s[4:5], v4, v4, 1.0
	v_rcp_f32_e32 v10, v5
	s_nop 0
	v_fma_f32 v18, -v5, v10, 1.0
	v_fmac_f32_e32 v10, v18, v10
	v_div_scale_f32 v18, vcc, 1.0, v4, 1.0
	v_mul_f32_e32 v19, v18, v10
	v_fma_f32 v20, -v5, v19, v18
	v_fmac_f32_e32 v19, v20, v10
	v_fma_f32 v5, -v5, v19, v18
	v_div_fmas_f32 v5, v5, v10, v19
	v_div_fixup_f32 v4, v5, v4, 1.0
	v_fma_f32 v5, v3, v11, v2
	v_fma_f32 v2, -v2, v11, v3
	v_mul_f32_e32 v10, v5, v4
	v_mul_f32_e32 v11, v2, v4
.LBB142_128:                            ;   in Loop: Header=BB142_122 Depth=1
	s_lshl_b32 s4, s11, 3
	s_lshl_b32 s11, s9, 3
	s_add_i32 s4, s4, s11
	v_mov_b32_e32 v2, s4
	ds_read_b128 v[2:5], v2
	ds_write_b64 v17, v[10:11]
	s_mov_b64 s[4:5], -1
	s_waitcnt lgkmcnt(1)
	v_mul_f32_e32 v17, v11, v3
	v_mul_f32_e32 v3, v10, v3
	v_fma_f32 v17, v10, v2, -v17
	v_fmac_f32_e32 v3, v11, v2
	v_cmp_ngt_f32_e64 s[14:15], |v4|, |v5|
	v_sub_f32_e32 v2, v12, v17
	v_sub_f32_e32 v3, v13, v3
	s_and_b64 vcc, exec, s[14:15]
                                        ; implicit-def: $vgpr13
	s_cbranch_vccz .LBB142_130
; %bb.129:                              ;   in Loop: Header=BB142_122 Depth=1
	v_div_scale_f32 v12, s[4:5], v5, v5, v4
	v_rcp_f32_e32 v13, v12
	v_div_scale_f32 v17, vcc, v4, v5, v4
	v_fma_f32 v18, -v12, v13, 1.0
	v_fmac_f32_e32 v13, v18, v13
	v_mul_f32_e32 v18, v17, v13
	v_fma_f32 v19, -v12, v18, v17
	v_fmac_f32_e32 v18, v19, v13
	v_fma_f32 v12, -v12, v18, v17
	v_div_fmas_f32 v12, v12, v13, v18
	v_div_fixup_f32 v13, v12, v5, v4
	v_fma_f32 v12, v4, v13, v5
	v_div_scale_f32 v17, s[4:5], v12, v12, 1.0
	v_rcp_f32_e32 v18, v17
	s_mov_b64 s[4:5], 0
	v_fma_f32 v19, -v17, v18, 1.0
	v_fmac_f32_e32 v18, v19, v18
	v_div_scale_f32 v19, vcc, 1.0, v12, 1.0
	v_mul_f32_e32 v20, v19, v18
	v_fma_f32 v21, -v17, v20, v19
	v_fmac_f32_e32 v20, v21, v18
	v_fma_f32 v17, -v17, v20, v19
	v_div_fmas_f32 v17, v17, v18, v20
	v_div_fixup_f32 v17, v17, v12, 1.0
	v_fma_f32 v12, v13, v2, v3
	v_fma_f32 v13, v13, v3, -v2
	v_mul_f32_e32 v12, v12, v17
	v_mul_f32_e32 v13, v13, v17
.LBB142_130:                            ;   in Loop: Header=BB142_122 Depth=1
	s_andn2_b64 vcc, exec, s[4:5]
	s_cbranch_vccnz .LBB142_132
; %bb.131:                              ;   in Loop: Header=BB142_122 Depth=1
	v_div_scale_f32 v12, s[4:5], v4, v4, v5
	v_rcp_f32_e32 v13, v12
	v_div_scale_f32 v17, vcc, v5, v4, v5
	v_fma_f32 v18, -v12, v13, 1.0
	v_fmac_f32_e32 v13, v18, v13
	v_mul_f32_e32 v18, v17, v13
	v_fma_f32 v19, -v12, v18, v17
	v_fmac_f32_e32 v18, v19, v13
	v_fma_f32 v12, -v12, v18, v17
	v_div_fmas_f32 v12, v12, v13, v18
	v_div_fixup_f32 v13, v12, v4, v5
	v_fmac_f32_e32 v4, v5, v13
	v_div_scale_f32 v5, s[4:5], v4, v4, 1.0
	v_rcp_f32_e32 v12, v5
	s_nop 0
	v_fma_f32 v17, -v5, v12, 1.0
	v_fmac_f32_e32 v12, v17, v12
	v_div_scale_f32 v17, vcc, 1.0, v4, 1.0
	v_mul_f32_e32 v18, v17, v12
	v_fma_f32 v19, -v5, v18, v17
	v_fmac_f32_e32 v18, v19, v12
	v_fma_f32 v5, -v5, v18, v17
	v_div_fmas_f32 v5, v5, v12, v18
	v_div_fixup_f32 v4, v5, v4, 1.0
	v_fma_f32 v5, v13, v3, v2
	v_fma_f32 v2, -v13, v2, v3
	v_mul_f32_e32 v12, v5, v4
	v_mul_f32_e32 v13, v2, v4
.LBB142_132:                            ;   in Loop: Header=BB142_122 Depth=1
	s_lshl_b32 s4, s12, 3
	s_add_i32 s5, s4, s11
	v_mov_b32_e32 v2, s5
	ds_write_b64 v16, v[12:13]
	ds_read_b128 v[16:19], v2
	v_mov_b32_e32 v4, v11
	s_add_i32 s4, s4, s12
	v_mov_b32_e32 v2, s4
	ds_read_b64 v[2:3], v2
	s_waitcnt lgkmcnt(1)
	v_pk_mul_f32 v[4:5], v[4:5], v[16:17] op_sel_hi:[0,1]
	v_pk_fma_f32 v[20:21], v[10:11], v[16:17], v[4:5] op_sel:[0,0,1] op_sel_hi:[1,1,0] neg_lo:[0,0,1] neg_hi:[0,0,1]
	v_pk_fma_f32 v[4:5], v[10:11], v[16:17], v[4:5] op_sel:[0,0,1] op_sel_hi:[0,1,0]
	v_mov_b32_e32 v21, v5
	v_pk_add_f32 v[4:5], v[8:9], v[20:21] neg_lo:[0,1] neg_hi:[0,1]
	v_mov_b32_e32 v8, v13
	v_pk_mul_f32 v[8:9], v[8:9], v[18:19] op_sel_hi:[0,1]
	v_pk_fma_f32 v[16:17], v[12:13], v[18:19], v[8:9] op_sel:[0,0,1] op_sel_hi:[1,1,0] neg_lo:[0,0,1] neg_hi:[0,0,1]
	v_pk_fma_f32 v[8:9], v[12:13], v[18:19], v[8:9] op_sel:[0,0,1] op_sel_hi:[0,1,0]
	v_mov_b32_e32 v17, v9
	s_waitcnt lgkmcnt(0)
	v_cmp_ngt_f32_e64 s[12:13], |v2|, |v3|
	v_pk_add_f32 v[4:5], v[4:5], v[16:17] neg_lo:[0,1] neg_hi:[0,1]
	s_mov_b64 s[4:5], -1
	s_and_b64 vcc, exec, s[12:13]
                                        ; implicit-def: $vgpr8_vgpr9
	s_cbranch_vccz .LBB142_134
; %bb.133:                              ;   in Loop: Header=BB142_122 Depth=1
	v_div_scale_f32 v8, s[4:5], v3, v3, v2
	v_rcp_f32_e32 v9, v8
	v_div_scale_f32 v16, vcc, v2, v3, v2
	v_fma_f32 v17, -v8, v9, 1.0
	v_fmac_f32_e32 v9, v17, v9
	v_mul_f32_e32 v17, v16, v9
	v_fma_f32 v18, -v8, v17, v16
	v_fmac_f32_e32 v17, v18, v9
	v_fma_f32 v8, -v8, v17, v16
	v_div_fmas_f32 v8, v8, v9, v17
	v_div_fixup_f32 v8, v8, v3, v2
	v_fma_f32 v9, v2, v8, v3
	v_div_scale_f32 v18, s[4:5], v9, v9, 1.0
	v_rcp_f32_e32 v19, v18
	v_pk_fma_f32 v[16:17], v[8:9], v[4:5], v[4:5] op_sel:[0,0,1] op_sel_hi:[1,1,0]
	s_mov_b64 s[4:5], 0
	v_fma_f32 v17, -v18, v19, 1.0
	v_fmac_f32_e32 v19, v17, v19
	v_div_scale_f32 v17, vcc, 1.0, v9, 1.0
	v_mul_f32_e32 v20, v17, v19
	v_fma_f32 v21, -v18, v20, v17
	v_fmac_f32_e32 v20, v21, v19
	v_fma_f32 v17, -v18, v20, v17
	v_div_fmas_f32 v17, v17, v19, v20
	v_div_fixup_f32 v17, v17, v9, 1.0
	v_fma_f32 v9, v8, v5, -v4
	v_mov_b32_e32 v8, v17
	v_pk_mul_f32 v[8:9], v[16:17], v[8:9]
.LBB142_134:                            ;   in Loop: Header=BB142_122 Depth=1
	s_andn2_b64 vcc, exec, s[4:5]
	s_cbranch_vccnz .LBB142_136
; %bb.135:                              ;   in Loop: Header=BB142_122 Depth=1
	v_div_scale_f32 v8, s[4:5], v2, v2, v3
	v_rcp_f32_e32 v9, v8
	v_div_scale_f32 v16, vcc, v3, v2, v3
	v_fma_f32 v17, -v8, v9, 1.0
	v_fmac_f32_e32 v9, v17, v9
	v_mul_f32_e32 v17, v16, v9
	v_fma_f32 v18, -v8, v17, v16
	v_fmac_f32_e32 v17, v18, v9
	v_fma_f32 v8, -v8, v17, v16
	v_div_fmas_f32 v8, v8, v9, v17
	v_div_fixup_f32 v8, v8, v2, v3
	v_fmac_f32_e32 v2, v3, v8
	v_div_scale_f32 v3, s[4:5], v2, v2, 1.0
	v_rcp_f32_e32 v9, v3
	s_nop 0
	v_fma_f32 v16, -v3, v9, 1.0
	v_fmac_f32_e32 v9, v16, v9
	v_div_scale_f32 v16, vcc, 1.0, v2, 1.0
	v_mul_f32_e32 v17, v16, v9
	v_fma_f32 v18, -v3, v17, v16
	v_fmac_f32_e32 v17, v18, v9
	v_fma_f32 v3, -v3, v17, v16
	v_div_fmas_f32 v3, v3, v9, v17
	v_pk_fma_f32 v[16:17], v[8:9], v[4:5], v[4:5] op_sel:[0,1,0] op_sel_hi:[1,0,1]
	v_pk_fma_f32 v[4:5], v[8:9], v[4:5], v[4:5] op_sel:[0,1,0] op_sel_hi:[0,0,1] neg_lo:[1,0,0] neg_hi:[1,0,0]
	v_div_fixup_f32 v2, v3, v2, 1.0
	v_mov_b32_e32 v17, v5
	v_pk_mul_f32 v[8:9], v[16:17], v[2:3] op_sel_hi:[1,0]
.LBB142_136:                            ;   in Loop: Header=BB142_122 Depth=1
	s_lshl_b32 s4, s10, 3
	s_add_i32 s4, s4, s11
	v_mov_b32_e32 v2, s4
	ds_read_b128 v[16:19], v2
	v_mov_b32_e32 v20, v11
	v_mov_b32_e32 v21, v11
	ds_read_b128 v[2:5], v2 offset:16
	v_mov_b32_e32 v11, v10
	s_waitcnt lgkmcnt(1)
	v_pk_mul_f32 v[20:21], v[20:21], v[16:17]
	v_mov_b32_e32 v22, v13
	v_mov_b32_e32 v23, v13
	v_pk_fma_f32 v[24:25], v[10:11], v[16:17], v[20:21] op_sel:[0,0,1] op_sel_hi:[1,1,0] neg_lo:[0,0,1] neg_hi:[0,0,1]
	v_pk_fma_f32 v[10:11], v[10:11], v[16:17], v[20:21] op_sel:[0,0,1] op_sel_hi:[1,1,0]
	v_mov_b32_e32 v13, v12
	v_mov_b32_e32 v25, v11
	v_pk_mul_f32 v[10:11], v[22:23], v[18:19]
	v_pk_add_f32 v[6:7], v[6:7], v[24:25] neg_lo:[0,1] neg_hi:[0,1]
	v_pk_fma_f32 v[16:17], v[12:13], v[18:19], v[10:11] op_sel:[0,0,1] op_sel_hi:[1,1,0] neg_lo:[0,0,1] neg_hi:[0,0,1]
	v_pk_fma_f32 v[10:11], v[12:13], v[18:19], v[10:11] op_sel:[0,0,1] op_sel_hi:[1,1,0]
	s_waitcnt lgkmcnt(0)
	v_cmp_ngt_f32_e64 s[10:11], |v4|, |v5|
	v_mov_b32_e32 v17, v11
	v_pk_mul_f32 v[10:11], v[8:9], v[2:3] op_sel:[1,1] op_sel_hi:[1,0]
	v_pk_add_f32 v[6:7], v[6:7], v[16:17] neg_lo:[0,1] neg_hi:[0,1]
	v_pk_fma_f32 v[12:13], v[8:9], v[2:3], v[10:11] neg_lo:[0,0,1] neg_hi:[0,0,1]
	v_pk_fma_f32 v[2:3], v[8:9], v[2:3], v[10:11] op_sel_hi:[0,1,1]
	v_mov_b32_e32 v13, v3
	v_pk_add_f32 v[2:3], v[6:7], v[12:13] neg_lo:[0,1] neg_hi:[0,1]
	s_mov_b64 s[4:5], -1
	s_and_b64 vcc, exec, s[10:11]
	ds_write_b64 v15, v[8:9]
                                        ; implicit-def: $vgpr6_vgpr7
	s_cbranch_vccz .LBB142_138
; %bb.137:                              ;   in Loop: Header=BB142_122 Depth=1
	v_div_scale_f32 v6, s[4:5], v5, v5, v4
	v_rcp_f32_e32 v7, v6
	v_div_scale_f32 v8, vcc, v4, v5, v4
	v_fma_f32 v9, -v6, v7, 1.0
	v_fmac_f32_e32 v7, v9, v7
	v_mul_f32_e32 v9, v8, v7
	v_fma_f32 v10, -v6, v9, v8
	v_fmac_f32_e32 v9, v10, v7
	v_fma_f32 v6, -v6, v9, v8
	v_div_fmas_f32 v6, v6, v7, v9
	v_div_fixup_f32 v6, v6, v5, v4
	v_fma_f32 v7, v4, v6, v5
	v_div_scale_f32 v10, s[4:5], v7, v7, 1.0
	v_rcp_f32_e32 v11, v10
	v_pk_fma_f32 v[8:9], v[6:7], v[2:3], v[2:3] op_sel:[0,0,1] op_sel_hi:[1,1,0]
	s_mov_b64 s[4:5], 0
	v_fma_f32 v9, -v10, v11, 1.0
	v_fmac_f32_e32 v11, v9, v11
	v_div_scale_f32 v9, vcc, 1.0, v7, 1.0
	v_mul_f32_e32 v12, v9, v11
	v_fma_f32 v13, -v10, v12, v9
	v_fmac_f32_e32 v12, v13, v11
	v_fma_f32 v9, -v10, v12, v9
	v_div_fmas_f32 v9, v9, v11, v12
	v_div_fixup_f32 v9, v9, v7, 1.0
	v_fma_f32 v7, v6, v3, -v2
	v_mov_b32_e32 v6, v9
	v_pk_mul_f32 v[6:7], v[8:9], v[6:7]
.LBB142_138:                            ;   in Loop: Header=BB142_122 Depth=1
	s_andn2_b64 vcc, exec, s[4:5]
	s_cbranch_vccnz .LBB142_140
; %bb.139:                              ;   in Loop: Header=BB142_122 Depth=1
	v_div_scale_f32 v6, s[4:5], v4, v4, v5
	v_rcp_f32_e32 v7, v6
	v_div_scale_f32 v8, vcc, v5, v4, v5
	v_fma_f32 v9, -v6, v7, 1.0
	v_fmac_f32_e32 v7, v9, v7
	v_mul_f32_e32 v9, v8, v7
	v_fma_f32 v10, -v6, v9, v8
	v_fmac_f32_e32 v9, v10, v7
	v_fma_f32 v6, -v6, v9, v8
	v_div_fmas_f32 v6, v6, v7, v9
	v_div_fixup_f32 v6, v6, v4, v5
	v_fmac_f32_e32 v4, v5, v6
	v_div_scale_f32 v5, s[4:5], v4, v4, 1.0
	v_rcp_f32_e32 v7, v5
	s_nop 0
	v_fma_f32 v8, -v5, v7, 1.0
	v_fmac_f32_e32 v7, v8, v7
	v_div_scale_f32 v8, vcc, 1.0, v4, 1.0
	v_mul_f32_e32 v9, v8, v7
	v_fma_f32 v10, -v5, v9, v8
	v_fmac_f32_e32 v9, v10, v7
	v_fma_f32 v5, -v5, v9, v8
	v_div_fmas_f32 v5, v5, v7, v9
	v_pk_fma_f32 v[8:9], v[6:7], v[2:3], v[2:3] op_sel:[0,1,0] op_sel_hi:[1,0,1]
	v_pk_fma_f32 v[2:3], v[6:7], v[2:3], v[2:3] op_sel:[0,1,0] op_sel_hi:[0,0,1] neg_lo:[1,0,0] neg_hi:[1,0,0]
	v_div_fixup_f32 v4, v5, v4, 1.0
	v_mov_b32_e32 v9, v3
	v_pk_mul_f32 v[6:7], v[8:9], v[4:5] op_sel_hi:[1,0]
.LBB142_140:                            ;   in Loop: Header=BB142_122 Depth=1
	s_add_i32 s10, s9, 4
	s_add_i32 s4, s9, 7
	s_addk_i32 s7, 0x100
	s_cmp_ge_i32 s4, s28
	ds_write_b64 v14, v[6:7]
	s_cbranch_scc1 .LBB142_142
; %bb.141:                              ;   in Loop: Header=BB142_122 Depth=1
	s_mov_b32 s9, s10
	s_branch .LBB142_122
.LBB142_142:
	s_cmp_ge_i32 s10, s28
	s_cbranch_scc1 .LBB142_151
; %bb.143:
	v_mov_b32_e32 v2, 0x200
	v_lshl_or_b32 v8, v0, 3, v2
	s_lshl_b32 s7, s10, 6
	s_branch .LBB142_145
.LBB142_144:                            ;   in Loop: Header=BB142_145 Depth=1
	s_add_i32 s10, s10, 1
	s_add_i32 s7, s7, 64
	s_cmp_ge_i32 s10, s28
	ds_write_b64 v9, v[6:7]
	s_cbranch_scc1 .LBB142_151
.LBB142_145:                            ; =>This Loop Header: Depth=1
                                        ;     Child Loop BB142_146 Depth 2
	v_lshl_add_u32 v9, s10, 6, v1
	ds_read_b64 v[2:3], v9
	s_cmp_eq_u32 s10, 0
	s_mov_b32 s4, s7
	v_mov_b32_e32 v4, v8
	s_mov_b32 s5, s10
	s_cbranch_scc1 .LBB142_147
.LBB142_146:                            ;   Parent Loop BB142_145 Depth=1
                                        ; =>  This Inner Loop Header: Depth=2
	v_mov_b32_e32 v5, s4
	ds_read_b64 v[6:7], v4
	ds_read_b64 v[10:11], v5
	s_add_i32 s5, s5, -1
	s_add_i32 s4, s4, 8
	v_add_u32_e32 v4, 64, v4
	s_cmp_eq_u32 s5, 0
	s_waitcnt lgkmcnt(0)
	v_pk_mul_f32 v[12:13], v[10:11], v[6:7] op_sel:[1,1] op_sel_hi:[0,1]
	v_pk_fma_f32 v[14:15], v[10:11], v[6:7], v[12:13] op_sel_hi:[1,0,1]
	v_pk_fma_f32 v[6:7], v[10:11], v[6:7], v[12:13] op_sel_hi:[1,0,1] neg_lo:[0,0,1] neg_hi:[0,0,1]
	s_nop 0
	v_mov_b32_e32 v7, v15
	v_pk_add_f32 v[2:3], v[2:3], v[6:7] neg_lo:[0,1] neg_hi:[0,1]
	s_cbranch_scc0 .LBB142_146
.LBB142_147:                            ;   in Loop: Header=BB142_145 Depth=1
	s_mul_i32 s4, s10, 0x48
	v_mov_b32_e32 v4, s4
	ds_read_b64 v[4:5], v4
	s_mov_b64 s[4:5], -1
                                        ; implicit-def: $vgpr6_vgpr7
	s_waitcnt lgkmcnt(0)
	v_cmp_ngt_f32_e64 s[12:13], |v4|, |v5|
	s_and_b64 vcc, exec, s[12:13]
	s_cbranch_vccz .LBB142_149
; %bb.148:                              ;   in Loop: Header=BB142_145 Depth=1
	v_div_scale_f32 v6, s[4:5], v5, v5, v4
	v_rcp_f32_e32 v7, v6
	v_div_scale_f32 v10, vcc, v4, v5, v4
	v_fma_f32 v11, -v6, v7, 1.0
	v_fmac_f32_e32 v7, v11, v7
	v_mul_f32_e32 v11, v10, v7
	v_fma_f32 v12, -v6, v11, v10
	v_fmac_f32_e32 v11, v12, v7
	v_fma_f32 v6, -v6, v11, v10
	v_div_fmas_f32 v6, v6, v7, v11
	v_div_fixup_f32 v6, v6, v5, v4
	v_fma_f32 v7, v4, v6, v5
	v_div_scale_f32 v10, s[4:5], v7, v7, 1.0
	v_rcp_f32_e32 v11, v10
	s_mov_b64 s[4:5], 0
	v_fma_f32 v12, -v10, v11, 1.0
	v_fmac_f32_e32 v11, v12, v11
	v_div_scale_f32 v12, vcc, 1.0, v7, 1.0
	v_mul_f32_e32 v13, v12, v11
	v_fma_f32 v14, -v10, v13, v12
	v_fmac_f32_e32 v13, v14, v11
	v_fma_f32 v10, -v10, v13, v12
	v_div_fmas_f32 v10, v10, v11, v13
	v_div_fixup_f32 v10, v10, v7, 1.0
	v_pk_fma_f32 v[12:13], v[2:3], v[6:7], v[2:3] op_sel:[0,0,1] op_sel_hi:[1,0,0] neg_lo:[0,0,1] neg_hi:[0,0,1]
	v_pk_fma_f32 v[6:7], v[2:3], v[6:7], v[2:3] op_sel:[0,0,1] op_sel_hi:[1,0,0]
	s_nop 0
	v_mov_b32_e32 v7, v13
	v_pk_mul_f32 v[6:7], v[6:7], v[10:11] op_sel_hi:[1,0]
.LBB142_149:                            ;   in Loop: Header=BB142_145 Depth=1
	s_andn2_b64 vcc, exec, s[4:5]
	s_cbranch_vccnz .LBB142_144
; %bb.150:                              ;   in Loop: Header=BB142_145 Depth=1
	v_div_scale_f32 v6, s[4:5], v4, v4, v5
	v_rcp_f32_e32 v7, v6
	v_div_scale_f32 v10, vcc, v5, v4, v5
	v_fma_f32 v11, -v6, v7, 1.0
	v_fmac_f32_e32 v7, v11, v7
	v_mul_f32_e32 v11, v10, v7
	v_fma_f32 v12, -v6, v11, v10
	v_fmac_f32_e32 v11, v12, v7
	v_fma_f32 v6, -v6, v11, v10
	v_div_fmas_f32 v6, v6, v7, v11
	v_div_fixup_f32 v6, v6, v4, v5
	v_fmac_f32_e32 v4, v5, v6
	v_div_scale_f32 v5, s[4:5], v4, v4, 1.0
	v_rcp_f32_e32 v7, v5
	s_nop 0
	v_fma_f32 v10, -v5, v7, 1.0
	v_fmac_f32_e32 v7, v10, v7
	v_div_scale_f32 v10, vcc, 1.0, v4, 1.0
	v_mul_f32_e32 v11, v10, v7
	v_fma_f32 v12, -v5, v11, v10
	v_fmac_f32_e32 v11, v12, v7
	v_fma_f32 v5, -v5, v11, v10
	v_div_fmas_f32 v5, v5, v7, v11
	v_pk_fma_f32 v[10:11], v[2:3], v[6:7], v[2:3] op_sel:[1,0,0] op_sel_hi:[0,0,1] neg_lo:[1,0,0] neg_hi:[1,0,0]
	v_pk_fma_f32 v[2:3], v[2:3], v[6:7], v[2:3] op_sel:[1,0,0] op_sel_hi:[0,0,1]
	v_div_fixup_f32 v4, v5, v4, 1.0
	v_mov_b32_e32 v3, v11
	v_pk_mul_f32 v[6:7], v[2:3], v[4:5] op_sel_hi:[1,0]
	s_branch .LBB142_144
.LBB142_151:
	s_and_saveexec_b64 s[4:5], s[0:1]
	s_cbranch_execz .LBB142_155
; %bb.152:
	s_cmp_lt_i32 s8, 1
	s_cbranch_scc1 .LBB142_155
; %bb.153:
	s_ashr_i32 s7, s6, 31
	v_lshlrev_b32_e32 v2, 3, v0
	v_mov_b32_e32 v3, 0
	v_lshl_add_u64 v[0:1], s[2:3], 0, v[2:3]
	s_lshl_b64 s[0:1], s[6:7], 3
	v_or_b32_e32 v2, 0x200, v2
.LBB142_154:                            ; =>This Inner Loop Header: Depth=1
	ds_read_b64 v[4:5], v2
	s_add_i32 s8, s8, -1
	v_add_u32_e32 v2, 64, v2
	s_cmp_lg_u32 s8, 0
	s_waitcnt lgkmcnt(0)
	flat_store_dwordx2 v[0:1], v[4:5]
	v_lshl_add_u64 v[0:1], v[0:1], 0, s[0:1]
	s_cbranch_scc1 .LBB142_154
.LBB142_155:
	s_endpgm
	.section	.rodata,"a",@progbits
	.p2align	6, 0x0
	.amdhsa_kernel _ZL31rocblas_trsm_small_right_deviceI19rocblas_complex_numIfES1_PKPKS1_PKPS1_Li8EEv13rocblas_fill_18rocblas_operation_17rocblas_diagonal_iiT0_T1_lilT2_lili
		.amdhsa_group_segment_fixed_size 1024
		.amdhsa_private_segment_fixed_size 0
		.amdhsa_kernarg_size 360
		.amdhsa_user_sgpr_count 2
		.amdhsa_user_sgpr_dispatch_ptr 0
		.amdhsa_user_sgpr_queue_ptr 0
		.amdhsa_user_sgpr_kernarg_segment_ptr 1
		.amdhsa_user_sgpr_dispatch_id 0
		.amdhsa_user_sgpr_kernarg_preload_length 0
		.amdhsa_user_sgpr_kernarg_preload_offset 0
		.amdhsa_user_sgpr_private_segment_size 0
		.amdhsa_uses_dynamic_stack 0
		.amdhsa_enable_private_segment 0
		.amdhsa_system_sgpr_workgroup_id_x 1
		.amdhsa_system_sgpr_workgroup_id_y 0
		.amdhsa_system_sgpr_workgroup_id_z 1
		.amdhsa_system_sgpr_workgroup_info 0
		.amdhsa_system_vgpr_workitem_id 0
		.amdhsa_next_free_vgpr 34
		.amdhsa_next_free_sgpr 30
		.amdhsa_accum_offset 36
		.amdhsa_reserve_vcc 1
		.amdhsa_float_round_mode_32 0
		.amdhsa_float_round_mode_16_64 0
		.amdhsa_float_denorm_mode_32 3
		.amdhsa_float_denorm_mode_16_64 3
		.amdhsa_dx10_clamp 1
		.amdhsa_ieee_mode 1
		.amdhsa_fp16_overflow 0
		.amdhsa_tg_split 0
		.amdhsa_exception_fp_ieee_invalid_op 0
		.amdhsa_exception_fp_denorm_src 0
		.amdhsa_exception_fp_ieee_div_zero 0
		.amdhsa_exception_fp_ieee_overflow 0
		.amdhsa_exception_fp_ieee_underflow 0
		.amdhsa_exception_fp_ieee_inexact 0
		.amdhsa_exception_int_div_zero 0
	.end_amdhsa_kernel
	.section	.text._ZL31rocblas_trsm_small_right_deviceI19rocblas_complex_numIfES1_PKPKS1_PKPS1_Li8EEv13rocblas_fill_18rocblas_operation_17rocblas_diagonal_iiT0_T1_lilT2_lili,"axG",@progbits,_ZL31rocblas_trsm_small_right_deviceI19rocblas_complex_numIfES1_PKPKS1_PKPS1_Li8EEv13rocblas_fill_18rocblas_operation_17rocblas_diagonal_iiT0_T1_lilT2_lili,comdat
.Lfunc_end142:
	.size	_ZL31rocblas_trsm_small_right_deviceI19rocblas_complex_numIfES1_PKPKS1_PKPS1_Li8EEv13rocblas_fill_18rocblas_operation_17rocblas_diagonal_iiT0_T1_lilT2_lili, .Lfunc_end142-_ZL31rocblas_trsm_small_right_deviceI19rocblas_complex_numIfES1_PKPKS1_PKPS1_Li8EEv13rocblas_fill_18rocblas_operation_17rocblas_diagonal_iiT0_T1_lilT2_lili
                                        ; -- End function
	.set _ZL31rocblas_trsm_small_right_deviceI19rocblas_complex_numIfES1_PKPKS1_PKPS1_Li8EEv13rocblas_fill_18rocblas_operation_17rocblas_diagonal_iiT0_T1_lilT2_lili.num_vgpr, 34
	.set _ZL31rocblas_trsm_small_right_deviceI19rocblas_complex_numIfES1_PKPKS1_PKPS1_Li8EEv13rocblas_fill_18rocblas_operation_17rocblas_diagonal_iiT0_T1_lilT2_lili.num_agpr, 0
	.set _ZL31rocblas_trsm_small_right_deviceI19rocblas_complex_numIfES1_PKPKS1_PKPS1_Li8EEv13rocblas_fill_18rocblas_operation_17rocblas_diagonal_iiT0_T1_lilT2_lili.numbered_sgpr, 30
	.set _ZL31rocblas_trsm_small_right_deviceI19rocblas_complex_numIfES1_PKPKS1_PKPS1_Li8EEv13rocblas_fill_18rocblas_operation_17rocblas_diagonal_iiT0_T1_lilT2_lili.num_named_barrier, 0
	.set _ZL31rocblas_trsm_small_right_deviceI19rocblas_complex_numIfES1_PKPKS1_PKPS1_Li8EEv13rocblas_fill_18rocblas_operation_17rocblas_diagonal_iiT0_T1_lilT2_lili.private_seg_size, 0
	.set _ZL31rocblas_trsm_small_right_deviceI19rocblas_complex_numIfES1_PKPKS1_PKPS1_Li8EEv13rocblas_fill_18rocblas_operation_17rocblas_diagonal_iiT0_T1_lilT2_lili.uses_vcc, 1
	.set _ZL31rocblas_trsm_small_right_deviceI19rocblas_complex_numIfES1_PKPKS1_PKPS1_Li8EEv13rocblas_fill_18rocblas_operation_17rocblas_diagonal_iiT0_T1_lilT2_lili.uses_flat_scratch, 0
	.set _ZL31rocblas_trsm_small_right_deviceI19rocblas_complex_numIfES1_PKPKS1_PKPS1_Li8EEv13rocblas_fill_18rocblas_operation_17rocblas_diagonal_iiT0_T1_lilT2_lili.has_dyn_sized_stack, 0
	.set _ZL31rocblas_trsm_small_right_deviceI19rocblas_complex_numIfES1_PKPKS1_PKPS1_Li8EEv13rocblas_fill_18rocblas_operation_17rocblas_diagonal_iiT0_T1_lilT2_lili.has_recursion, 0
	.set _ZL31rocblas_trsm_small_right_deviceI19rocblas_complex_numIfES1_PKPKS1_PKPS1_Li8EEv13rocblas_fill_18rocblas_operation_17rocblas_diagonal_iiT0_T1_lilT2_lili.has_indirect_call, 0
	.section	.AMDGPU.csdata,"",@progbits
; Kernel info:
; codeLenInByte = 12952
; TotalNumSgprs: 36
; NumVgprs: 34
; NumAgprs: 0
; TotalNumVgprs: 34
; ScratchSize: 0
; MemoryBound: 0
; FloatMode: 240
; IeeeMode: 1
; LDSByteSize: 1024 bytes/workgroup (compile time only)
; SGPRBlocks: 4
; VGPRBlocks: 4
; NumSGPRsForWavesPerEU: 36
; NumVGPRsForWavesPerEU: 34
; AccumOffset: 36
; Occupancy: 8
; WaveLimiterHint : 1
; COMPUTE_PGM_RSRC2:SCRATCH_EN: 0
; COMPUTE_PGM_RSRC2:USER_SGPR: 2
; COMPUTE_PGM_RSRC2:TRAP_HANDLER: 0
; COMPUTE_PGM_RSRC2:TGID_X_EN: 1
; COMPUTE_PGM_RSRC2:TGID_Y_EN: 0
; COMPUTE_PGM_RSRC2:TGID_Z_EN: 1
; COMPUTE_PGM_RSRC2:TIDIG_COMP_CNT: 0
; COMPUTE_PGM_RSRC3_GFX90A:ACCUM_OFFSET: 8
; COMPUTE_PGM_RSRC3_GFX90A:TG_SPLIT: 0
	.section	.text._ZL38rocblas_trsm_small_left_device_sharedBILi12ELi12ELb0E19rocblas_complex_numIfES1_PKPKS1_PKPS1_Ev13rocblas_fill_18rocblas_operation_17rocblas_diagonal_iiT3_T4_lilT5_lili,"axG",@progbits,_ZL38rocblas_trsm_small_left_device_sharedBILi12ELi12ELb0E19rocblas_complex_numIfES1_PKPKS1_PKPS1_Ev13rocblas_fill_18rocblas_operation_17rocblas_diagonal_iiT3_T4_lilT5_lili,comdat
	.globl	_ZL38rocblas_trsm_small_left_device_sharedBILi12ELi12ELb0E19rocblas_complex_numIfES1_PKPKS1_PKPS1_Ev13rocblas_fill_18rocblas_operation_17rocblas_diagonal_iiT3_T4_lilT5_lili ; -- Begin function _ZL38rocblas_trsm_small_left_device_sharedBILi12ELi12ELb0E19rocblas_complex_numIfES1_PKPKS1_PKPS1_Ev13rocblas_fill_18rocblas_operation_17rocblas_diagonal_iiT3_T4_lilT5_lili
	.p2align	8
	.type	_ZL38rocblas_trsm_small_left_device_sharedBILi12ELi12ELb0E19rocblas_complex_numIfES1_PKPKS1_PKPS1_Ev13rocblas_fill_18rocblas_operation_17rocblas_diagonal_iiT3_T4_lilT5_lili,@function
_ZL38rocblas_trsm_small_left_device_sharedBILi12ELi12ELb0E19rocblas_complex_numIfES1_PKPKS1_PKPS1_Ev13rocblas_fill_18rocblas_operation_17rocblas_diagonal_iiT3_T4_lilT5_lili: ; @_ZL38rocblas_trsm_small_left_device_sharedBILi12ELi12ELb0E19rocblas_complex_numIfES1_PKPKS1_PKPS1_Ev13rocblas_fill_18rocblas_operation_17rocblas_diagonal_iiT3_T4_lilT5_lili
; %bb.0:
	s_load_dwordx4 s[12:15], s[2:3], 0x40
	s_load_dwordx4 s[8:11], s[2:3], 0x4
	s_load_dwordx2 s[16:17], s[2:3], 0x14
	s_mov_b32 s6, s5
	s_mov_b32 s7, 0
	s_lshl_b64 s[20:21], s[6:7], 3
	s_waitcnt lgkmcnt(0)
	s_add_u32 s6, s12, s20
	s_addc_u32 s7, s13, s21
	s_load_dword s5, s[2:3], 0x68
	v_and_b32_e32 v8, 0x3ff, v0
	s_load_dwordx2 s[6:7], s[6:7], 0x0
	s_min_i32 s24, s10, 12
	v_cmp_gt_i32_e32 vcc, s24, v8
	s_and_saveexec_b64 s[12:13], vcc
	s_cbranch_execz .LBB143_15
; %bb.1:
	s_load_dword s22, s[2:3], 0x30
	s_load_dwordx4 s[28:31], s[2:3], 0x20
	v_lshlrev_b32_e32 v2, 3, v8
	v_mov_b32_e32 v3, 0
	v_mov_b32_e32 v1, v2
	s_waitcnt lgkmcnt(0)
	s_ashr_i32 s23, s22, 31
	s_cmpk_lg_i32 s8, 0x71
	s_cselect_b64 s[18:19], -1, 0
	s_add_u32 s20, s28, s20
	s_addc_u32 s21, s29, s21
	s_load_dwordx2 s[20:21], s[20:21], 0x0
	s_lshl_b64 s[26:27], s[30:31], 3
	s_mov_b32 s25, s24
	s_waitcnt lgkmcnt(0)
	s_add_u32 s26, s20, s26
	s_addc_u32 s27, s21, s27
	s_lshl_b64 s[20:21], s[22:23], 3
	v_lshl_add_u64 v[4:5], s[26:27], 0, v[2:3]
	s_branch .LBB143_3
.LBB143_2:                              ;   in Loop: Header=BB143_3 Depth=1
	flat_load_dword v6, v[4:5]
	s_add_i32 s25, s25, -1
	v_lshl_add_u64 v[4:5], v[4:5], 0, s[20:21]
	s_cmp_eq_u32 s25, 0
	s_waitcnt vmcnt(0) lgkmcnt(0)
	ds_write_b64 v1, v[6:7]
	v_add_u32_e32 v1, 0x60, v1
	s_cbranch_scc1 .LBB143_7
.LBB143_3:                              ; =>This Inner Loop Header: Depth=1
	s_mov_b64 s[22:23], -1
	s_and_b64 vcc, exec, s[18:19]
                                        ; implicit-def: $vgpr7
	s_cbranch_vccz .LBB143_5
; %bb.4:                                ;   in Loop: Header=BB143_3 Depth=1
	flat_load_dword v7, v[4:5] offset:4
	s_mov_b64 s[22:23], 0
.LBB143_5:                              ;   in Loop: Header=BB143_3 Depth=1
	s_andn2_b64 vcc, exec, s[22:23]
	s_cbranch_vccnz .LBB143_2
; %bb.6:                                ;   in Loop: Header=BB143_3 Depth=1
	flat_load_dword v3, v[4:5] offset:4
	s_waitcnt vmcnt(0) lgkmcnt(0)
	v_xor_b32_e32 v7, 0x80000000, v3
	s_branch .LBB143_2
.LBB143_7:
	v_mul_u32_u24_e32 v1, 0x60, v8
	s_cmpk_lg_i32 s9, 0x84
	s_mov_b64 s[18:19], -1
	v_add_u32_e32 v1, v2, v1
	s_cbranch_scc0 .LBB143_13
; %bb.8:
	ds_read_b64 v[2:3], v1
                                        ; implicit-def: $vgpr4_vgpr5
	s_waitcnt lgkmcnt(0)
	v_cmp_ngt_f32_e64 s[18:19], |v2|, |v3|
	s_and_saveexec_b64 s[20:21], s[18:19]
	s_xor_b64 s[18:19], exec, s[20:21]
	s_cbranch_execz .LBB143_10
; %bb.9:
	v_div_scale_f32 v4, s[20:21], v3, v3, v2
	v_rcp_f32_e32 v5, v4
	v_div_scale_f32 v6, vcc, v2, v3, v2
	v_fma_f32 v7, -v4, v5, 1.0
	v_fmac_f32_e32 v5, v7, v5
	v_mul_f32_e32 v7, v6, v5
	v_fma_f32 v9, -v4, v7, v6
	v_fmac_f32_e32 v7, v9, v5
	v_fma_f32 v4, -v4, v7, v6
	v_div_fmas_f32 v4, v4, v5, v7
	v_div_fixup_f32 v4, v4, v3, v2
	v_fmac_f32_e32 v3, v2, v4
	v_div_scale_f32 v2, s[20:21], v3, v3, 1.0
	v_rcp_f32_e32 v5, v2
	s_mov_b32 s20, 0
	s_mov_b32 s21, -1.0
	v_fma_f32 v6, -v2, v5, 1.0
	v_fmac_f32_e32 v5, v6, v5
	v_div_scale_f32 v6, vcc, 1.0, v3, 1.0
	v_mul_f32_e32 v7, v6, v5
	v_fma_f32 v9, -v2, v7, v6
	v_fmac_f32_e32 v7, v9, v5
	v_fma_f32 v2, -v2, v7, v6
	v_div_fmas_f32 v2, v2, v5, v7
	v_mul_f32_e32 v5, 0, v4
	v_div_fixup_f32 v2, v2, v3, 1.0
	v_pk_add_f32 v[4:5], v[4:5], s[20:21]
	s_nop 0
	v_pk_mul_f32 v[4:5], v[4:5], v[2:3] op_sel_hi:[1,0]
                                        ; implicit-def: $vgpr2_vgpr3
.LBB143_10:
	s_andn2_saveexec_b64 s[18:19], s[18:19]
	s_cbranch_execz .LBB143_12
; %bb.11:
	v_div_scale_f32 v4, s[20:21], v2, v2, v3
	v_rcp_f32_e32 v5, v4
	v_div_scale_f32 v6, vcc, v3, v2, v3
	v_fma_f32 v7, -v4, v5, 1.0
	v_fmac_f32_e32 v5, v7, v5
	v_mul_f32_e32 v7, v6, v5
	v_fma_f32 v9, -v4, v7, v6
	v_fmac_f32_e32 v7, v9, v5
	v_fma_f32 v4, -v4, v7, v6
	v_div_fmas_f32 v4, v4, v5, v7
	v_div_fixup_f32 v5, v4, v2, v3
	v_fmac_f32_e32 v2, v3, v5
	v_div_scale_f32 v3, s[20:21], v2, v2, 1.0
	v_rcp_f32_e32 v4, v3
	s_nop 0
	v_fma_f32 v6, -v3, v4, 1.0
	v_fmac_f32_e32 v4, v6, v4
	v_div_scale_f32 v6, vcc, 1.0, v2, 1.0
	v_mul_f32_e32 v7, v6, v4
	v_fma_f32 v9, -v3, v7, v6
	v_fmac_f32_e32 v7, v9, v4
	v_fma_f32 v3, -v3, v7, v6
	v_div_fmas_f32 v3, v3, v4, v7
	v_div_fixup_f32 v2, v3, v2, 1.0
	v_mul_f32_e32 v3, 0, v5
	v_add_f32_e32 v4, 1.0, v3
	v_sub_f32_e32 v5, 0, v5
	v_pk_mul_f32 v[4:5], v[4:5], v[2:3] op_sel_hi:[1,0]
.LBB143_12:
	s_or_b64 exec, exec, s[18:19]
	s_mov_b64 s[18:19], 0
	ds_write_b64 v1, v[4:5]
.LBB143_13:
	s_and_b64 vcc, exec, s[18:19]
	s_cbranch_vccz .LBB143_15
; %bb.14:
	v_mov_b32_e32 v2, 1.0
	v_mov_b32_e32 v3, 0
	ds_write_b64 v1, v[2:3]
.LBB143_15:
	s_or_b64 exec, exec, s[12:13]
	s_load_dword s18, s[2:3], 0x50
	s_lshl_b64 s[2:3], s[14:15], 3
	s_waitcnt lgkmcnt(0)
	s_add_u32 s6, s6, s2
	s_mul_i32 s2, s4, -12
	s_addc_u32 s7, s7, s3
	s_add_i32 s5, s5, -1
	s_add_i32 s2, s11, s2
	s_cmp_ge_u32 s4, s5
	s_mul_i32 s4, s4, 12
	s_cselect_b32 s9, s2, 12
	s_mul_hi_i32 s3, s18, s4
	s_mul_i32 s2, s18, s4
	s_lshl_b64 s[2:3], s[2:3], 3
	s_add_u32 s4, s6, s2
	s_addc_u32 s5, s7, s3
	s_cmp_gt_i32 s10, 0
	v_cmp_gt_i32_e64 s[2:3], s9, v8
	s_cselect_b64 s[6:7], -1, 0
	s_and_b64 s[12:13], s[2:3], s[6:7]
	s_and_saveexec_b64 s[10:11], s[12:13]
	s_cbranch_execz .LBB143_18
; %bb.16:
	v_mad_i64_i32 v[2:3], s[12:13], s18, v8, 0
	v_mov_b32_e32 v1, 0x480
	v_lshl_add_u64 v[2:3], v[2:3], 3, s[4:5]
	v_lshl_add_u32 v1, v8, 3, v1
	s_mov_b32 s12, s17
	s_mov_b32 s13, s16
	;; [unrolled: 1-line block ×3, first 2 shown]
.LBB143_17:                             ; =>This Inner Loop Header: Depth=1
	flat_load_dwordx2 v[4:5], v[2:3]
	s_add_i32 s9, s9, -1
	v_lshl_add_u64 v[2:3], v[2:3], 0, 8
	s_cmp_lg_u32 s9, 0
	s_waitcnt vmcnt(0) lgkmcnt(0)
	v_pk_mul_f32 v[6:7], s[12:13], v[4:5] op_sel:[0,1]
	s_nop 0
	v_pk_fma_f32 v[10:11], s[16:17], v[4:5], v[6:7] neg_lo:[0,0,1] neg_hi:[0,0,1]
	v_pk_fma_f32 v[4:5], s[16:17], v[4:5], v[6:7] op_sel_hi:[1,0,1]
	s_nop 0
	v_mov_b32_e32 v11, v5
	ds_write_b64 v1, v[10:11]
	v_add_u32_e32 v1, 0x60, v1
	s_cbranch_scc1 .LBB143_17
.LBB143_18:
	s_or_b64 exec, exec, s[10:11]
	s_load_dwordx2 s[10:11], s[0:1], 0x4
	v_bfe_u32 v1, v0, 10, 10
	v_bfe_u32 v0, v0, 20, 10
	s_movk_i32 s0, 0x60
	s_waitcnt lgkmcnt(0)
	s_lshr_b32 s1, s10, 16
	s_mul_i32 s1, s1, s11
	v_mul_u32_u24_e32 v1, s11, v1
	v_mul_u32_u24_e32 v2, s1, v8
	v_add3_u32 v11, v2, v1, v0
	v_mul_lo_u32 v0, v11, s0
	v_mov_b32_e32 v1, 0x480
	v_add_u32_e32 v9, 0x900, v0
	s_cmpk_eq_i32 s8, 0x6f
	v_lshl_add_u32 v10, v8, 3, v1
	s_mov_b64 s[0:1], -1
	; wave barrier
	s_cbranch_scc1 .LBB143_47
; %bb.19:
	s_mov_b32 s1, 0
	v_add_u32_e32 v12, 0x900, v0
	s_mov_b32 s0, s1
	s_mov_b32 s16, s1
	s_branch .LBB143_21
.LBB143_20:                             ;   in Loop: Header=BB143_21 Depth=1
	s_cmp_ge_i32 s16, s24
	s_cselect_b64 s[8:9], -1, 0
	s_add_i32 s0, s0, 1
	s_cmp_eq_u32 s0, 3
	s_cselect_b64 s[10:11], -1, 0
	s_or_b64 s[8:9], s[8:9], s[10:11]
	s_andn2_b64 vcc, exec, s[8:9]
	s_cbranch_vccz .LBB143_46
.LBB143_21:                             ; =>This Loop Header: Depth=1
                                        ;     Child Loop BB143_24 Depth 2
                                        ;       Child Loop BB143_25 Depth 3
                                        ;       Child Loop BB143_29 Depth 3
                                        ;         Child Loop BB143_31 Depth 4
                                        ;         Child Loop BB143_37 Depth 4
                                        ;       Child Loop BB143_40 Depth 3
                                        ;         Child Loop BB143_42 Depth 4
	s_lshl_b64 s[8:9], s[0:1], 2
	s_getpc_b64 s[10:11]
	s_add_u32 s10, s10, __const._ZL38rocblas_trsm_small_left_device_sharedBILi12ELi12ELb0E19rocblas_complex_numIfES1_PKPKS1_PKPS1_Ev13rocblas_fill_18rocblas_operation_17rocblas_diagonal_iiT3_T4_lilT5_lili.step_sizes@rel32@lo+4
	s_addc_u32 s11, s11, __const._ZL38rocblas_trsm_small_left_device_sharedBILi12ELi12ELb0E19rocblas_complex_numIfES1_PKPKS1_PKPS1_Ev13rocblas_fill_18rocblas_operation_17rocblas_diagonal_iiT3_T4_lilT5_lili.step_sizes@rel32@hi+12
	s_add_u32 s8, s10, s8
	s_addc_u32 s9, s11, s9
	s_load_dword s17, s[8:9], 0x0
	s_waitcnt lgkmcnt(0)
	s_add_i32 s19, s17, -1
	s_add_i32 s8, s19, s16
	s_cmp_ge_i32 s8, s24
	s_cbranch_scc1 .LBB143_20
; %bb.22:                               ;   in Loop: Header=BB143_21 Depth=1
	s_max_i32 s20, s17, 1
	s_cmp_lg_u32 s0, 2
	s_cselect_b64 s[8:9], -1, 0
	s_and_b32 s21, s20, 0x7ffffffe
	s_cmp_lg_u32 s20, s21
	s_mul_i32 s12, s16, 0x60
	s_cselect_b64 s[10:11], -1, 0
	v_add_u32_e32 v13, s12, v10
	s_mul_i32 s22, s17, 0x60
	s_mul_i32 s23, s16, 0x68
	;; [unrolled: 1-line block ×3, first 2 shown]
	s_branch .LBB143_24
.LBB143_23:                             ;   in Loop: Header=BB143_24 Depth=2
	s_add_i32 s16, s16, s17
	s_add_i32 s12, s19, s16
	;; [unrolled: 1-line block ×3, first 2 shown]
	s_cmp_ge_i32 s12, s24
	v_add_u32_e32 v13, s22, v13
	s_cbranch_scc1 .LBB143_20
.LBB143_24:                             ;   Parent Loop BB143_21 Depth=1
                                        ; =>  This Loop Header: Depth=2
                                        ;       Child Loop BB143_25 Depth 3
                                        ;       Child Loop BB143_29 Depth 3
                                        ;         Child Loop BB143_31 Depth 4
                                        ;         Child Loop BB143_37 Depth 4
                                        ;       Child Loop BB143_40 Depth 3
                                        ;         Child Loop BB143_42 Depth 4
	v_mov_b32_e32 v0, v9
	v_mov_b32_e32 v1, v13
	s_mov_b32 s12, s20
.LBB143_25:                             ;   Parent Loop BB143_21 Depth=1
                                        ;     Parent Loop BB143_24 Depth=2
                                        ; =>    This Inner Loop Header: Depth=3
	ds_read_b64 v[2:3], v1
	s_add_i32 s12, s12, -1
	v_add_u32_e32 v1, 0x60, v1
	s_cmp_eq_u32 s12, 0
	s_waitcnt lgkmcnt(0)
	ds_write_b64 v0, v[2:3]
	v_add_u32_e32 v0, 8, v0
	s_cbranch_scc0 .LBB143_25
; %bb.26:                               ;   in Loop: Header=BB143_24 Depth=2
	s_cmp_lt_i32 s16, 1
	s_cbranch_scc1 .LBB143_38
; %bb.27:                               ;   in Loop: Header=BB143_24 Depth=2
	s_mov_b32 s26, s16
	s_mov_b32 s27, 0
	;; [unrolled: 1-line block ×3, first 2 shown]
	s_branch .LBB143_29
.LBB143_28:                             ;   in Loop: Header=BB143_29 Depth=3
	s_add_i32 s28, s28, 1
	s_add_i32 s27, s27, 8
	s_cmp_eq_u32 s28, s16
	s_cbranch_scc1 .LBB143_38
.LBB143_29:                             ;   Parent Loop BB143_21 Depth=1
                                        ;     Parent Loop BB143_24 Depth=2
                                        ; =>    This Loop Header: Depth=3
                                        ;         Child Loop BB143_31 Depth 4
                                        ;         Child Loop BB143_37 Depth 4
	s_mul_i32 s12, s28, 0x60
	v_add_u32_e32 v0, s12, v10
	ds_read_b64 v[0:1], v0
	s_and_b64 vcc, exec, s[8:9]
	s_cbranch_vccz .LBB143_33
; %bb.30:                               ;   in Loop: Header=BB143_29 Depth=3
	s_lshl_b32 s12, s28, 3
	s_waitcnt lgkmcnt(0)
	v_mov_b32_e32 v4, v0
	v_mov_b32_e32 v5, v0
	;; [unrolled: 1-line block ×5, first 2 shown]
	s_mov_b32 s13, 1
	s_mov_b32 s14, 0
	;; [unrolled: 1-line block ×3, first 2 shown]
	v_mov_b32_e32 v3, v9
.LBB143_31:                             ;   Parent Loop BB143_21 Depth=1
                                        ;     Parent Loop BB143_24 Depth=2
                                        ;       Parent Loop BB143_29 Depth=3
                                        ; =>      This Inner Loop Header: Depth=4
	s_add_i32 s29, s14, s16
	s_add_i32 s30, s13, s26
	s_mulk_i32 s30, 0x60
	s_mulk_i32 s29, 0x60
	s_add_i32 s29, s12, s29
	s_add_i32 s30, s12, s30
	v_mov_b32_e32 v18, s29
	v_mov_b32_e32 v19, s30
	ds_read_b128 v[14:17], v3
	ds_read_b64 v[22:23], v18
	ds_read_b64 v[18:19], v19
	s_add_i32 s14, s14, 2
	s_add_i32 s13, s13, 2
	s_add_i32 s15, s15, -2
	s_waitcnt lgkmcnt(2)
	v_mov_b32_e32 v21, v16
	v_mov_b32_e32 v16, v15
	s_waitcnt lgkmcnt(0)
	v_mov_b32_e32 v15, v18
	v_mov_b32_e32 v18, v23
	v_mov_b32_e32 v20, v14
	v_mov_b32_e32 v14, v22
	v_pk_mul_f32 v[22:23], v[18:19], v[6:7]
	v_pk_mul_f32 v[18:19], v[18:19], v[4:5]
	v_pk_fma_f32 v[22:23], v[14:15], v[4:5], v[22:23] neg_lo:[0,0,1] neg_hi:[0,0,1]
	v_pk_fma_f32 v[14:15], v[14:15], v[6:7], v[18:19]
	v_pk_add_f32 v[18:19], v[20:21], v[22:23] neg_lo:[0,1] neg_hi:[0,1]
	v_pk_add_f32 v[16:17], v[16:17], v[14:15] neg_lo:[0,1] neg_hi:[0,1]
	v_mov_b32_e32 v14, v18
	v_mov_b32_e32 v15, v16
	;; [unrolled: 1-line block ×3, first 2 shown]
	s_cmp_lg_u32 s15, 0
	ds_write_b128 v3, v[14:17]
	v_add_u32_e32 v3, 16, v3
	s_cbranch_scc1 .LBB143_31
; %bb.32:                               ;   in Loop: Header=BB143_29 Depth=3
	s_mov_b64 s[12:13], s[10:11]
	s_mov_b32 s14, s21
	s_branch .LBB143_35
.LBB143_33:                             ;   in Loop: Header=BB143_29 Depth=3
	s_waitcnt lgkmcnt(0)
	v_mov_b32_e32 v2, v1
	s_mov_b64 s[12:13], 0
	s_mov_b32 s14, s21
	s_cbranch_execz .LBB143_35
; %bb.34:                               ;   in Loop: Header=BB143_29 Depth=3
	s_mov_b64 s[12:13], -1
	s_mov_b32 s14, 0
.LBB143_35:                             ;   in Loop: Header=BB143_29 Depth=3
	s_andn2_b64 vcc, exec, s[12:13]
	s_cbranch_vccnz .LBB143_28
; %bb.36:                               ;   in Loop: Header=BB143_29 Depth=3
	s_add_i32 s13, s16, s14
	s_mulk_i32 s13, 0x60
	v_mov_b32_e32 v3, v1
	v_mov_b32_e32 v1, v0
	s_sub_i32 s12, s20, s14
	s_add_i32 s13, s27, s13
	v_lshl_add_u32 v4, s14, 3, v12
.LBB143_37:                             ;   Parent Loop BB143_21 Depth=1
                                        ;     Parent Loop BB143_24 Depth=2
                                        ;       Parent Loop BB143_29 Depth=3
                                        ; =>      This Inner Loop Header: Depth=4
	v_mov_b32_e32 v5, s13
	ds_read_b64 v[14:15], v5
	ds_read_b64 v[6:7], v4
	s_add_i32 s12, s12, -1
	s_addk_i32 s13, 0x60
	s_cmp_eq_u32 s12, 0
	s_waitcnt lgkmcnt(1)
	v_pk_mul_f32 v[16:17], v[14:15], v[2:3] op_sel:[1,0] op_sel_hi:[0,1]
	v_pk_fma_f32 v[18:19], v[14:15], v[0:1], v[16:17] neg_lo:[0,0,1] neg_hi:[0,0,1]
	v_pk_fma_f32 v[14:15], v[14:15], v[0:1], v[16:17]
	s_nop 0
	v_mov_b32_e32 v19, v15
	s_waitcnt lgkmcnt(0)
	v_pk_add_f32 v[6:7], v[6:7], v[18:19] neg_lo:[0,1] neg_hi:[0,1]
	ds_write_b64 v4, v[6:7]
	v_add_u32_e32 v4, 8, v4
	s_cbranch_scc0 .LBB143_37
	s_branch .LBB143_28
.LBB143_38:                             ;   in Loop: Header=BB143_24 Depth=2
	s_mul_i32 s14, s16, 0x60
	s_mov_b32 s15, 0
	s_mov_b32 s26, s23
	s_branch .LBB143_40
.LBB143_39:                             ;   in Loop: Header=BB143_40 Depth=3
	s_mul_i32 s12, s28, 0x68
	v_mov_b32_e32 v1, s12
	ds_read_b64 v[4:5], v1
	s_add_i32 s15, s15, 1
	s_addk_i32 s26, 0x60
	v_add_u32_e32 v16, s27, v10
	s_cmp_eq_u32 s15, s20
	s_waitcnt lgkmcnt(0)
	v_pk_mul_f32 v[6:7], v[4:5], v[2:3] op_sel:[1,0] op_sel_hi:[0,0]
	v_pk_fma_f32 v[14:15], v[4:5], v[0:1], v[6:7] neg_lo:[0,0,1] neg_hi:[0,0,1]
	v_pk_fma_f32 v[0:1], v[4:5], v[0:1], v[6:7] op_sel_hi:[1,0,1]
	s_nop 0
	v_mov_b32_e32 v15, v1
	ds_write_b64 v3, v[14:15]
	ds_write_b64 v16, v[14:15]
	s_cbranch_scc1 .LBB143_23
.LBB143_40:                             ;   Parent Loop BB143_21 Depth=1
                                        ;     Parent Loop BB143_24 Depth=2
                                        ; =>    This Loop Header: Depth=3
                                        ;         Child Loop BB143_42 Depth 4
	s_cmp_lg_u32 s15, 0
	v_lshl_add_u32 v3, s15, 3, v9
	s_cbranch_scc0 .LBB143_44
; %bb.41:                               ;   in Loop: Header=BB143_40 Depth=3
	ds_read_b64 v[0:1], v3
	s_mov_b32 s12, s26
	v_mov_b32_e32 v2, v9
	s_mov_b32 s13, s15
.LBB143_42:                             ;   Parent Loop BB143_21 Depth=1
                                        ;     Parent Loop BB143_24 Depth=2
                                        ;       Parent Loop BB143_40 Depth=3
                                        ; =>      This Inner Loop Header: Depth=4
	v_mov_b32_e32 v6, s12
	ds_read_b64 v[4:5], v2
	ds_read_b64 v[6:7], v6
	s_add_i32 s13, s13, -1
	s_add_i32 s12, s12, 8
	v_add_u32_e32 v2, 8, v2
	s_cmp_eq_u32 s13, 0
	s_waitcnt lgkmcnt(0)
	v_pk_mul_f32 v[14:15], v[6:7], v[4:5] op_sel:[1,1] op_sel_hi:[0,1]
	v_pk_fma_f32 v[16:17], v[6:7], v[4:5], v[14:15] neg_lo:[0,0,1] neg_hi:[0,0,1]
	v_pk_fma_f32 v[4:5], v[6:7], v[4:5], v[14:15] op_sel_hi:[1,0,1]
	s_nop 0
	v_mov_b32_e32 v17, v5
	v_pk_add_f32 v[0:1], v[0:1], v[16:17] neg_lo:[0,1] neg_hi:[0,1]
	ds_write_b64 v3, v[0:1]
	s_cbranch_scc0 .LBB143_42
; %bb.43:                               ;   in Loop: Header=BB143_40 Depth=3
	s_add_i32 s28, s15, s16
	s_mul_i32 s27, s28, 0x60
	v_mov_b32_e32 v2, v1
	s_branch .LBB143_39
.LBB143_44:                             ;   in Loop: Header=BB143_40 Depth=3
                                        ; implicit-def: $vgpr0
                                        ; implicit-def: $vgpr2
                                        ; implicit-def: $sgpr28
                                        ; implicit-def: $sgpr27
	s_cbranch_execz .LBB143_39
; %bb.45:                               ;   in Loop: Header=BB143_40 Depth=3
	ds_read_b64 v[0:1], v9
	s_mov_b32 s27, s14
	s_mov_b32 s28, s16
	s_waitcnt lgkmcnt(0)
	v_mov_b32_e32 v2, v1
	s_branch .LBB143_39
.LBB143_46:
	s_mov_b64 s[0:1], 0
.LBB143_47:
	s_and_b64 vcc, exec, s[0:1]
	s_cbranch_vccz .LBB143_75
; %bb.48:
	v_mov_b32_e32 v0, 0x480
	s_movk_i32 s0, 0x60
	s_add_i32 s16, s24, -1
	v_lshl_add_u32 v12, v8, 3, v0
	s_mul_i32 s17, s24, 0x60
	v_mul_lo_u32 v0, v11, s0
	s_mov_b32 s1, 0
	s_addk_i32 s17, 0xffa0
	v_add_u32_e32 v11, 0x900, v0
	s_mov_b32 s0, s1
	s_mov_b32 s19, s16
	s_branch .LBB143_50
.LBB143_49:                             ;   in Loop: Header=BB143_50 Depth=1
	s_cmp_lt_i32 s19, 0
	s_cselect_b64 s[8:9], -1, 0
	s_add_i32 s0, s0, 1
	s_cmp_eq_u32 s0, 3
	s_cselect_b64 s[10:11], -1, 0
	s_or_b64 s[8:9], s[8:9], s[10:11]
	s_and_b64 vcc, exec, s[8:9]
	s_cbranch_vccnz .LBB143_75
.LBB143_50:                             ; =>This Loop Header: Depth=1
                                        ;     Child Loop BB143_53 Depth 2
                                        ;       Child Loop BB143_54 Depth 3
                                        ;       Child Loop BB143_58 Depth 3
                                        ;         Child Loop BB143_60 Depth 4
                                        ;         Child Loop BB143_66 Depth 4
                                        ;       Child Loop BB143_69 Depth 3
                                        ;         Child Loop BB143_71 Depth 4
	s_lshl_b64 s[8:9], s[0:1], 2
	s_getpc_b64 s[10:11]
	s_add_u32 s10, s10, __const._ZL38rocblas_trsm_small_left_device_sharedBILi12ELi12ELb0E19rocblas_complex_numIfES1_PKPKS1_PKPS1_Ev13rocblas_fill_18rocblas_operation_17rocblas_diagonal_iiT3_T4_lilT5_lili.step_sizes@rel32@lo+4
	s_addc_u32 s11, s11, __const._ZL38rocblas_trsm_small_left_device_sharedBILi12ELi12ELb0E19rocblas_complex_numIfES1_PKPKS1_PKPS1_Ev13rocblas_fill_18rocblas_operation_17rocblas_diagonal_iiT3_T4_lilT5_lili.step_sizes@rel32@hi+12
	s_add_u32 s8, s10, s8
	s_addc_u32 s9, s11, s9
	s_load_dword s20, s[8:9], 0x0
	s_waitcnt lgkmcnt(0)
	s_add_i32 s21, s20, -1
	s_cmp_lt_i32 s19, s21
	s_cbranch_scc1 .LBB143_49
; %bb.51:                               ;   in Loop: Header=BB143_50 Depth=1
	s_max_i32 s22, s20, 1
	s_cmp_lg_u32 s0, 2
	s_cselect_b64 s[8:9], -1, 0
	s_and_b32 s23, s22, 0x7ffffffe
	s_cmp_lg_u32 s22, s23
	s_mul_i32 s12, s19, 0x60
	s_cselect_b64 s[10:11], -1, 0
	v_add_u32_e32 v13, s12, v12
	s_lshl_b32 s12, s19, 3
	s_add_i32 s26, s17, s12
	s_lshl_b32 s12, s20, 3
	s_mul_i32 s25, s20, 0xffffffa0
	s_sub_i32 s27, 0, s12
	s_mul_i32 s28, s19, 0x68
	s_mul_i32 s29, s20, 0xffffff98
	s_branch .LBB143_53
.LBB143_52:                             ;   in Loop: Header=BB143_53 Depth=2
	s_sub_i32 s19, s19, s20
	s_add_i32 s26, s26, s27
	s_add_i32 s28, s28, s29
	s_cmp_lt_i32 s19, s21
	v_add_u32_e32 v13, s25, v13
	s_cbranch_scc1 .LBB143_49
.LBB143_53:                             ;   Parent Loop BB143_50 Depth=1
                                        ; =>  This Loop Header: Depth=2
                                        ;       Child Loop BB143_54 Depth 3
                                        ;       Child Loop BB143_58 Depth 3
                                        ;         Child Loop BB143_60 Depth 4
                                        ;         Child Loop BB143_66 Depth 4
                                        ;       Child Loop BB143_69 Depth 3
                                        ;         Child Loop BB143_71 Depth 4
	v_mov_b32_e32 v0, v9
	v_mov_b32_e32 v1, v13
	s_mov_b32 s12, s22
.LBB143_54:                             ;   Parent Loop BB143_50 Depth=1
                                        ;     Parent Loop BB143_53 Depth=2
                                        ; =>    This Inner Loop Header: Depth=3
	ds_read_b64 v[2:3], v1
	s_add_i32 s12, s12, -1
	v_add_u32_e32 v1, 0xffffffa0, v1
	s_cmp_eq_u32 s12, 0
	s_waitcnt lgkmcnt(0)
	ds_write_b64 v0, v[2:3]
	v_add_u32_e32 v0, 8, v0
	s_cbranch_scc0 .LBB143_54
; %bb.55:                               ;   in Loop: Header=BB143_53 Depth=2
	s_cmp_le_i32 s16, s19
	s_cbranch_scc1 .LBB143_67
; %bb.56:                               ;   in Loop: Header=BB143_53 Depth=2
	s_mov_b32 s30, s19
	s_mov_b32 s31, s26
	;; [unrolled: 1-line block ×3, first 2 shown]
	s_branch .LBB143_58
.LBB143_57:                             ;   in Loop: Header=BB143_58 Depth=3
	s_add_i32 s33, s33, -1
	s_addk_i32 s31, 0xffa0
	s_cmp_le_i32 s33, s19
	s_cbranch_scc1 .LBB143_67
.LBB143_58:                             ;   Parent Loop BB143_50 Depth=1
                                        ;     Parent Loop BB143_53 Depth=2
                                        ; =>    This Loop Header: Depth=3
                                        ;         Child Loop BB143_60 Depth 4
                                        ;         Child Loop BB143_66 Depth 4
	s_mul_i32 s12, s33, 12
	v_lshl_add_u32 v0, s12, 3, v10
	ds_read_b64 v[0:1], v0
	s_and_b64 vcc, exec, s[8:9]
	s_cbranch_vccz .LBB143_62
; %bb.59:                               ;   in Loop: Header=BB143_58 Depth=3
	s_lshl_b32 s12, s12, 3
	s_waitcnt lgkmcnt(0)
	v_mov_b32_e32 v4, v0
	v_mov_b32_e32 v5, v0
	;; [unrolled: 1-line block ×5, first 2 shown]
	s_mov_b32 s13, 1
	s_mov_b32 s14, 0
	;; [unrolled: 1-line block ×3, first 2 shown]
	v_mov_b32_e32 v3, v9
.LBB143_60:                             ;   Parent Loop BB143_50 Depth=1
                                        ;     Parent Loop BB143_53 Depth=2
                                        ;       Parent Loop BB143_58 Depth=3
                                        ; =>      This Inner Loop Header: Depth=4
	s_sub_i32 s34, s30, s13
	s_sub_i32 s35, s19, s14
	s_lshl_b32 s35, s35, 3
	s_lshl_b32 s34, s34, 3
	s_add_i32 s35, s12, s35
	s_add_i32 s34, s12, s34
	v_mov_b32_e32 v18, s35
	v_mov_b32_e32 v19, s34
	ds_read_b128 v[14:17], v3
	ds_read_b64 v[22:23], v18
	ds_read_b64 v[18:19], v19
	s_add_i32 s14, s14, 2
	s_add_i32 s13, s13, 2
	s_add_i32 s15, s15, -2
	s_waitcnt lgkmcnt(2)
	v_mov_b32_e32 v21, v16
	v_mov_b32_e32 v16, v15
	s_waitcnt lgkmcnt(0)
	v_mov_b32_e32 v15, v18
	v_mov_b32_e32 v18, v23
	;; [unrolled: 1-line block ×4, first 2 shown]
	v_pk_mul_f32 v[22:23], v[18:19], v[6:7]
	v_pk_mul_f32 v[18:19], v[18:19], v[4:5]
	v_pk_fma_f32 v[22:23], v[14:15], v[4:5], v[22:23] neg_lo:[0,0,1] neg_hi:[0,0,1]
	v_pk_fma_f32 v[14:15], v[14:15], v[6:7], v[18:19]
	v_pk_add_f32 v[18:19], v[20:21], v[22:23] neg_lo:[0,1] neg_hi:[0,1]
	v_pk_add_f32 v[16:17], v[16:17], v[14:15] neg_lo:[0,1] neg_hi:[0,1]
	v_mov_b32_e32 v14, v18
	v_mov_b32_e32 v15, v16
	;; [unrolled: 1-line block ×3, first 2 shown]
	s_cmp_lg_u32 s15, 0
	ds_write_b128 v3, v[14:17]
	v_add_u32_e32 v3, 16, v3
	s_cbranch_scc1 .LBB143_60
; %bb.61:                               ;   in Loop: Header=BB143_58 Depth=3
	s_mov_b64 s[12:13], s[10:11]
	s_mov_b32 s14, s23
	s_branch .LBB143_64
.LBB143_62:                             ;   in Loop: Header=BB143_58 Depth=3
	s_waitcnt lgkmcnt(0)
	v_mov_b32_e32 v2, v1
	s_mov_b64 s[12:13], 0
	s_mov_b32 s14, s23
	s_cbranch_execz .LBB143_64
; %bb.63:                               ;   in Loop: Header=BB143_58 Depth=3
	s_mov_b64 s[12:13], -1
	s_mov_b32 s14, 0
.LBB143_64:                             ;   in Loop: Header=BB143_58 Depth=3
	s_andn2_b64 vcc, exec, s[12:13]
	s_cbranch_vccnz .LBB143_57
; %bb.65:                               ;   in Loop: Header=BB143_58 Depth=3
	s_sub_i32 s12, s22, s14
	s_lshl_b32 s14, s14, 3
	v_mov_b32_e32 v3, v1
	v_mov_b32_e32 v1, v0
	s_sub_i32 s13, s31, s14
	v_add_u32_e32 v4, s14, v11
.LBB143_66:                             ;   Parent Loop BB143_50 Depth=1
                                        ;     Parent Loop BB143_53 Depth=2
                                        ;       Parent Loop BB143_58 Depth=3
                                        ; =>      This Inner Loop Header: Depth=4
	v_mov_b32_e32 v5, s13
	ds_read_b64 v[14:15], v5
	ds_read_b64 v[6:7], v4
	s_add_i32 s12, s12, -1
	s_add_i32 s13, s13, -8
	s_cmp_eq_u32 s12, 0
	s_waitcnt lgkmcnt(1)
	v_pk_mul_f32 v[16:17], v[14:15], v[2:3] op_sel:[1,0] op_sel_hi:[0,1]
	v_pk_fma_f32 v[18:19], v[14:15], v[0:1], v[16:17] neg_lo:[0,0,1] neg_hi:[0,0,1]
	v_pk_fma_f32 v[14:15], v[14:15], v[0:1], v[16:17]
	s_nop 0
	v_mov_b32_e32 v19, v15
	s_waitcnt lgkmcnt(0)
	v_pk_add_f32 v[6:7], v[6:7], v[18:19] neg_lo:[0,1] neg_hi:[0,1]
	ds_write_b64 v4, v[6:7]
	v_add_u32_e32 v4, 8, v4
	s_cbranch_scc0 .LBB143_66
	s_branch .LBB143_57
.LBB143_67:                             ;   in Loop: Header=BB143_53 Depth=2
	s_mov_b32 s14, 0
	s_mov_b32 s15, s28
	s_branch .LBB143_69
.LBB143_68:                             ;   in Loop: Header=BB143_69 Depth=3
	s_mul_i32 s12, s30, 0x68
	v_mov_b32_e32 v1, s12
	ds_read_b64 v[4:5], v1
	s_mul_i32 s12, s30, 0x60
	s_add_i32 s14, s14, 1
	s_add_i32 s15, s15, -8
	v_add_u32_e32 v16, s12, v10
	s_waitcnt lgkmcnt(0)
	v_pk_mul_f32 v[6:7], v[4:5], v[2:3] op_sel:[1,0] op_sel_hi:[0,0]
	v_pk_fma_f32 v[14:15], v[4:5], v[0:1], v[6:7] neg_lo:[0,0,1] neg_hi:[0,0,1]
	v_pk_fma_f32 v[0:1], v[4:5], v[0:1], v[6:7] op_sel_hi:[1,0,1]
	s_cmp_eq_u32 s14, s22
	v_mov_b32_e32 v15, v1
	ds_write_b64 v3, v[14:15]
	ds_write_b64 v16, v[14:15]
	s_cbranch_scc1 .LBB143_52
.LBB143_69:                             ;   Parent Loop BB143_50 Depth=1
                                        ;     Parent Loop BB143_53 Depth=2
                                        ; =>    This Loop Header: Depth=3
                                        ;         Child Loop BB143_71 Depth 4
	s_cmp_lg_u32 s14, 0
	v_lshl_add_u32 v3, s14, 3, v9
	s_cbranch_scc0 .LBB143_73
; %bb.70:                               ;   in Loop: Header=BB143_69 Depth=3
	ds_read_b64 v[0:1], v3
	v_mov_b32_e32 v2, v9
	s_mov_b32 s12, s15
	s_mov_b32 s13, s14
.LBB143_71:                             ;   Parent Loop BB143_50 Depth=1
                                        ;     Parent Loop BB143_53 Depth=2
                                        ;       Parent Loop BB143_69 Depth=3
                                        ; =>      This Inner Loop Header: Depth=4
	v_mov_b32_e32 v6, s12
	ds_read_b64 v[4:5], v2
	ds_read_b64 v[6:7], v6
	s_add_i32 s13, s13, -1
	s_addk_i32 s12, 0xffa0
	v_add_u32_e32 v2, 8, v2
	s_cmp_eq_u32 s13, 0
	s_waitcnt lgkmcnt(0)
	v_pk_mul_f32 v[14:15], v[6:7], v[4:5] op_sel:[1,1] op_sel_hi:[0,1]
	v_pk_fma_f32 v[16:17], v[6:7], v[4:5], v[14:15] neg_lo:[0,0,1] neg_hi:[0,0,1]
	v_pk_fma_f32 v[4:5], v[6:7], v[4:5], v[14:15] op_sel_hi:[1,0,1]
	s_nop 0
	v_mov_b32_e32 v17, v5
	v_pk_add_f32 v[0:1], v[0:1], v[16:17] neg_lo:[0,1] neg_hi:[0,1]
	ds_write_b64 v3, v[0:1]
	s_cbranch_scc0 .LBB143_71
; %bb.72:                               ;   in Loop: Header=BB143_69 Depth=3
	s_sub_i32 s30, s19, s14
	v_mov_b32_e32 v2, v1
	s_branch .LBB143_68
.LBB143_73:                             ;   in Loop: Header=BB143_69 Depth=3
                                        ; implicit-def: $vgpr0
                                        ; implicit-def: $vgpr2
                                        ; implicit-def: $sgpr30
	s_cbranch_execz .LBB143_68
; %bb.74:                               ;   in Loop: Header=BB143_69 Depth=3
	ds_read_b64 v[0:1], v9
	s_mov_b32 s30, s19
	s_waitcnt lgkmcnt(0)
	v_mov_b32_e32 v2, v1
	s_branch .LBB143_68
.LBB143_75:
	s_waitcnt lgkmcnt(0)
	; wave barrier
	s_and_saveexec_b64 s[0:1], s[2:3]
	s_cbranch_execz .LBB143_79
; %bb.76:
	s_andn2_b64 vcc, exec, s[6:7]
	s_cbranch_vccnz .LBB143_79
; %bb.77:
	v_mad_i64_i32 v[0:1], s[0:1], s18, v8, 0
	v_mov_b32_e32 v2, 0x480
	v_lshl_add_u64 v[0:1], v[0:1], 3, s[4:5]
	v_lshl_add_u32 v2, v8, 3, v2
.LBB143_78:                             ; =>This Inner Loop Header: Depth=1
	ds_read_b64 v[4:5], v2
	s_add_i32 s24, s24, -1
	v_add_u32_e32 v2, 0x60, v2
	s_cmp_lg_u32 s24, 0
	s_waitcnt lgkmcnt(0)
	flat_store_dwordx2 v[0:1], v[4:5]
	v_lshl_add_u64 v[0:1], v[0:1], 0, 8
	s_cbranch_scc1 .LBB143_78
.LBB143_79:
	s_endpgm
	.section	.rodata,"a",@progbits
	.p2align	6, 0x0
	.amdhsa_kernel _ZL38rocblas_trsm_small_left_device_sharedBILi12ELi12ELb0E19rocblas_complex_numIfES1_PKPKS1_PKPS1_Ev13rocblas_fill_18rocblas_operation_17rocblas_diagonal_iiT3_T4_lilT5_lili
		.amdhsa_group_segment_fixed_size 3456
		.amdhsa_private_segment_fixed_size 0
		.amdhsa_kernarg_size 360
		.amdhsa_user_sgpr_count 4
		.amdhsa_user_sgpr_dispatch_ptr 1
		.amdhsa_user_sgpr_queue_ptr 0
		.amdhsa_user_sgpr_kernarg_segment_ptr 1
		.amdhsa_user_sgpr_dispatch_id 0
		.amdhsa_user_sgpr_kernarg_preload_length 0
		.amdhsa_user_sgpr_kernarg_preload_offset 0
		.amdhsa_user_sgpr_private_segment_size 0
		.amdhsa_uses_dynamic_stack 0
		.amdhsa_enable_private_segment 0
		.amdhsa_system_sgpr_workgroup_id_x 1
		.amdhsa_system_sgpr_workgroup_id_y 0
		.amdhsa_system_sgpr_workgroup_id_z 1
		.amdhsa_system_sgpr_workgroup_info 0
		.amdhsa_system_vgpr_workitem_id 2
		.amdhsa_next_free_vgpr 24
		.amdhsa_next_free_sgpr 36
		.amdhsa_accum_offset 24
		.amdhsa_reserve_vcc 1
		.amdhsa_float_round_mode_32 0
		.amdhsa_float_round_mode_16_64 0
		.amdhsa_float_denorm_mode_32 3
		.amdhsa_float_denorm_mode_16_64 3
		.amdhsa_dx10_clamp 1
		.amdhsa_ieee_mode 1
		.amdhsa_fp16_overflow 0
		.amdhsa_tg_split 0
		.amdhsa_exception_fp_ieee_invalid_op 0
		.amdhsa_exception_fp_denorm_src 0
		.amdhsa_exception_fp_ieee_div_zero 0
		.amdhsa_exception_fp_ieee_overflow 0
		.amdhsa_exception_fp_ieee_underflow 0
		.amdhsa_exception_fp_ieee_inexact 0
		.amdhsa_exception_int_div_zero 0
	.end_amdhsa_kernel
	.section	.text._ZL38rocblas_trsm_small_left_device_sharedBILi12ELi12ELb0E19rocblas_complex_numIfES1_PKPKS1_PKPS1_Ev13rocblas_fill_18rocblas_operation_17rocblas_diagonal_iiT3_T4_lilT5_lili,"axG",@progbits,_ZL38rocblas_trsm_small_left_device_sharedBILi12ELi12ELb0E19rocblas_complex_numIfES1_PKPKS1_PKPS1_Ev13rocblas_fill_18rocblas_operation_17rocblas_diagonal_iiT3_T4_lilT5_lili,comdat
.Lfunc_end143:
	.size	_ZL38rocblas_trsm_small_left_device_sharedBILi12ELi12ELb0E19rocblas_complex_numIfES1_PKPKS1_PKPS1_Ev13rocblas_fill_18rocblas_operation_17rocblas_diagonal_iiT3_T4_lilT5_lili, .Lfunc_end143-_ZL38rocblas_trsm_small_left_device_sharedBILi12ELi12ELb0E19rocblas_complex_numIfES1_PKPKS1_PKPS1_Ev13rocblas_fill_18rocblas_operation_17rocblas_diagonal_iiT3_T4_lilT5_lili
                                        ; -- End function
	.set _ZL38rocblas_trsm_small_left_device_sharedBILi12ELi12ELb0E19rocblas_complex_numIfES1_PKPKS1_PKPS1_Ev13rocblas_fill_18rocblas_operation_17rocblas_diagonal_iiT3_T4_lilT5_lili.num_vgpr, 24
	.set _ZL38rocblas_trsm_small_left_device_sharedBILi12ELi12ELb0E19rocblas_complex_numIfES1_PKPKS1_PKPS1_Ev13rocblas_fill_18rocblas_operation_17rocblas_diagonal_iiT3_T4_lilT5_lili.num_agpr, 0
	.set _ZL38rocblas_trsm_small_left_device_sharedBILi12ELi12ELb0E19rocblas_complex_numIfES1_PKPKS1_PKPS1_Ev13rocblas_fill_18rocblas_operation_17rocblas_diagonal_iiT3_T4_lilT5_lili.numbered_sgpr, 36
	.set _ZL38rocblas_trsm_small_left_device_sharedBILi12ELi12ELb0E19rocblas_complex_numIfES1_PKPKS1_PKPS1_Ev13rocblas_fill_18rocblas_operation_17rocblas_diagonal_iiT3_T4_lilT5_lili.num_named_barrier, 0
	.set _ZL38rocblas_trsm_small_left_device_sharedBILi12ELi12ELb0E19rocblas_complex_numIfES1_PKPKS1_PKPS1_Ev13rocblas_fill_18rocblas_operation_17rocblas_diagonal_iiT3_T4_lilT5_lili.private_seg_size, 0
	.set _ZL38rocblas_trsm_small_left_device_sharedBILi12ELi12ELb0E19rocblas_complex_numIfES1_PKPKS1_PKPS1_Ev13rocblas_fill_18rocblas_operation_17rocblas_diagonal_iiT3_T4_lilT5_lili.uses_vcc, 1
	.set _ZL38rocblas_trsm_small_left_device_sharedBILi12ELi12ELb0E19rocblas_complex_numIfES1_PKPKS1_PKPS1_Ev13rocblas_fill_18rocblas_operation_17rocblas_diagonal_iiT3_T4_lilT5_lili.uses_flat_scratch, 0
	.set _ZL38rocblas_trsm_small_left_device_sharedBILi12ELi12ELb0E19rocblas_complex_numIfES1_PKPKS1_PKPS1_Ev13rocblas_fill_18rocblas_operation_17rocblas_diagonal_iiT3_T4_lilT5_lili.has_dyn_sized_stack, 0
	.set _ZL38rocblas_trsm_small_left_device_sharedBILi12ELi12ELb0E19rocblas_complex_numIfES1_PKPKS1_PKPS1_Ev13rocblas_fill_18rocblas_operation_17rocblas_diagonal_iiT3_T4_lilT5_lili.has_recursion, 0
	.set _ZL38rocblas_trsm_small_left_device_sharedBILi12ELi12ELb0E19rocblas_complex_numIfES1_PKPKS1_PKPS1_Ev13rocblas_fill_18rocblas_operation_17rocblas_diagonal_iiT3_T4_lilT5_lili.has_indirect_call, 0
	.section	.AMDGPU.csdata,"",@progbits
; Kernel info:
; codeLenInByte = 3280
; TotalNumSgprs: 42
; NumVgprs: 24
; NumAgprs: 0
; TotalNumVgprs: 24
; ScratchSize: 0
; MemoryBound: 0
; FloatMode: 240
; IeeeMode: 1
; LDSByteSize: 3456 bytes/workgroup (compile time only)
; SGPRBlocks: 5
; VGPRBlocks: 2
; NumSGPRsForWavesPerEU: 42
; NumVGPRsForWavesPerEU: 24
; AccumOffset: 24
; Occupancy: 8
; WaveLimiterHint : 0
; COMPUTE_PGM_RSRC2:SCRATCH_EN: 0
; COMPUTE_PGM_RSRC2:USER_SGPR: 4
; COMPUTE_PGM_RSRC2:TRAP_HANDLER: 0
; COMPUTE_PGM_RSRC2:TGID_X_EN: 1
; COMPUTE_PGM_RSRC2:TGID_Y_EN: 0
; COMPUTE_PGM_RSRC2:TGID_Z_EN: 1
; COMPUTE_PGM_RSRC2:TIDIG_COMP_CNT: 2
; COMPUTE_PGM_RSRC3_GFX90A:ACCUM_OFFSET: 5
; COMPUTE_PGM_RSRC3_GFX90A:TG_SPLIT: 0
	.section	.text._ZL30rocblas_trsm_small_left_deviceILi12ELi12ELb0E19rocblas_complex_numIfES1_PKPKS1_PKPS1_Ev13rocblas_fill_18rocblas_operation_17rocblas_diagonal_iiT3_T4_lilT5_lili,"axG",@progbits,_ZL30rocblas_trsm_small_left_deviceILi12ELi12ELb0E19rocblas_complex_numIfES1_PKPKS1_PKPS1_Ev13rocblas_fill_18rocblas_operation_17rocblas_diagonal_iiT3_T4_lilT5_lili,comdat
	.globl	_ZL30rocblas_trsm_small_left_deviceILi12ELi12ELb0E19rocblas_complex_numIfES1_PKPKS1_PKPS1_Ev13rocblas_fill_18rocblas_operation_17rocblas_diagonal_iiT3_T4_lilT5_lili ; -- Begin function _ZL30rocblas_trsm_small_left_deviceILi12ELi12ELb0E19rocblas_complex_numIfES1_PKPKS1_PKPS1_Ev13rocblas_fill_18rocblas_operation_17rocblas_diagonal_iiT3_T4_lilT5_lili
	.p2align	8
	.type	_ZL30rocblas_trsm_small_left_deviceILi12ELi12ELb0E19rocblas_complex_numIfES1_PKPKS1_PKPS1_Ev13rocblas_fill_18rocblas_operation_17rocblas_diagonal_iiT3_T4_lilT5_lili,@function
_ZL30rocblas_trsm_small_left_deviceILi12ELi12ELb0E19rocblas_complex_numIfES1_PKPKS1_PKPS1_Ev13rocblas_fill_18rocblas_operation_17rocblas_diagonal_iiT3_T4_lilT5_lili: ; @_ZL30rocblas_trsm_small_left_deviceILi12ELi12ELb0E19rocblas_complex_numIfES1_PKPKS1_PKPS1_Ev13rocblas_fill_18rocblas_operation_17rocblas_diagonal_iiT3_T4_lilT5_lili
; %bb.0:
	s_load_dwordx4 s[12:15], s[2:3], 0x40
	s_load_dwordx4 s[8:11], s[2:3], 0x4
	s_load_dwordx2 s[6:7], s[2:3], 0x14
	s_mov_b32 s16, s5
	s_mov_b32 s17, 0
	s_lshl_b64 s[20:21], s[16:17], 3
	s_waitcnt lgkmcnt(0)
	s_add_u32 s12, s12, s20
	s_addc_u32 s13, s13, s21
	s_load_dword s5, s[2:3], 0x68
	v_and_b32_e32 v2, 0x3ff, v0
	s_load_dwordx2 s[12:13], s[12:13], 0x0
	s_min_i32 s26, s10, 12
	v_cmp_gt_i32_e32 vcc, s26, v2
	s_and_saveexec_b64 s[16:17], vcc
	s_cbranch_execz .LBB144_15
; %bb.1:
	s_load_dword s22, s[2:3], 0x30
	s_load_dwordx4 s[28:31], s[2:3], 0x20
	v_lshlrev_b32_e32 v4, 3, v2
	v_mov_b32_e32 v5, 0
	v_mov_b32_e32 v1, v4
	s_waitcnt lgkmcnt(0)
	s_ashr_i32 s23, s22, 31
	s_cmpk_lg_i32 s8, 0x71
	s_cselect_b64 s[18:19], -1, 0
	s_add_u32 s20, s28, s20
	s_addc_u32 s21, s29, s21
	s_load_dwordx2 s[20:21], s[20:21], 0x0
	s_lshl_b64 s[24:25], s[30:31], 3
	s_mov_b32 s10, s26
	s_waitcnt lgkmcnt(0)
	s_add_u32 s24, s20, s24
	s_addc_u32 s25, s21, s25
	s_lshl_b64 s[20:21], s[22:23], 3
	v_lshl_add_u64 v[6:7], s[24:25], 0, v[4:5]
	s_branch .LBB144_3
.LBB144_2:                              ;   in Loop: Header=BB144_3 Depth=1
	flat_load_dword v8, v[6:7]
	s_add_i32 s10, s10, -1
	v_lshl_add_u64 v[6:7], v[6:7], 0, s[20:21]
	s_cmp_eq_u32 s10, 0
	s_waitcnt vmcnt(0) lgkmcnt(0)
	ds_write_b64 v1, v[8:9]
	v_add_u32_e32 v1, 0x60, v1
	s_cbranch_scc1 .LBB144_7
.LBB144_3:                              ; =>This Inner Loop Header: Depth=1
	s_mov_b64 s[22:23], -1
	s_and_b64 vcc, exec, s[18:19]
                                        ; implicit-def: $vgpr9
	s_cbranch_vccz .LBB144_5
; %bb.4:                                ;   in Loop: Header=BB144_3 Depth=1
	flat_load_dword v9, v[6:7] offset:4
	s_mov_b64 s[22:23], 0
.LBB144_5:                              ;   in Loop: Header=BB144_3 Depth=1
	s_andn2_b64 vcc, exec, s[22:23]
	s_cbranch_vccnz .LBB144_2
; %bb.6:                                ;   in Loop: Header=BB144_3 Depth=1
	flat_load_dword v3, v[6:7] offset:4
	s_waitcnt vmcnt(0) lgkmcnt(0)
	v_xor_b32_e32 v9, 0x80000000, v3
	s_branch .LBB144_2
.LBB144_7:
	s_cmpk_lg_i32 s9, 0x84
	v_mul_u32_u24_e32 v1, 0x60, v2
	s_mov_b64 s[18:19], -1
	s_cbranch_scc0 .LBB144_13
; %bb.8:
	v_add_u32_e32 v3, v4, v1
	ds_read_b64 v[6:7], v3
                                        ; implicit-def: $vgpr8_vgpr9
	s_waitcnt lgkmcnt(0)
	v_cmp_ngt_f32_e64 s[18:19], |v6|, |v7|
	s_and_saveexec_b64 s[20:21], s[18:19]
	s_xor_b64 s[18:19], exec, s[20:21]
	s_cbranch_execz .LBB144_10
; %bb.9:
	v_div_scale_f32 v5, s[20:21], v7, v7, v6
	v_rcp_f32_e32 v8, v5
	v_div_scale_f32 v9, vcc, v6, v7, v6
	v_fma_f32 v10, -v5, v8, 1.0
	v_fmac_f32_e32 v8, v10, v8
	v_mul_f32_e32 v10, v9, v8
	v_fma_f32 v11, -v5, v10, v9
	v_fmac_f32_e32 v10, v11, v8
	v_fma_f32 v5, -v5, v10, v9
	v_div_fmas_f32 v5, v5, v8, v10
	v_div_fixup_f32 v8, v5, v7, v6
	v_fmac_f32_e32 v7, v6, v8
	v_div_scale_f32 v5, s[20:21], v7, v7, 1.0
	v_rcp_f32_e32 v6, v5
	s_mov_b32 s20, 0
	s_mov_b32 s21, -1.0
	v_fma_f32 v9, -v5, v6, 1.0
	v_fmac_f32_e32 v6, v9, v6
	v_div_scale_f32 v9, vcc, 1.0, v7, 1.0
	v_mul_f32_e32 v10, v9, v6
	v_fma_f32 v11, -v5, v10, v9
	v_fmac_f32_e32 v10, v11, v6
	v_fma_f32 v5, -v5, v10, v9
	v_div_fmas_f32 v5, v5, v6, v10
	v_mul_f32_e32 v9, 0, v8
	v_div_fixup_f32 v6, v5, v7, 1.0
	v_pk_add_f32 v[8:9], v[8:9], s[20:21]
	s_nop 0
	v_pk_mul_f32 v[8:9], v[8:9], v[6:7] op_sel_hi:[1,0]
                                        ; implicit-def: $vgpr6_vgpr7
.LBB144_10:
	s_andn2_saveexec_b64 s[18:19], s[18:19]
	s_cbranch_execz .LBB144_12
; %bb.11:
	v_div_scale_f32 v5, s[20:21], v6, v6, v7
	v_rcp_f32_e32 v8, v5
	v_div_scale_f32 v9, vcc, v7, v6, v7
	v_fma_f32 v10, -v5, v8, 1.0
	v_fmac_f32_e32 v8, v10, v8
	v_mul_f32_e32 v10, v9, v8
	v_fma_f32 v11, -v5, v10, v9
	v_fmac_f32_e32 v10, v11, v8
	v_fma_f32 v5, -v5, v10, v9
	v_div_fmas_f32 v5, v5, v8, v10
	v_div_fixup_f32 v5, v5, v6, v7
	v_fmac_f32_e32 v6, v7, v5
	v_div_scale_f32 v7, s[20:21], v6, v6, 1.0
	v_rcp_f32_e32 v8, v7
	s_nop 0
	v_fma_f32 v9, -v7, v8, 1.0
	v_fmac_f32_e32 v8, v9, v8
	v_div_scale_f32 v9, vcc, 1.0, v6, 1.0
	v_mul_f32_e32 v10, v9, v8
	v_fma_f32 v11, -v7, v10, v9
	v_fmac_f32_e32 v10, v11, v8
	v_fma_f32 v7, -v7, v10, v9
	v_div_fmas_f32 v7, v7, v8, v10
	v_div_fixup_f32 v6, v7, v6, 1.0
	v_mul_f32_e32 v7, 0, v5
	v_add_f32_e32 v8, 1.0, v7
	v_sub_f32_e32 v9, 0, v5
	v_pk_mul_f32 v[8:9], v[8:9], v[6:7] op_sel_hi:[1,0]
.LBB144_12:
	s_or_b64 exec, exec, s[18:19]
	s_mov_b64 s[18:19], 0
	ds_write_b64 v3, v[8:9]
.LBB144_13:
	s_and_b64 vcc, exec, s[18:19]
	s_cbranch_vccz .LBB144_15
; %bb.14:
	v_add_u32_e32 v1, v4, v1
	v_mov_b32_e32 v4, 1.0
	v_mov_b32_e32 v5, 0
	ds_write_b64 v1, v[4:5]
.LBB144_15:
	s_or_b64 exec, exec, s[16:17]
	s_mul_i32 s9, s4, -12
	s_waitcnt lgkmcnt(0)
	s_add_i32 s5, s5, -1
	s_add_i32 s9, s11, s9
	s_cmp_ge_u32 s4, s5
	s_cselect_b32 s5, s9, 12
	v_cmp_gt_i32_e32 vcc, s5, v2
	; wave barrier
	s_and_saveexec_b64 s[10:11], vcc
	s_cbranch_execz .LBB144_83
; %bb.16:
	s_load_dwordx2 s[10:11], s[0:1], 0x4
	s_load_dword s9, s[2:3], 0x50
	v_bfe_u32 v1, v0, 10, 10
	v_bfe_u32 v0, v0, 20, 10
	s_lshl_b64 s[2:3], s[14:15], 3
	s_waitcnt lgkmcnt(0)
	s_lshr_b32 s0, s10, 16
	s_mul_i32 s0, s0, s11
	v_mul_u32_u24_e32 v1, s11, v1
	v_mul_u32_u24_e32 v3, s0, v2
	v_add3_u32 v15, v3, v1, v0
	s_movk_i32 s0, 0x60
	v_mul_lo_u32 v6, v15, s0
	s_add_u32 s0, s12, s2
	v_mad_u64_u32 v[0:1], s[4:5], s4, 12, v[2:3]
	s_addc_u32 s1, s13, s3
	v_mad_i64_i32 v[2:3], s[4:5], s9, v0, 0
	v_add_u32_e32 v14, 0x480, v6
	v_lshl_add_u64 v[0:1], v[2:3], 3, s[0:1]
	s_cmpk_eq_i32 s8, 0x6f
	s_mov_b64 s[0:1], -1
	s_cbranch_scc1 .LBB144_50
; %bb.17:
	s_add_u32 s0, s12, s2
	s_addc_u32 s1, s13, s3
	s_mov_b32 s15, 0
	s_mov_b32 s4, s6
	;; [unrolled: 1-line block ×7, first 2 shown]
	v_lshl_add_u64 v[4:5], v[2:3], 3, s[0:1]
	v_add_u32_e32 v16, 0x480, v6
	s_mov_b32 s16, s15
	s_mov_b32 s27, s15
	s_branch .LBB144_19
.LBB144_18:                             ;   in Loop: Header=BB144_19 Depth=1
	s_cmp_ge_i32 s27, s26
	s_cselect_b64 s[0:1], -1, 0
	s_add_i32 s16, s16, 1
	s_cmp_eq_u32 s16, 3
	s_cselect_b64 s[18:19], -1, 0
	s_or_b64 s[0:1], s[0:1], s[18:19]
	s_andn2_b64 vcc, exec, s[0:1]
	s_cbranch_vccz .LBB144_49
.LBB144_19:                             ; =>This Loop Header: Depth=1
                                        ;     Child Loop BB144_22 Depth 2
                                        ;       Child Loop BB144_24 Depth 3
                                        ;       Child Loop BB144_28 Depth 3
	;; [unrolled: 1-line block ×3, first 2 shown]
                                        ;         Child Loop BB144_34 Depth 4
                                        ;         Child Loop BB144_40 Depth 4
                                        ;       Child Loop BB144_43 Depth 3
                                        ;         Child Loop BB144_45 Depth 4
	s_mov_b32 s17, s15
	s_lshl_b64 s[0:1], s[16:17], 2
	s_getpc_b64 s[18:19]
	s_add_u32 s18, s18, __const._ZL30rocblas_trsm_small_left_deviceILi12ELi12ELb0E19rocblas_complex_numIfES1_PKPKS1_PKPS1_Ev13rocblas_fill_18rocblas_operation_17rocblas_diagonal_iiT3_T4_lilT5_lili.step_sizes@rel32@lo+4
	s_addc_u32 s19, s19, __const._ZL30rocblas_trsm_small_left_deviceILi12ELi12ELb0E19rocblas_complex_numIfES1_PKPKS1_PKPS1_Ev13rocblas_fill_18rocblas_operation_17rocblas_diagonal_iiT3_T4_lilT5_lili.step_sizes@rel32@hi+12
	s_add_u32 s0, s18, s0
	s_addc_u32 s1, s19, s1
	s_load_dword s17, s[0:1], 0x0
	s_waitcnt lgkmcnt(0)
	s_add_i32 s28, s17, -1
	s_add_i32 s0, s28, s27
	s_cmp_ge_i32 s0, s26
	s_cbranch_scc1 .LBB144_18
; %bb.20:                               ;   in Loop: Header=BB144_19 Depth=1
	s_max_i32 s29, s17, 1
	s_cmp_lg_u32 s16, 2
	s_cselect_b64 s[18:19], -1, 0
	s_and_b32 s30, s29, 0x7ffffffe
	s_cmp_lg_u32 s29, s30
	v_cndmask_b32_e64 v6, 0, 1, s[18:19]
	s_cselect_b64 s[20:21], -1, 0
	s_ashr_i32 s31, s27, 31
	s_ashr_i32 s33, s17, 31
	s_mul_i32 s34, s27, 0x68
	s_mul_i32 s35, s17, 0x68
	v_cmp_ne_u32_e64 s[0:1], 1, v6
	s_branch .LBB144_22
.LBB144_21:                             ;   in Loop: Header=BB144_22 Depth=2
	s_add_u32 s27, s27, s17
	s_addc_u32 s31, s31, s33
	s_add_i32 s14, s28, s27
	s_add_i32 s34, s34, s35
	s_cmp_ge_i32 s14, s26
	s_cbranch_scc1 .LBB144_18
.LBB144_22:                             ;   Parent Loop BB144_19 Depth=1
                                        ; =>  This Loop Header: Depth=2
                                        ;       Child Loop BB144_24 Depth 3
                                        ;       Child Loop BB144_28 Depth 3
	;; [unrolled: 1-line block ×3, first 2 shown]
                                        ;         Child Loop BB144_34 Depth 4
                                        ;         Child Loop BB144_40 Depth 4
                                        ;       Child Loop BB144_43 Depth 3
                                        ;         Child Loop BB144_45 Depth 4
	s_and_b64 vcc, exec, s[0:1]
	s_cbranch_vccnz .LBB144_26
; %bb.23:                               ;   in Loop: Header=BB144_22 Depth=2
	s_mov_b32 s14, s27
	s_mov_b32 s24, s27
	;; [unrolled: 1-line block ×5, first 2 shown]
	v_mov_b32_e32 v6, v14
.LBB144_24:                             ;   Parent Loop BB144_19 Depth=1
                                        ;     Parent Loop BB144_22 Depth=2
                                        ; =>    This Inner Loop Header: Depth=3
	s_add_i32 s22, s36, s14
	s_add_i32 s38, s25, s24
	s_ashr_i32 s23, s22, 31
	s_ashr_i32 s39, s38, 31
	v_lshl_add_u64 v[8:9], s[22:23], 3, v[0:1]
	v_lshl_add_u64 v[10:11], s[38:39], 3, v[0:1]
	flat_load_dwordx2 v[18:19], v[8:9]
	flat_load_dwordx2 v[12:13], v[10:11]
	s_add_i32 s36, s36, 2
	s_add_i32 s25, s25, 2
	s_add_i32 s37, s37, -2
	s_mov_b32 s38, s30
	s_mov_b64 s[22:23], s[20:21]
	s_cmp_lg_u32 s37, 0
	s_waitcnt vmcnt(0) lgkmcnt(0)
	v_mov_b32_e32 v8, v18
	v_mov_b32_e32 v9, v12
	;; [unrolled: 1-line block ×3, first 2 shown]
	v_pk_mul_f32 v[10:11], v[12:13], s[8:9]
	v_pk_mul_f32 v[12:13], v[12:13], s[4:5]
	v_pk_fma_f32 v[18:19], v[8:9], s[4:5], v[10:11] neg_lo:[0,0,1] neg_hi:[0,0,1]
	v_pk_fma_f32 v[10:11], v[8:9], s[8:9], v[12:13]
	v_mov_b32_e32 v8, v18
	v_mov_b32_e32 v9, v10
	;; [unrolled: 1-line block ×3, first 2 shown]
	ds_write_b128 v6, v[8:11]
	v_add_u32_e32 v6, 16, v6
	s_cbranch_scc1 .LBB144_24
; %bb.25:                               ;   in Loop: Header=BB144_22 Depth=2
	s_and_b64 vcc, exec, s[22:23]
	s_cbranch_vccnz .LBB144_27
	s_branch .LBB144_29
.LBB144_26:                             ;   in Loop: Header=BB144_22 Depth=2
	s_mov_b32 s38, 0
	s_cbranch_execz .LBB144_29
.LBB144_27:                             ;   in Loop: Header=BB144_22 Depth=2
	s_sub_i32 s14, s29, s38
	s_add_u32 s22, s27, s38
	s_addc_u32 s23, s31, 0
	v_lshl_add_u64 v[6:7], s[22:23], 3, v[4:5]
	v_lshl_add_u32 v8, s38, 3, v16
.LBB144_28:                             ;   Parent Loop BB144_19 Depth=1
                                        ;     Parent Loop BB144_22 Depth=2
                                        ; =>    This Inner Loop Header: Depth=3
	flat_load_dwordx2 v[10:11], v[6:7]
	s_add_i32 s14, s14, -1
	v_lshl_add_u64 v[6:7], v[6:7], 0, 8
	s_cmp_eq_u32 s14, 0
	s_waitcnt vmcnt(0) lgkmcnt(0)
	v_pk_mul_f32 v[12:13], v[10:11], s[10:11] op_sel:[1,0]
	s_nop 0
	v_pk_fma_f32 v[18:19], v[10:11], s[6:7], v[12:13] neg_lo:[0,0,1] neg_hi:[0,0,1]
	v_pk_fma_f32 v[10:11], v[10:11], s[6:7], v[12:13] op_sel_hi:[0,1,1]
	v_mov_b32_e32 v19, v11
	ds_write_b64 v8, v[18:19]
	v_add_u32_e32 v8, 8, v8
	s_cbranch_scc0 .LBB144_28
.LBB144_29:                             ;   in Loop: Header=BB144_22 Depth=2
	s_cmp_lt_i32 s27, 1
	s_cbranch_scc1 .LBB144_41
; %bb.30:                               ;   in Loop: Header=BB144_22 Depth=2
	s_mov_b32 s38, 0
	s_mov_b32 s36, s27
	;; [unrolled: 1-line block ×4, first 2 shown]
	s_branch .LBB144_32
.LBB144_31:                             ;   in Loop: Header=BB144_32 Depth=3
	s_add_i32 s14, s14, 1
	s_add_i32 s38, s38, 8
	s_cmp_eq_u32 s14, s27
	s_cbranch_scc1 .LBB144_41
.LBB144_32:                             ;   Parent Loop BB144_19 Depth=1
                                        ;     Parent Loop BB144_22 Depth=2
                                        ; =>    This Loop Header: Depth=3
                                        ;         Child Loop BB144_34 Depth 4
                                        ;         Child Loop BB144_40 Depth 4
	v_lshl_add_u64 v[6:7], s[14:15], 3, v[0:1]
	flat_load_dwordx2 v[6:7], v[6:7]
	s_and_b64 vcc, exec, s[18:19]
	s_cbranch_vccz .LBB144_36
; %bb.33:                               ;   in Loop: Header=BB144_32 Depth=3
	s_lshl_b32 s22, s14, 3
	s_waitcnt vmcnt(0) lgkmcnt(0)
	v_mov_b32_e32 v10, v6
	v_mov_b32_e32 v11, v6
	;; [unrolled: 1-line block ×5, first 2 shown]
	s_mov_b32 s23, 1
	s_mov_b32 s24, 0
	;; [unrolled: 1-line block ×3, first 2 shown]
	v_mov_b32_e32 v9, v14
.LBB144_34:                             ;   Parent Loop BB144_19 Depth=1
                                        ;     Parent Loop BB144_22 Depth=2
                                        ;       Parent Loop BB144_32 Depth=3
                                        ; =>      This Inner Loop Header: Depth=4
	s_add_i32 s39, s24, s36
	s_add_i32 s40, s23, s37
	s_mulk_i32 s40, 0x60
	s_mulk_i32 s39, 0x60
	s_add_i32 s39, s22, s39
	s_add_i32 s40, s22, s40
	v_mov_b32_e32 v17, s39
	v_mov_b32_e32 v22, s40
	ds_read_b128 v[18:21], v9
	ds_read_b64 v[26:27], v17
	ds_read_b64 v[22:23], v22
	s_add_i32 s24, s24, 2
	s_add_i32 s23, s23, 2
	s_add_i32 s25, s25, -2
	s_waitcnt lgkmcnt(2)
	v_mov_b32_e32 v25, v20
	v_mov_b32_e32 v20, v19
	s_waitcnt lgkmcnt(0)
	v_mov_b32_e32 v19, v22
	v_mov_b32_e32 v22, v27
	;; [unrolled: 1-line block ×4, first 2 shown]
	v_pk_mul_f32 v[26:27], v[22:23], v[12:13]
	v_pk_mul_f32 v[22:23], v[22:23], v[10:11]
	v_pk_fma_f32 v[26:27], v[18:19], v[10:11], v[26:27] neg_lo:[0,0,1] neg_hi:[0,0,1]
	v_pk_fma_f32 v[18:19], v[18:19], v[12:13], v[22:23]
	v_pk_add_f32 v[22:23], v[24:25], v[26:27] neg_lo:[0,1] neg_hi:[0,1]
	v_pk_add_f32 v[20:21], v[20:21], v[18:19] neg_lo:[0,1] neg_hi:[0,1]
	v_mov_b32_e32 v18, v22
	v_mov_b32_e32 v19, v20
	;; [unrolled: 1-line block ×3, first 2 shown]
	s_cmp_lg_u32 s25, 0
	ds_write_b128 v9, v[18:21]
	v_add_u32_e32 v9, 16, v9
	s_cbranch_scc1 .LBB144_34
; %bb.35:                               ;   in Loop: Header=BB144_32 Depth=3
	s_mov_b64 s[22:23], s[20:21]
	s_mov_b32 s24, s30
	s_branch .LBB144_38
.LBB144_36:                             ;   in Loop: Header=BB144_32 Depth=3
	s_waitcnt vmcnt(0) lgkmcnt(0)
	v_mov_b32_e32 v8, v7
	s_mov_b64 s[22:23], 0
	s_mov_b32 s24, s30
	s_cbranch_execz .LBB144_38
; %bb.37:                               ;   in Loop: Header=BB144_32 Depth=3
	s_mov_b64 s[22:23], -1
	s_mov_b32 s24, 0
.LBB144_38:                             ;   in Loop: Header=BB144_32 Depth=3
	s_andn2_b64 vcc, exec, s[22:23]
	s_cbranch_vccnz .LBB144_31
; %bb.39:                               ;   in Loop: Header=BB144_32 Depth=3
	s_add_i32 s23, s27, s24
	s_mulk_i32 s23, 0x60
	v_mov_b32_e32 v9, v7
	v_mov_b32_e32 v7, v6
	s_sub_i32 s22, s29, s24
	s_add_i32 s23, s38, s23
	v_lshl_add_u32 v10, s24, 3, v16
.LBB144_40:                             ;   Parent Loop BB144_19 Depth=1
                                        ;     Parent Loop BB144_22 Depth=2
                                        ;       Parent Loop BB144_32 Depth=3
                                        ; =>      This Inner Loop Header: Depth=4
	v_mov_b32_e32 v11, s23
	ds_read_b64 v[18:19], v11
	ds_read_b64 v[12:13], v10
	s_add_i32 s22, s22, -1
	s_addk_i32 s23, 0x60
	s_cmp_eq_u32 s22, 0
	s_waitcnt lgkmcnt(1)
	v_pk_mul_f32 v[20:21], v[18:19], v[8:9] op_sel:[1,0] op_sel_hi:[0,1]
	v_pk_fma_f32 v[22:23], v[18:19], v[6:7], v[20:21] neg_lo:[0,0,1] neg_hi:[0,0,1]
	v_pk_fma_f32 v[18:19], v[18:19], v[6:7], v[20:21]
	s_nop 0
	v_mov_b32_e32 v23, v19
	s_waitcnt lgkmcnt(0)
	v_pk_add_f32 v[12:13], v[12:13], v[22:23] neg_lo:[0,1] neg_hi:[0,1]
	ds_write_b64 v10, v[12:13]
	v_add_u32_e32 v10, 8, v10
	s_cbranch_scc0 .LBB144_40
	s_branch .LBB144_31
.LBB144_41:                             ;   in Loop: Header=BB144_22 Depth=2
	s_mov_b32 s14, 0
	s_mov_b32 s36, s34
	s_branch .LBB144_43
.LBB144_42:                             ;   in Loop: Header=BB144_43 Depth=3
	s_mul_i32 s23, s22, 0x68
	v_mov_b32_e32 v7, s23
	ds_read_b64 v[10:11], v7
	s_ashr_i32 s23, s22, 31
	s_add_i32 s14, s14, 1
	s_addk_i32 s36, 0x60
	v_lshl_add_u64 v[12:13], s[22:23], 3, v[0:1]
	s_waitcnt lgkmcnt(0)
	v_pk_mul_f32 v[18:19], v[10:11], v[8:9] op_sel:[1,0] op_sel_hi:[0,0]
	v_pk_fma_f32 v[20:21], v[10:11], v[6:7], v[18:19] neg_lo:[0,0,1] neg_hi:[0,0,1]
	v_pk_fma_f32 v[6:7], v[10:11], v[6:7], v[18:19] op_sel_hi:[1,0,1]
	s_cmp_eq_u32 s14, s29
	v_mov_b32_e32 v21, v7
	ds_write_b64 v9, v[20:21]
	flat_store_dwordx2 v[12:13], v[20:21]
	s_cbranch_scc1 .LBB144_21
.LBB144_43:                             ;   Parent Loop BB144_19 Depth=1
                                        ;     Parent Loop BB144_22 Depth=2
                                        ; =>    This Loop Header: Depth=3
                                        ;         Child Loop BB144_45 Depth 4
	s_cmp_lg_u32 s14, 0
	v_lshl_add_u32 v9, s14, 3, v14
	s_cbranch_scc0 .LBB144_47
; %bb.44:                               ;   in Loop: Header=BB144_43 Depth=3
	ds_read_b64 v[6:7], v9
	s_mov_b32 s22, s36
	v_mov_b32_e32 v8, v14
	s_mov_b32 s23, s14
.LBB144_45:                             ;   Parent Loop BB144_19 Depth=1
                                        ;     Parent Loop BB144_22 Depth=2
                                        ;       Parent Loop BB144_43 Depth=3
                                        ; =>      This Inner Loop Header: Depth=4
	v_mov_b32_e32 v12, s22
	ds_read_b64 v[10:11], v8
	ds_read_b64 v[12:13], v12
	s_add_i32 s23, s23, -1
	s_add_i32 s22, s22, 8
	v_add_u32_e32 v8, 8, v8
	s_cmp_eq_u32 s23, 0
	s_waitcnt lgkmcnt(0)
	v_pk_mul_f32 v[18:19], v[12:13], v[10:11] op_sel:[1,1] op_sel_hi:[0,1]
	v_pk_fma_f32 v[20:21], v[12:13], v[10:11], v[18:19] neg_lo:[0,0,1] neg_hi:[0,0,1]
	v_pk_fma_f32 v[10:11], v[12:13], v[10:11], v[18:19] op_sel_hi:[1,0,1]
	s_nop 0
	v_mov_b32_e32 v21, v11
	v_pk_add_f32 v[6:7], v[6:7], v[20:21] neg_lo:[0,1] neg_hi:[0,1]
	ds_write_b64 v9, v[6:7]
	s_cbranch_scc0 .LBB144_45
; %bb.46:                               ;   in Loop: Header=BB144_43 Depth=3
	s_add_i32 s22, s14, s27
	v_mov_b32_e32 v8, v7
	s_branch .LBB144_42
.LBB144_47:                             ;   in Loop: Header=BB144_43 Depth=3
                                        ; implicit-def: $vgpr6
                                        ; implicit-def: $vgpr8
                                        ; implicit-def: $sgpr22
	s_cbranch_execz .LBB144_42
; %bb.48:                               ;   in Loop: Header=BB144_43 Depth=3
	ds_read_b64 v[6:7], v14
	s_mov_b32 s22, s27
	s_waitcnt lgkmcnt(0)
	v_mov_b32_e32 v8, v7
	s_branch .LBB144_42
.LBB144_49:
	s_mov_b64 s[0:1], 0
.LBB144_50:
	s_and_b64 vcc, exec, s[0:1]
	s_cbranch_vccz .LBB144_83
; %bb.51:
	s_add_i32 s27, s26, -1
	s_add_u32 s0, s12, s2
	s_addc_u32 s1, s13, s3
	v_lshl_add_u64 v[2:3], v[2:3], 3, s[0:1]
	s_movk_i32 s0, 0x60
	v_mul_lo_u32 v4, v15, s0
	s_mulk_i32 s26, 0x60
	s_mov_b32 s3, 0
	s_mov_b32 s4, s6
	s_mov_b32 s5, s6
	s_mov_b32 s8, s7
	s_mov_b32 s9, s7
	s_mov_b32 s10, s7
	s_mov_b32 s11, s6
	v_add_u32_e32 v12, 0x480, v4
	s_addk_i32 s26, 0xffa0
	s_mov_b32 s12, s27
	s_mov_b32 s14, s3
	s_branch .LBB144_53
.LBB144_52:                             ;   in Loop: Header=BB144_53 Depth=1
	s_cmp_lt_i32 s12, 0
	s_cselect_b64 s[0:1], -1, 0
	s_add_i32 s14, s14, 1
	s_cmp_eq_u32 s14, 3
	s_cselect_b64 s[16:17], -1, 0
	s_or_b64 s[0:1], s[0:1], s[16:17]
	s_and_b64 vcc, exec, s[0:1]
	s_cbranch_vccnz .LBB144_83
.LBB144_53:                             ; =>This Loop Header: Depth=1
                                        ;     Child Loop BB144_56 Depth 2
                                        ;       Child Loop BB144_58 Depth 3
                                        ;       Child Loop BB144_62 Depth 3
	;; [unrolled: 1-line block ×3, first 2 shown]
                                        ;         Child Loop BB144_68 Depth 4
                                        ;         Child Loop BB144_74 Depth 4
                                        ;       Child Loop BB144_77 Depth 3
                                        ;         Child Loop BB144_79 Depth 4
	s_mov_b32 s15, s3
	s_lshl_b64 s[0:1], s[14:15], 2
	s_getpc_b64 s[16:17]
	s_add_u32 s16, s16, __const._ZL30rocblas_trsm_small_left_deviceILi12ELi12ELb0E19rocblas_complex_numIfES1_PKPKS1_PKPS1_Ev13rocblas_fill_18rocblas_operation_17rocblas_diagonal_iiT3_T4_lilT5_lili.step_sizes@rel32@lo+4
	s_addc_u32 s17, s17, __const._ZL30rocblas_trsm_small_left_deviceILi12ELi12ELb0E19rocblas_complex_numIfES1_PKPKS1_PKPS1_Ev13rocblas_fill_18rocblas_operation_17rocblas_diagonal_iiT3_T4_lilT5_lili.step_sizes@rel32@hi+12
	s_add_u32 s0, s16, s0
	s_addc_u32 s1, s17, s1
	s_load_dword s15, s[0:1], 0x0
	s_waitcnt lgkmcnt(0)
	s_add_i32 s28, s15, -1
	s_cmp_lt_i32 s12, s28
	s_cbranch_scc1 .LBB144_52
; %bb.54:                               ;   in Loop: Header=BB144_53 Depth=1
	s_max_i32 s29, s15, 1
	s_cmp_lg_u32 s14, 2
	s_cselect_b64 s[16:17], -1, 0
	s_and_b32 s30, s29, 0x7ffffffe
	s_cmp_lg_u32 s29, s30
	s_cselect_b64 s[18:19], -1, 0
	s_lshl_b32 s0, s12, 3
	s_add_i32 s31, s26, s0
	s_lshl_b32 s0, s15, 3
	v_cndmask_b32_e64 v4, 0, 1, s[16:17]
	s_sub_i32 s33, 0, s0
	s_mul_i32 s34, s12, 0x68
	s_mul_i32 s35, s15, 0xffffff98
	v_cmp_ne_u32_e64 s[0:1], 1, v4
	s_branch .LBB144_56
.LBB144_55:                             ;   in Loop: Header=BB144_56 Depth=2
	s_sub_i32 s12, s12, s15
	s_add_i32 s31, s31, s33
	s_add_i32 s34, s34, s35
	s_cmp_lt_i32 s12, s28
	s_cbranch_scc1 .LBB144_52
.LBB144_56:                             ;   Parent Loop BB144_53 Depth=1
                                        ; =>  This Loop Header: Depth=2
                                        ;       Child Loop BB144_58 Depth 3
                                        ;       Child Loop BB144_62 Depth 3
	;; [unrolled: 1-line block ×3, first 2 shown]
                                        ;         Child Loop BB144_68 Depth 4
                                        ;         Child Loop BB144_74 Depth 4
                                        ;       Child Loop BB144_77 Depth 3
                                        ;         Child Loop BB144_79 Depth 4
	s_and_b64 vcc, exec, s[0:1]
	s_cbranch_vccnz .LBB144_60
; %bb.57:                               ;   in Loop: Header=BB144_56 Depth=2
	s_mov_b32 s13, s12
	s_mov_b32 s22, 1
	s_mov_b32 s23, 0
	s_mov_b32 s24, s30
	v_mov_b32_e32 v4, v14
.LBB144_58:                             ;   Parent Loop BB144_53 Depth=1
                                        ;     Parent Loop BB144_56 Depth=2
                                        ; =>    This Inner Loop Header: Depth=3
	s_sub_i32 s20, s12, s23
	s_sub_i32 s36, s13, s22
	s_ashr_i32 s21, s20, 31
	s_ashr_i32 s37, s36, 31
	v_lshl_add_u64 v[6:7], s[20:21], 3, v[0:1]
	v_lshl_add_u64 v[8:9], s[36:37], 3, v[0:1]
	flat_load_dwordx2 v[16:17], v[6:7]
	flat_load_dwordx2 v[10:11], v[8:9]
	s_add_i32 s23, s23, 2
	s_add_i32 s22, s22, 2
	s_add_i32 s24, s24, -2
	s_mov_b32 s2, s30
	s_mov_b64 s[20:21], s[18:19]
	s_cmp_lg_u32 s24, 0
	s_waitcnt vmcnt(0) lgkmcnt(0)
	v_mov_b32_e32 v6, v16
	v_mov_b32_e32 v7, v10
	;; [unrolled: 1-line block ×3, first 2 shown]
	v_pk_mul_f32 v[8:9], v[10:11], s[8:9]
	v_pk_mul_f32 v[10:11], v[10:11], s[4:5]
	v_pk_fma_f32 v[16:17], v[6:7], s[4:5], v[8:9] neg_lo:[0,0,1] neg_hi:[0,0,1]
	v_pk_fma_f32 v[8:9], v[6:7], s[8:9], v[10:11]
	v_mov_b32_e32 v6, v16
	v_mov_b32_e32 v7, v8
	;; [unrolled: 1-line block ×3, first 2 shown]
	ds_write_b128 v4, v[6:9]
	v_add_u32_e32 v4, 16, v4
	s_cbranch_scc1 .LBB144_58
; %bb.59:                               ;   in Loop: Header=BB144_56 Depth=2
	s_ashr_i32 s13, s12, 31
	s_and_b64 vcc, exec, s[20:21]
	s_cbranch_vccnz .LBB144_61
	s_branch .LBB144_63
.LBB144_60:                             ;   in Loop: Header=BB144_56 Depth=2
	s_mov_b32 s2, 0
	s_ashr_i32 s13, s12, 31
	s_cbranch_execz .LBB144_63
.LBB144_61:                             ;   in Loop: Header=BB144_56 Depth=2
	s_lshl_b64 s[22:23], s[12:13], 3
	s_sub_i32 s20, s29, s2
	s_lshl_b64 s[24:25], s[2:3], 3
	s_sub_u32 s22, s22, s24
	s_subb_u32 s23, s23, s25
	v_lshl_add_u64 v[4:5], v[2:3], 0, s[22:23]
	v_lshl_add_u32 v6, s2, 3, v12
.LBB144_62:                             ;   Parent Loop BB144_53 Depth=1
                                        ;     Parent Loop BB144_56 Depth=2
                                        ; =>    This Inner Loop Header: Depth=3
	flat_load_dwordx2 v[8:9], v[4:5]
	s_add_i32 s20, s20, -1
	v_lshl_add_u64 v[4:5], v[4:5], 0, -8
	s_cmp_eq_u32 s20, 0
	s_waitcnt vmcnt(0) lgkmcnt(0)
	v_pk_mul_f32 v[10:11], v[8:9], s[10:11] op_sel:[1,0]
	s_nop 0
	v_pk_fma_f32 v[16:17], v[8:9], s[6:7], v[10:11] neg_lo:[0,0,1] neg_hi:[0,0,1]
	v_pk_fma_f32 v[8:9], v[8:9], s[6:7], v[10:11] op_sel_hi:[0,1,1]
	v_mov_b32_e32 v17, v9
	ds_write_b64 v6, v[16:17]
	v_add_u32_e32 v6, 8, v6
	s_cbranch_scc0 .LBB144_62
.LBB144_63:                             ;   in Loop: Header=BB144_56 Depth=2
	s_cmp_le_i32 s27, s12
	s_cbranch_scc1 .LBB144_75
; %bb.64:                               ;   in Loop: Header=BB144_56 Depth=2
	s_mov_b32 s2, s12
	s_mov_b32 s36, s12
	;; [unrolled: 1-line block ×4, first 2 shown]
	s_branch .LBB144_66
.LBB144_65:                             ;   in Loop: Header=BB144_66 Depth=3
	s_add_i32 s20, s20, -1
	s_addk_i32 s37, 0xffa0
	s_cmp_le_i32 s20, s12
	s_cbranch_scc1 .LBB144_75
.LBB144_66:                             ;   Parent Loop BB144_53 Depth=1
                                        ;     Parent Loop BB144_56 Depth=2
                                        ; =>    This Loop Header: Depth=3
                                        ;         Child Loop BB144_68 Depth 4
                                        ;         Child Loop BB144_74 Depth 4
	s_ashr_i32 s21, s20, 31
	v_lshl_add_u64 v[4:5], s[20:21], 3, v[0:1]
	flat_load_dwordx2 v[4:5], v[4:5]
	s_and_b64 vcc, exec, s[16:17]
	s_cbranch_vccz .LBB144_70
; %bb.67:                               ;   in Loop: Header=BB144_66 Depth=3
	s_mul_i32 s21, s20, 0x60
	s_waitcnt vmcnt(0) lgkmcnt(0)
	v_mov_b32_e32 v8, v4
	v_mov_b32_e32 v9, v4
	;; [unrolled: 1-line block ×5, first 2 shown]
	s_mov_b32 s22, 1
	s_mov_b32 s23, 0
	;; [unrolled: 1-line block ×3, first 2 shown]
	v_mov_b32_e32 v7, v14
.LBB144_68:                             ;   Parent Loop BB144_53 Depth=1
                                        ;     Parent Loop BB144_56 Depth=2
                                        ;       Parent Loop BB144_66 Depth=3
                                        ; =>      This Inner Loop Header: Depth=4
	s_sub_i32 s38, s2, s23
	s_sub_i32 s25, s36, s22
	s_lshl_b32 s38, s38, 3
	s_lshl_b32 s25, s25, 3
	s_add_i32 s38, s21, s38
	s_add_i32 s25, s21, s25
	v_mov_b32_e32 v13, s38
	ds_read_b128 v[16:19], v7
	v_mov_b32_e32 v15, s25
	ds_read_b64 v[24:25], v13
	ds_read_b64 v[20:21], v15
	s_add_i32 s23, s23, 2
	s_add_i32 s22, s22, 2
	s_waitcnt lgkmcnt(2)
	v_mov_b32_e32 v23, v18
	v_mov_b32_e32 v18, v17
	s_waitcnt lgkmcnt(0)
	v_mov_b32_e32 v17, v20
	v_mov_b32_e32 v20, v25
	;; [unrolled: 1-line block ×4, first 2 shown]
	v_pk_mul_f32 v[24:25], v[20:21], v[10:11]
	v_pk_mul_f32 v[20:21], v[20:21], v[8:9]
	v_pk_fma_f32 v[24:25], v[16:17], v[8:9], v[24:25] neg_lo:[0,0,1] neg_hi:[0,0,1]
	v_pk_fma_f32 v[16:17], v[16:17], v[10:11], v[20:21]
	v_pk_add_f32 v[20:21], v[22:23], v[24:25] neg_lo:[0,1] neg_hi:[0,1]
	v_pk_add_f32 v[18:19], v[18:19], v[16:17] neg_lo:[0,1] neg_hi:[0,1]
	s_add_i32 s24, s24, -2
	v_mov_b32_e32 v16, v20
	v_mov_b32_e32 v17, v18
	;; [unrolled: 1-line block ×3, first 2 shown]
	s_cmp_lg_u32 s24, 0
	ds_write_b128 v7, v[16:19]
	v_add_u32_e32 v7, 16, v7
	s_cbranch_scc1 .LBB144_68
; %bb.69:                               ;   in Loop: Header=BB144_66 Depth=3
	s_mov_b64 s[22:23], s[18:19]
	s_mov_b32 s24, s30
	s_branch .LBB144_72
.LBB144_70:                             ;   in Loop: Header=BB144_66 Depth=3
	s_waitcnt vmcnt(0) lgkmcnt(0)
	v_mov_b32_e32 v6, v5
	s_mov_b64 s[22:23], 0
	s_mov_b32 s24, s30
	s_cbranch_execz .LBB144_72
; %bb.71:                               ;   in Loop: Header=BB144_66 Depth=3
	s_mov_b64 s[22:23], -1
	s_mov_b32 s24, 0
.LBB144_72:                             ;   in Loop: Header=BB144_66 Depth=3
	s_andn2_b64 vcc, exec, s[22:23]
	s_cbranch_vccnz .LBB144_65
; %bb.73:                               ;   in Loop: Header=BB144_66 Depth=3
	s_lshl_b32 s23, s24, 3
	v_mov_b32_e32 v7, v5
	v_mov_b32_e32 v5, v4
	s_sub_i32 s21, s29, s24
	s_sub_i32 s22, s37, s23
	v_add_u32_e32 v8, s23, v12
.LBB144_74:                             ;   Parent Loop BB144_53 Depth=1
                                        ;     Parent Loop BB144_56 Depth=2
                                        ;       Parent Loop BB144_66 Depth=3
                                        ; =>      This Inner Loop Header: Depth=4
	v_mov_b32_e32 v9, s22
	ds_read_b64 v[16:17], v9
	ds_read_b64 v[10:11], v8
	s_add_i32 s21, s21, -1
	s_add_i32 s22, s22, -8
	s_cmp_eq_u32 s21, 0
	s_waitcnt lgkmcnt(1)
	v_pk_mul_f32 v[18:19], v[16:17], v[6:7] op_sel:[1,0] op_sel_hi:[0,1]
	v_pk_fma_f32 v[20:21], v[16:17], v[4:5], v[18:19] neg_lo:[0,0,1] neg_hi:[0,0,1]
	v_pk_fma_f32 v[16:17], v[16:17], v[4:5], v[18:19]
	s_nop 0
	v_mov_b32_e32 v21, v17
	s_waitcnt lgkmcnt(0)
	v_pk_add_f32 v[10:11], v[10:11], v[20:21] neg_lo:[0,1] neg_hi:[0,1]
	ds_write_b64 v8, v[10:11]
	v_add_u32_e32 v8, 8, v8
	s_cbranch_scc0 .LBB144_74
	s_branch .LBB144_65
.LBB144_75:                             ;   in Loop: Header=BB144_56 Depth=2
	s_mov_b32 s2, 0
	s_mov_b32 s36, s34
	s_branch .LBB144_77
.LBB144_76:                             ;   in Loop: Header=BB144_77 Depth=3
	s_mulk_i32 s22, 0x68
	v_mov_b32_e32 v5, s22
	ds_read_b64 v[8:9], v5
	s_add_i32 s2, s2, 1
	s_add_i32 s36, s36, -8
	v_lshl_add_u64 v[10:11], s[20:21], 3, v[0:1]
	s_cmp_eq_u32 s2, s29
	s_waitcnt lgkmcnt(0)
	v_pk_mul_f32 v[16:17], v[8:9], v[6:7] op_sel:[1,0] op_sel_hi:[0,0]
	v_pk_fma_f32 v[18:19], v[8:9], v[4:5], v[16:17] neg_lo:[0,0,1] neg_hi:[0,0,1]
	v_pk_fma_f32 v[4:5], v[8:9], v[4:5], v[16:17] op_sel_hi:[1,0,1]
	s_nop 0
	v_mov_b32_e32 v19, v5
	ds_write_b64 v7, v[18:19]
	flat_store_dwordx2 v[10:11], v[18:19]
	s_cbranch_scc1 .LBB144_55
.LBB144_77:                             ;   Parent Loop BB144_53 Depth=1
                                        ;     Parent Loop BB144_56 Depth=2
                                        ; =>    This Loop Header: Depth=3
                                        ;         Child Loop BB144_79 Depth 4
	s_cmp_lg_u32 s2, 0
	v_lshl_add_u32 v7, s2, 3, v14
	s_cbranch_scc0 .LBB144_81
; %bb.78:                               ;   in Loop: Header=BB144_77 Depth=3
	ds_read_b64 v[4:5], v7
	v_mov_b32_e32 v6, v14
	s_mov_b32 s20, s36
	s_mov_b32 s21, s2
.LBB144_79:                             ;   Parent Loop BB144_53 Depth=1
                                        ;     Parent Loop BB144_56 Depth=2
                                        ;       Parent Loop BB144_77 Depth=3
                                        ; =>      This Inner Loop Header: Depth=4
	v_mov_b32_e32 v10, s20
	ds_read_b64 v[8:9], v6
	ds_read_b64 v[10:11], v10
	s_add_i32 s21, s21, -1
	s_addk_i32 s20, 0xffa0
	v_add_u32_e32 v6, 8, v6
	s_cmp_eq_u32 s21, 0
	s_waitcnt lgkmcnt(0)
	v_pk_mul_f32 v[16:17], v[10:11], v[8:9] op_sel:[1,1] op_sel_hi:[0,1]
	v_pk_fma_f32 v[18:19], v[10:11], v[8:9], v[16:17] neg_lo:[0,0,1] neg_hi:[0,0,1]
	v_pk_fma_f32 v[8:9], v[10:11], v[8:9], v[16:17] op_sel_hi:[1,0,1]
	s_nop 0
	v_mov_b32_e32 v19, v9
	v_pk_add_f32 v[4:5], v[4:5], v[18:19] neg_lo:[0,1] neg_hi:[0,1]
	ds_write_b64 v7, v[4:5]
	s_cbranch_scc0 .LBB144_79
; %bb.80:                               ;   in Loop: Header=BB144_77 Depth=3
	s_sub_i32 s22, s12, s2
	s_ashr_i32 s23, s22, 31
	v_mov_b32_e32 v6, v5
	s_mov_b64 s[20:21], s[22:23]
	s_branch .LBB144_76
.LBB144_81:                             ;   in Loop: Header=BB144_77 Depth=3
                                        ; implicit-def: $vgpr4
                                        ; implicit-def: $vgpr6
                                        ; implicit-def: $sgpr22
                                        ; implicit-def: $sgpr20_sgpr21
	s_cbranch_execz .LBB144_76
; %bb.82:                               ;   in Loop: Header=BB144_77 Depth=3
	ds_read_b64 v[4:5], v14
	s_mov_b64 s[20:21], s[12:13]
	s_mov_b32 s22, s12
	s_waitcnt lgkmcnt(0)
	v_mov_b32_e32 v6, v5
	s_branch .LBB144_76
.LBB144_83:
	s_endpgm
	.section	.rodata,"a",@progbits
	.p2align	6, 0x0
	.amdhsa_kernel _ZL30rocblas_trsm_small_left_deviceILi12ELi12ELb0E19rocblas_complex_numIfES1_PKPKS1_PKPS1_Ev13rocblas_fill_18rocblas_operation_17rocblas_diagonal_iiT3_T4_lilT5_lili
		.amdhsa_group_segment_fixed_size 2304
		.amdhsa_private_segment_fixed_size 0
		.amdhsa_kernarg_size 360
		.amdhsa_user_sgpr_count 4
		.amdhsa_user_sgpr_dispatch_ptr 1
		.amdhsa_user_sgpr_queue_ptr 0
		.amdhsa_user_sgpr_kernarg_segment_ptr 1
		.amdhsa_user_sgpr_dispatch_id 0
		.amdhsa_user_sgpr_kernarg_preload_length 0
		.amdhsa_user_sgpr_kernarg_preload_offset 0
		.amdhsa_user_sgpr_private_segment_size 0
		.amdhsa_uses_dynamic_stack 0
		.amdhsa_enable_private_segment 0
		.amdhsa_system_sgpr_workgroup_id_x 1
		.amdhsa_system_sgpr_workgroup_id_y 0
		.amdhsa_system_sgpr_workgroup_id_z 1
		.amdhsa_system_sgpr_workgroup_info 0
		.amdhsa_system_vgpr_workitem_id 2
		.amdhsa_next_free_vgpr 28
		.amdhsa_next_free_sgpr 41
		.amdhsa_accum_offset 28
		.amdhsa_reserve_vcc 1
		.amdhsa_float_round_mode_32 0
		.amdhsa_float_round_mode_16_64 0
		.amdhsa_float_denorm_mode_32 3
		.amdhsa_float_denorm_mode_16_64 3
		.amdhsa_dx10_clamp 1
		.amdhsa_ieee_mode 1
		.amdhsa_fp16_overflow 0
		.amdhsa_tg_split 0
		.amdhsa_exception_fp_ieee_invalid_op 0
		.amdhsa_exception_fp_denorm_src 0
		.amdhsa_exception_fp_ieee_div_zero 0
		.amdhsa_exception_fp_ieee_overflow 0
		.amdhsa_exception_fp_ieee_underflow 0
		.amdhsa_exception_fp_ieee_inexact 0
		.amdhsa_exception_int_div_zero 0
	.end_amdhsa_kernel
	.section	.text._ZL30rocblas_trsm_small_left_deviceILi12ELi12ELb0E19rocblas_complex_numIfES1_PKPKS1_PKPS1_Ev13rocblas_fill_18rocblas_operation_17rocblas_diagonal_iiT3_T4_lilT5_lili,"axG",@progbits,_ZL30rocblas_trsm_small_left_deviceILi12ELi12ELb0E19rocblas_complex_numIfES1_PKPKS1_PKPS1_Ev13rocblas_fill_18rocblas_operation_17rocblas_diagonal_iiT3_T4_lilT5_lili,comdat
.Lfunc_end144:
	.size	_ZL30rocblas_trsm_small_left_deviceILi12ELi12ELb0E19rocblas_complex_numIfES1_PKPKS1_PKPS1_Ev13rocblas_fill_18rocblas_operation_17rocblas_diagonal_iiT3_T4_lilT5_lili, .Lfunc_end144-_ZL30rocblas_trsm_small_left_deviceILi12ELi12ELb0E19rocblas_complex_numIfES1_PKPKS1_PKPS1_Ev13rocblas_fill_18rocblas_operation_17rocblas_diagonal_iiT3_T4_lilT5_lili
                                        ; -- End function
	.set _ZL30rocblas_trsm_small_left_deviceILi12ELi12ELb0E19rocblas_complex_numIfES1_PKPKS1_PKPS1_Ev13rocblas_fill_18rocblas_operation_17rocblas_diagonal_iiT3_T4_lilT5_lili.num_vgpr, 28
	.set _ZL30rocblas_trsm_small_left_deviceILi12ELi12ELb0E19rocblas_complex_numIfES1_PKPKS1_PKPS1_Ev13rocblas_fill_18rocblas_operation_17rocblas_diagonal_iiT3_T4_lilT5_lili.num_agpr, 0
	.set _ZL30rocblas_trsm_small_left_deviceILi12ELi12ELb0E19rocblas_complex_numIfES1_PKPKS1_PKPS1_Ev13rocblas_fill_18rocblas_operation_17rocblas_diagonal_iiT3_T4_lilT5_lili.numbered_sgpr, 41
	.set _ZL30rocblas_trsm_small_left_deviceILi12ELi12ELb0E19rocblas_complex_numIfES1_PKPKS1_PKPS1_Ev13rocblas_fill_18rocblas_operation_17rocblas_diagonal_iiT3_T4_lilT5_lili.num_named_barrier, 0
	.set _ZL30rocblas_trsm_small_left_deviceILi12ELi12ELb0E19rocblas_complex_numIfES1_PKPKS1_PKPS1_Ev13rocblas_fill_18rocblas_operation_17rocblas_diagonal_iiT3_T4_lilT5_lili.private_seg_size, 0
	.set _ZL30rocblas_trsm_small_left_deviceILi12ELi12ELb0E19rocblas_complex_numIfES1_PKPKS1_PKPS1_Ev13rocblas_fill_18rocblas_operation_17rocblas_diagonal_iiT3_T4_lilT5_lili.uses_vcc, 1
	.set _ZL30rocblas_trsm_small_left_deviceILi12ELi12ELb0E19rocblas_complex_numIfES1_PKPKS1_PKPS1_Ev13rocblas_fill_18rocblas_operation_17rocblas_diagonal_iiT3_T4_lilT5_lili.uses_flat_scratch, 0
	.set _ZL30rocblas_trsm_small_left_deviceILi12ELi12ELb0E19rocblas_complex_numIfES1_PKPKS1_PKPS1_Ev13rocblas_fill_18rocblas_operation_17rocblas_diagonal_iiT3_T4_lilT5_lili.has_dyn_sized_stack, 0
	.set _ZL30rocblas_trsm_small_left_deviceILi12ELi12ELb0E19rocblas_complex_numIfES1_PKPKS1_PKPS1_Ev13rocblas_fill_18rocblas_operation_17rocblas_diagonal_iiT3_T4_lilT5_lili.has_recursion, 0
	.set _ZL30rocblas_trsm_small_left_deviceILi12ELi12ELb0E19rocblas_complex_numIfES1_PKPKS1_PKPS1_Ev13rocblas_fill_18rocblas_operation_17rocblas_diagonal_iiT3_T4_lilT5_lili.has_indirect_call, 0
	.section	.AMDGPU.csdata,"",@progbits
; Kernel info:
; codeLenInByte = 3592
; TotalNumSgprs: 47
; NumVgprs: 28
; NumAgprs: 0
; TotalNumVgprs: 28
; ScratchSize: 0
; MemoryBound: 0
; FloatMode: 240
; IeeeMode: 1
; LDSByteSize: 2304 bytes/workgroup (compile time only)
; SGPRBlocks: 5
; VGPRBlocks: 3
; NumSGPRsForWavesPerEU: 47
; NumVGPRsForWavesPerEU: 28
; AccumOffset: 28
; Occupancy: 8
; WaveLimiterHint : 1
; COMPUTE_PGM_RSRC2:SCRATCH_EN: 0
; COMPUTE_PGM_RSRC2:USER_SGPR: 4
; COMPUTE_PGM_RSRC2:TRAP_HANDLER: 0
; COMPUTE_PGM_RSRC2:TGID_X_EN: 1
; COMPUTE_PGM_RSRC2:TGID_Y_EN: 0
; COMPUTE_PGM_RSRC2:TGID_Z_EN: 1
; COMPUTE_PGM_RSRC2:TIDIG_COMP_CNT: 2
; COMPUTE_PGM_RSRC3_GFX90A:ACCUM_OFFSET: 6
; COMPUTE_PGM_RSRC3_GFX90A:TG_SPLIT: 0
	.section	.text._ZL38rocblas_trsm_small_left_device_sharedBILi12ELi12ELb1E19rocblas_complex_numIfES1_PKPKS1_PKPS1_Ev13rocblas_fill_18rocblas_operation_17rocblas_diagonal_iiT3_T4_lilT5_lili,"axG",@progbits,_ZL38rocblas_trsm_small_left_device_sharedBILi12ELi12ELb1E19rocblas_complex_numIfES1_PKPKS1_PKPS1_Ev13rocblas_fill_18rocblas_operation_17rocblas_diagonal_iiT3_T4_lilT5_lili,comdat
	.globl	_ZL38rocblas_trsm_small_left_device_sharedBILi12ELi12ELb1E19rocblas_complex_numIfES1_PKPKS1_PKPS1_Ev13rocblas_fill_18rocblas_operation_17rocblas_diagonal_iiT3_T4_lilT5_lili ; -- Begin function _ZL38rocblas_trsm_small_left_device_sharedBILi12ELi12ELb1E19rocblas_complex_numIfES1_PKPKS1_PKPS1_Ev13rocblas_fill_18rocblas_operation_17rocblas_diagonal_iiT3_T4_lilT5_lili
	.p2align	8
	.type	_ZL38rocblas_trsm_small_left_device_sharedBILi12ELi12ELb1E19rocblas_complex_numIfES1_PKPKS1_PKPS1_Ev13rocblas_fill_18rocblas_operation_17rocblas_diagonal_iiT3_T4_lilT5_lili,@function
_ZL38rocblas_trsm_small_left_device_sharedBILi12ELi12ELb1E19rocblas_complex_numIfES1_PKPKS1_PKPS1_Ev13rocblas_fill_18rocblas_operation_17rocblas_diagonal_iiT3_T4_lilT5_lili: ; @_ZL38rocblas_trsm_small_left_device_sharedBILi12ELi12ELb1E19rocblas_complex_numIfES1_PKPKS1_PKPS1_Ev13rocblas_fill_18rocblas_operation_17rocblas_diagonal_iiT3_T4_lilT5_lili
; %bb.0:
	s_load_dwordx4 s[12:15], s[2:3], 0x40
	s_load_dwordx4 s[8:11], s[2:3], 0x4
	s_load_dwordx2 s[16:17], s[2:3], 0x14
	s_mov_b32 s6, s5
	s_mov_b32 s7, 0
	s_lshl_b64 s[20:21], s[6:7], 3
	s_waitcnt lgkmcnt(0)
	s_add_u32 s6, s12, s20
	s_addc_u32 s7, s13, s21
	s_load_dword s5, s[2:3], 0x68
	v_and_b32_e32 v8, 0x3ff, v0
	s_load_dwordx2 s[6:7], s[6:7], 0x0
	s_min_i32 s24, s10, 12
	v_cmp_gt_i32_e32 vcc, s24, v8
	s_and_saveexec_b64 s[12:13], vcc
	s_cbranch_execz .LBB145_15
; %bb.1:
	s_load_dword s22, s[2:3], 0x30
	s_load_dwordx4 s[28:31], s[2:3], 0x20
	v_lshlrev_b32_e32 v2, 3, v8
	v_mov_b32_e32 v3, 0
	v_mov_b32_e32 v1, v2
	s_waitcnt lgkmcnt(0)
	s_ashr_i32 s23, s22, 31
	s_cmpk_lg_i32 s8, 0x71
	s_cselect_b64 s[18:19], -1, 0
	s_add_u32 s20, s28, s20
	s_addc_u32 s21, s29, s21
	s_load_dwordx2 s[20:21], s[20:21], 0x0
	s_lshl_b64 s[26:27], s[30:31], 3
	s_mov_b32 s25, s24
	s_waitcnt lgkmcnt(0)
	s_add_u32 s26, s20, s26
	s_addc_u32 s27, s21, s27
	s_lshl_b64 s[20:21], s[22:23], 3
	v_lshl_add_u64 v[4:5], s[26:27], 0, v[2:3]
	s_branch .LBB145_3
.LBB145_2:                              ;   in Loop: Header=BB145_3 Depth=1
	flat_load_dword v6, v[4:5]
	s_add_i32 s25, s25, -1
	v_lshl_add_u64 v[4:5], v[4:5], 0, s[20:21]
	s_cmp_eq_u32 s25, 0
	s_waitcnt vmcnt(0) lgkmcnt(0)
	ds_write_b64 v1, v[6:7]
	v_add_u32_e32 v1, 0x60, v1
	s_cbranch_scc1 .LBB145_7
.LBB145_3:                              ; =>This Inner Loop Header: Depth=1
	s_mov_b64 s[22:23], -1
	s_and_b64 vcc, exec, s[18:19]
                                        ; implicit-def: $vgpr7
	s_cbranch_vccz .LBB145_5
; %bb.4:                                ;   in Loop: Header=BB145_3 Depth=1
	flat_load_dword v7, v[4:5] offset:4
	s_mov_b64 s[22:23], 0
.LBB145_5:                              ;   in Loop: Header=BB145_3 Depth=1
	s_andn2_b64 vcc, exec, s[22:23]
	s_cbranch_vccnz .LBB145_2
; %bb.6:                                ;   in Loop: Header=BB145_3 Depth=1
	flat_load_dword v3, v[4:5] offset:4
	s_waitcnt vmcnt(0) lgkmcnt(0)
	v_xor_b32_e32 v7, 0x80000000, v3
	s_branch .LBB145_2
.LBB145_7:
	v_mul_u32_u24_e32 v1, 0x60, v8
	s_cmpk_lg_i32 s9, 0x84
	s_mov_b64 s[18:19], -1
	v_add_u32_e32 v1, v2, v1
	s_cbranch_scc0 .LBB145_13
; %bb.8:
	ds_read_b64 v[2:3], v1
                                        ; implicit-def: $vgpr4_vgpr5
	s_waitcnt lgkmcnt(0)
	v_cmp_ngt_f32_e64 s[18:19], |v2|, |v3|
	s_and_saveexec_b64 s[20:21], s[18:19]
	s_xor_b64 s[18:19], exec, s[20:21]
	s_cbranch_execz .LBB145_10
; %bb.9:
	v_div_scale_f32 v4, s[20:21], v3, v3, v2
	v_rcp_f32_e32 v5, v4
	v_div_scale_f32 v6, vcc, v2, v3, v2
	v_fma_f32 v7, -v4, v5, 1.0
	v_fmac_f32_e32 v5, v7, v5
	v_mul_f32_e32 v7, v6, v5
	v_fma_f32 v9, -v4, v7, v6
	v_fmac_f32_e32 v7, v9, v5
	v_fma_f32 v4, -v4, v7, v6
	v_div_fmas_f32 v4, v4, v5, v7
	v_div_fixup_f32 v4, v4, v3, v2
	v_fmac_f32_e32 v3, v2, v4
	v_div_scale_f32 v2, s[20:21], v3, v3, 1.0
	v_rcp_f32_e32 v5, v2
	s_mov_b32 s20, 0
	s_mov_b32 s21, -1.0
	v_fma_f32 v6, -v2, v5, 1.0
	v_fmac_f32_e32 v5, v6, v5
	v_div_scale_f32 v6, vcc, 1.0, v3, 1.0
	v_mul_f32_e32 v7, v6, v5
	v_fma_f32 v9, -v2, v7, v6
	v_fmac_f32_e32 v7, v9, v5
	v_fma_f32 v2, -v2, v7, v6
	v_div_fmas_f32 v2, v2, v5, v7
	v_mul_f32_e32 v5, 0, v4
	v_div_fixup_f32 v2, v2, v3, 1.0
	v_pk_add_f32 v[4:5], v[4:5], s[20:21]
	s_nop 0
	v_pk_mul_f32 v[4:5], v[4:5], v[2:3] op_sel_hi:[1,0]
                                        ; implicit-def: $vgpr2_vgpr3
.LBB145_10:
	s_andn2_saveexec_b64 s[18:19], s[18:19]
	s_cbranch_execz .LBB145_12
; %bb.11:
	v_div_scale_f32 v4, s[20:21], v2, v2, v3
	v_rcp_f32_e32 v5, v4
	v_div_scale_f32 v6, vcc, v3, v2, v3
	v_fma_f32 v7, -v4, v5, 1.0
	v_fmac_f32_e32 v5, v7, v5
	v_mul_f32_e32 v7, v6, v5
	v_fma_f32 v9, -v4, v7, v6
	v_fmac_f32_e32 v7, v9, v5
	v_fma_f32 v4, -v4, v7, v6
	v_div_fmas_f32 v4, v4, v5, v7
	v_div_fixup_f32 v5, v4, v2, v3
	v_fmac_f32_e32 v2, v3, v5
	v_div_scale_f32 v3, s[20:21], v2, v2, 1.0
	v_rcp_f32_e32 v4, v3
	s_nop 0
	v_fma_f32 v6, -v3, v4, 1.0
	v_fmac_f32_e32 v4, v6, v4
	v_div_scale_f32 v6, vcc, 1.0, v2, 1.0
	v_mul_f32_e32 v7, v6, v4
	v_fma_f32 v9, -v3, v7, v6
	v_fmac_f32_e32 v7, v9, v4
	v_fma_f32 v3, -v3, v7, v6
	v_div_fmas_f32 v3, v3, v4, v7
	v_div_fixup_f32 v2, v3, v2, 1.0
	v_mul_f32_e32 v3, 0, v5
	v_add_f32_e32 v4, 1.0, v3
	v_sub_f32_e32 v5, 0, v5
	v_pk_mul_f32 v[4:5], v[4:5], v[2:3] op_sel_hi:[1,0]
.LBB145_12:
	s_or_b64 exec, exec, s[18:19]
	s_mov_b64 s[18:19], 0
	ds_write_b64 v1, v[4:5]
.LBB145_13:
	s_and_b64 vcc, exec, s[18:19]
	s_cbranch_vccz .LBB145_15
; %bb.14:
	v_mov_b32_e32 v2, 1.0
	v_mov_b32_e32 v3, 0
	ds_write_b64 v1, v[2:3]
.LBB145_15:
	s_or_b64 exec, exec, s[12:13]
	s_load_dword s18, s[2:3], 0x50
	s_lshl_b64 s[2:3], s[14:15], 3
	s_waitcnt lgkmcnt(0)
	s_add_u32 s6, s6, s2
	s_mul_i32 s2, s4, -12
	s_addc_u32 s7, s7, s3
	s_add_i32 s5, s5, -1
	s_add_i32 s2, s11, s2
	s_cmp_ge_u32 s4, s5
	s_mul_i32 s4, s4, 12
	s_cselect_b32 s9, s2, 12
	s_mul_hi_i32 s3, s18, s4
	s_mul_i32 s2, s18, s4
	s_lshl_b64 s[2:3], s[2:3], 3
	s_add_u32 s4, s6, s2
	s_addc_u32 s5, s7, s3
	s_cmp_gt_i32 s10, 0
	v_cmp_gt_i32_e64 s[2:3], s9, v8
	s_cselect_b64 s[6:7], -1, 0
	s_and_b64 s[12:13], s[2:3], s[6:7]
	s_and_saveexec_b64 s[10:11], s[12:13]
	s_cbranch_execz .LBB145_18
; %bb.16:
	v_mad_i64_i32 v[2:3], s[12:13], s18, v8, 0
	v_mov_b32_e32 v1, 0x480
	v_lshl_add_u64 v[2:3], v[2:3], 3, s[4:5]
	v_lshl_add_u32 v1, v8, 3, v1
	s_mov_b32 s12, s17
	s_mov_b32 s13, s16
	;; [unrolled: 1-line block ×3, first 2 shown]
.LBB145_17:                             ; =>This Inner Loop Header: Depth=1
	flat_load_dwordx2 v[4:5], v[2:3]
	s_add_i32 s9, s9, -1
	v_lshl_add_u64 v[2:3], v[2:3], 0, 8
	s_cmp_lg_u32 s9, 0
	s_waitcnt vmcnt(0) lgkmcnt(0)
	v_pk_mul_f32 v[6:7], s[12:13], v[4:5] op_sel:[0,1]
	s_nop 0
	v_pk_fma_f32 v[10:11], s[16:17], v[4:5], v[6:7] neg_lo:[0,0,1] neg_hi:[0,0,1]
	v_pk_fma_f32 v[4:5], s[16:17], v[4:5], v[6:7] op_sel_hi:[1,0,1]
	s_nop 0
	v_mov_b32_e32 v11, v5
	ds_write_b64 v1, v[10:11]
	v_add_u32_e32 v1, 0x60, v1
	s_cbranch_scc1 .LBB145_17
.LBB145_18:
	s_or_b64 exec, exec, s[10:11]
	s_load_dwordx2 s[10:11], s[0:1], 0x4
	v_bfe_u32 v1, v0, 10, 10
	v_bfe_u32 v0, v0, 20, 10
	s_movk_i32 s0, 0x60
	s_waitcnt lgkmcnt(0)
	s_lshr_b32 s1, s10, 16
	s_mul_i32 s1, s1, s11
	v_mul_u32_u24_e32 v1, s11, v1
	v_mul_u32_u24_e32 v2, s1, v8
	v_add3_u32 v0, v2, v1, v0
	v_mul_lo_u32 v0, v0, s0
	v_mov_b32_e32 v1, 0x480
	v_add_u32_e32 v9, 0x900, v0
	s_cmpk_eq_i32 s8, 0x6f
	v_lshl_add_u32 v10, v8, 3, v1
	s_mov_b64 s[0:1], -1
	; wave barrier
	s_cbranch_scc1 .LBB145_47
; %bb.19:
	s_add_i32 s16, s24, -1
	s_lshl_b32 s17, s24, 3
	s_mov_b32 s1, 0
	s_add_i32 s17, s17, -8
	v_add_u32_e32 v11, 0x900, v0
	s_mov_b32 s0, s1
	s_mov_b32 s19, s16
	s_branch .LBB145_21
.LBB145_20:                             ;   in Loop: Header=BB145_21 Depth=1
	s_cmp_lt_i32 s19, 0
	s_cselect_b64 s[8:9], -1, 0
	s_add_i32 s0, s0, 1
	s_cmp_eq_u32 s0, 3
	s_cselect_b64 s[10:11], -1, 0
	s_or_b64 s[8:9], s[8:9], s[10:11]
	s_andn2_b64 vcc, exec, s[8:9]
	s_cbranch_vccz .LBB145_46
.LBB145_21:                             ; =>This Loop Header: Depth=1
                                        ;     Child Loop BB145_24 Depth 2
                                        ;       Child Loop BB145_25 Depth 3
                                        ;       Child Loop BB145_29 Depth 3
                                        ;         Child Loop BB145_31 Depth 4
                                        ;         Child Loop BB145_37 Depth 4
                                        ;       Child Loop BB145_40 Depth 3
                                        ;         Child Loop BB145_42 Depth 4
	s_lshl_b64 s[8:9], s[0:1], 2
	s_getpc_b64 s[10:11]
	s_add_u32 s10, s10, __const._ZL38rocblas_trsm_small_left_device_sharedBILi12ELi12ELb1E19rocblas_complex_numIfES1_PKPKS1_PKPS1_Ev13rocblas_fill_18rocblas_operation_17rocblas_diagonal_iiT3_T4_lilT5_lili.step_sizes@rel32@lo+4
	s_addc_u32 s11, s11, __const._ZL38rocblas_trsm_small_left_device_sharedBILi12ELi12ELb1E19rocblas_complex_numIfES1_PKPKS1_PKPS1_Ev13rocblas_fill_18rocblas_operation_17rocblas_diagonal_iiT3_T4_lilT5_lili.step_sizes@rel32@hi+12
	s_add_u32 s8, s10, s8
	s_addc_u32 s9, s11, s9
	s_load_dword s20, s[8:9], 0x0
	s_waitcnt lgkmcnt(0)
	s_add_i32 s21, s20, -1
	s_cmp_lt_i32 s19, s21
	s_cbranch_scc1 .LBB145_20
; %bb.22:                               ;   in Loop: Header=BB145_21 Depth=1
	s_max_i32 s22, s20, 1
	s_cmp_lg_u32 s0, 2
	s_cselect_b64 s[8:9], -1, 0
	s_and_b32 s23, s22, 0x7ffffffe
	s_cmp_lg_u32 s22, s23
	s_mul_i32 s12, s19, 0x60
	s_cselect_b64 s[10:11], -1, 0
	v_add_u32_e32 v12, s12, v10
	s_mul_i32 s25, s20, 0xffffffa0
	s_add_i32 s26, s17, s12
	s_mul_i32 s27, s19, 0x68
	s_mul_i32 s28, s20, 0xffffff98
	s_branch .LBB145_24
.LBB145_23:                             ;   in Loop: Header=BB145_24 Depth=2
	s_sub_i32 s19, s19, s20
	s_add_i32 s26, s26, s25
	s_add_i32 s27, s27, s28
	s_cmp_lt_i32 s19, s21
	v_add_u32_e32 v12, s25, v12
	s_cbranch_scc1 .LBB145_20
.LBB145_24:                             ;   Parent Loop BB145_21 Depth=1
                                        ; =>  This Loop Header: Depth=2
                                        ;       Child Loop BB145_25 Depth 3
                                        ;       Child Loop BB145_29 Depth 3
                                        ;         Child Loop BB145_31 Depth 4
                                        ;         Child Loop BB145_37 Depth 4
                                        ;       Child Loop BB145_40 Depth 3
                                        ;         Child Loop BB145_42 Depth 4
	v_mov_b32_e32 v0, v9
	v_mov_b32_e32 v1, v12
	s_mov_b32 s12, s22
.LBB145_25:                             ;   Parent Loop BB145_21 Depth=1
                                        ;     Parent Loop BB145_24 Depth=2
                                        ; =>    This Inner Loop Header: Depth=3
	ds_read_b64 v[2:3], v1
	s_add_i32 s12, s12, -1
	v_add_u32_e32 v1, 0xffffffa0, v1
	s_cmp_eq_u32 s12, 0
	s_waitcnt lgkmcnt(0)
	ds_write_b64 v0, v[2:3]
	v_add_u32_e32 v0, 8, v0
	s_cbranch_scc0 .LBB145_25
; %bb.26:                               ;   in Loop: Header=BB145_24 Depth=2
	s_cmp_le_i32 s16, s19
	s_cbranch_scc1 .LBB145_38
; %bb.27:                               ;   in Loop: Header=BB145_24 Depth=2
	s_mov_b32 s29, s19
	s_mov_b32 s30, s26
	;; [unrolled: 1-line block ×3, first 2 shown]
	s_branch .LBB145_29
.LBB145_28:                             ;   in Loop: Header=BB145_29 Depth=3
	s_add_i32 s31, s31, -1
	s_add_i32 s30, s30, -8
	s_cmp_le_i32 s31, s19
	s_cbranch_scc1 .LBB145_38
.LBB145_29:                             ;   Parent Loop BB145_21 Depth=1
                                        ;     Parent Loop BB145_24 Depth=2
                                        ; =>    This Loop Header: Depth=3
                                        ;         Child Loop BB145_31 Depth 4
                                        ;         Child Loop BB145_37 Depth 4
	s_mul_i32 s12, s31, 0x60
	v_add_u32_e32 v0, s12, v10
	ds_read_b64 v[0:1], v0
	s_and_b64 vcc, exec, s[8:9]
	s_cbranch_vccz .LBB145_33
; %bb.30:                               ;   in Loop: Header=BB145_29 Depth=3
	s_lshl_b32 s12, s31, 3
	s_waitcnt lgkmcnt(0)
	v_mov_b32_e32 v4, v0
	v_mov_b32_e32 v5, v0
	;; [unrolled: 1-line block ×5, first 2 shown]
	s_mov_b32 s13, 1
	s_mov_b32 s14, 0
	;; [unrolled: 1-line block ×3, first 2 shown]
	v_mov_b32_e32 v3, v9
.LBB145_31:                             ;   Parent Loop BB145_21 Depth=1
                                        ;     Parent Loop BB145_24 Depth=2
                                        ;       Parent Loop BB145_29 Depth=3
                                        ; =>      This Inner Loop Header: Depth=4
	s_sub_i32 s33, s19, s14
	s_sub_i32 s34, s29, s13
	s_mulk_i32 s34, 0x60
	s_mulk_i32 s33, 0x60
	s_add_i32 s33, s12, s33
	s_add_i32 s34, s12, s34
	v_mov_b32_e32 v13, s33
	v_mov_b32_e32 v18, s34
	ds_read_b128 v[14:17], v3
	ds_read_b64 v[22:23], v13
	ds_read_b64 v[18:19], v18
	s_add_i32 s14, s14, 2
	s_add_i32 s13, s13, 2
	s_add_i32 s15, s15, -2
	s_waitcnt lgkmcnt(2)
	v_mov_b32_e32 v21, v16
	v_mov_b32_e32 v16, v15
	s_waitcnt lgkmcnt(0)
	v_mov_b32_e32 v15, v18
	v_mov_b32_e32 v18, v23
	;; [unrolled: 1-line block ×4, first 2 shown]
	v_pk_mul_f32 v[22:23], v[18:19], v[6:7]
	v_pk_mul_f32 v[18:19], v[18:19], v[4:5]
	v_pk_fma_f32 v[22:23], v[14:15], v[4:5], v[22:23] neg_lo:[0,0,1] neg_hi:[0,0,1]
	v_pk_fma_f32 v[14:15], v[14:15], v[6:7], v[18:19]
	v_pk_add_f32 v[18:19], v[20:21], v[22:23] neg_lo:[0,1] neg_hi:[0,1]
	v_pk_add_f32 v[16:17], v[16:17], v[14:15] neg_lo:[0,1] neg_hi:[0,1]
	v_mov_b32_e32 v14, v18
	v_mov_b32_e32 v15, v16
	;; [unrolled: 1-line block ×3, first 2 shown]
	s_cmp_lg_u32 s15, 0
	ds_write_b128 v3, v[14:17]
	v_add_u32_e32 v3, 16, v3
	s_cbranch_scc1 .LBB145_31
; %bb.32:                               ;   in Loop: Header=BB145_29 Depth=3
	s_mov_b64 s[12:13], s[10:11]
	s_mov_b32 s14, s23
	s_branch .LBB145_35
.LBB145_33:                             ;   in Loop: Header=BB145_29 Depth=3
	s_waitcnt lgkmcnt(0)
	v_mov_b32_e32 v2, v1
	s_mov_b64 s[12:13], 0
	s_mov_b32 s14, s23
	s_cbranch_execz .LBB145_35
; %bb.34:                               ;   in Loop: Header=BB145_29 Depth=3
	s_mov_b64 s[12:13], -1
	s_mov_b32 s14, 0
.LBB145_35:                             ;   in Loop: Header=BB145_29 Depth=3
	s_andn2_b64 vcc, exec, s[12:13]
	s_cbranch_vccnz .LBB145_28
; %bb.36:                               ;   in Loop: Header=BB145_29 Depth=3
	s_mul_i32 s13, s14, 0xffffffa0
	v_mov_b32_e32 v3, v1
	v_mov_b32_e32 v1, v0
	s_sub_i32 s12, s22, s14
	s_add_i32 s13, s30, s13
	v_lshl_add_u32 v4, s14, 3, v11
.LBB145_37:                             ;   Parent Loop BB145_21 Depth=1
                                        ;     Parent Loop BB145_24 Depth=2
                                        ;       Parent Loop BB145_29 Depth=3
                                        ; =>      This Inner Loop Header: Depth=4
	v_mov_b32_e32 v5, s13
	ds_read_b64 v[14:15], v5
	ds_read_b64 v[6:7], v4
	s_add_i32 s12, s12, -1
	s_addk_i32 s13, 0xffa0
	s_cmp_eq_u32 s12, 0
	s_waitcnt lgkmcnt(1)
	v_pk_mul_f32 v[16:17], v[14:15], v[2:3] op_sel:[1,0] op_sel_hi:[0,1]
	v_pk_fma_f32 v[18:19], v[14:15], v[0:1], v[16:17] neg_lo:[0,0,1] neg_hi:[0,0,1]
	v_pk_fma_f32 v[14:15], v[14:15], v[0:1], v[16:17]
	s_nop 0
	v_mov_b32_e32 v19, v15
	s_waitcnt lgkmcnt(0)
	v_pk_add_f32 v[6:7], v[6:7], v[18:19] neg_lo:[0,1] neg_hi:[0,1]
	ds_write_b64 v4, v[6:7]
	v_add_u32_e32 v4, 8, v4
	s_cbranch_scc0 .LBB145_37
	s_branch .LBB145_28
.LBB145_38:                             ;   in Loop: Header=BB145_24 Depth=2
	s_mul_i32 s14, s19, 0x60
	s_mov_b32 s15, 0
	s_mov_b32 s29, s27
	s_branch .LBB145_40
.LBB145_39:                             ;   in Loop: Header=BB145_40 Depth=3
	s_mul_i32 s12, s31, 0x68
	v_mov_b32_e32 v1, s12
	ds_read_b64 v[4:5], v1
	s_add_i32 s15, s15, 1
	s_addk_i32 s29, 0xffa0
	v_add_u32_e32 v13, s30, v10
	s_cmp_eq_u32 s15, s22
	s_waitcnt lgkmcnt(0)
	v_pk_mul_f32 v[6:7], v[4:5], v[2:3] op_sel:[1,0] op_sel_hi:[0,0]
	v_pk_fma_f32 v[14:15], v[4:5], v[0:1], v[6:7] neg_lo:[0,0,1] neg_hi:[0,0,1]
	v_pk_fma_f32 v[0:1], v[4:5], v[0:1], v[6:7] op_sel_hi:[1,0,1]
	s_nop 0
	v_mov_b32_e32 v15, v1
	ds_write_b64 v3, v[14:15]
	ds_write_b64 v13, v[14:15]
	s_cbranch_scc1 .LBB145_23
.LBB145_40:                             ;   Parent Loop BB145_21 Depth=1
                                        ;     Parent Loop BB145_24 Depth=2
                                        ; =>    This Loop Header: Depth=3
                                        ;         Child Loop BB145_42 Depth 4
	s_cmp_lg_u32 s15, 0
	v_lshl_add_u32 v3, s15, 3, v9
	s_cbranch_scc0 .LBB145_44
; %bb.41:                               ;   in Loop: Header=BB145_40 Depth=3
	ds_read_b64 v[0:1], v3
	v_mov_b32_e32 v2, v9
	s_mov_b32 s12, s29
	s_mov_b32 s13, s15
.LBB145_42:                             ;   Parent Loop BB145_21 Depth=1
                                        ;     Parent Loop BB145_24 Depth=2
                                        ;       Parent Loop BB145_40 Depth=3
                                        ; =>      This Inner Loop Header: Depth=4
	v_mov_b32_e32 v6, s12
	ds_read_b64 v[4:5], v2
	ds_read_b64 v[6:7], v6
	s_add_i32 s13, s13, -1
	s_add_i32 s12, s12, -8
	v_add_u32_e32 v2, 8, v2
	s_cmp_eq_u32 s13, 0
	s_waitcnt lgkmcnt(0)
	v_pk_mul_f32 v[14:15], v[6:7], v[4:5] op_sel:[1,1] op_sel_hi:[0,1]
	v_pk_fma_f32 v[16:17], v[6:7], v[4:5], v[14:15] neg_lo:[0,0,1] neg_hi:[0,0,1]
	v_pk_fma_f32 v[4:5], v[6:7], v[4:5], v[14:15] op_sel_hi:[1,0,1]
	s_nop 0
	v_mov_b32_e32 v17, v5
	v_pk_add_f32 v[0:1], v[0:1], v[16:17] neg_lo:[0,1] neg_hi:[0,1]
	ds_write_b64 v3, v[0:1]
	s_cbranch_scc0 .LBB145_42
; %bb.43:                               ;   in Loop: Header=BB145_40 Depth=3
	s_sub_i32 s31, s19, s15
	s_mul_i32 s30, s31, 0x60
	v_mov_b32_e32 v2, v1
	s_branch .LBB145_39
.LBB145_44:                             ;   in Loop: Header=BB145_40 Depth=3
                                        ; implicit-def: $vgpr0
                                        ; implicit-def: $vgpr2
                                        ; implicit-def: $sgpr31
                                        ; implicit-def: $sgpr30
	s_cbranch_execz .LBB145_39
; %bb.45:                               ;   in Loop: Header=BB145_40 Depth=3
	ds_read_b64 v[0:1], v9
	s_mov_b32 s30, s14
	s_mov_b32 s31, s19
	s_waitcnt lgkmcnt(0)
	v_mov_b32_e32 v2, v1
	s_branch .LBB145_39
.LBB145_46:
	s_mov_b64 s[0:1], 0
.LBB145_47:
	s_and_b64 vcc, exec, s[0:1]
	s_cbranch_vccz .LBB145_75
; %bb.48:
	v_mov_b32_e32 v0, 0x480
	s_mov_b32 s1, 0
	v_lshl_add_u32 v11, v8, 3, v0
	s_mov_b32 s0, s1
	s_mov_b32 s16, s1
	s_branch .LBB145_50
.LBB145_49:                             ;   in Loop: Header=BB145_50 Depth=1
	s_cmp_ge_i32 s16, s24
	s_cselect_b64 s[8:9], -1, 0
	s_add_i32 s0, s0, 1
	s_cmp_eq_u32 s0, 3
	s_cselect_b64 s[10:11], -1, 0
	s_or_b64 s[8:9], s[8:9], s[10:11]
	s_and_b64 vcc, exec, s[8:9]
	s_cbranch_vccnz .LBB145_75
.LBB145_50:                             ; =>This Loop Header: Depth=1
                                        ;     Child Loop BB145_53 Depth 2
                                        ;       Child Loop BB145_54 Depth 3
                                        ;       Child Loop BB145_58 Depth 3
                                        ;         Child Loop BB145_60 Depth 4
                                        ;         Child Loop BB145_66 Depth 4
                                        ;       Child Loop BB145_69 Depth 3
                                        ;         Child Loop BB145_71 Depth 4
	s_lshl_b64 s[8:9], s[0:1], 2
	s_getpc_b64 s[10:11]
	s_add_u32 s10, s10, __const._ZL38rocblas_trsm_small_left_device_sharedBILi12ELi12ELb1E19rocblas_complex_numIfES1_PKPKS1_PKPS1_Ev13rocblas_fill_18rocblas_operation_17rocblas_diagonal_iiT3_T4_lilT5_lili.step_sizes@rel32@lo+4
	s_addc_u32 s11, s11, __const._ZL38rocblas_trsm_small_left_device_sharedBILi12ELi12ELb1E19rocblas_complex_numIfES1_PKPKS1_PKPS1_Ev13rocblas_fill_18rocblas_operation_17rocblas_diagonal_iiT3_T4_lilT5_lili.step_sizes@rel32@hi+12
	s_add_u32 s8, s10, s8
	s_addc_u32 s9, s11, s9
	s_load_dword s17, s[8:9], 0x0
	s_waitcnt lgkmcnt(0)
	s_add_i32 s19, s17, -1
	s_add_i32 s8, s19, s16
	s_cmp_ge_i32 s8, s24
	s_cbranch_scc1 .LBB145_49
; %bb.51:                               ;   in Loop: Header=BB145_50 Depth=1
	s_max_i32 s20, s17, 1
	s_cmp_lg_u32 s0, 2
	s_cselect_b64 s[8:9], -1, 0
	s_and_b32 s21, s20, 0x7ffffffe
	s_cmp_lg_u32 s20, s21
	s_mul_i32 s12, s16, 0x60
	s_cselect_b64 s[10:11], -1, 0
	v_add_u32_e32 v12, s12, v11
	s_mul_i32 s22, s17, 0x60
	s_lshl_b32 s23, s16, 3
	s_lshl_b32 s25, s17, 3
	s_mul_i32 s26, s16, 0x68
	s_mul_i32 s27, s17, 0x68
	s_branch .LBB145_53
.LBB145_52:                             ;   in Loop: Header=BB145_53 Depth=2
	s_add_i32 s16, s16, s17
	s_add_i32 s12, s19, s16
	;; [unrolled: 1-line block ×4, first 2 shown]
	s_cmp_ge_i32 s12, s24
	v_add_u32_e32 v12, s22, v12
	s_cbranch_scc1 .LBB145_49
.LBB145_53:                             ;   Parent Loop BB145_50 Depth=1
                                        ; =>  This Loop Header: Depth=2
                                        ;       Child Loop BB145_54 Depth 3
                                        ;       Child Loop BB145_58 Depth 3
                                        ;         Child Loop BB145_60 Depth 4
                                        ;         Child Loop BB145_66 Depth 4
                                        ;       Child Loop BB145_69 Depth 3
                                        ;         Child Loop BB145_71 Depth 4
	v_mov_b32_e32 v0, v9
	v_mov_b32_e32 v1, v12
	s_mov_b32 s12, s20
.LBB145_54:                             ;   Parent Loop BB145_50 Depth=1
                                        ;     Parent Loop BB145_53 Depth=2
                                        ; =>    This Inner Loop Header: Depth=3
	ds_read_b64 v[2:3], v1
	s_add_i32 s12, s12, -1
	v_add_u32_e32 v1, 0x60, v1
	s_cmp_eq_u32 s12, 0
	s_waitcnt lgkmcnt(0)
	ds_write_b64 v0, v[2:3]
	v_add_u32_e32 v0, 8, v0
	s_cbranch_scc0 .LBB145_54
; %bb.55:                               ;   in Loop: Header=BB145_53 Depth=2
	s_cmp_lt_i32 s16, 1
	s_cbranch_scc1 .LBB145_67
; %bb.56:                               ;   in Loop: Header=BB145_53 Depth=2
	s_mov_b32 s28, 0
	s_mov_b32 s29, s23
	s_branch .LBB145_58
.LBB145_57:                             ;   in Loop: Header=BB145_58 Depth=3
	s_add_i32 s28, s28, 1
	s_addk_i32 s29, 0x60
	s_cmp_eq_u32 s28, s16
	s_cbranch_scc1 .LBB145_67
.LBB145_58:                             ;   Parent Loop BB145_50 Depth=1
                                        ;     Parent Loop BB145_53 Depth=2
                                        ; =>    This Loop Header: Depth=3
                                        ;         Child Loop BB145_60 Depth 4
                                        ;         Child Loop BB145_66 Depth 4
	s_mul_i32 s12, s28, 0x60
	v_add_u32_e32 v0, s12, v10
	ds_read_b64 v[0:1], v0
	s_and_b64 vcc, exec, s[8:9]
	s_cbranch_vccz .LBB145_62
; %bb.59:                               ;   in Loop: Header=BB145_58 Depth=3
	s_waitcnt lgkmcnt(0)
	v_mov_b32_e32 v4, v0
	v_mov_b32_e32 v5, v0
	;; [unrolled: 1-line block ×5, first 2 shown]
	s_mov_b32 s12, s21
	v_mov_b32_e32 v3, v9
	s_mov_b32 s13, s29
.LBB145_60:                             ;   Parent Loop BB145_50 Depth=1
                                        ;     Parent Loop BB145_53 Depth=2
                                        ;       Parent Loop BB145_58 Depth=3
                                        ; =>      This Inner Loop Header: Depth=4
	v_mov_b32_e32 v13, s13
	ds_read_b128 v[14:17], v3
	ds_read2_b64 v[18:21], v13 offset1:1
	s_add_i32 s13, s13, 16
	s_add_i32 s12, s12, -2
	s_cmp_lg_u32 s12, 0
	s_waitcnt lgkmcnt(1)
	v_mov_b32_e32 v23, v16
	v_mov_b32_e32 v16, v15
	s_waitcnt lgkmcnt(0)
	v_mov_b32_e32 v15, v20
	v_mov_b32_e32 v20, v19
	;; [unrolled: 1-line block ×4, first 2 shown]
	v_pk_mul_f32 v[18:19], v[20:21], v[6:7]
	v_pk_mul_f32 v[20:21], v[20:21], v[4:5]
	v_pk_fma_f32 v[18:19], v[14:15], v[4:5], v[18:19] neg_lo:[0,0,1] neg_hi:[0,0,1]
	v_pk_fma_f32 v[14:15], v[14:15], v[6:7], v[20:21]
	v_pk_add_f32 v[18:19], v[22:23], v[18:19] neg_lo:[0,1] neg_hi:[0,1]
	v_pk_add_f32 v[16:17], v[16:17], v[14:15] neg_lo:[0,1] neg_hi:[0,1]
	v_mov_b32_e32 v14, v18
	v_mov_b32_e32 v15, v16
	;; [unrolled: 1-line block ×3, first 2 shown]
	ds_write_b128 v3, v[14:17]
	v_add_u32_e32 v3, 16, v3
	s_cbranch_scc1 .LBB145_60
; %bb.61:                               ;   in Loop: Header=BB145_58 Depth=3
	s_mov_b64 s[12:13], s[10:11]
	s_mov_b32 s14, s21
	s_branch .LBB145_64
.LBB145_62:                             ;   in Loop: Header=BB145_58 Depth=3
	s_waitcnt lgkmcnt(0)
	v_mov_b32_e32 v2, v1
	s_mov_b64 s[12:13], 0
	s_mov_b32 s14, s21
	s_cbranch_execz .LBB145_64
; %bb.63:                               ;   in Loop: Header=BB145_58 Depth=3
	s_mov_b64 s[12:13], -1
	s_mov_b32 s14, 0
.LBB145_64:                             ;   in Loop: Header=BB145_58 Depth=3
	s_andn2_b64 vcc, exec, s[12:13]
	s_cbranch_vccnz .LBB145_57
; %bb.65:                               ;   in Loop: Header=BB145_58 Depth=3
	v_mov_b32_e32 v3, v1
	v_mov_b32_e32 v1, v0
	s_sub_i32 s12, s20, s14
	s_lshl_b32 s13, s14, 3
.LBB145_66:                             ;   Parent Loop BB145_50 Depth=1
                                        ;     Parent Loop BB145_53 Depth=2
                                        ;       Parent Loop BB145_58 Depth=3
                                        ; =>      This Inner Loop Header: Depth=4
	s_add_i32 s14, s29, s13
	v_mov_b32_e32 v4, s14
	ds_read_b64 v[4:5], v4
	v_add_u32_e32 v13, s13, v9
	ds_read_b64 v[6:7], v13
	s_add_i32 s12, s12, -1
	s_add_i32 s13, s13, 8
	s_waitcnt lgkmcnt(1)
	v_pk_mul_f32 v[14:15], v[4:5], v[2:3] op_sel:[1,0] op_sel_hi:[0,1]
	v_pk_fma_f32 v[16:17], v[4:5], v[0:1], v[14:15] neg_lo:[0,0,1] neg_hi:[0,0,1]
	v_pk_fma_f32 v[4:5], v[4:5], v[0:1], v[14:15]
	s_cmp_eq_u32 s12, 0
	v_mov_b32_e32 v17, v5
	s_waitcnt lgkmcnt(0)
	v_pk_add_f32 v[4:5], v[6:7], v[16:17] neg_lo:[0,1] neg_hi:[0,1]
	ds_write_b64 v13, v[4:5]
	s_cbranch_scc0 .LBB145_66
	s_branch .LBB145_57
.LBB145_67:                             ;   in Loop: Header=BB145_53 Depth=2
	s_mov_b32 s14, 0
	s_mov_b32 s15, s26
	s_branch .LBB145_69
.LBB145_68:                             ;   in Loop: Header=BB145_69 Depth=3
	s_add_i32 s12, s14, s16
	s_mul_i32 s13, s12, 0x68
	v_mov_b32_e32 v1, s13
	ds_read_b64 v[4:5], v1
	s_add_i32 s14, s14, 1
	s_mulk_i32 s12, 0x60
	s_add_i32 s15, s15, 8
	v_add_u32_e32 v13, s12, v10
	s_waitcnt lgkmcnt(0)
	v_pk_mul_f32 v[6:7], v[4:5], v[2:3] op_sel:[1,0] op_sel_hi:[0,0]
	v_pk_fma_f32 v[14:15], v[4:5], v[0:1], v[6:7] neg_lo:[0,0,1] neg_hi:[0,0,1]
	v_pk_fma_f32 v[0:1], v[4:5], v[0:1], v[6:7] op_sel_hi:[1,0,1]
	s_cmp_eq_u32 s14, s20
	v_mov_b32_e32 v15, v1
	ds_write_b64 v3, v[14:15]
	ds_write_b64 v13, v[14:15]
	s_cbranch_scc1 .LBB145_52
.LBB145_69:                             ;   Parent Loop BB145_50 Depth=1
                                        ;     Parent Loop BB145_53 Depth=2
                                        ; =>    This Loop Header: Depth=3
                                        ;         Child Loop BB145_71 Depth 4
	s_cmp_lg_u32 s14, 0
	v_lshl_add_u32 v3, s14, 3, v9
	s_cbranch_scc0 .LBB145_73
; %bb.70:                               ;   in Loop: Header=BB145_69 Depth=3
	ds_read_b64 v[0:1], v3
	v_mov_b32_e32 v2, v9
	s_mov_b32 s12, s15
	s_mov_b32 s13, s14
.LBB145_71:                             ;   Parent Loop BB145_50 Depth=1
                                        ;     Parent Loop BB145_53 Depth=2
                                        ;       Parent Loop BB145_69 Depth=3
                                        ; =>      This Inner Loop Header: Depth=4
	v_mov_b32_e32 v6, s12
	ds_read_b64 v[4:5], v2
	ds_read_b64 v[6:7], v6
	s_add_i32 s13, s13, -1
	s_addk_i32 s12, 0x60
	v_add_u32_e32 v2, 8, v2
	s_cmp_eq_u32 s13, 0
	s_waitcnt lgkmcnt(0)
	v_pk_mul_f32 v[14:15], v[6:7], v[4:5] op_sel:[1,1] op_sel_hi:[0,1]
	v_pk_fma_f32 v[16:17], v[6:7], v[4:5], v[14:15] neg_lo:[0,0,1] neg_hi:[0,0,1]
	v_pk_fma_f32 v[4:5], v[6:7], v[4:5], v[14:15] op_sel_hi:[1,0,1]
	s_nop 0
	v_mov_b32_e32 v17, v5
	v_pk_add_f32 v[0:1], v[0:1], v[16:17] neg_lo:[0,1] neg_hi:[0,1]
	ds_write_b64 v3, v[0:1]
	s_cbranch_scc0 .LBB145_71
; %bb.72:                               ;   in Loop: Header=BB145_69 Depth=3
	v_mov_b32_e32 v2, v1
	s_branch .LBB145_68
.LBB145_73:                             ;   in Loop: Header=BB145_69 Depth=3
                                        ; implicit-def: $vgpr0
                                        ; implicit-def: $vgpr2
	s_cbranch_execz .LBB145_68
; %bb.74:                               ;   in Loop: Header=BB145_69 Depth=3
	ds_read_b64 v[0:1], v9
	s_waitcnt lgkmcnt(0)
	v_mov_b32_e32 v2, v1
	s_branch .LBB145_68
.LBB145_75:
	s_waitcnt lgkmcnt(0)
	; wave barrier
	s_and_saveexec_b64 s[0:1], s[2:3]
	s_cbranch_execz .LBB145_79
; %bb.76:
	s_andn2_b64 vcc, exec, s[6:7]
	s_cbranch_vccnz .LBB145_79
; %bb.77:
	v_mad_i64_i32 v[0:1], s[0:1], s18, v8, 0
	v_mov_b32_e32 v2, 0x480
	v_lshl_add_u64 v[0:1], v[0:1], 3, s[4:5]
	v_lshl_add_u32 v2, v8, 3, v2
.LBB145_78:                             ; =>This Inner Loop Header: Depth=1
	ds_read_b64 v[4:5], v2
	s_add_i32 s24, s24, -1
	v_add_u32_e32 v2, 0x60, v2
	s_cmp_lg_u32 s24, 0
	s_waitcnt lgkmcnt(0)
	flat_store_dwordx2 v[0:1], v[4:5]
	v_lshl_add_u64 v[0:1], v[0:1], 0, 8
	s_cbranch_scc1 .LBB145_78
.LBB145_79:
	s_endpgm
	.section	.rodata,"a",@progbits
	.p2align	6, 0x0
	.amdhsa_kernel _ZL38rocblas_trsm_small_left_device_sharedBILi12ELi12ELb1E19rocblas_complex_numIfES1_PKPKS1_PKPS1_Ev13rocblas_fill_18rocblas_operation_17rocblas_diagonal_iiT3_T4_lilT5_lili
		.amdhsa_group_segment_fixed_size 3456
		.amdhsa_private_segment_fixed_size 0
		.amdhsa_kernarg_size 360
		.amdhsa_user_sgpr_count 4
		.amdhsa_user_sgpr_dispatch_ptr 1
		.amdhsa_user_sgpr_queue_ptr 0
		.amdhsa_user_sgpr_kernarg_segment_ptr 1
		.amdhsa_user_sgpr_dispatch_id 0
		.amdhsa_user_sgpr_kernarg_preload_length 0
		.amdhsa_user_sgpr_kernarg_preload_offset 0
		.amdhsa_user_sgpr_private_segment_size 0
		.amdhsa_uses_dynamic_stack 0
		.amdhsa_enable_private_segment 0
		.amdhsa_system_sgpr_workgroup_id_x 1
		.amdhsa_system_sgpr_workgroup_id_y 0
		.amdhsa_system_sgpr_workgroup_id_z 1
		.amdhsa_system_sgpr_workgroup_info 0
		.amdhsa_system_vgpr_workitem_id 2
		.amdhsa_next_free_vgpr 24
		.amdhsa_next_free_sgpr 35
		.amdhsa_accum_offset 24
		.amdhsa_reserve_vcc 1
		.amdhsa_float_round_mode_32 0
		.amdhsa_float_round_mode_16_64 0
		.amdhsa_float_denorm_mode_32 3
		.amdhsa_float_denorm_mode_16_64 3
		.amdhsa_dx10_clamp 1
		.amdhsa_ieee_mode 1
		.amdhsa_fp16_overflow 0
		.amdhsa_tg_split 0
		.amdhsa_exception_fp_ieee_invalid_op 0
		.amdhsa_exception_fp_denorm_src 0
		.amdhsa_exception_fp_ieee_div_zero 0
		.amdhsa_exception_fp_ieee_overflow 0
		.amdhsa_exception_fp_ieee_underflow 0
		.amdhsa_exception_fp_ieee_inexact 0
		.amdhsa_exception_int_div_zero 0
	.end_amdhsa_kernel
	.section	.text._ZL38rocblas_trsm_small_left_device_sharedBILi12ELi12ELb1E19rocblas_complex_numIfES1_PKPKS1_PKPS1_Ev13rocblas_fill_18rocblas_operation_17rocblas_diagonal_iiT3_T4_lilT5_lili,"axG",@progbits,_ZL38rocblas_trsm_small_left_device_sharedBILi12ELi12ELb1E19rocblas_complex_numIfES1_PKPKS1_PKPS1_Ev13rocblas_fill_18rocblas_operation_17rocblas_diagonal_iiT3_T4_lilT5_lili,comdat
.Lfunc_end145:
	.size	_ZL38rocblas_trsm_small_left_device_sharedBILi12ELi12ELb1E19rocblas_complex_numIfES1_PKPKS1_PKPS1_Ev13rocblas_fill_18rocblas_operation_17rocblas_diagonal_iiT3_T4_lilT5_lili, .Lfunc_end145-_ZL38rocblas_trsm_small_left_device_sharedBILi12ELi12ELb1E19rocblas_complex_numIfES1_PKPKS1_PKPS1_Ev13rocblas_fill_18rocblas_operation_17rocblas_diagonal_iiT3_T4_lilT5_lili
                                        ; -- End function
	.set _ZL38rocblas_trsm_small_left_device_sharedBILi12ELi12ELb1E19rocblas_complex_numIfES1_PKPKS1_PKPS1_Ev13rocblas_fill_18rocblas_operation_17rocblas_diagonal_iiT3_T4_lilT5_lili.num_vgpr, 24
	.set _ZL38rocblas_trsm_small_left_device_sharedBILi12ELi12ELb1E19rocblas_complex_numIfES1_PKPKS1_PKPS1_Ev13rocblas_fill_18rocblas_operation_17rocblas_diagonal_iiT3_T4_lilT5_lili.num_agpr, 0
	.set _ZL38rocblas_trsm_small_left_device_sharedBILi12ELi12ELb1E19rocblas_complex_numIfES1_PKPKS1_PKPS1_Ev13rocblas_fill_18rocblas_operation_17rocblas_diagonal_iiT3_T4_lilT5_lili.numbered_sgpr, 35
	.set _ZL38rocblas_trsm_small_left_device_sharedBILi12ELi12ELb1E19rocblas_complex_numIfES1_PKPKS1_PKPS1_Ev13rocblas_fill_18rocblas_operation_17rocblas_diagonal_iiT3_T4_lilT5_lili.num_named_barrier, 0
	.set _ZL38rocblas_trsm_small_left_device_sharedBILi12ELi12ELb1E19rocblas_complex_numIfES1_PKPKS1_PKPS1_Ev13rocblas_fill_18rocblas_operation_17rocblas_diagonal_iiT3_T4_lilT5_lili.private_seg_size, 0
	.set _ZL38rocblas_trsm_small_left_device_sharedBILi12ELi12ELb1E19rocblas_complex_numIfES1_PKPKS1_PKPS1_Ev13rocblas_fill_18rocblas_operation_17rocblas_diagonal_iiT3_T4_lilT5_lili.uses_vcc, 1
	.set _ZL38rocblas_trsm_small_left_device_sharedBILi12ELi12ELb1E19rocblas_complex_numIfES1_PKPKS1_PKPS1_Ev13rocblas_fill_18rocblas_operation_17rocblas_diagonal_iiT3_T4_lilT5_lili.uses_flat_scratch, 0
	.set _ZL38rocblas_trsm_small_left_device_sharedBILi12ELi12ELb1E19rocblas_complex_numIfES1_PKPKS1_PKPS1_Ev13rocblas_fill_18rocblas_operation_17rocblas_diagonal_iiT3_T4_lilT5_lili.has_dyn_sized_stack, 0
	.set _ZL38rocblas_trsm_small_left_device_sharedBILi12ELi12ELb1E19rocblas_complex_numIfES1_PKPKS1_PKPS1_Ev13rocblas_fill_18rocblas_operation_17rocblas_diagonal_iiT3_T4_lilT5_lili.has_recursion, 0
	.set _ZL38rocblas_trsm_small_left_device_sharedBILi12ELi12ELb1E19rocblas_complex_numIfES1_PKPKS1_PKPS1_Ev13rocblas_fill_18rocblas_operation_17rocblas_diagonal_iiT3_T4_lilT5_lili.has_indirect_call, 0
	.section	.AMDGPU.csdata,"",@progbits
; Kernel info:
; codeLenInByte = 3188
; TotalNumSgprs: 41
; NumVgprs: 24
; NumAgprs: 0
; TotalNumVgprs: 24
; ScratchSize: 0
; MemoryBound: 0
; FloatMode: 240
; IeeeMode: 1
; LDSByteSize: 3456 bytes/workgroup (compile time only)
; SGPRBlocks: 5
; VGPRBlocks: 2
; NumSGPRsForWavesPerEU: 41
; NumVGPRsForWavesPerEU: 24
; AccumOffset: 24
; Occupancy: 8
; WaveLimiterHint : 0
; COMPUTE_PGM_RSRC2:SCRATCH_EN: 0
; COMPUTE_PGM_RSRC2:USER_SGPR: 4
; COMPUTE_PGM_RSRC2:TRAP_HANDLER: 0
; COMPUTE_PGM_RSRC2:TGID_X_EN: 1
; COMPUTE_PGM_RSRC2:TGID_Y_EN: 0
; COMPUTE_PGM_RSRC2:TGID_Z_EN: 1
; COMPUTE_PGM_RSRC2:TIDIG_COMP_CNT: 2
; COMPUTE_PGM_RSRC3_GFX90A:ACCUM_OFFSET: 5
; COMPUTE_PGM_RSRC3_GFX90A:TG_SPLIT: 0
	.section	.text._ZL30rocblas_trsm_small_left_deviceILi12ELi12ELb1E19rocblas_complex_numIfES1_PKPKS1_PKPS1_Ev13rocblas_fill_18rocblas_operation_17rocblas_diagonal_iiT3_T4_lilT5_lili,"axG",@progbits,_ZL30rocblas_trsm_small_left_deviceILi12ELi12ELb1E19rocblas_complex_numIfES1_PKPKS1_PKPS1_Ev13rocblas_fill_18rocblas_operation_17rocblas_diagonal_iiT3_T4_lilT5_lili,comdat
	.globl	_ZL30rocblas_trsm_small_left_deviceILi12ELi12ELb1E19rocblas_complex_numIfES1_PKPKS1_PKPS1_Ev13rocblas_fill_18rocblas_operation_17rocblas_diagonal_iiT3_T4_lilT5_lili ; -- Begin function _ZL30rocblas_trsm_small_left_deviceILi12ELi12ELb1E19rocblas_complex_numIfES1_PKPKS1_PKPS1_Ev13rocblas_fill_18rocblas_operation_17rocblas_diagonal_iiT3_T4_lilT5_lili
	.p2align	8
	.type	_ZL30rocblas_trsm_small_left_deviceILi12ELi12ELb1E19rocblas_complex_numIfES1_PKPKS1_PKPS1_Ev13rocblas_fill_18rocblas_operation_17rocblas_diagonal_iiT3_T4_lilT5_lili,@function
_ZL30rocblas_trsm_small_left_deviceILi12ELi12ELb1E19rocblas_complex_numIfES1_PKPKS1_PKPS1_Ev13rocblas_fill_18rocblas_operation_17rocblas_diagonal_iiT3_T4_lilT5_lili: ; @_ZL30rocblas_trsm_small_left_deviceILi12ELi12ELb1E19rocblas_complex_numIfES1_PKPKS1_PKPS1_Ev13rocblas_fill_18rocblas_operation_17rocblas_diagonal_iiT3_T4_lilT5_lili
; %bb.0:
	s_load_dwordx4 s[12:15], s[2:3], 0x40
	s_load_dwordx4 s[8:11], s[2:3], 0x4
	s_load_dwordx2 s[6:7], s[2:3], 0x14
	s_mov_b32 s16, s5
	s_mov_b32 s17, 0
	s_lshl_b64 s[20:21], s[16:17], 3
	s_waitcnt lgkmcnt(0)
	s_add_u32 s12, s12, s20
	s_addc_u32 s13, s13, s21
	s_load_dword s5, s[2:3], 0x68
	v_and_b32_e32 v2, 0x3ff, v0
	s_load_dwordx2 s[12:13], s[12:13], 0x0
	s_min_i32 s30, s10, 12
	v_cmp_gt_i32_e32 vcc, s30, v2
	s_and_saveexec_b64 s[16:17], vcc
	s_cbranch_execz .LBB146_15
; %bb.1:
	s_load_dword s22, s[2:3], 0x30
	s_load_dwordx4 s[24:27], s[2:3], 0x20
	v_lshlrev_b32_e32 v4, 3, v2
	v_mov_b32_e32 v5, 0
	v_mov_b32_e32 v1, v4
	s_waitcnt lgkmcnt(0)
	s_ashr_i32 s23, s22, 31
	s_cmpk_lg_i32 s8, 0x71
	s_cselect_b64 s[18:19], -1, 0
	s_add_u32 s20, s24, s20
	s_addc_u32 s21, s25, s21
	s_load_dwordx2 s[20:21], s[20:21], 0x0
	s_lshl_b64 s[24:25], s[26:27], 3
	s_mov_b32 s10, s30
	s_waitcnt lgkmcnt(0)
	s_add_u32 s24, s20, s24
	s_addc_u32 s25, s21, s25
	s_lshl_b64 s[20:21], s[22:23], 3
	v_lshl_add_u64 v[6:7], s[24:25], 0, v[4:5]
	s_branch .LBB146_3
.LBB146_2:                              ;   in Loop: Header=BB146_3 Depth=1
	flat_load_dword v8, v[6:7]
	s_add_i32 s10, s10, -1
	v_lshl_add_u64 v[6:7], v[6:7], 0, s[20:21]
	s_cmp_eq_u32 s10, 0
	s_waitcnt vmcnt(0) lgkmcnt(0)
	ds_write_b64 v1, v[8:9]
	v_add_u32_e32 v1, 0x60, v1
	s_cbranch_scc1 .LBB146_7
.LBB146_3:                              ; =>This Inner Loop Header: Depth=1
	s_mov_b64 s[22:23], -1
	s_and_b64 vcc, exec, s[18:19]
                                        ; implicit-def: $vgpr9
	s_cbranch_vccz .LBB146_5
; %bb.4:                                ;   in Loop: Header=BB146_3 Depth=1
	flat_load_dword v9, v[6:7] offset:4
	s_mov_b64 s[22:23], 0
.LBB146_5:                              ;   in Loop: Header=BB146_3 Depth=1
	s_andn2_b64 vcc, exec, s[22:23]
	s_cbranch_vccnz .LBB146_2
; %bb.6:                                ;   in Loop: Header=BB146_3 Depth=1
	flat_load_dword v3, v[6:7] offset:4
	s_waitcnt vmcnt(0) lgkmcnt(0)
	v_xor_b32_e32 v9, 0x80000000, v3
	s_branch .LBB146_2
.LBB146_7:
	s_cmpk_lg_i32 s9, 0x84
	v_mul_u32_u24_e32 v1, 0x60, v2
	s_mov_b64 s[18:19], -1
	s_cbranch_scc0 .LBB146_13
; %bb.8:
	v_add_u32_e32 v3, v4, v1
	ds_read_b64 v[6:7], v3
                                        ; implicit-def: $vgpr8_vgpr9
	s_waitcnt lgkmcnt(0)
	v_cmp_ngt_f32_e64 s[18:19], |v6|, |v7|
	s_and_saveexec_b64 s[20:21], s[18:19]
	s_xor_b64 s[18:19], exec, s[20:21]
	s_cbranch_execz .LBB146_10
; %bb.9:
	v_div_scale_f32 v5, s[20:21], v7, v7, v6
	v_rcp_f32_e32 v8, v5
	v_div_scale_f32 v9, vcc, v6, v7, v6
	v_fma_f32 v10, -v5, v8, 1.0
	v_fmac_f32_e32 v8, v10, v8
	v_mul_f32_e32 v10, v9, v8
	v_fma_f32 v11, -v5, v10, v9
	v_fmac_f32_e32 v10, v11, v8
	v_fma_f32 v5, -v5, v10, v9
	v_div_fmas_f32 v5, v5, v8, v10
	v_div_fixup_f32 v8, v5, v7, v6
	v_fmac_f32_e32 v7, v6, v8
	v_div_scale_f32 v5, s[20:21], v7, v7, 1.0
	v_rcp_f32_e32 v6, v5
	s_mov_b32 s20, 0
	s_mov_b32 s21, -1.0
	v_fma_f32 v9, -v5, v6, 1.0
	v_fmac_f32_e32 v6, v9, v6
	v_div_scale_f32 v9, vcc, 1.0, v7, 1.0
	v_mul_f32_e32 v10, v9, v6
	v_fma_f32 v11, -v5, v10, v9
	v_fmac_f32_e32 v10, v11, v6
	v_fma_f32 v5, -v5, v10, v9
	v_div_fmas_f32 v5, v5, v6, v10
	v_mul_f32_e32 v9, 0, v8
	v_div_fixup_f32 v6, v5, v7, 1.0
	v_pk_add_f32 v[8:9], v[8:9], s[20:21]
	s_nop 0
	v_pk_mul_f32 v[8:9], v[8:9], v[6:7] op_sel_hi:[1,0]
                                        ; implicit-def: $vgpr6_vgpr7
.LBB146_10:
	s_andn2_saveexec_b64 s[18:19], s[18:19]
	s_cbranch_execz .LBB146_12
; %bb.11:
	v_div_scale_f32 v5, s[20:21], v6, v6, v7
	v_rcp_f32_e32 v8, v5
	v_div_scale_f32 v9, vcc, v7, v6, v7
	v_fma_f32 v10, -v5, v8, 1.0
	v_fmac_f32_e32 v8, v10, v8
	v_mul_f32_e32 v10, v9, v8
	v_fma_f32 v11, -v5, v10, v9
	v_fmac_f32_e32 v10, v11, v8
	v_fma_f32 v5, -v5, v10, v9
	v_div_fmas_f32 v5, v5, v8, v10
	v_div_fixup_f32 v5, v5, v6, v7
	v_fmac_f32_e32 v6, v7, v5
	v_div_scale_f32 v7, s[20:21], v6, v6, 1.0
	v_rcp_f32_e32 v8, v7
	s_nop 0
	v_fma_f32 v9, -v7, v8, 1.0
	v_fmac_f32_e32 v8, v9, v8
	v_div_scale_f32 v9, vcc, 1.0, v6, 1.0
	v_mul_f32_e32 v10, v9, v8
	v_fma_f32 v11, -v7, v10, v9
	v_fmac_f32_e32 v10, v11, v8
	v_fma_f32 v7, -v7, v10, v9
	v_div_fmas_f32 v7, v7, v8, v10
	v_div_fixup_f32 v6, v7, v6, 1.0
	v_mul_f32_e32 v7, 0, v5
	v_add_f32_e32 v8, 1.0, v7
	v_sub_f32_e32 v9, 0, v5
	v_pk_mul_f32 v[8:9], v[8:9], v[6:7] op_sel_hi:[1,0]
.LBB146_12:
	s_or_b64 exec, exec, s[18:19]
	s_mov_b64 s[18:19], 0
	ds_write_b64 v3, v[8:9]
.LBB146_13:
	s_and_b64 vcc, exec, s[18:19]
	s_cbranch_vccz .LBB146_15
; %bb.14:
	v_add_u32_e32 v1, v4, v1
	v_mov_b32_e32 v4, 1.0
	v_mov_b32_e32 v5, 0
	ds_write_b64 v1, v[4:5]
.LBB146_15:
	s_or_b64 exec, exec, s[16:17]
	s_mul_i32 s9, s4, -12
	s_waitcnt lgkmcnt(0)
	s_add_i32 s5, s5, -1
	s_add_i32 s9, s11, s9
	s_cmp_ge_u32 s4, s5
	s_cselect_b32 s5, s9, 12
	v_cmp_gt_i32_e32 vcc, s5, v2
	; wave barrier
	s_and_saveexec_b64 s[10:11], vcc
	s_cbranch_execz .LBB146_83
; %bb.16:
	s_load_dwordx2 s[10:11], s[0:1], 0x4
	s_load_dword s9, s[2:3], 0x50
	v_bfe_u32 v1, v0, 10, 10
	v_bfe_u32 v0, v0, 20, 10
	s_lshl_b64 s[2:3], s[14:15], 3
	s_waitcnt lgkmcnt(0)
	s_lshr_b32 s0, s10, 16
	s_mul_i32 s0, s0, s11
	v_mul_u32_u24_e32 v1, s11, v1
	v_mul_u32_u24_e32 v3, s0, v2
	v_add3_u32 v15, v3, v1, v0
	s_movk_i32 s0, 0x60
	v_mul_lo_u32 v6, v15, s0
	s_add_u32 s0, s12, s2
	v_mad_u64_u32 v[0:1], s[4:5], s4, 12, v[2:3]
	s_addc_u32 s1, s13, s3
	v_mad_i64_i32 v[2:3], s[4:5], s9, v0, 0
	v_add_u32_e32 v14, 0x480, v6
	v_lshl_add_u64 v[0:1], v[2:3], 3, s[0:1]
	s_cmpk_eq_i32 s8, 0x6f
	s_mov_b64 s[0:1], -1
	s_cbranch_scc1 .LBB146_50
; %bb.17:
	s_add_i32 s31, s30, -1
	s_add_u32 s0, s12, s2
	s_addc_u32 s1, s13, s3
	s_lshl_b32 s33, s30, 3
	s_mov_b32 s15, 0
	s_mov_b32 s4, s6
	;; [unrolled: 1-line block ×7, first 2 shown]
	v_lshl_add_u64 v[4:5], v[2:3], 3, s[0:1]
	v_add_u32_e32 v16, 0x480, v6
	s_add_i32 s33, s33, -8
	s_mov_b32 s16, s15
	s_mov_b32 s18, s31
	s_branch .LBB146_19
.LBB146_18:                             ;   in Loop: Header=BB146_19 Depth=1
	s_cmp_lt_i32 s18, 0
	s_cselect_b64 s[0:1], -1, 0
	s_add_i32 s16, s16, 1
	s_cmp_eq_u32 s16, 3
	s_cselect_b64 s[20:21], -1, 0
	s_or_b64 s[0:1], s[0:1], s[20:21]
	s_andn2_b64 vcc, exec, s[0:1]
	s_cbranch_vccz .LBB146_49
.LBB146_19:                             ; =>This Loop Header: Depth=1
                                        ;     Child Loop BB146_22 Depth 2
                                        ;       Child Loop BB146_24 Depth 3
                                        ;       Child Loop BB146_28 Depth 3
                                        ;       Child Loop BB146_32 Depth 3
                                        ;         Child Loop BB146_34 Depth 4
                                        ;         Child Loop BB146_40 Depth 4
                                        ;       Child Loop BB146_43 Depth 3
                                        ;         Child Loop BB146_45 Depth 4
	s_mov_b32 s17, s15
	s_lshl_b64 s[0:1], s[16:17], 2
	s_getpc_b64 s[20:21]
	s_add_u32 s20, s20, __const._ZL30rocblas_trsm_small_left_deviceILi12ELi12ELb1E19rocblas_complex_numIfES1_PKPKS1_PKPS1_Ev13rocblas_fill_18rocblas_operation_17rocblas_diagonal_iiT3_T4_lilT5_lili.step_sizes@rel32@lo+4
	s_addc_u32 s21, s21, __const._ZL30rocblas_trsm_small_left_deviceILi12ELi12ELb1E19rocblas_complex_numIfES1_PKPKS1_PKPS1_Ev13rocblas_fill_18rocblas_operation_17rocblas_diagonal_iiT3_T4_lilT5_lili.step_sizes@rel32@hi+12
	s_add_u32 s0, s20, s0
	s_addc_u32 s1, s21, s1
	s_load_dword s17, s[0:1], 0x0
	s_waitcnt lgkmcnt(0)
	s_add_i32 s34, s17, -1
	s_cmp_lt_i32 s18, s34
	s_cbranch_scc1 .LBB146_18
; %bb.20:                               ;   in Loop: Header=BB146_19 Depth=1
	s_max_i32 s35, s17, 1
	s_cmp_lg_u32 s16, 2
	s_cselect_b64 s[20:21], -1, 0
	s_and_b32 s36, s35, 0x7ffffffe
	s_cmp_lg_u32 s35, s36
	s_mul_i32 s0, s18, 0x60
	v_cndmask_b32_e64 v6, 0, 1, s[20:21]
	s_cselect_b64 s[22:23], -1, 0
	s_add_i32 s37, s33, s0
	s_mul_i32 s38, s17, 0xffffffa0
	s_mul_i32 s39, s18, 0x68
	;; [unrolled: 1-line block ×3, first 2 shown]
	v_cmp_ne_u32_e64 s[0:1], 1, v6
	s_branch .LBB146_22
.LBB146_21:                             ;   in Loop: Header=BB146_22 Depth=2
	s_sub_i32 s18, s18, s17
	s_add_i32 s37, s37, s38
	s_add_i32 s39, s39, s40
	s_cmp_lt_i32 s18, s34
	s_cbranch_scc1 .LBB146_18
.LBB146_22:                             ;   Parent Loop BB146_19 Depth=1
                                        ; =>  This Loop Header: Depth=2
                                        ;       Child Loop BB146_24 Depth 3
                                        ;       Child Loop BB146_28 Depth 3
	;; [unrolled: 1-line block ×3, first 2 shown]
                                        ;         Child Loop BB146_34 Depth 4
                                        ;         Child Loop BB146_40 Depth 4
                                        ;       Child Loop BB146_43 Depth 3
                                        ;         Child Loop BB146_45 Depth 4
	s_and_b64 vcc, exec, s[0:1]
	s_cbranch_vccnz .LBB146_26
; %bb.23:                               ;   in Loop: Header=BB146_22 Depth=2
	s_mov_b32 s19, s18
	s_mov_b32 s26, 1
	;; [unrolled: 1-line block ×4, first 2 shown]
	v_mov_b32_e32 v6, v14
.LBB146_24:                             ;   Parent Loop BB146_19 Depth=1
                                        ;     Parent Loop BB146_22 Depth=2
                                        ; =>    This Inner Loop Header: Depth=3
	s_sub_i32 s24, s18, s27
	s_sub_i32 s42, s19, s26
	s_ashr_i32 s25, s24, 31
	s_ashr_i32 s43, s42, 31
	v_lshl_add_u64 v[8:9], s[24:25], 3, v[0:1]
	v_lshl_add_u64 v[10:11], s[42:43], 3, v[0:1]
	flat_load_dwordx2 v[18:19], v[8:9]
	flat_load_dwordx2 v[12:13], v[10:11]
	s_add_i32 s27, s27, 2
	s_add_i32 s26, s26, 2
	s_add_i32 s28, s28, -2
	s_mov_b32 s14, s36
	s_mov_b64 s[24:25], s[22:23]
	s_cmp_lg_u32 s28, 0
	s_waitcnt vmcnt(0) lgkmcnt(0)
	v_mov_b32_e32 v8, v18
	v_mov_b32_e32 v9, v12
	;; [unrolled: 1-line block ×3, first 2 shown]
	v_pk_mul_f32 v[10:11], v[12:13], s[8:9]
	v_pk_mul_f32 v[12:13], v[12:13], s[4:5]
	v_pk_fma_f32 v[18:19], v[8:9], s[4:5], v[10:11] neg_lo:[0,0,1] neg_hi:[0,0,1]
	v_pk_fma_f32 v[10:11], v[8:9], s[8:9], v[12:13]
	v_mov_b32_e32 v8, v18
	v_mov_b32_e32 v9, v10
	;; [unrolled: 1-line block ×3, first 2 shown]
	ds_write_b128 v6, v[8:11]
	v_add_u32_e32 v6, 16, v6
	s_cbranch_scc1 .LBB146_24
; %bb.25:                               ;   in Loop: Header=BB146_22 Depth=2
	s_ashr_i32 s19, s18, 31
	s_and_b64 vcc, exec, s[24:25]
	s_cbranch_vccnz .LBB146_27
	s_branch .LBB146_29
.LBB146_26:                             ;   in Loop: Header=BB146_22 Depth=2
	s_mov_b32 s14, 0
	s_ashr_i32 s19, s18, 31
	s_cbranch_execz .LBB146_29
.LBB146_27:                             ;   in Loop: Header=BB146_22 Depth=2
	s_lshl_b64 s[26:27], s[18:19], 3
	s_sub_i32 s24, s35, s14
	s_lshl_b64 s[28:29], s[14:15], 3
	s_sub_u32 s26, s26, s28
	s_subb_u32 s27, s27, s29
	v_lshl_add_u64 v[6:7], v[4:5], 0, s[26:27]
	v_lshl_add_u32 v8, s14, 3, v16
.LBB146_28:                             ;   Parent Loop BB146_19 Depth=1
                                        ;     Parent Loop BB146_22 Depth=2
                                        ; =>    This Inner Loop Header: Depth=3
	flat_load_dwordx2 v[10:11], v[6:7]
	s_add_i32 s24, s24, -1
	v_lshl_add_u64 v[6:7], v[6:7], 0, -8
	s_cmp_eq_u32 s24, 0
	s_waitcnt vmcnt(0) lgkmcnt(0)
	v_pk_mul_f32 v[12:13], v[10:11], s[10:11] op_sel:[1,0]
	s_nop 0
	v_pk_fma_f32 v[18:19], v[10:11], s[6:7], v[12:13] neg_lo:[0,0,1] neg_hi:[0,0,1]
	v_pk_fma_f32 v[10:11], v[10:11], s[6:7], v[12:13] op_sel_hi:[0,1,1]
	v_mov_b32_e32 v19, v11
	ds_write_b64 v8, v[18:19]
	v_add_u32_e32 v8, 8, v8
	s_cbranch_scc0 .LBB146_28
.LBB146_29:                             ;   in Loop: Header=BB146_22 Depth=2
	s_cmp_le_i32 s31, s18
	s_cbranch_scc1 .LBB146_41
; %bb.30:                               ;   in Loop: Header=BB146_22 Depth=2
	s_mov_b32 s14, s18
	s_mov_b32 s41, s18
	;; [unrolled: 1-line block ×4, first 2 shown]
	s_branch .LBB146_32
.LBB146_31:                             ;   in Loop: Header=BB146_32 Depth=3
	s_add_i32 s24, s24, -1
	s_add_i32 s42, s42, -8
	s_cmp_le_i32 s24, s18
	s_cbranch_scc1 .LBB146_41
.LBB146_32:                             ;   Parent Loop BB146_19 Depth=1
                                        ;     Parent Loop BB146_22 Depth=2
                                        ; =>    This Loop Header: Depth=3
                                        ;         Child Loop BB146_34 Depth 4
                                        ;         Child Loop BB146_40 Depth 4
	s_ashr_i32 s25, s24, 31
	v_lshl_add_u64 v[6:7], s[24:25], 3, v[0:1]
	flat_load_dwordx2 v[6:7], v[6:7]
	s_and_b64 vcc, exec, s[20:21]
	s_cbranch_vccz .LBB146_36
; %bb.33:                               ;   in Loop: Header=BB146_32 Depth=3
	s_lshl_b32 s25, s24, 3
	s_waitcnt vmcnt(0) lgkmcnt(0)
	v_mov_b32_e32 v10, v6
	v_mov_b32_e32 v11, v6
	;; [unrolled: 1-line block ×5, first 2 shown]
	s_mov_b32 s26, 1
	s_mov_b32 s27, 0
	s_mov_b32 s28, s36
	v_mov_b32_e32 v9, v14
.LBB146_34:                             ;   Parent Loop BB146_19 Depth=1
                                        ;     Parent Loop BB146_22 Depth=2
                                        ;       Parent Loop BB146_32 Depth=3
                                        ; =>      This Inner Loop Header: Depth=4
	s_sub_i32 s29, s14, s27
	s_sub_i32 s43, s41, s26
	s_mulk_i32 s43, 0x60
	s_mulk_i32 s29, 0x60
	s_add_i32 s29, s25, s29
	s_add_i32 s43, s25, s43
	v_mov_b32_e32 v17, s29
	v_mov_b32_e32 v22, s43
	ds_read_b128 v[18:21], v9
	ds_read_b64 v[26:27], v17
	ds_read_b64 v[22:23], v22
	s_add_i32 s27, s27, 2
	s_add_i32 s26, s26, 2
	s_add_i32 s28, s28, -2
	s_waitcnt lgkmcnt(2)
	v_mov_b32_e32 v25, v20
	v_mov_b32_e32 v20, v19
	s_waitcnt lgkmcnt(0)
	v_mov_b32_e32 v19, v22
	v_mov_b32_e32 v22, v27
	;; [unrolled: 1-line block ×4, first 2 shown]
	v_pk_mul_f32 v[26:27], v[22:23], v[12:13]
	v_pk_mul_f32 v[22:23], v[22:23], v[10:11]
	v_pk_fma_f32 v[26:27], v[18:19], v[10:11], v[26:27] neg_lo:[0,0,1] neg_hi:[0,0,1]
	v_pk_fma_f32 v[18:19], v[18:19], v[12:13], v[22:23]
	v_pk_add_f32 v[22:23], v[24:25], v[26:27] neg_lo:[0,1] neg_hi:[0,1]
	v_pk_add_f32 v[20:21], v[20:21], v[18:19] neg_lo:[0,1] neg_hi:[0,1]
	v_mov_b32_e32 v18, v22
	v_mov_b32_e32 v19, v20
	;; [unrolled: 1-line block ×3, first 2 shown]
	s_cmp_lg_u32 s28, 0
	ds_write_b128 v9, v[18:21]
	v_add_u32_e32 v9, 16, v9
	s_cbranch_scc1 .LBB146_34
; %bb.35:                               ;   in Loop: Header=BB146_32 Depth=3
	s_mov_b64 s[26:27], s[22:23]
	s_mov_b32 s28, s36
	s_branch .LBB146_38
.LBB146_36:                             ;   in Loop: Header=BB146_32 Depth=3
	s_waitcnt vmcnt(0) lgkmcnt(0)
	v_mov_b32_e32 v8, v7
	s_mov_b64 s[26:27], 0
	s_mov_b32 s28, s36
	s_cbranch_execz .LBB146_38
; %bb.37:                               ;   in Loop: Header=BB146_32 Depth=3
	s_mov_b64 s[26:27], -1
	s_mov_b32 s28, 0
.LBB146_38:                             ;   in Loop: Header=BB146_32 Depth=3
	s_andn2_b64 vcc, exec, s[26:27]
	s_cbranch_vccnz .LBB146_31
; %bb.39:                               ;   in Loop: Header=BB146_32 Depth=3
	s_mul_i32 s26, s28, 0xffffffa0
	v_mov_b32_e32 v9, v7
	v_mov_b32_e32 v7, v6
	s_sub_i32 s25, s35, s28
	s_add_i32 s26, s42, s26
	v_lshl_add_u32 v10, s28, 3, v16
.LBB146_40:                             ;   Parent Loop BB146_19 Depth=1
                                        ;     Parent Loop BB146_22 Depth=2
                                        ;       Parent Loop BB146_32 Depth=3
                                        ; =>      This Inner Loop Header: Depth=4
	v_mov_b32_e32 v11, s26
	ds_read_b64 v[18:19], v11
	ds_read_b64 v[12:13], v10
	s_add_i32 s25, s25, -1
	s_addk_i32 s26, 0xffa0
	s_cmp_eq_u32 s25, 0
	s_waitcnt lgkmcnt(1)
	v_pk_mul_f32 v[20:21], v[18:19], v[8:9] op_sel:[1,0] op_sel_hi:[0,1]
	v_pk_fma_f32 v[22:23], v[18:19], v[6:7], v[20:21] neg_lo:[0,0,1] neg_hi:[0,0,1]
	v_pk_fma_f32 v[18:19], v[18:19], v[6:7], v[20:21]
	s_nop 0
	v_mov_b32_e32 v23, v19
	s_waitcnt lgkmcnt(0)
	v_pk_add_f32 v[12:13], v[12:13], v[22:23] neg_lo:[0,1] neg_hi:[0,1]
	ds_write_b64 v10, v[12:13]
	v_add_u32_e32 v10, 8, v10
	s_cbranch_scc0 .LBB146_40
	s_branch .LBB146_31
.LBB146_41:                             ;   in Loop: Header=BB146_22 Depth=2
	s_mov_b32 s14, 0
	s_mov_b32 s41, s39
	s_branch .LBB146_43
.LBB146_42:                             ;   in Loop: Header=BB146_43 Depth=3
	s_mulk_i32 s26, 0x68
	v_mov_b32_e32 v7, s26
	ds_read_b64 v[10:11], v7
	s_add_i32 s14, s14, 1
	s_addk_i32 s41, 0xffa0
	v_lshl_add_u64 v[12:13], s[24:25], 3, v[0:1]
	s_cmp_eq_u32 s14, s35
	s_waitcnt lgkmcnt(0)
	v_pk_mul_f32 v[18:19], v[10:11], v[8:9] op_sel:[1,0] op_sel_hi:[0,0]
	v_pk_fma_f32 v[20:21], v[10:11], v[6:7], v[18:19] neg_lo:[0,0,1] neg_hi:[0,0,1]
	v_pk_fma_f32 v[6:7], v[10:11], v[6:7], v[18:19] op_sel_hi:[1,0,1]
	s_nop 0
	v_mov_b32_e32 v21, v7
	ds_write_b64 v9, v[20:21]
	flat_store_dwordx2 v[12:13], v[20:21]
	s_cbranch_scc1 .LBB146_21
.LBB146_43:                             ;   Parent Loop BB146_19 Depth=1
                                        ;     Parent Loop BB146_22 Depth=2
                                        ; =>    This Loop Header: Depth=3
                                        ;         Child Loop BB146_45 Depth 4
	s_cmp_lg_u32 s14, 0
	v_lshl_add_u32 v9, s14, 3, v14
	s_cbranch_scc0 .LBB146_47
; %bb.44:                               ;   in Loop: Header=BB146_43 Depth=3
	ds_read_b64 v[6:7], v9
	v_mov_b32_e32 v8, v14
	s_mov_b32 s24, s41
	s_mov_b32 s25, s14
.LBB146_45:                             ;   Parent Loop BB146_19 Depth=1
                                        ;     Parent Loop BB146_22 Depth=2
                                        ;       Parent Loop BB146_43 Depth=3
                                        ; =>      This Inner Loop Header: Depth=4
	v_mov_b32_e32 v12, s24
	ds_read_b64 v[10:11], v8
	ds_read_b64 v[12:13], v12
	s_add_i32 s25, s25, -1
	s_add_i32 s24, s24, -8
	v_add_u32_e32 v8, 8, v8
	s_cmp_eq_u32 s25, 0
	s_waitcnt lgkmcnt(0)
	v_pk_mul_f32 v[18:19], v[12:13], v[10:11] op_sel:[1,1] op_sel_hi:[0,1]
	v_pk_fma_f32 v[20:21], v[12:13], v[10:11], v[18:19] neg_lo:[0,0,1] neg_hi:[0,0,1]
	v_pk_fma_f32 v[10:11], v[12:13], v[10:11], v[18:19] op_sel_hi:[1,0,1]
	s_nop 0
	v_mov_b32_e32 v21, v11
	v_pk_add_f32 v[6:7], v[6:7], v[20:21] neg_lo:[0,1] neg_hi:[0,1]
	ds_write_b64 v9, v[6:7]
	s_cbranch_scc0 .LBB146_45
; %bb.46:                               ;   in Loop: Header=BB146_43 Depth=3
	s_sub_i32 s26, s18, s14
	s_ashr_i32 s27, s26, 31
	v_mov_b32_e32 v8, v7
	s_mov_b64 s[24:25], s[26:27]
	s_branch .LBB146_42
.LBB146_47:                             ;   in Loop: Header=BB146_43 Depth=3
                                        ; implicit-def: $vgpr6
                                        ; implicit-def: $vgpr8
                                        ; implicit-def: $sgpr26
                                        ; implicit-def: $sgpr24_sgpr25
	s_cbranch_execz .LBB146_42
; %bb.48:                               ;   in Loop: Header=BB146_43 Depth=3
	ds_read_b64 v[6:7], v14
	s_mov_b64 s[24:25], s[18:19]
	s_mov_b32 s26, s18
	s_waitcnt lgkmcnt(0)
	v_mov_b32_e32 v8, v7
	s_branch .LBB146_42
.LBB146_49:
	s_mov_b64 s[0:1], 0
.LBB146_50:
	s_and_b64 vcc, exec, s[0:1]
	s_cbranch_vccz .LBB146_83
; %bb.51:
	s_add_u32 s0, s12, s2
	s_addc_u32 s1, s13, s3
	v_lshl_add_u64 v[2:3], v[2:3], 3, s[0:1]
	s_movk_i32 s0, 0x60
	v_mul_lo_u32 v4, v15, s0
	s_mov_b32 s3, 0
	s_mov_b32 s4, s6
	;; [unrolled: 1-line block ×7, first 2 shown]
	v_add_u32_e32 v12, 0x480, v4
	s_mov_b32 s22, s3
	s_mov_b32 s12, s3
	s_branch .LBB146_53
.LBB146_52:                             ;   in Loop: Header=BB146_53 Depth=1
	s_cmp_ge_i32 s22, s30
	s_cselect_b64 s[0:1], -1, 0
	s_add_i32 s12, s12, 1
	s_cmp_eq_u32 s12, 3
	s_cselect_b64 s[14:15], -1, 0
	s_or_b64 s[0:1], s[0:1], s[14:15]
	s_and_b64 vcc, exec, s[0:1]
	s_cbranch_vccnz .LBB146_83
.LBB146_53:                             ; =>This Loop Header: Depth=1
                                        ;     Child Loop BB146_56 Depth 2
                                        ;       Child Loop BB146_58 Depth 3
                                        ;       Child Loop BB146_62 Depth 3
	;; [unrolled: 1-line block ×3, first 2 shown]
                                        ;         Child Loop BB146_68 Depth 4
                                        ;         Child Loop BB146_74 Depth 4
                                        ;       Child Loop BB146_77 Depth 3
                                        ;         Child Loop BB146_79 Depth 4
	s_mov_b32 s13, s3
	s_lshl_b64 s[0:1], s[12:13], 2
	s_getpc_b64 s[14:15]
	s_add_u32 s14, s14, __const._ZL30rocblas_trsm_small_left_deviceILi12ELi12ELb1E19rocblas_complex_numIfES1_PKPKS1_PKPS1_Ev13rocblas_fill_18rocblas_operation_17rocblas_diagonal_iiT3_T4_lilT5_lili.step_sizes@rel32@lo+4
	s_addc_u32 s15, s15, __const._ZL30rocblas_trsm_small_left_deviceILi12ELi12ELb1E19rocblas_complex_numIfES1_PKPKS1_PKPS1_Ev13rocblas_fill_18rocblas_operation_17rocblas_diagonal_iiT3_T4_lilT5_lili.step_sizes@rel32@hi+12
	s_add_u32 s0, s14, s0
	s_addc_u32 s1, s15, s1
	s_load_dword s13, s[0:1], 0x0
	s_waitcnt lgkmcnt(0)
	s_add_i32 s23, s13, -1
	s_add_i32 s0, s23, s22
	s_cmp_ge_i32 s0, s30
	s_cbranch_scc1 .LBB146_52
; %bb.54:                               ;   in Loop: Header=BB146_53 Depth=1
	s_max_i32 s24, s13, 1
	s_cmp_lg_u32 s12, 2
	s_cselect_b64 s[14:15], -1, 0
	s_and_b32 s25, s24, 0x7ffffffe
	s_cmp_lg_u32 s24, s25
	v_cndmask_b32_e64 v4, 0, 1, s[14:15]
	s_cselect_b64 s[16:17], -1, 0
	s_ashr_i32 s26, s22, 31
	s_ashr_i32 s27, s13, 31
	s_lshl_b32 s28, s22, 3
	s_lshl_b32 s29, s13, 3
	s_mul_i32 s31, s22, 0x68
	s_mul_i32 s33, s13, 0x68
	v_cmp_ne_u32_e64 s[0:1], 1, v4
	s_branch .LBB146_56
.LBB146_55:                             ;   in Loop: Header=BB146_56 Depth=2
	s_add_u32 s22, s22, s13
	s_addc_u32 s26, s26, s27
	s_add_i32 s2, s23, s22
	s_add_i32 s28, s28, s29
	;; [unrolled: 1-line block ×3, first 2 shown]
	s_cmp_ge_i32 s2, s30
	s_cbranch_scc1 .LBB146_52
.LBB146_56:                             ;   Parent Loop BB146_53 Depth=1
                                        ; =>  This Loop Header: Depth=2
                                        ;       Child Loop BB146_58 Depth 3
                                        ;       Child Loop BB146_62 Depth 3
	;; [unrolled: 1-line block ×3, first 2 shown]
                                        ;         Child Loop BB146_68 Depth 4
                                        ;         Child Loop BB146_74 Depth 4
                                        ;       Child Loop BB146_77 Depth 3
                                        ;         Child Loop BB146_79 Depth 4
	s_and_b64 vcc, exec, s[0:1]
	s_cbranch_vccnz .LBB146_60
; %bb.57:                               ;   in Loop: Header=BB146_56 Depth=2
	s_mov_b32 s2, s22
	s_mov_b32 s20, s22
	;; [unrolled: 1-line block ×5, first 2 shown]
	v_mov_b32_e32 v4, v14
.LBB146_58:                             ;   Parent Loop BB146_53 Depth=1
                                        ;     Parent Loop BB146_56 Depth=2
                                        ; =>    This Inner Loop Header: Depth=3
	s_add_i32 s18, s34, s2
	s_add_i32 s36, s21, s20
	s_ashr_i32 s19, s18, 31
	s_ashr_i32 s37, s36, 31
	v_lshl_add_u64 v[6:7], s[18:19], 3, v[0:1]
	v_lshl_add_u64 v[8:9], s[36:37], 3, v[0:1]
	flat_load_dwordx2 v[16:17], v[6:7]
	flat_load_dwordx2 v[10:11], v[8:9]
	s_add_i32 s34, s34, 2
	s_add_i32 s21, s21, 2
	s_add_i32 s35, s35, -2
	s_mov_b32 s36, s25
	s_mov_b64 s[18:19], s[16:17]
	s_cmp_lg_u32 s35, 0
	s_waitcnt vmcnt(0) lgkmcnt(0)
	v_mov_b32_e32 v6, v16
	v_mov_b32_e32 v7, v10
	;; [unrolled: 1-line block ×3, first 2 shown]
	v_pk_mul_f32 v[8:9], v[10:11], s[8:9]
	v_pk_mul_f32 v[10:11], v[10:11], s[4:5]
	v_pk_fma_f32 v[16:17], v[6:7], s[4:5], v[8:9] neg_lo:[0,0,1] neg_hi:[0,0,1]
	v_pk_fma_f32 v[8:9], v[6:7], s[8:9], v[10:11]
	v_mov_b32_e32 v6, v16
	v_mov_b32_e32 v7, v8
	;; [unrolled: 1-line block ×3, first 2 shown]
	ds_write_b128 v4, v[6:9]
	v_add_u32_e32 v4, 16, v4
	s_cbranch_scc1 .LBB146_58
; %bb.59:                               ;   in Loop: Header=BB146_56 Depth=2
	s_and_b64 vcc, exec, s[18:19]
	s_cbranch_vccnz .LBB146_61
	s_branch .LBB146_63
.LBB146_60:                             ;   in Loop: Header=BB146_56 Depth=2
	s_mov_b32 s36, 0
	s_cbranch_execz .LBB146_63
.LBB146_61:                             ;   in Loop: Header=BB146_56 Depth=2
	s_sub_i32 s2, s24, s36
	s_add_u32 s18, s22, s36
	s_addc_u32 s19, s26, 0
	v_lshl_add_u64 v[4:5], s[18:19], 3, v[2:3]
	v_lshl_add_u32 v6, s36, 3, v12
.LBB146_62:                             ;   Parent Loop BB146_53 Depth=1
                                        ;     Parent Loop BB146_56 Depth=2
                                        ; =>    This Inner Loop Header: Depth=3
	flat_load_dwordx2 v[8:9], v[4:5]
	s_add_i32 s2, s2, -1
	v_lshl_add_u64 v[4:5], v[4:5], 0, 8
	s_cmp_eq_u32 s2, 0
	s_waitcnt vmcnt(0) lgkmcnt(0)
	v_pk_mul_f32 v[10:11], v[8:9], s[10:11] op_sel:[1,0]
	s_nop 0
	v_pk_fma_f32 v[16:17], v[8:9], s[6:7], v[10:11] neg_lo:[0,0,1] neg_hi:[0,0,1]
	v_pk_fma_f32 v[8:9], v[8:9], s[6:7], v[10:11] op_sel_hi:[0,1,1]
	v_mov_b32_e32 v17, v9
	ds_write_b64 v6, v[16:17]
	v_add_u32_e32 v6, 8, v6
	s_cbranch_scc0 .LBB146_62
.LBB146_63:                             ;   in Loop: Header=BB146_56 Depth=2
	s_cmp_lt_i32 s22, 1
	s_cbranch_scc1 .LBB146_75
; %bb.64:                               ;   in Loop: Header=BB146_56 Depth=2
	s_mov_b32 s2, 0
	s_mov_b32 s34, s28
	s_branch .LBB146_66
.LBB146_65:                             ;   in Loop: Header=BB146_66 Depth=3
	s_add_i32 s2, s2, 1
	s_addk_i32 s34, 0x60
	s_cmp_eq_u32 s2, s22
	s_cbranch_scc1 .LBB146_75
.LBB146_66:                             ;   Parent Loop BB146_53 Depth=1
                                        ;     Parent Loop BB146_56 Depth=2
                                        ; =>    This Loop Header: Depth=3
                                        ;         Child Loop BB146_68 Depth 4
                                        ;         Child Loop BB146_74 Depth 4
	v_lshl_add_u64 v[4:5], s[2:3], 3, v[0:1]
	flat_load_dwordx2 v[4:5], v[4:5]
	s_and_b64 vcc, exec, s[14:15]
	s_cbranch_vccz .LBB146_70
; %bb.67:                               ;   in Loop: Header=BB146_66 Depth=3
	s_waitcnt vmcnt(0) lgkmcnt(0)
	v_mov_b32_e32 v8, v4
	v_mov_b32_e32 v9, v4
	;; [unrolled: 1-line block ×5, first 2 shown]
	s_mov_b32 s18, s25
	v_mov_b32_e32 v7, v14
	s_mov_b32 s19, s34
.LBB146_68:                             ;   Parent Loop BB146_53 Depth=1
                                        ;     Parent Loop BB146_56 Depth=2
                                        ;       Parent Loop BB146_66 Depth=3
                                        ; =>      This Inner Loop Header: Depth=4
	v_mov_b32_e32 v13, s19
	ds_read_b128 v[16:19], v7
	ds_read2_b64 v[20:23], v13 offset1:1
	s_add_i32 s19, s19, 16
	s_add_i32 s18, s18, -2
	s_cmp_lg_u32 s18, 0
	s_waitcnt lgkmcnt(1)
	v_mov_b32_e32 v25, v18
	v_mov_b32_e32 v18, v17
	s_waitcnt lgkmcnt(0)
	v_mov_b32_e32 v17, v22
	v_mov_b32_e32 v22, v21
	;; [unrolled: 1-line block ×4, first 2 shown]
	v_pk_mul_f32 v[20:21], v[22:23], v[10:11]
	v_pk_mul_f32 v[22:23], v[22:23], v[8:9]
	v_pk_fma_f32 v[20:21], v[16:17], v[8:9], v[20:21] neg_lo:[0,0,1] neg_hi:[0,0,1]
	v_pk_fma_f32 v[16:17], v[16:17], v[10:11], v[22:23]
	v_pk_add_f32 v[20:21], v[24:25], v[20:21] neg_lo:[0,1] neg_hi:[0,1]
	v_pk_add_f32 v[18:19], v[18:19], v[16:17] neg_lo:[0,1] neg_hi:[0,1]
	v_mov_b32_e32 v16, v20
	v_mov_b32_e32 v17, v18
	;; [unrolled: 1-line block ×3, first 2 shown]
	ds_write_b128 v7, v[16:19]
	v_add_u32_e32 v7, 16, v7
	s_cbranch_scc1 .LBB146_68
; %bb.69:                               ;   in Loop: Header=BB146_66 Depth=3
	s_mov_b64 s[18:19], s[16:17]
	s_mov_b32 s20, s25
	s_branch .LBB146_72
.LBB146_70:                             ;   in Loop: Header=BB146_66 Depth=3
	s_waitcnt vmcnt(0) lgkmcnt(0)
	v_mov_b32_e32 v6, v5
	s_mov_b64 s[18:19], 0
	s_mov_b32 s20, s25
	s_cbranch_execz .LBB146_72
; %bb.71:                               ;   in Loop: Header=BB146_66 Depth=3
	s_mov_b64 s[18:19], -1
	s_mov_b32 s20, 0
.LBB146_72:                             ;   in Loop: Header=BB146_66 Depth=3
	s_andn2_b64 vcc, exec, s[18:19]
	s_cbranch_vccnz .LBB146_65
; %bb.73:                               ;   in Loop: Header=BB146_66 Depth=3
	v_mov_b32_e32 v7, v5
	v_mov_b32_e32 v5, v4
	s_sub_i32 s18, s24, s20
	s_lshl_b32 s19, s20, 3
.LBB146_74:                             ;   Parent Loop BB146_53 Depth=1
                                        ;     Parent Loop BB146_56 Depth=2
                                        ;       Parent Loop BB146_66 Depth=3
                                        ; =>      This Inner Loop Header: Depth=4
	s_add_i32 s20, s34, s19
	v_mov_b32_e32 v8, s20
	ds_read_b64 v[8:9], v8
	v_add_u32_e32 v13, s19, v14
	ds_read_b64 v[10:11], v13
	s_add_i32 s18, s18, -1
	s_add_i32 s19, s19, 8
	s_waitcnt lgkmcnt(1)
	v_pk_mul_f32 v[16:17], v[8:9], v[6:7] op_sel:[1,0] op_sel_hi:[0,1]
	v_pk_fma_f32 v[18:19], v[8:9], v[4:5], v[16:17] neg_lo:[0,0,1] neg_hi:[0,0,1]
	v_pk_fma_f32 v[8:9], v[8:9], v[4:5], v[16:17]
	s_cmp_eq_u32 s18, 0
	v_mov_b32_e32 v19, v9
	s_waitcnt lgkmcnt(0)
	v_pk_add_f32 v[8:9], v[10:11], v[18:19] neg_lo:[0,1] neg_hi:[0,1]
	ds_write_b64 v13, v[8:9]
	s_cbranch_scc0 .LBB146_74
	s_branch .LBB146_65
.LBB146_75:                             ;   in Loop: Header=BB146_56 Depth=2
	s_mov_b32 s2, 0
	s_mov_b32 s20, s31
	s_branch .LBB146_77
.LBB146_76:                             ;   in Loop: Header=BB146_77 Depth=3
	s_add_i32 s18, s2, s22
	s_mul_i32 s19, s18, 0x68
	v_mov_b32_e32 v5, s19
	ds_read_b64 v[8:9], v5
	s_add_i32 s2, s2, 1
	s_ashr_i32 s19, s18, 31
	s_add_i32 s20, s20, 8
	v_lshl_add_u64 v[10:11], s[18:19], 3, v[0:1]
	s_waitcnt lgkmcnt(0)
	v_pk_mul_f32 v[16:17], v[8:9], v[6:7] op_sel:[1,0] op_sel_hi:[0,0]
	v_pk_fma_f32 v[18:19], v[8:9], v[4:5], v[16:17] neg_lo:[0,0,1] neg_hi:[0,0,1]
	v_pk_fma_f32 v[4:5], v[8:9], v[4:5], v[16:17] op_sel_hi:[1,0,1]
	s_cmp_eq_u32 s2, s24
	v_mov_b32_e32 v19, v5
	ds_write_b64 v7, v[18:19]
	flat_store_dwordx2 v[10:11], v[18:19]
	s_cbranch_scc1 .LBB146_55
.LBB146_77:                             ;   Parent Loop BB146_53 Depth=1
                                        ;     Parent Loop BB146_56 Depth=2
                                        ; =>    This Loop Header: Depth=3
                                        ;         Child Loop BB146_79 Depth 4
	s_cmp_lg_u32 s2, 0
	v_lshl_add_u32 v7, s2, 3, v14
	s_cbranch_scc0 .LBB146_81
; %bb.78:                               ;   in Loop: Header=BB146_77 Depth=3
	ds_read_b64 v[4:5], v7
	v_mov_b32_e32 v6, v14
	s_mov_b32 s18, s20
	s_mov_b32 s19, s2
.LBB146_79:                             ;   Parent Loop BB146_53 Depth=1
                                        ;     Parent Loop BB146_56 Depth=2
                                        ;       Parent Loop BB146_77 Depth=3
                                        ; =>      This Inner Loop Header: Depth=4
	v_mov_b32_e32 v10, s18
	ds_read_b64 v[8:9], v6
	ds_read_b64 v[10:11], v10
	s_add_i32 s19, s19, -1
	s_addk_i32 s18, 0x60
	v_add_u32_e32 v6, 8, v6
	s_cmp_eq_u32 s19, 0
	s_waitcnt lgkmcnt(0)
	v_pk_mul_f32 v[16:17], v[10:11], v[8:9] op_sel:[1,1] op_sel_hi:[0,1]
	v_pk_fma_f32 v[18:19], v[10:11], v[8:9], v[16:17] neg_lo:[0,0,1] neg_hi:[0,0,1]
	v_pk_fma_f32 v[8:9], v[10:11], v[8:9], v[16:17] op_sel_hi:[1,0,1]
	s_nop 0
	v_mov_b32_e32 v19, v9
	v_pk_add_f32 v[4:5], v[4:5], v[18:19] neg_lo:[0,1] neg_hi:[0,1]
	ds_write_b64 v7, v[4:5]
	s_cbranch_scc0 .LBB146_79
; %bb.80:                               ;   in Loop: Header=BB146_77 Depth=3
	v_mov_b32_e32 v6, v5
	s_branch .LBB146_76
.LBB146_81:                             ;   in Loop: Header=BB146_77 Depth=3
                                        ; implicit-def: $vgpr4
                                        ; implicit-def: $vgpr6
	s_cbranch_execz .LBB146_76
; %bb.82:                               ;   in Loop: Header=BB146_77 Depth=3
	ds_read_b64 v[4:5], v14
	s_waitcnt lgkmcnt(0)
	v_mov_b32_e32 v6, v5
	s_branch .LBB146_76
.LBB146_83:
	s_endpgm
	.section	.rodata,"a",@progbits
	.p2align	6, 0x0
	.amdhsa_kernel _ZL30rocblas_trsm_small_left_deviceILi12ELi12ELb1E19rocblas_complex_numIfES1_PKPKS1_PKPS1_Ev13rocblas_fill_18rocblas_operation_17rocblas_diagonal_iiT3_T4_lilT5_lili
		.amdhsa_group_segment_fixed_size 2304
		.amdhsa_private_segment_fixed_size 0
		.amdhsa_kernarg_size 360
		.amdhsa_user_sgpr_count 4
		.amdhsa_user_sgpr_dispatch_ptr 1
		.amdhsa_user_sgpr_queue_ptr 0
		.amdhsa_user_sgpr_kernarg_segment_ptr 1
		.amdhsa_user_sgpr_dispatch_id 0
		.amdhsa_user_sgpr_kernarg_preload_length 0
		.amdhsa_user_sgpr_kernarg_preload_offset 0
		.amdhsa_user_sgpr_private_segment_size 0
		.amdhsa_uses_dynamic_stack 0
		.amdhsa_enable_private_segment 0
		.amdhsa_system_sgpr_workgroup_id_x 1
		.amdhsa_system_sgpr_workgroup_id_y 0
		.amdhsa_system_sgpr_workgroup_id_z 1
		.amdhsa_system_sgpr_workgroup_info 0
		.amdhsa_system_vgpr_workitem_id 2
		.amdhsa_next_free_vgpr 28
		.amdhsa_next_free_sgpr 44
		.amdhsa_accum_offset 28
		.amdhsa_reserve_vcc 1
		.amdhsa_float_round_mode_32 0
		.amdhsa_float_round_mode_16_64 0
		.amdhsa_float_denorm_mode_32 3
		.amdhsa_float_denorm_mode_16_64 3
		.amdhsa_dx10_clamp 1
		.amdhsa_ieee_mode 1
		.amdhsa_fp16_overflow 0
		.amdhsa_tg_split 0
		.amdhsa_exception_fp_ieee_invalid_op 0
		.amdhsa_exception_fp_denorm_src 0
		.amdhsa_exception_fp_ieee_div_zero 0
		.amdhsa_exception_fp_ieee_overflow 0
		.amdhsa_exception_fp_ieee_underflow 0
		.amdhsa_exception_fp_ieee_inexact 0
		.amdhsa_exception_int_div_zero 0
	.end_amdhsa_kernel
	.section	.text._ZL30rocblas_trsm_small_left_deviceILi12ELi12ELb1E19rocblas_complex_numIfES1_PKPKS1_PKPS1_Ev13rocblas_fill_18rocblas_operation_17rocblas_diagonal_iiT3_T4_lilT5_lili,"axG",@progbits,_ZL30rocblas_trsm_small_left_deviceILi12ELi12ELb1E19rocblas_complex_numIfES1_PKPKS1_PKPS1_Ev13rocblas_fill_18rocblas_operation_17rocblas_diagonal_iiT3_T4_lilT5_lili,comdat
.Lfunc_end146:
	.size	_ZL30rocblas_trsm_small_left_deviceILi12ELi12ELb1E19rocblas_complex_numIfES1_PKPKS1_PKPS1_Ev13rocblas_fill_18rocblas_operation_17rocblas_diagonal_iiT3_T4_lilT5_lili, .Lfunc_end146-_ZL30rocblas_trsm_small_left_deviceILi12ELi12ELb1E19rocblas_complex_numIfES1_PKPKS1_PKPS1_Ev13rocblas_fill_18rocblas_operation_17rocblas_diagonal_iiT3_T4_lilT5_lili
                                        ; -- End function
	.set _ZL30rocblas_trsm_small_left_deviceILi12ELi12ELb1E19rocblas_complex_numIfES1_PKPKS1_PKPS1_Ev13rocblas_fill_18rocblas_operation_17rocblas_diagonal_iiT3_T4_lilT5_lili.num_vgpr, 28
	.set _ZL30rocblas_trsm_small_left_deviceILi12ELi12ELb1E19rocblas_complex_numIfES1_PKPKS1_PKPS1_Ev13rocblas_fill_18rocblas_operation_17rocblas_diagonal_iiT3_T4_lilT5_lili.num_agpr, 0
	.set _ZL30rocblas_trsm_small_left_deviceILi12ELi12ELb1E19rocblas_complex_numIfES1_PKPKS1_PKPS1_Ev13rocblas_fill_18rocblas_operation_17rocblas_diagonal_iiT3_T4_lilT5_lili.numbered_sgpr, 44
	.set _ZL30rocblas_trsm_small_left_deviceILi12ELi12ELb1E19rocblas_complex_numIfES1_PKPKS1_PKPS1_Ev13rocblas_fill_18rocblas_operation_17rocblas_diagonal_iiT3_T4_lilT5_lili.num_named_barrier, 0
	.set _ZL30rocblas_trsm_small_left_deviceILi12ELi12ELb1E19rocblas_complex_numIfES1_PKPKS1_PKPS1_Ev13rocblas_fill_18rocblas_operation_17rocblas_diagonal_iiT3_T4_lilT5_lili.private_seg_size, 0
	.set _ZL30rocblas_trsm_small_left_deviceILi12ELi12ELb1E19rocblas_complex_numIfES1_PKPKS1_PKPS1_Ev13rocblas_fill_18rocblas_operation_17rocblas_diagonal_iiT3_T4_lilT5_lili.uses_vcc, 1
	.set _ZL30rocblas_trsm_small_left_deviceILi12ELi12ELb1E19rocblas_complex_numIfES1_PKPKS1_PKPS1_Ev13rocblas_fill_18rocblas_operation_17rocblas_diagonal_iiT3_T4_lilT5_lili.uses_flat_scratch, 0
	.set _ZL30rocblas_trsm_small_left_deviceILi12ELi12ELb1E19rocblas_complex_numIfES1_PKPKS1_PKPS1_Ev13rocblas_fill_18rocblas_operation_17rocblas_diagonal_iiT3_T4_lilT5_lili.has_dyn_sized_stack, 0
	.set _ZL30rocblas_trsm_small_left_deviceILi12ELi12ELb1E19rocblas_complex_numIfES1_PKPKS1_PKPS1_Ev13rocblas_fill_18rocblas_operation_17rocblas_diagonal_iiT3_T4_lilT5_lili.has_recursion, 0
	.set _ZL30rocblas_trsm_small_left_deviceILi12ELi12ELb1E19rocblas_complex_numIfES1_PKPKS1_PKPS1_Ev13rocblas_fill_18rocblas_operation_17rocblas_diagonal_iiT3_T4_lilT5_lili.has_indirect_call, 0
	.section	.AMDGPU.csdata,"",@progbits
; Kernel info:
; codeLenInByte = 3536
; TotalNumSgprs: 50
; NumVgprs: 28
; NumAgprs: 0
; TotalNumVgprs: 28
; ScratchSize: 0
; MemoryBound: 0
; FloatMode: 240
; IeeeMode: 1
; LDSByteSize: 2304 bytes/workgroup (compile time only)
; SGPRBlocks: 6
; VGPRBlocks: 3
; NumSGPRsForWavesPerEU: 50
; NumVGPRsForWavesPerEU: 28
; AccumOffset: 28
; Occupancy: 8
; WaveLimiterHint : 1
; COMPUTE_PGM_RSRC2:SCRATCH_EN: 0
; COMPUTE_PGM_RSRC2:USER_SGPR: 4
; COMPUTE_PGM_RSRC2:TRAP_HANDLER: 0
; COMPUTE_PGM_RSRC2:TGID_X_EN: 1
; COMPUTE_PGM_RSRC2:TGID_Y_EN: 0
; COMPUTE_PGM_RSRC2:TGID_Z_EN: 1
; COMPUTE_PGM_RSRC2:TIDIG_COMP_CNT: 2
; COMPUTE_PGM_RSRC3_GFX90A:ACCUM_OFFSET: 6
; COMPUTE_PGM_RSRC3_GFX90A:TG_SPLIT: 0
	.section	.text._ZL31rocblas_trsm_small_right_deviceI19rocblas_complex_numIfES1_PKPKS1_PKPS1_Li12EEv13rocblas_fill_18rocblas_operation_17rocblas_diagonal_iiT0_T1_lilT2_lili,"axG",@progbits,_ZL31rocblas_trsm_small_right_deviceI19rocblas_complex_numIfES1_PKPKS1_PKPS1_Li12EEv13rocblas_fill_18rocblas_operation_17rocblas_diagonal_iiT0_T1_lilT2_lili,comdat
	.globl	_ZL31rocblas_trsm_small_right_deviceI19rocblas_complex_numIfES1_PKPKS1_PKPS1_Li12EEv13rocblas_fill_18rocblas_operation_17rocblas_diagonal_iiT0_T1_lilT2_lili ; -- Begin function _ZL31rocblas_trsm_small_right_deviceI19rocblas_complex_numIfES1_PKPKS1_PKPS1_Li12EEv13rocblas_fill_18rocblas_operation_17rocblas_diagonal_iiT0_T1_lilT2_lili
	.p2align	8
	.type	_ZL31rocblas_trsm_small_right_deviceI19rocblas_complex_numIfES1_PKPKS1_PKPS1_Li12EEv13rocblas_fill_18rocblas_operation_17rocblas_diagonal_iiT0_T1_lilT2_lili,@function
_ZL31rocblas_trsm_small_right_deviceI19rocblas_complex_numIfES1_PKPKS1_PKPS1_Li12EEv13rocblas_fill_18rocblas_operation_17rocblas_diagonal_iiT0_T1_lilT2_lili: ; @_ZL31rocblas_trsm_small_right_deviceI19rocblas_complex_numIfES1_PKPKS1_PKPS1_Li12EEv13rocblas_fill_18rocblas_operation_17rocblas_diagonal_iiT0_T1_lilT2_lili
; %bb.0:
	s_load_dwordx4 s[12:15], s[0:1], 0x40
	s_load_dwordx8 s[4:11], s[0:1], 0x0
	s_mov_b32 s16, s3
	s_mov_b32 s17, 0
	s_lshl_b64 s[20:21], s[16:17], 3
	s_waitcnt lgkmcnt(0)
	s_add_u32 s12, s12, s20
	s_addc_u32 s13, s13, s21
	s_load_dwordx2 s[12:13], s[12:13], 0x0
	s_min_i32 s26, s8, 12
	v_cmp_gt_i32_e32 vcc, s26, v0
	s_and_saveexec_b64 s[16:17], vcc
	s_cbranch_execz .LBB147_9
; %bb.1:
	s_load_dword s22, s[0:1], 0x30
	s_load_dwordx4 s[28:31], s[0:1], 0x20
	v_lshlrev_b32_e32 v2, 3, v0
	v_mov_b32_e32 v3, 0
	v_mov_b32_e32 v1, v2
	s_waitcnt lgkmcnt(0)
	s_ashr_i32 s23, s22, 31
	s_cmpk_lg_i32 s5, 0x71
	s_cselect_b64 s[18:19], -1, 0
	s_add_u32 s20, s28, s20
	s_addc_u32 s21, s29, s21
	s_load_dwordx2 s[20:21], s[20:21], 0x0
	s_lshl_b64 s[24:25], s[30:31], 3
	s_mov_b32 s3, s26
	s_waitcnt lgkmcnt(0)
	s_add_u32 s24, s20, s24
	s_addc_u32 s25, s21, s25
	s_lshl_b64 s[20:21], s[22:23], 3
	v_lshl_add_u64 v[4:5], s[24:25], 0, v[2:3]
	s_branch .LBB147_3
.LBB147_2:                              ;   in Loop: Header=BB147_3 Depth=1
	flat_load_dword v6, v[4:5]
	s_add_i32 s3, s3, -1
	v_lshl_add_u64 v[4:5], v[4:5], 0, s[20:21]
	s_cmp_eq_u32 s3, 0
	s_waitcnt vmcnt(0) lgkmcnt(0)
	ds_write_b64 v1, v[6:7]
	v_add_u32_e32 v1, 0x60, v1
	s_cbranch_scc1 .LBB147_7
.LBB147_3:                              ; =>This Inner Loop Header: Depth=1
	s_mov_b64 s[22:23], -1
	s_and_b64 vcc, exec, s[18:19]
                                        ; implicit-def: $vgpr7
	s_cbranch_vccz .LBB147_5
; %bb.4:                                ;   in Loop: Header=BB147_3 Depth=1
	flat_load_dword v7, v[4:5] offset:4
	s_mov_b64 s[22:23], 0
.LBB147_5:                              ;   in Loop: Header=BB147_3 Depth=1
	s_andn2_b64 vcc, exec, s[22:23]
	s_cbranch_vccnz .LBB147_2
; %bb.6:                                ;   in Loop: Header=BB147_3 Depth=1
	flat_load_dword v3, v[4:5] offset:4
	s_waitcnt vmcnt(0) lgkmcnt(0)
	v_xor_b32_e32 v7, 0x80000000, v3
	s_branch .LBB147_2
.LBB147_7:
	s_cmpk_eq_i32 s6, 0x84
	s_cbranch_scc0 .LBB147_9
; %bb.8:
	s_movk_i32 s3, 0x60
	v_mad_u32_u24 v1, v0, s3, v2
	v_mov_b32_e32 v2, 1.0
	v_mov_b32_e32 v3, 0
	ds_write_b64 v1, v[2:3]
.LBB147_9:
	s_or_b64 exec, exec, s[16:17]
	s_load_dword s3, s[0:1], 0x68
	s_load_dword s6, s[0:1], 0x50
	s_lshl_b64 s[18:19], s[14:15], 3
	s_waitcnt lgkmcnt(0)
	s_add_u32 s0, s12, s18
	s_mul_i32 s11, s2, -12
	s_addc_u32 s1, s13, s19
	s_add_i32 s3, s3, -1
	s_add_i32 s7, s7, s11
	s_cmp_ge_u32 s2, s3
	s_mul_i32 s28, s2, 0x60
	s_cselect_b32 s7, s7, 12
	s_mul_hi_i32 s27, s2, 0x60
	s_add_u32 s2, s0, s28
	s_addc_u32 s3, s1, s27
	v_cmp_gt_i32_e64 s[0:1], s7, v0
	s_and_saveexec_b64 s[14:15], s[0:1]
	s_cbranch_execz .LBB147_18
; %bb.10:
	s_cmp_lt_i32 s8, 1
	s_cbranch_scc1 .LBB147_18
; %bb.11:
	s_cmp_eq_u32 s8, 1
	s_cselect_b64 s[20:21], -1, 0
	s_cmp_lg_u32 s6, 1
	s_cselect_b64 s[22:23], -1, 0
	s_or_b64 s[20:21], s[20:21], s[22:23]
	s_mov_b32 s16, s9
	s_mov_b32 s17, s10
	v_mov_b32_e32 v3, 0
	s_and_b64 vcc, exec, s[20:21]
	s_cbranch_vccnz .LBB147_15
; %bb.12:
	v_lshlrev_b32_e32 v2, 3, v0
	v_mov_b32_e32 v1, 0x480
	s_and_b32 s29, s8, 0x7ffffffe
	s_mov_b32 s25, 0
	v_lshl_add_u64 v[2:3], s[2:3], 0, v[2:3]
	v_lshl_or_b32 v1, v0, 3, v1
	s_mov_b32 s20, s16
	s_mov_b32 s21, s9
	;; [unrolled: 1-line block ×6, first 2 shown]
.LBB147_13:                             ; =>This Inner Loop Header: Depth=1
	v_lshl_add_u64 v[4:5], s[24:25], 3, v[2:3]
	s_mov_b32 s23, s25
	v_lshl_add_u64 v[6:7], s[22:23], 3, v[2:3]
	flat_load_dwordx2 v[12:13], v[4:5]
	flat_load_dwordx2 v[8:9], v[6:7]
	s_mul_i32 s23, s22, 0x60
	s_mul_i32 s30, s24, 0x60
	s_add_i32 s24, s24, 2
	s_add_i32 s7, s7, -2
	s_add_i32 s22, s22, 2
	v_add_u32_e32 v10, s30, v1
	s_cmp_lg_u32 s7, 0
	v_add_u32_e32 v11, s23, v1
	s_waitcnt vmcnt(0) lgkmcnt(0)
	v_mov_b32_e32 v4, v12
	v_mov_b32_e32 v5, v8
	;; [unrolled: 1-line block ×3, first 2 shown]
	v_pk_mul_f32 v[6:7], s[10:11], v[8:9]
	v_pk_mul_f32 v[8:9], s[20:21], v[8:9]
	v_pk_fma_f32 v[6:7], s[20:21], v[4:5], v[6:7] neg_lo:[0,0,1] neg_hi:[0,0,1]
	v_pk_fma_f32 v[4:5], s[10:11], v[4:5], v[8:9]
	ds_write_b32 v10, v6
	ds_write_b32 v11, v7
	ds_write_b32 v10, v4 offset:4
	ds_write_b32 v11, v5 offset:4
	s_cbranch_scc1 .LBB147_13
; %bb.14:
	s_cmp_lg_u32 s8, s29
	s_cselect_b64 s[20:21], -1, 0
	s_and_b64 vcc, exec, s[20:21]
	s_cbranch_vccnz .LBB147_16
	s_branch .LBB147_18
.LBB147_15:
	s_mov_b32 s29, 0
	s_cbranch_execz .LBB147_18
.LBB147_16:
	s_mul_hi_i32 s21, s6, s29
	s_mul_i32 s20, s6, s29
	s_ashr_i32 s7, s6, 31
	s_mov_b32 s11, s9
	s_sub_i32 s9, s8, s29
	s_lshl_b64 s[20:21], s[20:21], 3
	s_add_u32 s20, s20, s28
	s_addc_u32 s21, s21, s27
	s_add_u32 s18, s20, s18
	s_addc_u32 s19, s21, s19
	s_add_u32 s12, s12, s18
	v_lshlrev_b32_e32 v2, 3, v0
	v_mov_b32_e32 v3, 0
	s_addc_u32 s13, s13, s19
	v_lshl_add_u64 v[2:3], s[12:13], 0, v[2:3]
	s_lshl_b64 s[12:13], s[6:7], 3
	s_mul_i32 s7, s29, 0x60
	v_lshl_add_u32 v1, v0, 3, s7
	v_add_u32_e32 v1, 0x480, v1
.LBB147_17:                             ; =>This Inner Loop Header: Depth=1
	flat_load_dwordx2 v[4:5], v[2:3]
	s_add_i32 s9, s9, -1
	v_lshl_add_u64 v[2:3], v[2:3], 0, s[12:13]
	s_cmp_lg_u32 s9, 0
	s_waitcnt vmcnt(0) lgkmcnt(0)
	v_pk_mul_f32 v[6:7], s[10:11], v[4:5] op_sel:[0,1]
	s_nop 0
	v_pk_fma_f32 v[8:9], s[16:17], v[4:5], v[6:7] neg_lo:[0,0,1] neg_hi:[0,0,1]
	v_pk_fma_f32 v[4:5], s[16:17], v[4:5], v[6:7] op_sel_hi:[1,0,1]
	s_nop 0
	v_mov_b32_e32 v9, v5
	ds_write_b64 v1, v[8:9]
	v_add_u32_e32 v1, 0x60, v1
	s_cbranch_scc1 .LBB147_17
.LBB147_18:
	s_or_b64 exec, exec, s[14:15]
	s_cmpk_eq_i32 s5, 0x6f
	s_cselect_b64 s[12:13], -1, 0
	s_cmpk_lg_i32 s4, 0x79
	s_cselect_b64 s[10:11], -1, 0
	s_cmpk_eq_i32 s4, 0x79
	s_cselect_b64 s[14:15], -1, 0
	s_and_b64 s[14:15], s[14:15], s[12:13]
	s_andn2_b64 vcc, exec, s[14:15]
	s_mov_b64 s[14:15], -1
	s_waitcnt lgkmcnt(0)
	; wave barrier
	s_cbranch_vccz .LBB147_119
; %bb.19:
	s_cmpk_lg_i32 s4, 0x7a
	s_cselect_b64 s[4:5], -1, 0
	s_xor_b64 s[12:13], s[12:13], -1
	s_add_i32 s7, s26, -1
	s_or_b64 s[12:13], s[4:5], s[12:13]
	v_mov_b32_e32 v1, 0x480
	s_cmp_gt_i32 s8, 3
	v_lshl_or_b32 v1, v0, 3, v1
	s_cselect_b64 s[4:5], -1, 0
	s_and_b64 vcc, exec, s[12:13]
	s_cbranch_vccz .LBB147_86
; %bb.20:
	s_andn2_b64 vcc, exec, s[10:11]
	s_mov_b64 s[10:11], -1
	s_cbranch_vccnz .LBB147_53
; %bb.21:
	s_andn2_b64 vcc, exec, s[4:5]
	s_mov_b32 s13, 0
	s_cbranch_vccnz .LBB147_43
; %bb.22:
	v_mov_b32_e32 v2, 0x480
	v_lshl_or_b32 v16, v0, 3, v2
	s_mov_b32 s9, 0
	s_mov_b32 s12, 0
.LBB147_23:                             ; =>This Loop Header: Depth=1
                                        ;     Child Loop BB147_24 Depth 2
	s_or_b32 s11, s12, 3
	s_mul_i32 s10, s12, 0x60
	v_add_u32_e32 v18, s10, v1
	s_mulk_i32 s11, 0x60
	ds_read2_b64 v[2:5], v18 offset1:12
	v_add_u32_e32 v17, s11, v1
	ds_read_b64 v[12:13], v18 offset:192
	ds_read_b64 v[10:11], v17
	s_cmp_eq_u32 s12, 0
	v_mov_b32_e32 v6, v16
	s_mov_b32 s11, s9
	s_mov_b32 s13, s12
	s_cbranch_scc1 .LBB147_25
.LBB147_24:                             ;   Parent Loop BB147_23 Depth=1
                                        ; =>  This Inner Loop Header: Depth=2
	v_mov_b32_e32 v7, s11
	ds_read_b64 v[8:9], v6
	ds_read_b128 v[20:23], v7
	ds_read_b128 v[24:27], v7 offset:16
	s_add_i32 s13, s13, -1
	s_addk_i32 s11, 0x60
	v_add_u32_e32 v6, 0x60, v6
	s_waitcnt lgkmcnt(1)
	v_mul_f32_e32 v7, v21, v9
	v_mul_f32_e32 v19, v20, v9
	;; [unrolled: 1-line block ×4, first 2 shown]
	s_waitcnt lgkmcnt(0)
	v_pk_mul_f32 v[14:15], v[24:25], v[8:9] op_sel:[0,1]
	v_pk_mul_f32 v[28:29], v[26:27], v[8:9] op_sel:[0,1]
	v_fma_f32 v7, v20, v8, -v7
	v_fmac_f32_e32 v19, v21, v8
	v_fma_f32 v30, v22, v8, -v30
	v_fmac_f32_e32 v31, v22, v9
	v_pk_fma_f32 v[20:21], v[24:25], v[8:9], v[14:15] op_sel:[0,0,1] op_sel_hi:[1,1,0] neg_lo:[0,0,1] neg_hi:[0,0,1]
	v_pk_fma_f32 v[14:15], v[24:25], v[8:9], v[14:15] op_sel:[0,0,1] op_sel_hi:[1,0,0]
	v_pk_fma_f32 v[22:23], v[26:27], v[8:9], v[28:29] op_sel:[0,0,1] op_sel_hi:[1,1,0] neg_lo:[0,0,1] neg_hi:[0,0,1]
	v_pk_fma_f32 v[8:9], v[26:27], v[8:9], v[28:29] op_sel:[0,0,1] op_sel_hi:[1,0,0]
	v_mov_b32_e32 v21, v15
	v_mov_b32_e32 v23, v9
	s_cmp_eq_u32 s13, 0
	v_sub_f32_e32 v2, v2, v7
	v_sub_f32_e32 v3, v3, v19
	;; [unrolled: 1-line block ×4, first 2 shown]
	v_pk_add_f32 v[12:13], v[12:13], v[20:21] neg_lo:[0,1] neg_hi:[0,1]
	v_pk_add_f32 v[10:11], v[10:11], v[22:23] neg_lo:[0,1] neg_hi:[0,1]
	s_cbranch_scc0 .LBB147_24
.LBB147_25:                             ;   in Loop: Header=BB147_23 Depth=1
	s_lshl_b32 s13, s12, 3
	s_add_i32 s14, s13, s10
	v_mov_b32_e32 v6, s14
	ds_read_b64 v[6:7], v6
	s_mov_b64 s[10:11], -1
                                        ; implicit-def: $vgpr15
	s_waitcnt lgkmcnt(0)
	v_cmp_ngt_f32_e64 s[16:17], |v6|, |v7|
	s_and_b64 vcc, exec, s[16:17]
	s_cbranch_vccz .LBB147_27
; %bb.26:                               ;   in Loop: Header=BB147_23 Depth=1
	v_div_scale_f32 v8, s[10:11], v7, v7, v6
	v_rcp_f32_e32 v9, v8
	v_div_scale_f32 v14, vcc, v6, v7, v6
	v_fma_f32 v15, -v8, v9, 1.0
	v_fmac_f32_e32 v9, v15, v9
	v_mul_f32_e32 v15, v14, v9
	v_fma_f32 v19, -v8, v15, v14
	v_fmac_f32_e32 v15, v19, v9
	v_fma_f32 v8, -v8, v15, v14
	v_div_fmas_f32 v8, v8, v9, v15
	v_div_fixup_f32 v8, v8, v7, v6
	v_fma_f32 v9, v6, v8, v7
	v_div_scale_f32 v14, s[10:11], v9, v9, 1.0
	v_rcp_f32_e32 v15, v14
	s_mov_b64 s[10:11], 0
	v_fma_f32 v19, -v14, v15, 1.0
	v_fmac_f32_e32 v15, v19, v15
	v_div_scale_f32 v19, vcc, 1.0, v9, 1.0
	v_mul_f32_e32 v20, v19, v15
	v_fma_f32 v21, -v14, v20, v19
	v_fmac_f32_e32 v20, v21, v15
	v_fma_f32 v14, -v14, v20, v19
	v_div_fmas_f32 v14, v14, v15, v20
	v_div_fixup_f32 v9, v14, v9, 1.0
	v_fma_f32 v14, v2, v8, v3
	v_fma_f32 v8, v3, v8, -v2
	v_mul_f32_e32 v14, v14, v9
	v_mul_f32_e32 v15, v8, v9
.LBB147_27:                             ;   in Loop: Header=BB147_23 Depth=1
	s_andn2_b64 vcc, exec, s[10:11]
	s_cbranch_vccnz .LBB147_29
; %bb.28:                               ;   in Loop: Header=BB147_23 Depth=1
	v_div_scale_f32 v8, s[10:11], v6, v6, v7
	v_rcp_f32_e32 v9, v8
	v_div_scale_f32 v14, vcc, v7, v6, v7
	v_fma_f32 v15, -v8, v9, 1.0
	v_fmac_f32_e32 v9, v15, v9
	v_mul_f32_e32 v15, v14, v9
	v_fma_f32 v19, -v8, v15, v14
	v_fmac_f32_e32 v15, v19, v9
	v_fma_f32 v8, -v8, v15, v14
	v_div_fmas_f32 v8, v8, v9, v15
	v_div_fixup_f32 v8, v8, v6, v7
	v_fmac_f32_e32 v6, v7, v8
	v_div_scale_f32 v7, s[10:11], v6, v6, 1.0
	v_rcp_f32_e32 v9, v7
	s_nop 0
	v_fma_f32 v14, -v7, v9, 1.0
	v_fmac_f32_e32 v9, v14, v9
	v_div_scale_f32 v14, vcc, 1.0, v6, 1.0
	v_mul_f32_e32 v15, v14, v9
	v_fma_f32 v19, -v7, v15, v14
	v_fmac_f32_e32 v15, v19, v9
	v_fma_f32 v7, -v7, v15, v14
	v_div_fmas_f32 v7, v7, v9, v15
	v_div_fixup_f32 v6, v7, v6, 1.0
	v_fma_f32 v7, v3, v8, v2
	v_fma_f32 v2, -v2, v8, v3
	v_mul_f32_e32 v14, v7, v6
	v_mul_f32_e32 v15, v2, v6
.LBB147_29:                             ;   in Loop: Header=BB147_23 Depth=1
	v_mov_b32_e32 v2, s14
	ds_read2_b64 v[6:9], v2 offset0:1 offset1:13
	s_mov_b64 s[10:11], -1
	ds_write_b64 v18, v[14:15]
	s_waitcnt lgkmcnt(1)
	v_mul_f32_e32 v2, v15, v7
	v_mul_f32_e32 v3, v14, v7
	v_fma_f32 v2, v14, v6, -v2
	v_fmac_f32_e32 v3, v15, v6
	v_cmp_ngt_f32_e64 s[16:17], |v8|, |v9|
	v_sub_f32_e32 v2, v4, v2
	v_sub_f32_e32 v3, v5, v3
	s_and_b64 vcc, exec, s[16:17]
                                        ; implicit-def: $vgpr7
	s_cbranch_vccz .LBB147_31
; %bb.30:                               ;   in Loop: Header=BB147_23 Depth=1
	v_div_scale_f32 v4, s[10:11], v9, v9, v8
	v_rcp_f32_e32 v5, v4
	v_div_scale_f32 v6, vcc, v8, v9, v8
	v_fma_f32 v7, -v4, v5, 1.0
	v_fmac_f32_e32 v5, v7, v5
	v_mul_f32_e32 v7, v6, v5
	v_fma_f32 v19, -v4, v7, v6
	v_fmac_f32_e32 v7, v19, v5
	v_fma_f32 v4, -v4, v7, v6
	v_div_fmas_f32 v4, v4, v5, v7
	v_div_fixup_f32 v4, v4, v9, v8
	v_fma_f32 v5, v8, v4, v9
	v_div_scale_f32 v6, s[10:11], v5, v5, 1.0
	v_rcp_f32_e32 v7, v6
	s_mov_b64 s[10:11], 0
	v_fma_f32 v19, -v6, v7, 1.0
	v_fmac_f32_e32 v7, v19, v7
	v_div_scale_f32 v19, vcc, 1.0, v5, 1.0
	v_mul_f32_e32 v20, v19, v7
	v_fma_f32 v21, -v6, v20, v19
	v_fmac_f32_e32 v20, v21, v7
	v_fma_f32 v6, -v6, v20, v19
	v_div_fmas_f32 v6, v6, v7, v20
	v_div_fixup_f32 v5, v6, v5, 1.0
	v_fma_f32 v6, v4, v2, v3
	v_fma_f32 v4, v4, v3, -v2
	v_mul_f32_e32 v6, v6, v5
	v_mul_f32_e32 v7, v4, v5
.LBB147_31:                             ;   in Loop: Header=BB147_23 Depth=1
	s_andn2_b64 vcc, exec, s[10:11]
	s_cbranch_vccnz .LBB147_33
; %bb.32:                               ;   in Loop: Header=BB147_23 Depth=1
	v_div_scale_f32 v4, s[10:11], v8, v8, v9
	v_rcp_f32_e32 v5, v4
	v_div_scale_f32 v6, vcc, v9, v8, v9
	v_fma_f32 v7, -v4, v5, 1.0
	v_fmac_f32_e32 v5, v7, v5
	v_mul_f32_e32 v7, v6, v5
	v_fma_f32 v19, -v4, v7, v6
	v_fmac_f32_e32 v7, v19, v5
	v_fma_f32 v4, -v4, v7, v6
	v_div_fmas_f32 v4, v4, v5, v7
	v_div_fixup_f32 v4, v4, v8, v9
	v_fmac_f32_e32 v8, v9, v4
	v_div_scale_f32 v5, s[10:11], v8, v8, 1.0
	v_rcp_f32_e32 v6, v5
	s_nop 0
	v_fma_f32 v7, -v5, v6, 1.0
	v_fmac_f32_e32 v6, v7, v6
	v_div_scale_f32 v7, vcc, 1.0, v8, 1.0
	v_mul_f32_e32 v9, v7, v6
	v_fma_f32 v19, -v5, v9, v7
	v_fmac_f32_e32 v9, v19, v6
	v_fma_f32 v5, -v5, v9, v7
	v_div_fmas_f32 v5, v5, v6, v9
	v_div_fixup_f32 v5, v5, v8, 1.0
	v_fma_f32 v6, v4, v3, v2
	v_fma_f32 v2, -v4, v2, v3
	v_mul_f32_e32 v6, v6, v5
	v_mul_f32_e32 v7, v2, v5
.LBB147_33:                             ;   in Loop: Header=BB147_23 Depth=1
	s_add_i32 s15, s14, 0x68
	s_or_b32 s10, s13, 8
	v_mov_b32_e32 v2, s14
	s_sub_i32 s16, s15, s10
	ds_read2_b64 v[2:5], v2 offset0:2 offset1:26
	s_add_i32 s16, s16, s13
	v_mov_b32_e32 v19, s16
	ds_read_b64 v[22:23], v19 offset:16
	v_mov_b32_e32 v8, v15
	s_waitcnt lgkmcnt(1)
	v_pk_mul_f32 v[8:9], v[8:9], v[2:3] op_sel_hi:[0,1]
	v_pk_fma_f32 v[20:21], v[14:15], v[2:3], v[8:9] op_sel:[0,0,1] op_sel_hi:[1,1,0] neg_lo:[0,0,1] neg_hi:[0,0,1]
	v_pk_fma_f32 v[2:3], v[14:15], v[2:3], v[8:9] op_sel:[0,0,1] op_sel_hi:[0,1,0]
	v_mov_b32_e32 v8, v7
	v_mov_b32_e32 v21, v3
	s_waitcnt lgkmcnt(0)
	v_pk_mul_f32 v[8:9], v[8:9], v[22:23] op_sel_hi:[0,1]
	v_pk_add_f32 v[2:3], v[12:13], v[20:21] neg_lo:[0,1] neg_hi:[0,1]
	v_pk_fma_f32 v[12:13], v[6:7], v[22:23], v[8:9] op_sel:[0,0,1] op_sel_hi:[1,1,0] neg_lo:[0,0,1] neg_hi:[0,0,1]
	v_pk_fma_f32 v[8:9], v[6:7], v[22:23], v[8:9] op_sel:[0,0,1] op_sel_hi:[0,1,0]
	v_mov_b32_e32 v13, v9
	v_cmp_ngt_f32_e64 s[18:19], |v4|, |v5|
	v_pk_add_f32 v[2:3], v[2:3], v[12:13] neg_lo:[0,1] neg_hi:[0,1]
	s_mov_b64 s[10:11], -1
	s_and_b64 vcc, exec, s[18:19]
	ds_write_b64 v18, v[6:7] offset:96
                                        ; implicit-def: $vgpr8_vgpr9
	s_cbranch_vccz .LBB147_35
; %bb.34:                               ;   in Loop: Header=BB147_23 Depth=1
	v_div_scale_f32 v8, s[10:11], v5, v5, v4
	v_rcp_f32_e32 v9, v8
	v_div_scale_f32 v12, vcc, v4, v5, v4
	v_fma_f32 v13, -v8, v9, 1.0
	v_fmac_f32_e32 v9, v13, v9
	v_mul_f32_e32 v13, v12, v9
	v_fma_f32 v19, -v8, v13, v12
	v_fmac_f32_e32 v13, v19, v9
	v_fma_f32 v8, -v8, v13, v12
	v_div_fmas_f32 v8, v8, v9, v13
	v_div_fixup_f32 v8, v8, v5, v4
	v_fma_f32 v9, v4, v8, v5
	v_div_scale_f32 v19, s[10:11], v9, v9, 1.0
	v_rcp_f32_e32 v20, v19
	v_pk_fma_f32 v[12:13], v[8:9], v[2:3], v[2:3] op_sel:[0,0,1] op_sel_hi:[1,1,0]
	s_mov_b64 s[10:11], 0
	v_fma_f32 v13, -v19, v20, 1.0
	v_fmac_f32_e32 v20, v13, v20
	v_div_scale_f32 v13, vcc, 1.0, v9, 1.0
	v_mul_f32_e32 v21, v13, v20
	v_fma_f32 v22, -v19, v21, v13
	v_fmac_f32_e32 v21, v22, v20
	v_fma_f32 v13, -v19, v21, v13
	v_div_fmas_f32 v13, v13, v20, v21
	v_div_fixup_f32 v13, v13, v9, 1.0
	v_fma_f32 v9, v8, v3, -v2
	v_mov_b32_e32 v8, v13
	v_pk_mul_f32 v[8:9], v[12:13], v[8:9]
.LBB147_35:                             ;   in Loop: Header=BB147_23 Depth=1
	s_andn2_b64 vcc, exec, s[10:11]
	s_cbranch_vccnz .LBB147_37
; %bb.36:                               ;   in Loop: Header=BB147_23 Depth=1
	v_div_scale_f32 v8, s[10:11], v4, v4, v5
	v_rcp_f32_e32 v9, v8
	v_div_scale_f32 v12, vcc, v5, v4, v5
	v_fma_f32 v13, -v8, v9, 1.0
	v_fmac_f32_e32 v9, v13, v9
	v_mul_f32_e32 v13, v12, v9
	v_fma_f32 v19, -v8, v13, v12
	v_fmac_f32_e32 v13, v19, v9
	v_fma_f32 v8, -v8, v13, v12
	v_div_fmas_f32 v8, v8, v9, v13
	v_div_fixup_f32 v8, v8, v4, v5
	v_fma_f32 v4, v5, v8, v4
	v_div_scale_f32 v5, s[10:11], v4, v4, 1.0
	v_rcp_f32_e32 v9, v5
	s_nop 0
	v_fma_f32 v12, -v5, v9, 1.0
	v_fmac_f32_e32 v9, v12, v9
	v_div_scale_f32 v12, vcc, 1.0, v4, 1.0
	v_mul_f32_e32 v13, v12, v9
	v_fma_f32 v19, -v5, v13, v12
	v_fmac_f32_e32 v13, v19, v9
	v_fma_f32 v5, -v5, v13, v12
	v_div_fmas_f32 v5, v5, v9, v13
	v_pk_fma_f32 v[12:13], v[8:9], v[2:3], v[2:3] op_sel:[0,1,0] op_sel_hi:[1,0,1]
	v_pk_fma_f32 v[2:3], v[8:9], v[2:3], v[2:3] op_sel:[0,1,0] op_sel_hi:[0,0,1] neg_lo:[1,0,0] neg_hi:[1,0,0]
	v_div_fixup_f32 v4, v5, v4, 1.0
	v_mov_b32_e32 v13, v3
	v_pk_mul_f32 v[8:9], v[12:13], v[4:5] op_sel_hi:[1,0]
.LBB147_37:                             ;   in Loop: Header=BB147_23 Depth=1
	v_mov_b32_e32 v2, s14
	ds_read2_b64 v[2:5], v2 offset0:3 offset1:39
	v_mov_b32_e32 v12, v15
	v_mov_b32_e32 v13, v15
	v_mov_b32_e32 v15, v14
	s_or_b32 s10, s13, 16
	s_waitcnt lgkmcnt(0)
	v_pk_mul_f32 v[12:13], v[12:13], v[2:3]
	ds_write_b64 v18, v[8:9] offset:192
	v_pk_fma_f32 v[18:19], v[14:15], v[2:3], v[12:13] op_sel:[0,0,1] op_sel_hi:[1,1,0] neg_lo:[0,0,1] neg_hi:[0,0,1]
	v_pk_fma_f32 v[2:3], v[14:15], v[2:3], v[12:13] op_sel:[0,0,1] op_sel_hi:[1,1,0]
	s_sub_i32 s10, s15, s10
	v_mov_b32_e32 v2, s16
	s_add_i32 s10, s10, s13
	ds_read_b64 v[12:13], v2 offset:24
	v_mov_b32_e32 v19, v3
	v_pk_add_f32 v[2:3], v[10:11], v[18:19] neg_lo:[0,1] neg_hi:[0,1]
	v_mov_b32_e32 v10, s10
	ds_read_b64 v[10:11], v10 offset:128
	v_mov_b32_e32 v20, v7
	v_mov_b32_e32 v21, v7
	;; [unrolled: 1-line block ×3, first 2 shown]
	s_waitcnt lgkmcnt(1)
	v_pk_mul_f32 v[14:15], v[20:21], v[12:13]
	v_cmp_ngt_f32_e64 s[14:15], |v4|, |v5|
	v_pk_fma_f32 v[18:19], v[6:7], v[12:13], v[14:15] op_sel:[0,0,1] op_sel_hi:[1,1,0] neg_lo:[0,0,1] neg_hi:[0,0,1]
	v_pk_fma_f32 v[6:7], v[6:7], v[12:13], v[14:15] op_sel:[0,0,1] op_sel_hi:[1,1,0]
	s_mov_b64 s[10:11], -1
	v_mov_b32_e32 v19, v7
	s_waitcnt lgkmcnt(0)
	v_pk_mul_f32 v[6:7], v[8:9], v[10:11] op_sel:[1,1] op_sel_hi:[1,0]
	v_pk_add_f32 v[2:3], v[2:3], v[18:19] neg_lo:[0,1] neg_hi:[0,1]
	v_pk_fma_f32 v[12:13], v[8:9], v[10:11], v[6:7] neg_lo:[0,0,1] neg_hi:[0,0,1]
	v_pk_fma_f32 v[6:7], v[8:9], v[10:11], v[6:7] op_sel_hi:[0,1,1]
	v_mov_b32_e32 v13, v7
	v_pk_add_f32 v[2:3], v[2:3], v[12:13] neg_lo:[0,1] neg_hi:[0,1]
	s_and_b64 vcc, exec, s[14:15]
                                        ; implicit-def: $vgpr6_vgpr7
	s_cbranch_vccz .LBB147_39
; %bb.38:                               ;   in Loop: Header=BB147_23 Depth=1
	v_div_scale_f32 v6, s[10:11], v5, v5, v4
	v_rcp_f32_e32 v7, v6
	v_div_scale_f32 v8, vcc, v4, v5, v4
	v_fma_f32 v9, -v6, v7, 1.0
	v_fmac_f32_e32 v7, v9, v7
	v_mul_f32_e32 v9, v8, v7
	v_fma_f32 v10, -v6, v9, v8
	v_fmac_f32_e32 v9, v10, v7
	v_fma_f32 v6, -v6, v9, v8
	v_div_fmas_f32 v6, v6, v7, v9
	v_div_fixup_f32 v6, v6, v5, v4
	v_fma_f32 v7, v4, v6, v5
	v_div_scale_f32 v10, s[10:11], v7, v7, 1.0
	v_rcp_f32_e32 v11, v10
	v_pk_fma_f32 v[8:9], v[6:7], v[2:3], v[2:3] op_sel:[0,0,1] op_sel_hi:[1,1,0]
	s_mov_b64 s[10:11], 0
	v_fma_f32 v9, -v10, v11, 1.0
	v_fmac_f32_e32 v11, v9, v11
	v_div_scale_f32 v9, vcc, 1.0, v7, 1.0
	v_mul_f32_e32 v12, v9, v11
	v_fma_f32 v13, -v10, v12, v9
	v_fmac_f32_e32 v12, v13, v11
	v_fma_f32 v9, -v10, v12, v9
	v_div_fmas_f32 v9, v9, v11, v12
	v_div_fixup_f32 v9, v9, v7, 1.0
	v_fma_f32 v7, v6, v3, -v2
	v_mov_b32_e32 v6, v9
	v_pk_mul_f32 v[6:7], v[8:9], v[6:7]
.LBB147_39:                             ;   in Loop: Header=BB147_23 Depth=1
	s_andn2_b64 vcc, exec, s[10:11]
	s_cbranch_vccnz .LBB147_41
; %bb.40:                               ;   in Loop: Header=BB147_23 Depth=1
	v_div_scale_f32 v6, s[10:11], v4, v4, v5
	v_rcp_f32_e32 v7, v6
	v_div_scale_f32 v8, vcc, v5, v4, v5
	v_fma_f32 v9, -v6, v7, 1.0
	v_fmac_f32_e32 v7, v9, v7
	v_mul_f32_e32 v9, v8, v7
	v_fma_f32 v10, -v6, v9, v8
	v_fmac_f32_e32 v9, v10, v7
	v_fma_f32 v6, -v6, v9, v8
	v_div_fmas_f32 v6, v6, v7, v9
	v_div_fixup_f32 v6, v6, v4, v5
	v_fma_f32 v4, v5, v6, v4
	v_div_scale_f32 v5, s[10:11], v4, v4, 1.0
	v_rcp_f32_e32 v7, v5
	s_nop 0
	v_fma_f32 v8, -v5, v7, 1.0
	v_fmac_f32_e32 v7, v8, v7
	v_div_scale_f32 v8, vcc, 1.0, v4, 1.0
	v_mul_f32_e32 v9, v8, v7
	v_fma_f32 v10, -v5, v9, v8
	v_fmac_f32_e32 v9, v10, v7
	v_fma_f32 v5, -v5, v9, v8
	v_div_fmas_f32 v5, v5, v7, v9
	v_pk_fma_f32 v[8:9], v[6:7], v[2:3], v[2:3] op_sel:[0,1,0] op_sel_hi:[1,0,1]
	v_pk_fma_f32 v[2:3], v[6:7], v[2:3], v[2:3] op_sel:[0,1,0] op_sel_hi:[0,0,1] neg_lo:[1,0,0] neg_hi:[1,0,0]
	v_div_fixup_f32 v4, v5, v4, 1.0
	v_mov_b32_e32 v9, v3
	v_pk_mul_f32 v[6:7], v[8:9], v[4:5] op_sel_hi:[1,0]
.LBB147_41:                             ;   in Loop: Header=BB147_23 Depth=1
	s_add_i32 s13, s12, 4
	s_add_i32 s10, s12, 7
	;; [unrolled: 1-line block ×3, first 2 shown]
	s_cmp_ge_i32 s10, s26
	ds_write_b64 v17, v[6:7]
	s_cbranch_scc1 .LBB147_43
; %bb.42:                               ;   in Loop: Header=BB147_23 Depth=1
	s_mov_b32 s12, s13
	s_branch .LBB147_23
.LBB147_43:
	s_cmp_ge_i32 s13, s26
	s_cbranch_scc1 .LBB147_52
; %bb.44:
	v_mov_b32_e32 v2, 0x480
	s_lshl_b32 s9, s13, 3
	v_lshl_or_b32 v8, v0, 3, v2
	s_branch .LBB147_46
.LBB147_45:                             ;   in Loop: Header=BB147_46 Depth=1
	s_add_i32 s13, s13, 1
	s_add_i32 s9, s9, 8
	s_cmp_ge_i32 s13, s26
	ds_write_b64 v9, v[6:7]
	s_cbranch_scc1 .LBB147_52
.LBB147_46:                             ; =>This Loop Header: Depth=1
                                        ;     Child Loop BB147_47 Depth 2
	s_mul_i32 s10, s13, 0x60
	v_add_u32_e32 v9, s10, v1
	ds_read_b64 v[2:3], v9
	s_cmp_eq_u32 s13, 0
	v_mov_b32_e32 v4, v8
	s_mov_b32 s11, s9
	s_mov_b32 s12, s13
	s_cbranch_scc1 .LBB147_48
.LBB147_47:                             ;   Parent Loop BB147_46 Depth=1
                                        ; =>  This Inner Loop Header: Depth=2
	v_mov_b32_e32 v5, s11
	ds_read_b64 v[6:7], v4
	ds_read_b64 v[10:11], v5
	s_add_i32 s12, s12, -1
	s_addk_i32 s11, 0x60
	v_add_u32_e32 v4, 0x60, v4
	s_cmp_eq_u32 s12, 0
	s_waitcnt lgkmcnt(0)
	v_pk_mul_f32 v[12:13], v[10:11], v[6:7] op_sel:[1,1] op_sel_hi:[0,1]
	v_pk_fma_f32 v[14:15], v[10:11], v[6:7], v[12:13] op_sel_hi:[1,0,1]
	v_pk_fma_f32 v[6:7], v[10:11], v[6:7], v[12:13] op_sel_hi:[1,0,1] neg_lo:[0,0,1] neg_hi:[0,0,1]
	s_nop 0
	v_mov_b32_e32 v7, v15
	v_pk_add_f32 v[2:3], v[2:3], v[6:7] neg_lo:[0,1] neg_hi:[0,1]
	s_cbranch_scc0 .LBB147_47
.LBB147_48:                             ;   in Loop: Header=BB147_46 Depth=1
	s_lshl_b32 s11, s13, 3
	s_add_i32 s10, s11, s10
	v_mov_b32_e32 v4, s10
	ds_read_b64 v[4:5], v4
	s_mov_b64 s[10:11], -1
                                        ; implicit-def: $vgpr6_vgpr7
	s_waitcnt lgkmcnt(0)
	v_cmp_ngt_f32_e64 s[14:15], |v4|, |v5|
	s_and_b64 vcc, exec, s[14:15]
	s_cbranch_vccz .LBB147_50
; %bb.49:                               ;   in Loop: Header=BB147_46 Depth=1
	v_div_scale_f32 v6, s[10:11], v5, v5, v4
	v_rcp_f32_e32 v7, v6
	v_div_scale_f32 v10, vcc, v4, v5, v4
	v_fma_f32 v11, -v6, v7, 1.0
	v_fmac_f32_e32 v7, v11, v7
	v_mul_f32_e32 v11, v10, v7
	v_fma_f32 v12, -v6, v11, v10
	v_fmac_f32_e32 v11, v12, v7
	v_fma_f32 v6, -v6, v11, v10
	v_div_fmas_f32 v6, v6, v7, v11
	v_div_fixup_f32 v6, v6, v5, v4
	v_fma_f32 v7, v4, v6, v5
	v_div_scale_f32 v10, s[10:11], v7, v7, 1.0
	v_rcp_f32_e32 v11, v10
	s_mov_b64 s[10:11], 0
	v_fma_f32 v12, -v10, v11, 1.0
	v_fmac_f32_e32 v11, v12, v11
	v_div_scale_f32 v12, vcc, 1.0, v7, 1.0
	v_mul_f32_e32 v13, v12, v11
	v_fma_f32 v14, -v10, v13, v12
	v_fmac_f32_e32 v13, v14, v11
	v_fma_f32 v10, -v10, v13, v12
	v_div_fmas_f32 v10, v10, v11, v13
	v_div_fixup_f32 v10, v10, v7, 1.0
	v_pk_fma_f32 v[12:13], v[2:3], v[6:7], v[2:3] op_sel:[0,0,1] op_sel_hi:[1,0,0] neg_lo:[0,0,1] neg_hi:[0,0,1]
	v_pk_fma_f32 v[6:7], v[2:3], v[6:7], v[2:3] op_sel:[0,0,1] op_sel_hi:[1,0,0]
	s_nop 0
	v_mov_b32_e32 v7, v13
	v_pk_mul_f32 v[6:7], v[6:7], v[10:11] op_sel_hi:[1,0]
.LBB147_50:                             ;   in Loop: Header=BB147_46 Depth=1
	s_andn2_b64 vcc, exec, s[10:11]
	s_cbranch_vccnz .LBB147_45
; %bb.51:                               ;   in Loop: Header=BB147_46 Depth=1
	v_div_scale_f32 v6, s[10:11], v4, v4, v5
	v_rcp_f32_e32 v7, v6
	v_div_scale_f32 v10, vcc, v5, v4, v5
	v_fma_f32 v11, -v6, v7, 1.0
	v_fmac_f32_e32 v7, v11, v7
	v_mul_f32_e32 v11, v10, v7
	v_fma_f32 v12, -v6, v11, v10
	v_fmac_f32_e32 v11, v12, v7
	v_fma_f32 v6, -v6, v11, v10
	v_div_fmas_f32 v6, v6, v7, v11
	v_div_fixup_f32 v6, v6, v4, v5
	v_fmac_f32_e32 v4, v5, v6
	v_div_scale_f32 v5, s[10:11], v4, v4, 1.0
	v_rcp_f32_e32 v7, v5
	s_nop 0
	v_fma_f32 v10, -v5, v7, 1.0
	v_fmac_f32_e32 v7, v10, v7
	v_div_scale_f32 v10, vcc, 1.0, v4, 1.0
	v_mul_f32_e32 v11, v10, v7
	v_fma_f32 v12, -v5, v11, v10
	v_fmac_f32_e32 v11, v12, v7
	v_fma_f32 v5, -v5, v11, v10
	v_div_fmas_f32 v5, v5, v7, v11
	v_pk_fma_f32 v[10:11], v[2:3], v[6:7], v[2:3] op_sel:[1,0,0] op_sel_hi:[0,0,1] neg_lo:[1,0,0] neg_hi:[1,0,0]
	v_pk_fma_f32 v[2:3], v[2:3], v[6:7], v[2:3] op_sel:[1,0,0] op_sel_hi:[0,0,1]
	v_div_fixup_f32 v4, v5, v4, 1.0
	v_mov_b32_e32 v3, v11
	v_pk_mul_f32 v[6:7], v[2:3], v[4:5] op_sel_hi:[1,0]
	s_branch .LBB147_45
.LBB147_52:
	s_mov_b64 s[10:11], 0
.LBB147_53:
	s_and_b64 vcc, exec, s[10:11]
	s_cbranch_vccz .LBB147_85
; %bb.54:
	s_andn2_b64 vcc, exec, s[4:5]
	s_mov_b32 s13, s7
	s_cbranch_vccnz .LBB147_76
; %bb.55:
	s_mul_i32 s10, s26, 0x60
	v_lshl_add_u32 v2, v0, 3, s10
	s_mul_i32 s9, s26, 0x68
	v_add_u32_e32 v14, 0x420, v2
	s_mov_b32 s12, s7
.LBB147_56:                             ; =>This Loop Header: Depth=1
                                        ;     Child Loop BB147_57 Depth 2
	s_mul_i32 s10, s12, 0x60
	v_add_u32_e32 v18, s10, v1
	s_add_i32 s13, s10, 0xfffffee0
	v_add_u32_e32 v17, 0xffffffa0, v18
	v_add_u32_e32 v16, 0xffffff40, v18
	;; [unrolled: 1-line block ×3, first 2 shown]
	ds_read_b64 v[10:11], v18
	ds_read_b64 v[8:9], v17
	;; [unrolled: 1-line block ×4, first 2 shown]
	s_cmp_le_i32 s7, s12
	v_mov_b32_e32 v6, v14
	s_mov_b32 s11, s9
	s_mov_b32 s14, s7
	s_cbranch_scc1 .LBB147_58
.LBB147_57:                             ;   Parent Loop BB147_56 Depth=1
                                        ; =>  This Inner Loop Header: Depth=2
	s_add_i32 s15, s11, 0xffffff90
	s_add_i32 s16, s11, 0xffffff80
	v_mov_b32_e32 v7, s15
	ds_read_b64 v[12:13], v6
	v_mov_b32_e32 v19, s16
	ds_read2_b64 v[20:23], v7 offset1:1
	ds_read2_b64 v[24:27], v19 offset1:1
	s_add_i32 s14, s14, -1
	s_addk_i32 s11, 0xffa0
	v_add_u32_e32 v6, 0xffffffa0, v6
	s_waitcnt lgkmcnt(1)
	v_mul_f32_e32 v7, v23, v13
	v_mul_f32_e32 v19, v22, v13
	;; [unrolled: 1-line block ×4, first 2 shown]
	s_waitcnt lgkmcnt(0)
	v_pk_mul_f32 v[28:29], v[26:27], v[12:13] op_sel:[0,1]
	v_pk_mul_f32 v[30:31], v[24:25], v[12:13] op_sel:[0,1]
	v_fma_f32 v7, v22, v12, -v7
	v_fmac_f32_e32 v19, v23, v12
	v_fma_f32 v32, v20, v12, -v32
	v_fmac_f32_e32 v33, v20, v13
	v_pk_fma_f32 v[20:21], v[26:27], v[12:13], v[28:29] op_sel:[0,0,1] op_sel_hi:[1,1,0] neg_lo:[0,0,1] neg_hi:[0,0,1]
	v_pk_fma_f32 v[22:23], v[26:27], v[12:13], v[28:29] op_sel:[0,0,1] op_sel_hi:[1,0,0]
	v_pk_fma_f32 v[26:27], v[24:25], v[12:13], v[30:31] op_sel:[0,0,1] op_sel_hi:[1,1,0] neg_lo:[0,0,1] neg_hi:[0,0,1]
	v_pk_fma_f32 v[12:13], v[24:25], v[12:13], v[30:31] op_sel:[0,0,1] op_sel_hi:[1,0,0]
	v_mov_b32_e32 v21, v23
	v_mov_b32_e32 v27, v13
	s_cmp_le_i32 s14, s12
	v_sub_f32_e32 v10, v10, v7
	v_sub_f32_e32 v11, v11, v19
	;; [unrolled: 1-line block ×4, first 2 shown]
	v_pk_add_f32 v[4:5], v[4:5], v[20:21] neg_lo:[0,1] neg_hi:[0,1]
	v_pk_add_f32 v[2:3], v[2:3], v[26:27] neg_lo:[0,1] neg_hi:[0,1]
	s_cbranch_scc0 .LBB147_57
.LBB147_58:                             ;   in Loop: Header=BB147_56 Depth=1
	s_lshl_b32 s16, s12, 3
	s_add_i32 s15, s16, s10
	v_mov_b32_e32 v6, s15
	ds_read_b64 v[12:13], v6
	s_add_i32 s14, s12, -3
	s_mov_b64 s[10:11], -1
                                        ; implicit-def: $vgpr7
	s_waitcnt lgkmcnt(0)
	v_cmp_ngt_f32_e64 s[18:19], |v12|, |v13|
	s_and_b64 vcc, exec, s[18:19]
	s_cbranch_vccz .LBB147_60
; %bb.59:                               ;   in Loop: Header=BB147_56 Depth=1
	v_div_scale_f32 v6, s[10:11], v13, v13, v12
	v_rcp_f32_e32 v7, v6
	v_div_scale_f32 v19, vcc, v12, v13, v12
	v_fma_f32 v20, -v6, v7, 1.0
	v_fmac_f32_e32 v7, v20, v7
	v_mul_f32_e32 v20, v19, v7
	v_fma_f32 v21, -v6, v20, v19
	v_fmac_f32_e32 v20, v21, v7
	v_fma_f32 v6, -v6, v20, v19
	v_div_fmas_f32 v6, v6, v7, v20
	v_div_fixup_f32 v7, v6, v13, v12
	v_fma_f32 v6, v12, v7, v13
	v_div_scale_f32 v19, s[10:11], v6, v6, 1.0
	v_rcp_f32_e32 v20, v19
	s_mov_b64 s[10:11], 0
	v_fma_f32 v21, -v19, v20, 1.0
	v_fmac_f32_e32 v20, v21, v20
	v_div_scale_f32 v21, vcc, 1.0, v6, 1.0
	v_mul_f32_e32 v22, v21, v20
	v_fma_f32 v23, -v19, v22, v21
	v_fmac_f32_e32 v22, v23, v20
	v_fma_f32 v19, -v19, v22, v21
	v_div_fmas_f32 v19, v19, v20, v22
	v_div_fixup_f32 v19, v19, v6, 1.0
	v_fma_f32 v6, v10, v7, v11
	v_fma_f32 v7, v11, v7, -v10
	v_mul_f32_e32 v6, v6, v19
	v_mul_f32_e32 v7, v7, v19
.LBB147_60:                             ;   in Loop: Header=BB147_56 Depth=1
	s_andn2_b64 vcc, exec, s[10:11]
	s_cbranch_vccnz .LBB147_62
; %bb.61:                               ;   in Loop: Header=BB147_56 Depth=1
	v_div_scale_f32 v6, s[10:11], v12, v12, v13
	v_rcp_f32_e32 v7, v6
	v_div_scale_f32 v19, vcc, v13, v12, v13
	v_fma_f32 v20, -v6, v7, 1.0
	v_fmac_f32_e32 v7, v20, v7
	v_mul_f32_e32 v20, v19, v7
	v_fma_f32 v21, -v6, v20, v19
	v_fmac_f32_e32 v20, v21, v7
	v_fma_f32 v6, -v6, v20, v19
	v_div_fmas_f32 v6, v6, v7, v20
	v_div_fixup_f32 v7, v6, v12, v13
	v_fmac_f32_e32 v12, v13, v7
	v_div_scale_f32 v6, s[10:11], v12, v12, 1.0
	v_rcp_f32_e32 v13, v6
	s_nop 0
	v_fma_f32 v19, -v6, v13, 1.0
	v_fmac_f32_e32 v13, v19, v13
	v_div_scale_f32 v19, vcc, 1.0, v12, 1.0
	v_mul_f32_e32 v20, v19, v13
	v_fma_f32 v21, -v6, v20, v19
	v_fmac_f32_e32 v20, v21, v13
	v_fma_f32 v6, -v6, v20, v19
	v_div_fmas_f32 v6, v6, v13, v20
	v_div_fixup_f32 v12, v6, v12, 1.0
	v_fma_f32 v6, v11, v7, v10
	v_fma_f32 v7, -v10, v7, v11
	v_mul_f32_e32 v6, v6, v12
	v_mul_f32_e32 v7, v7, v12
.LBB147_62:                             ;   in Loop: Header=BB147_56 Depth=1
	s_add_i32 s10, s15, -8
	v_mov_b32_e32 v10, s10
	s_add_i32 s17, s15, 0xffffff98
	ds_read_b64 v[12:13], v10
	v_mov_b32_e32 v10, s17
	ds_read_b64 v[10:11], v10
	ds_write_b64 v18, v[6:7]
	s_mov_b64 s[10:11], -1
	s_waitcnt lgkmcnt(2)
	v_mul_f32_e32 v18, v7, v13
	v_mul_f32_e32 v13, v6, v13
	v_fma_f32 v18, v6, v12, -v18
	v_fmac_f32_e32 v13, v7, v12
	s_waitcnt lgkmcnt(1)
	v_cmp_ngt_f32_e64 s[18:19], |v10|, |v11|
	v_sub_f32_e32 v12, v8, v18
	v_sub_f32_e32 v13, v9, v13
	s_and_b64 vcc, exec, s[18:19]
                                        ; implicit-def: $vgpr9
	s_cbranch_vccz .LBB147_64
; %bb.63:                               ;   in Loop: Header=BB147_56 Depth=1
	v_div_scale_f32 v8, s[10:11], v11, v11, v10
	v_rcp_f32_e32 v9, v8
	v_div_scale_f32 v18, vcc, v10, v11, v10
	v_fma_f32 v19, -v8, v9, 1.0
	v_fmac_f32_e32 v9, v19, v9
	v_mul_f32_e32 v19, v18, v9
	v_fma_f32 v20, -v8, v19, v18
	v_fmac_f32_e32 v19, v20, v9
	v_fma_f32 v8, -v8, v19, v18
	v_div_fmas_f32 v8, v8, v9, v19
	v_div_fixup_f32 v9, v8, v11, v10
	v_fma_f32 v8, v10, v9, v11
	v_div_scale_f32 v18, s[10:11], v8, v8, 1.0
	v_rcp_f32_e32 v19, v18
	s_mov_b64 s[10:11], 0
	v_fma_f32 v20, -v18, v19, 1.0
	v_fmac_f32_e32 v19, v20, v19
	v_div_scale_f32 v20, vcc, 1.0, v8, 1.0
	v_mul_f32_e32 v21, v20, v19
	v_fma_f32 v22, -v18, v21, v20
	v_fmac_f32_e32 v21, v22, v19
	v_fma_f32 v18, -v18, v21, v20
	v_div_fmas_f32 v18, v18, v19, v21
	v_div_fixup_f32 v18, v18, v8, 1.0
	v_fma_f32 v8, v9, v12, v13
	v_fma_f32 v9, v9, v13, -v12
	v_mul_f32_e32 v8, v8, v18
	v_mul_f32_e32 v9, v9, v18
.LBB147_64:                             ;   in Loop: Header=BB147_56 Depth=1
	s_andn2_b64 vcc, exec, s[10:11]
	s_cbranch_vccnz .LBB147_66
; %bb.65:                               ;   in Loop: Header=BB147_56 Depth=1
	v_div_scale_f32 v8, s[10:11], v10, v10, v11
	v_rcp_f32_e32 v9, v8
	v_div_scale_f32 v18, vcc, v11, v10, v11
	v_fma_f32 v19, -v8, v9, 1.0
	v_fmac_f32_e32 v9, v19, v9
	v_mul_f32_e32 v19, v18, v9
	v_fma_f32 v20, -v8, v19, v18
	v_fmac_f32_e32 v19, v20, v9
	v_fma_f32 v8, -v8, v19, v18
	v_div_fmas_f32 v8, v8, v9, v19
	v_div_fixup_f32 v9, v8, v10, v11
	v_fmac_f32_e32 v10, v11, v9
	v_div_scale_f32 v8, s[10:11], v10, v10, 1.0
	v_rcp_f32_e32 v11, v8
	s_nop 0
	v_fma_f32 v18, -v8, v11, 1.0
	v_fmac_f32_e32 v11, v18, v11
	v_div_scale_f32 v18, vcc, 1.0, v10, 1.0
	v_mul_f32_e32 v19, v18, v11
	v_fma_f32 v20, -v8, v19, v18
	v_fmac_f32_e32 v19, v20, v11
	v_fma_f32 v8, -v8, v19, v18
	v_div_fmas_f32 v8, v8, v11, v19
	v_div_fixup_f32 v10, v8, v10, 1.0
	v_fma_f32 v8, v9, v13, v12
	v_fma_f32 v9, -v9, v12, v13
	v_mul_f32_e32 v8, v8, v10
	v_mul_f32_e32 v9, v9, v10
.LBB147_66:                             ;   in Loop: Header=BB147_56 Depth=1
	s_add_i32 s19, s15, -16
	s_add_i32 s10, s12, -1
	v_mov_b32_e32 v10, s19
	s_add_i32 s11, s12, -2
	s_lshl_b32 s10, s10, 3
	ds_read_b64 v[12:13], v10
	s_sub_i32 s17, s17, s10
	s_lshl_b32 s18, s11, 3
	s_add_i32 s10, s17, s18
	s_add_i32 s19, s15, 0xffffff30
	ds_write_b64 v17, v[8:9]
	v_mov_b32_e32 v10, s10
	v_mov_b32_e32 v11, s19
	;; [unrolled: 1-line block ×3, first 2 shown]
	ds_read_b64 v[20:21], v10
	ds_read_b64 v[10:11], v11
	s_waitcnt lgkmcnt(3)
	v_pk_mul_f32 v[18:19], v[18:19], v[12:13] op_sel_hi:[0,1]
	v_pk_fma_f32 v[22:23], v[6:7], v[12:13], v[18:19] op_sel:[0,0,1] op_sel_hi:[1,1,0] neg_lo:[0,0,1] neg_hi:[0,0,1]
	v_pk_fma_f32 v[12:13], v[6:7], v[12:13], v[18:19] op_sel:[0,0,1] op_sel_hi:[0,1,0]
	v_mov_b32_e32 v12, v9
	v_mov_b32_e32 v23, v13
	s_waitcnt lgkmcnt(1)
	v_pk_mul_f32 v[12:13], v[12:13], v[20:21] op_sel_hi:[0,1]
	v_pk_fma_f32 v[18:19], v[8:9], v[20:21], v[12:13] op_sel:[0,0,1] op_sel_hi:[1,1,0] neg_lo:[0,0,1] neg_hi:[0,0,1]
	v_pk_fma_f32 v[12:13], v[8:9], v[20:21], v[12:13] op_sel:[0,0,1] op_sel_hi:[0,1,0]
	v_pk_add_f32 v[4:5], v[4:5], v[22:23] neg_lo:[0,1] neg_hi:[0,1]
	v_mov_b32_e32 v19, v13
	s_waitcnt lgkmcnt(0)
	v_cmp_ngt_f32_e64 s[20:21], |v10|, |v11|
	v_pk_add_f32 v[4:5], v[4:5], v[18:19] neg_lo:[0,1] neg_hi:[0,1]
	s_mov_b64 s[10:11], -1
	s_and_b64 vcc, exec, s[20:21]
                                        ; implicit-def: $vgpr12_vgpr13
	s_cbranch_vccz .LBB147_68
; %bb.67:                               ;   in Loop: Header=BB147_56 Depth=1
	v_div_scale_f32 v12, s[10:11], v11, v11, v10
	v_rcp_f32_e32 v13, v12
	v_div_scale_f32 v17, vcc, v10, v11, v10
	v_fma_f32 v18, -v12, v13, 1.0
	v_fmac_f32_e32 v13, v18, v13
	v_mul_f32_e32 v18, v17, v13
	v_fma_f32 v19, -v12, v18, v17
	v_fmac_f32_e32 v18, v19, v13
	v_fma_f32 v12, -v12, v18, v17
	v_div_fmas_f32 v12, v12, v13, v18
	v_div_fixup_f32 v12, v12, v11, v10
	v_fma_f32 v13, v10, v12, v11
	v_div_scale_f32 v17, s[10:11], v13, v13, 1.0
	v_rcp_f32_e32 v20, v17
	v_pk_fma_f32 v[18:19], v[12:13], v[4:5], v[4:5] op_sel:[0,0,1] op_sel_hi:[1,1,0]
	s_mov_b64 s[10:11], 0
	v_fma_f32 v19, -v17, v20, 1.0
	v_fmac_f32_e32 v20, v19, v20
	v_div_scale_f32 v19, vcc, 1.0, v13, 1.0
	v_mul_f32_e32 v21, v19, v20
	v_fma_f32 v22, -v17, v21, v19
	v_fmac_f32_e32 v21, v22, v20
	v_fma_f32 v17, -v17, v21, v19
	v_div_fmas_f32 v17, v17, v20, v21
	v_div_fixup_f32 v19, v17, v13, 1.0
	v_fma_f32 v13, v12, v5, -v4
	v_mov_b32_e32 v12, v19
	v_pk_mul_f32 v[12:13], v[18:19], v[12:13]
.LBB147_68:                             ;   in Loop: Header=BB147_56 Depth=1
	s_andn2_b64 vcc, exec, s[10:11]
	s_cbranch_vccnz .LBB147_70
; %bb.69:                               ;   in Loop: Header=BB147_56 Depth=1
	v_div_scale_f32 v12, s[10:11], v10, v10, v11
	v_rcp_f32_e32 v13, v12
	v_div_scale_f32 v17, vcc, v11, v10, v11
	v_fma_f32 v18, -v12, v13, 1.0
	v_fmac_f32_e32 v13, v18, v13
	v_mul_f32_e32 v18, v17, v13
	v_fma_f32 v19, -v12, v18, v17
	v_fmac_f32_e32 v18, v19, v13
	v_fma_f32 v12, -v12, v18, v17
	v_div_fmas_f32 v12, v12, v13, v18
	v_div_fixup_f32 v12, v12, v10, v11
	v_fmac_f32_e32 v10, v11, v12
	v_div_scale_f32 v11, s[10:11], v10, v10, 1.0
	v_rcp_f32_e32 v13, v11
	s_nop 0
	v_fma_f32 v17, -v11, v13, 1.0
	v_fmac_f32_e32 v13, v17, v13
	v_div_scale_f32 v17, vcc, 1.0, v10, 1.0
	v_mul_f32_e32 v18, v17, v13
	v_fma_f32 v19, -v11, v18, v17
	v_fmac_f32_e32 v18, v19, v13
	v_fma_f32 v11, -v11, v18, v17
	v_div_fmas_f32 v11, v11, v13, v18
	v_pk_fma_f32 v[18:19], v[12:13], v[4:5], v[4:5] op_sel:[0,1,0] op_sel_hi:[1,0,1]
	v_pk_fma_f32 v[4:5], v[12:13], v[4:5], v[4:5] op_sel:[0,1,0] op_sel_hi:[0,0,1] neg_lo:[1,0,0] neg_hi:[1,0,0]
	v_div_fixup_f32 v10, v11, v10, 1.0
	v_mov_b32_e32 v19, v5
	v_pk_mul_f32 v[12:13], v[18:19], v[10:11] op_sel_hi:[1,0]
.LBB147_70:                             ;   in Loop: Header=BB147_56 Depth=1
	s_sub_i32 s10, s15, 24
	v_mov_b32_e32 v4, s10
	ds_write_b64 v16, v[12:13]
	ds_read_b64 v[16:17], v4
	s_lshl_b32 s11, s14, 3
	s_sub_i32 s14, s19, s18
	s_add_i32 s16, s16, s13
	s_add_i32 s13, s17, s11
	;; [unrolled: 1-line block ×3, first 2 shown]
	v_mov_b32_e32 v4, s13
	v_mov_b32_e32 v5, s11
	s_sub_i32 s10, s16, 24
	v_mov_b32_e32 v10, v7
	v_mov_b32_e32 v11, v7
	;; [unrolled: 1-line block ×3, first 2 shown]
	ds_read_b64 v[20:21], v4
	ds_read_b64 v[22:23], v5
	;; [unrolled: 1-line block ×3, first 2 shown]
	v_mov_b32_e32 v7, v6
	s_waitcnt lgkmcnt(3)
	v_pk_mul_f32 v[10:11], v[10:11], v[16:17]
	v_mov_b32_e32 v18, v9
	v_mov_b32_e32 v19, v9
	v_pk_fma_f32 v[24:25], v[6:7], v[16:17], v[10:11] op_sel:[0,0,1] op_sel_hi:[1,1,0] neg_lo:[0,0,1] neg_hi:[0,0,1]
	v_pk_fma_f32 v[6:7], v[6:7], v[16:17], v[10:11] op_sel:[0,0,1] op_sel_hi:[1,1,0]
	v_mov_b32_e32 v9, v8
	v_mov_b32_e32 v25, v7
	s_waitcnt lgkmcnt(2)
	v_pk_mul_f32 v[6:7], v[18:19], v[20:21]
	v_pk_add_f32 v[2:3], v[2:3], v[24:25] neg_lo:[0,1] neg_hi:[0,1]
	v_pk_fma_f32 v[10:11], v[8:9], v[20:21], v[6:7] op_sel:[0,0,1] op_sel_hi:[1,1,0] neg_lo:[0,0,1] neg_hi:[0,0,1]
	v_pk_fma_f32 v[6:7], v[8:9], v[20:21], v[6:7] op_sel:[0,0,1] op_sel_hi:[1,1,0]
	s_waitcnt lgkmcnt(0)
	v_cmp_ngt_f32_e64 s[14:15], |v4|, |v5|
	v_mov_b32_e32 v11, v7
	v_pk_mul_f32 v[6:7], v[12:13], v[22:23] op_sel:[1,1] op_sel_hi:[1,0]
	v_pk_add_f32 v[2:3], v[2:3], v[10:11] neg_lo:[0,1] neg_hi:[0,1]
	v_pk_fma_f32 v[8:9], v[12:13], v[22:23], v[6:7] neg_lo:[0,0,1] neg_hi:[0,0,1]
	v_pk_fma_f32 v[6:7], v[12:13], v[22:23], v[6:7] op_sel_hi:[0,1,1]
	v_mov_b32_e32 v9, v7
	v_pk_add_f32 v[2:3], v[2:3], v[8:9] neg_lo:[0,1] neg_hi:[0,1]
	s_mov_b64 s[10:11], -1
	s_and_b64 vcc, exec, s[14:15]
                                        ; implicit-def: $vgpr6_vgpr7
	s_cbranch_vccz .LBB147_72
; %bb.71:                               ;   in Loop: Header=BB147_56 Depth=1
	v_div_scale_f32 v6, s[10:11], v5, v5, v4
	v_rcp_f32_e32 v7, v6
	v_div_scale_f32 v8, vcc, v4, v5, v4
	v_fma_f32 v9, -v6, v7, 1.0
	v_fmac_f32_e32 v7, v9, v7
	v_mul_f32_e32 v9, v8, v7
	v_fma_f32 v10, -v6, v9, v8
	v_fmac_f32_e32 v9, v10, v7
	v_fma_f32 v6, -v6, v9, v8
	v_div_fmas_f32 v6, v6, v7, v9
	v_div_fixup_f32 v6, v6, v5, v4
	v_fma_f32 v7, v4, v6, v5
	v_div_scale_f32 v10, s[10:11], v7, v7, 1.0
	v_rcp_f32_e32 v11, v10
	v_pk_fma_f32 v[8:9], v[6:7], v[2:3], v[2:3] op_sel:[0,0,1] op_sel_hi:[1,1,0]
	s_mov_b64 s[10:11], 0
	v_fma_f32 v9, -v10, v11, 1.0
	v_fmac_f32_e32 v11, v9, v11
	v_div_scale_f32 v9, vcc, 1.0, v7, 1.0
	v_mul_f32_e32 v12, v9, v11
	v_fma_f32 v13, -v10, v12, v9
	v_fmac_f32_e32 v12, v13, v11
	v_fma_f32 v9, -v10, v12, v9
	v_div_fmas_f32 v9, v9, v11, v12
	v_div_fixup_f32 v9, v9, v7, 1.0
	v_fma_f32 v7, v6, v3, -v2
	v_mov_b32_e32 v6, v9
	v_pk_mul_f32 v[6:7], v[8:9], v[6:7]
.LBB147_72:                             ;   in Loop: Header=BB147_56 Depth=1
	s_andn2_b64 vcc, exec, s[10:11]
	s_cbranch_vccnz .LBB147_74
; %bb.73:                               ;   in Loop: Header=BB147_56 Depth=1
	v_div_scale_f32 v6, s[10:11], v4, v4, v5
	v_rcp_f32_e32 v7, v6
	v_div_scale_f32 v8, vcc, v5, v4, v5
	v_fma_f32 v9, -v6, v7, 1.0
	v_fmac_f32_e32 v7, v9, v7
	v_mul_f32_e32 v9, v8, v7
	v_fma_f32 v10, -v6, v9, v8
	v_fmac_f32_e32 v9, v10, v7
	v_fma_f32 v6, -v6, v9, v8
	v_div_fmas_f32 v6, v6, v7, v9
	v_div_fixup_f32 v6, v6, v4, v5
	v_fmac_f32_e32 v4, v5, v6
	v_div_scale_f32 v5, s[10:11], v4, v4, 1.0
	v_rcp_f32_e32 v7, v5
	s_nop 0
	v_fma_f32 v8, -v5, v7, 1.0
	v_fmac_f32_e32 v7, v8, v7
	v_div_scale_f32 v8, vcc, 1.0, v4, 1.0
	v_mul_f32_e32 v9, v8, v7
	v_fma_f32 v10, -v5, v9, v8
	v_fmac_f32_e32 v9, v10, v7
	v_fma_f32 v5, -v5, v9, v8
	v_div_fmas_f32 v5, v5, v7, v9
	v_pk_fma_f32 v[8:9], v[6:7], v[2:3], v[2:3] op_sel:[0,1,0] op_sel_hi:[1,0,1]
	v_pk_fma_f32 v[2:3], v[6:7], v[2:3], v[2:3] op_sel:[0,1,0] op_sel_hi:[0,0,1] neg_lo:[1,0,0] neg_hi:[1,0,0]
	v_div_fixup_f32 v4, v5, v4, 1.0
	v_mov_b32_e32 v9, v3
	v_pk_mul_f32 v[6:7], v[8:9], v[4:5] op_sel_hi:[1,0]
.LBB147_74:                             ;   in Loop: Header=BB147_56 Depth=1
	s_add_i32 s13, s12, -4
	s_sub_i32 s9, s9, 32
	s_cmp_lt_i32 s12, 7
	ds_write_b64 v15, v[6:7]
	s_cbranch_scc1 .LBB147_76
; %bb.75:                               ;   in Loop: Header=BB147_56 Depth=1
	s_mov_b32 s12, s13
	s_branch .LBB147_56
.LBB147_76:
	s_cmp_lt_i32 s13, 0
	s_cbranch_scc1 .LBB147_85
; %bb.77:
	s_mul_i32 s10, s26, 0x60
	s_lshl_b32 s9, s13, 3
	s_add_i32 s9, s10, s9
	v_lshl_add_u32 v2, v0, 3, s10
	s_addk_i32 s9, 0xffa0
	v_add_u32_e32 v8, 0x420, v2
	s_branch .LBB147_79
.LBB147_78:                             ;   in Loop: Header=BB147_79 Depth=1
	v_sub_co_u32_e64 v2, s[10:11], s13, 1
	s_nop 0
	v_readfirstlane_b32 s13, v2
	s_add_i32 s9, s9, -8
	s_and_b64 vcc, exec, s[10:11]
	ds_write_b64 v9, v[6:7]
	s_cbranch_vccnz .LBB147_85
.LBB147_79:                             ; =>This Loop Header: Depth=1
                                        ;     Child Loop BB147_80 Depth 2
	s_mul_i32 s10, s13, 0x60
	v_add_u32_e32 v9, s10, v1
	ds_read_b64 v[2:3], v9
	s_cmp_le_i32 s7, s13
	v_mov_b32_e32 v4, v8
	s_mov_b32 s11, s9
	s_mov_b32 s12, s7
	s_cbranch_scc1 .LBB147_81
.LBB147_80:                             ;   Parent Loop BB147_79 Depth=1
                                        ; =>  This Inner Loop Header: Depth=2
	v_mov_b32_e32 v5, s11
	ds_read_b64 v[6:7], v4
	ds_read_b64 v[10:11], v5
	s_add_i32 s12, s12, -1
	s_addk_i32 s11, 0xffa0
	v_add_u32_e32 v4, 0xffffffa0, v4
	s_cmp_le_u32 s12, s13
	s_waitcnt lgkmcnt(0)
	v_pk_mul_f32 v[12:13], v[10:11], v[6:7] op_sel:[1,1] op_sel_hi:[0,1]
	v_pk_fma_f32 v[14:15], v[10:11], v[6:7], v[12:13] op_sel_hi:[1,0,1]
	v_pk_fma_f32 v[6:7], v[10:11], v[6:7], v[12:13] op_sel_hi:[1,0,1] neg_lo:[0,0,1] neg_hi:[0,0,1]
	s_nop 0
	v_mov_b32_e32 v7, v15
	v_pk_add_f32 v[2:3], v[2:3], v[6:7] neg_lo:[0,1] neg_hi:[0,1]
	s_cbranch_scc0 .LBB147_80
.LBB147_81:                             ;   in Loop: Header=BB147_79 Depth=1
	s_lshl_b32 s11, s13, 3
	s_add_i32 s10, s11, s10
	v_mov_b32_e32 v4, s10
	ds_read_b64 v[4:5], v4
	s_mov_b64 s[10:11], -1
                                        ; implicit-def: $vgpr6_vgpr7
	s_waitcnt lgkmcnt(0)
	v_cmp_ngt_f32_e64 s[14:15], |v4|, |v5|
	s_and_b64 vcc, exec, s[14:15]
	s_cbranch_vccz .LBB147_83
; %bb.82:                               ;   in Loop: Header=BB147_79 Depth=1
	v_div_scale_f32 v6, s[10:11], v5, v5, v4
	v_rcp_f32_e32 v7, v6
	v_div_scale_f32 v10, vcc, v4, v5, v4
	v_fma_f32 v11, -v6, v7, 1.0
	v_fmac_f32_e32 v7, v11, v7
	v_mul_f32_e32 v11, v10, v7
	v_fma_f32 v12, -v6, v11, v10
	v_fmac_f32_e32 v11, v12, v7
	v_fma_f32 v6, -v6, v11, v10
	v_div_fmas_f32 v6, v6, v7, v11
	v_div_fixup_f32 v6, v6, v5, v4
	v_fma_f32 v7, v4, v6, v5
	v_div_scale_f32 v10, s[10:11], v7, v7, 1.0
	v_rcp_f32_e32 v11, v10
	s_mov_b64 s[10:11], 0
	v_fma_f32 v12, -v10, v11, 1.0
	v_fmac_f32_e32 v11, v12, v11
	v_div_scale_f32 v12, vcc, 1.0, v7, 1.0
	v_mul_f32_e32 v13, v12, v11
	v_fma_f32 v14, -v10, v13, v12
	v_fmac_f32_e32 v13, v14, v11
	v_fma_f32 v10, -v10, v13, v12
	v_div_fmas_f32 v10, v10, v11, v13
	v_div_fixup_f32 v10, v10, v7, 1.0
	v_pk_fma_f32 v[12:13], v[2:3], v[6:7], v[2:3] op_sel:[0,0,1] op_sel_hi:[1,0,0] neg_lo:[0,0,1] neg_hi:[0,0,1]
	v_pk_fma_f32 v[6:7], v[2:3], v[6:7], v[2:3] op_sel:[0,0,1] op_sel_hi:[1,0,0]
	s_nop 0
	v_mov_b32_e32 v7, v13
	v_pk_mul_f32 v[6:7], v[6:7], v[10:11] op_sel_hi:[1,0]
.LBB147_83:                             ;   in Loop: Header=BB147_79 Depth=1
	s_andn2_b64 vcc, exec, s[10:11]
	s_cbranch_vccnz .LBB147_78
; %bb.84:                               ;   in Loop: Header=BB147_79 Depth=1
	v_div_scale_f32 v6, s[10:11], v4, v4, v5
	v_rcp_f32_e32 v7, v6
	v_div_scale_f32 v10, vcc, v5, v4, v5
	v_fma_f32 v11, -v6, v7, 1.0
	v_fmac_f32_e32 v7, v11, v7
	v_mul_f32_e32 v11, v10, v7
	v_fma_f32 v12, -v6, v11, v10
	v_fmac_f32_e32 v11, v12, v7
	v_fma_f32 v6, -v6, v11, v10
	v_div_fmas_f32 v6, v6, v7, v11
	v_div_fixup_f32 v6, v6, v4, v5
	v_fmac_f32_e32 v4, v5, v6
	v_div_scale_f32 v5, s[10:11], v4, v4, 1.0
	v_rcp_f32_e32 v7, v5
	s_nop 0
	v_fma_f32 v10, -v5, v7, 1.0
	v_fmac_f32_e32 v7, v10, v7
	v_div_scale_f32 v10, vcc, 1.0, v4, 1.0
	v_mul_f32_e32 v11, v10, v7
	v_fma_f32 v12, -v5, v11, v10
	v_fmac_f32_e32 v11, v12, v7
	v_fma_f32 v5, -v5, v11, v10
	v_div_fmas_f32 v5, v5, v7, v11
	v_pk_fma_f32 v[10:11], v[2:3], v[6:7], v[2:3] op_sel:[1,0,0] op_sel_hi:[0,0,1] neg_lo:[1,0,0] neg_hi:[1,0,0]
	v_pk_fma_f32 v[2:3], v[2:3], v[6:7], v[2:3] op_sel:[1,0,0] op_sel_hi:[0,0,1]
	v_div_fixup_f32 v4, v5, v4, 1.0
	v_mov_b32_e32 v3, v11
	v_pk_mul_f32 v[6:7], v[2:3], v[4:5] op_sel_hi:[1,0]
	s_branch .LBB147_78
.LBB147_85:
	s_mov_b64 s[14:15], 0
.LBB147_86:
	s_andn2_b64 vcc, exec, s[14:15]
	s_cbranch_vccnz .LBB147_118
; %bb.87:
	s_andn2_b64 vcc, exec, s[4:5]
	s_mul_i32 s9, s26, 0x60
	s_mov_b32 s12, s7
	s_cbranch_vccnz .LBB147_109
; %bb.88:
	v_lshl_add_u32 v2, v0, 3, s9
	s_mul_i32 s4, s26, 0x68
	v_add_u32_e32 v14, 0x420, v2
	s_add_i32 s10, s4, 0xfffffe78
	s_mov_b32 s11, s7
.LBB147_89:                             ; =>This Loop Header: Depth=1
                                        ;     Child Loop BB147_90 Depth 2
	s_mul_i32 s12, s11, 12
	v_lshl_add_u32 v18, s12, 3, v1
	v_add_u32_e32 v17, 0xffffffa0, v18
	v_add_u32_e32 v16, 0xffffff40, v18
	;; [unrolled: 1-line block ×3, first 2 shown]
	ds_read_b64 v[2:3], v18
	ds_read_b64 v[12:13], v17
	;; [unrolled: 1-line block ×4, first 2 shown]
	s_cmp_le_i32 s7, s11
	s_mov_b32 s4, s10
	v_mov_b32_e32 v4, v14
	s_mov_b32 s5, s7
	s_cbranch_scc1 .LBB147_91
.LBB147_90:                             ;   Parent Loop BB147_89 Depth=1
                                        ; =>  This Inner Loop Header: Depth=2
	v_mov_b32_e32 v5, s4
	ds_read_b64 v[10:11], v4
	ds_read2_b64 v[20:23], v5 offset0:24 offset1:36
	ds_read2_b64 v[24:27], v5 offset1:12
	s_add_i32 s5, s5, -1
	s_add_i32 s4, s4, -8
	v_add_u32_e32 v4, 0xffffffa0, v4
	s_waitcnt lgkmcnt(1)
	v_mul_f32_e32 v5, v23, v11
	v_mul_f32_e32 v19, v22, v11
	;; [unrolled: 1-line block ×4, first 2 shown]
	s_waitcnt lgkmcnt(0)
	v_pk_mul_f32 v[28:29], v[26:27], v[10:11] op_sel:[0,1]
	v_pk_mul_f32 v[30:31], v[24:25], v[10:11] op_sel:[0,1]
	v_fma_f32 v5, v22, v10, -v5
	v_fmac_f32_e32 v19, v23, v10
	v_fma_f32 v32, v20, v10, -v32
	v_fmac_f32_e32 v33, v20, v11
	v_pk_fma_f32 v[20:21], v[26:27], v[10:11], v[28:29] op_sel:[0,0,1] op_sel_hi:[1,1,0] neg_lo:[0,0,1] neg_hi:[0,0,1]
	v_pk_fma_f32 v[22:23], v[26:27], v[10:11], v[28:29] op_sel:[0,0,1] op_sel_hi:[1,0,0]
	v_pk_fma_f32 v[26:27], v[24:25], v[10:11], v[30:31] op_sel:[0,0,1] op_sel_hi:[1,1,0] neg_lo:[0,0,1] neg_hi:[0,0,1]
	v_pk_fma_f32 v[10:11], v[24:25], v[10:11], v[30:31] op_sel:[0,0,1] op_sel_hi:[1,0,0]
	v_mov_b32_e32 v21, v23
	v_mov_b32_e32 v27, v11
	s_cmp_le_i32 s5, s11
	v_sub_f32_e32 v2, v2, v5
	v_sub_f32_e32 v3, v3, v19
	;; [unrolled: 1-line block ×4, first 2 shown]
	v_pk_add_f32 v[8:9], v[8:9], v[20:21] neg_lo:[0,1] neg_hi:[0,1]
	v_pk_add_f32 v[6:7], v[6:7], v[26:27] neg_lo:[0,1] neg_hi:[0,1]
	s_cbranch_scc0 .LBB147_90
.LBB147_91:                             ;   in Loop: Header=BB147_89 Depth=1
	s_mul_i32 s4, s11, 0x68
	v_mov_b32_e32 v4, s4
	ds_read_b64 v[4:5], v4
	s_mov_b64 s[4:5], -1
                                        ; implicit-def: $vgpr11
	s_waitcnt lgkmcnt(0)
	v_cmp_ngt_f32_e64 s[14:15], |v4|, |v5|
	s_and_b64 vcc, exec, s[14:15]
	s_cbranch_vccz .LBB147_93
; %bb.92:                               ;   in Loop: Header=BB147_89 Depth=1
	v_div_scale_f32 v10, s[4:5], v5, v5, v4
	v_rcp_f32_e32 v11, v10
	v_div_scale_f32 v19, vcc, v4, v5, v4
	v_fma_f32 v20, -v10, v11, 1.0
	v_fmac_f32_e32 v11, v20, v11
	v_mul_f32_e32 v20, v19, v11
	v_fma_f32 v21, -v10, v20, v19
	v_fmac_f32_e32 v20, v21, v11
	v_fma_f32 v10, -v10, v20, v19
	v_div_fmas_f32 v10, v10, v11, v20
	v_div_fixup_f32 v11, v10, v5, v4
	v_fma_f32 v10, v4, v11, v5
	v_div_scale_f32 v19, s[4:5], v10, v10, 1.0
	v_rcp_f32_e32 v20, v19
	s_mov_b64 s[4:5], 0
	v_fma_f32 v21, -v19, v20, 1.0
	v_fmac_f32_e32 v20, v21, v20
	v_div_scale_f32 v21, vcc, 1.0, v10, 1.0
	v_mul_f32_e32 v22, v21, v20
	v_fma_f32 v23, -v19, v22, v21
	v_fmac_f32_e32 v22, v23, v20
	v_fma_f32 v19, -v19, v22, v21
	v_div_fmas_f32 v19, v19, v20, v22
	v_div_fixup_f32 v19, v19, v10, 1.0
	v_fma_f32 v10, v2, v11, v3
	v_fma_f32 v11, v3, v11, -v2
	v_mul_f32_e32 v10, v10, v19
	v_mul_f32_e32 v11, v11, v19
.LBB147_93:                             ;   in Loop: Header=BB147_89 Depth=1
	s_andn2_b64 vcc, exec, s[4:5]
	s_cbranch_vccnz .LBB147_95
; %bb.94:                               ;   in Loop: Header=BB147_89 Depth=1
	v_div_scale_f32 v10, s[4:5], v4, v4, v5
	v_rcp_f32_e32 v11, v10
	v_div_scale_f32 v19, vcc, v5, v4, v5
	v_fma_f32 v20, -v10, v11, 1.0
	v_fmac_f32_e32 v11, v20, v11
	v_mul_f32_e32 v20, v19, v11
	v_fma_f32 v21, -v10, v20, v19
	v_fmac_f32_e32 v20, v21, v11
	v_fma_f32 v10, -v10, v20, v19
	v_div_fmas_f32 v10, v10, v11, v20
	v_div_fixup_f32 v11, v10, v4, v5
	v_fmac_f32_e32 v4, v5, v11
	v_div_scale_f32 v5, s[4:5], v4, v4, 1.0
	v_rcp_f32_e32 v10, v5
	s_nop 0
	v_fma_f32 v19, -v5, v10, 1.0
	v_fmac_f32_e32 v10, v19, v10
	v_div_scale_f32 v19, vcc, 1.0, v4, 1.0
	v_mul_f32_e32 v20, v19, v10
	v_fma_f32 v21, -v5, v20, v19
	v_fmac_f32_e32 v20, v21, v10
	v_fma_f32 v5, -v5, v20, v19
	v_div_fmas_f32 v5, v5, v10, v20
	v_div_fixup_f32 v4, v5, v4, 1.0
	v_fma_f32 v5, v3, v11, v2
	v_fma_f32 v2, -v2, v11, v3
	v_mul_f32_e32 v10, v5, v4
	v_mul_f32_e32 v11, v2, v4
.LBB147_95:                             ;   in Loop: Header=BB147_89 Depth=1
	s_lshl_b32 s12, s12, 3
	s_lshl_b32 s13, s11, 3
	s_addk_i32 s12, 0xffa0
	s_add_i32 s4, s13, s12
	s_add_i32 s4, s4, -8
	v_mov_b32_e32 v2, s4
	ds_read2_b64 v[2:5], v2 offset1:1
	ds_write_b64 v18, v[10:11]
	s_mov_b64 s[4:5], -1
	s_waitcnt lgkmcnt(1)
	v_mul_f32_e32 v18, v11, v5
	v_mul_f32_e32 v5, v10, v5
	v_fma_f32 v18, v10, v4, -v18
	v_fmac_f32_e32 v5, v11, v4
	v_cmp_ngt_f32_e64 s[14:15], |v2|, |v3|
	v_sub_f32_e32 v4, v12, v18
	v_sub_f32_e32 v5, v13, v5
	s_and_b64 vcc, exec, s[14:15]
                                        ; implicit-def: $vgpr13
	s_cbranch_vccz .LBB147_97
; %bb.96:                               ;   in Loop: Header=BB147_89 Depth=1
	v_div_scale_f32 v12, s[4:5], v3, v3, v2
	v_rcp_f32_e32 v13, v12
	v_div_scale_f32 v18, vcc, v2, v3, v2
	v_fma_f32 v19, -v12, v13, 1.0
	v_fmac_f32_e32 v13, v19, v13
	v_mul_f32_e32 v19, v18, v13
	v_fma_f32 v20, -v12, v19, v18
	v_fmac_f32_e32 v19, v20, v13
	v_fma_f32 v12, -v12, v19, v18
	v_div_fmas_f32 v12, v12, v13, v19
	v_div_fixup_f32 v13, v12, v3, v2
	v_fma_f32 v12, v2, v13, v3
	v_div_scale_f32 v18, s[4:5], v12, v12, 1.0
	v_rcp_f32_e32 v19, v18
	s_mov_b64 s[4:5], 0
	v_fma_f32 v20, -v18, v19, 1.0
	v_fmac_f32_e32 v19, v20, v19
	v_div_scale_f32 v20, vcc, 1.0, v12, 1.0
	v_mul_f32_e32 v21, v20, v19
	v_fma_f32 v22, -v18, v21, v20
	v_fmac_f32_e32 v21, v22, v19
	v_fma_f32 v18, -v18, v21, v20
	v_div_fmas_f32 v18, v18, v19, v21
	v_div_fixup_f32 v18, v18, v12, 1.0
	v_fma_f32 v12, v13, v4, v5
	v_fma_f32 v13, v13, v5, -v4
	v_mul_f32_e32 v12, v12, v18
	v_mul_f32_e32 v13, v13, v18
.LBB147_97:                             ;   in Loop: Header=BB147_89 Depth=1
	s_andn2_b64 vcc, exec, s[4:5]
	s_cbranch_vccnz .LBB147_99
; %bb.98:                               ;   in Loop: Header=BB147_89 Depth=1
	v_div_scale_f32 v12, s[4:5], v2, v2, v3
	v_rcp_f32_e32 v13, v12
	v_div_scale_f32 v18, vcc, v3, v2, v3
	v_fma_f32 v19, -v12, v13, 1.0
	v_fmac_f32_e32 v13, v19, v13
	v_mul_f32_e32 v19, v18, v13
	v_fma_f32 v20, -v12, v19, v18
	v_fmac_f32_e32 v19, v20, v13
	v_fma_f32 v12, -v12, v19, v18
	v_div_fmas_f32 v12, v12, v13, v19
	v_div_fixup_f32 v13, v12, v2, v3
	v_fmac_f32_e32 v2, v3, v13
	v_div_scale_f32 v3, s[4:5], v2, v2, 1.0
	v_rcp_f32_e32 v12, v3
	s_nop 0
	v_fma_f32 v18, -v3, v12, 1.0
	v_fmac_f32_e32 v12, v18, v12
	v_div_scale_f32 v18, vcc, 1.0, v2, 1.0
	v_mul_f32_e32 v19, v18, v12
	v_fma_f32 v20, -v3, v19, v18
	v_fmac_f32_e32 v19, v20, v12
	v_fma_f32 v3, -v3, v19, v18
	v_div_fmas_f32 v3, v3, v12, v19
	v_div_fixup_f32 v2, v3, v2, 1.0
	v_fma_f32 v3, v13, v5, v4
	v_mul_f32_e32 v12, v3, v2
	v_fma_f32 v3, -v13, v4, v5
	v_mul_f32_e32 v13, v3, v2
.LBB147_99:                             ;   in Loop: Header=BB147_89 Depth=1
	s_addk_i32 s12, 0xffa0
	s_add_i32 s12, s12, s13
	v_mov_b32_e32 v2, s12
	ds_read_b64 v[18:19], v2
	s_add_i32 s4, s12, -16
	v_mov_b32_e32 v2, s4
	ds_read2_b64 v[2:5], v2 offset1:1
	v_mov_b32_e32 v20, v11
	s_waitcnt lgkmcnt(1)
	v_pk_mul_f32 v[20:21], v[20:21], v[18:19] op_sel_hi:[0,1]
	v_pk_fma_f32 v[22:23], v[10:11], v[18:19], v[20:21] op_sel:[0,0,1] op_sel_hi:[1,1,0] neg_lo:[0,0,1] neg_hi:[0,0,1]
	v_pk_fma_f32 v[18:19], v[10:11], v[18:19], v[20:21] op_sel:[0,0,1] op_sel_hi:[0,1,0]
	v_mov_b32_e32 v18, v13
	v_mov_b32_e32 v23, v19
	s_waitcnt lgkmcnt(0)
	v_pk_mul_f32 v[18:19], v[18:19], v[4:5] op_sel_hi:[0,1]
	v_pk_fma_f32 v[20:21], v[12:13], v[4:5], v[18:19] op_sel:[0,0,1] op_sel_hi:[1,1,0] neg_lo:[0,0,1] neg_hi:[0,0,1]
	v_pk_fma_f32 v[4:5], v[12:13], v[4:5], v[18:19] op_sel:[0,0,1] op_sel_hi:[0,1,0]
	v_pk_add_f32 v[8:9], v[8:9], v[22:23] neg_lo:[0,1] neg_hi:[0,1]
	v_mov_b32_e32 v21, v5
	v_cmp_ngt_f32_e64 s[14:15], |v2|, |v3|
	v_pk_add_f32 v[4:5], v[8:9], v[20:21] neg_lo:[0,1] neg_hi:[0,1]
	s_mov_b64 s[4:5], -1
	s_and_b64 vcc, exec, s[14:15]
	ds_write_b64 v17, v[12:13]
                                        ; implicit-def: $vgpr8_vgpr9
	s_cbranch_vccz .LBB147_101
; %bb.100:                              ;   in Loop: Header=BB147_89 Depth=1
	v_div_scale_f32 v8, s[4:5], v3, v3, v2
	v_rcp_f32_e32 v9, v8
	v_div_scale_f32 v17, vcc, v2, v3, v2
	v_fma_f32 v18, -v8, v9, 1.0
	v_fmac_f32_e32 v9, v18, v9
	v_mul_f32_e32 v18, v17, v9
	v_fma_f32 v19, -v8, v18, v17
	v_fmac_f32_e32 v18, v19, v9
	v_fma_f32 v8, -v8, v18, v17
	v_div_fmas_f32 v8, v8, v9, v18
	v_div_fixup_f32 v8, v8, v3, v2
	v_fma_f32 v9, v2, v8, v3
	v_div_scale_f32 v17, s[4:5], v9, v9, 1.0
	v_rcp_f32_e32 v20, v17
	v_pk_fma_f32 v[18:19], v[8:9], v[4:5], v[4:5] op_sel:[0,0,1] op_sel_hi:[1,1,0]
	s_mov_b64 s[4:5], 0
	v_fma_f32 v19, -v17, v20, 1.0
	v_fmac_f32_e32 v20, v19, v20
	v_div_scale_f32 v19, vcc, 1.0, v9, 1.0
	v_mul_f32_e32 v21, v19, v20
	v_fma_f32 v22, -v17, v21, v19
	v_fmac_f32_e32 v21, v22, v20
	v_fma_f32 v17, -v17, v21, v19
	v_div_fmas_f32 v17, v17, v20, v21
	v_div_fixup_f32 v19, v17, v9, 1.0
	v_fma_f32 v9, v8, v5, -v4
	v_mov_b32_e32 v8, v19
	v_pk_mul_f32 v[8:9], v[18:19], v[8:9]
.LBB147_101:                            ;   in Loop: Header=BB147_89 Depth=1
	s_andn2_b64 vcc, exec, s[4:5]
	s_cbranch_vccnz .LBB147_103
; %bb.102:                              ;   in Loop: Header=BB147_89 Depth=1
	v_div_scale_f32 v8, s[4:5], v2, v2, v3
	v_rcp_f32_e32 v9, v8
	v_div_scale_f32 v17, vcc, v3, v2, v3
	v_fma_f32 v18, -v8, v9, 1.0
	v_fmac_f32_e32 v9, v18, v9
	v_mul_f32_e32 v18, v17, v9
	v_fma_f32 v19, -v8, v18, v17
	v_fmac_f32_e32 v18, v19, v9
	v_fma_f32 v8, -v8, v18, v17
	v_div_fmas_f32 v8, v8, v9, v18
	v_div_fixup_f32 v8, v8, v2, v3
	v_fmac_f32_e32 v2, v3, v8
	v_div_scale_f32 v3, s[4:5], v2, v2, 1.0
	v_rcp_f32_e32 v9, v3
	s_nop 0
	v_fma_f32 v17, -v3, v9, 1.0
	v_fmac_f32_e32 v9, v17, v9
	v_div_scale_f32 v17, vcc, 1.0, v2, 1.0
	v_mul_f32_e32 v18, v17, v9
	v_fma_f32 v19, -v3, v18, v17
	v_fmac_f32_e32 v18, v19, v9
	v_fma_f32 v3, -v3, v18, v17
	v_div_fmas_f32 v3, v3, v9, v18
	v_pk_fma_f32 v[18:19], v[8:9], v[4:5], v[4:5] op_sel:[0,1,0] op_sel_hi:[1,0,1]
	v_pk_fma_f32 v[4:5], v[8:9], v[4:5], v[4:5] op_sel:[0,1,0] op_sel_hi:[0,0,1] neg_lo:[1,0,0] neg_hi:[1,0,0]
	v_div_fixup_f32 v2, v3, v2, 1.0
	v_mov_b32_e32 v19, v5
	v_pk_mul_f32 v[8:9], v[18:19], v[2:3] op_sel_hi:[1,0]
.LBB147_103:                            ;   in Loop: Header=BB147_89 Depth=1
	s_add_i32 s4, s12, 0xffffff98
	v_mov_b32_e32 v2, s4
	ds_read2_b64 v[18:21], v2 offset1:1
	s_add_i32 s4, s12, 0xffffff88
	v_mov_b32_e32 v2, s4
	v_mov_b32_e32 v22, v11
	;; [unrolled: 1-line block ×3, first 2 shown]
	ds_read2_b64 v[2:5], v2 offset1:1
	v_mov_b32_e32 v11, v10
	ds_write_b64 v16, v[8:9]
	s_waitcnt lgkmcnt(2)
	v_pk_mul_f32 v[16:17], v[22:23], v[20:21]
	v_mov_b32_e32 v24, v13
	v_mov_b32_e32 v25, v13
	v_pk_fma_f32 v[22:23], v[10:11], v[20:21], v[16:17] op_sel:[0,0,1] op_sel_hi:[1,1,0] neg_lo:[0,0,1] neg_hi:[0,0,1]
	v_pk_fma_f32 v[10:11], v[10:11], v[20:21], v[16:17] op_sel:[0,0,1] op_sel_hi:[1,1,0]
	v_mov_b32_e32 v13, v12
	v_mov_b32_e32 v23, v11
	v_pk_mul_f32 v[10:11], v[24:25], v[18:19]
	v_pk_add_f32 v[6:7], v[6:7], v[22:23] neg_lo:[0,1] neg_hi:[0,1]
	v_pk_fma_f32 v[16:17], v[12:13], v[18:19], v[10:11] op_sel:[0,0,1] op_sel_hi:[1,1,0] neg_lo:[0,0,1] neg_hi:[0,0,1]
	v_pk_fma_f32 v[10:11], v[12:13], v[18:19], v[10:11] op_sel:[0,0,1] op_sel_hi:[1,1,0]
	s_waitcnt lgkmcnt(1)
	v_cmp_ngt_f32_e64 s[12:13], |v2|, |v3|
	v_mov_b32_e32 v17, v11
	v_pk_mul_f32 v[10:11], v[8:9], v[4:5] op_sel:[1,1] op_sel_hi:[1,0]
	v_pk_add_f32 v[6:7], v[6:7], v[16:17] neg_lo:[0,1] neg_hi:[0,1]
	v_pk_fma_f32 v[12:13], v[8:9], v[4:5], v[10:11] neg_lo:[0,0,1] neg_hi:[0,0,1]
	v_pk_fma_f32 v[4:5], v[8:9], v[4:5], v[10:11] op_sel_hi:[0,1,1]
	v_mov_b32_e32 v13, v5
	v_pk_add_f32 v[4:5], v[6:7], v[12:13] neg_lo:[0,1] neg_hi:[0,1]
	s_mov_b64 s[4:5], -1
	s_and_b64 vcc, exec, s[12:13]
                                        ; implicit-def: $vgpr6_vgpr7
	s_cbranch_vccz .LBB147_105
; %bb.104:                              ;   in Loop: Header=BB147_89 Depth=1
	v_div_scale_f32 v6, s[4:5], v3, v3, v2
	v_rcp_f32_e32 v7, v6
	v_div_scale_f32 v8, vcc, v2, v3, v2
	v_fma_f32 v9, -v6, v7, 1.0
	v_fmac_f32_e32 v7, v9, v7
	v_mul_f32_e32 v9, v8, v7
	v_fma_f32 v10, -v6, v9, v8
	v_fmac_f32_e32 v9, v10, v7
	v_fma_f32 v6, -v6, v9, v8
	v_div_fmas_f32 v6, v6, v7, v9
	v_div_fixup_f32 v6, v6, v3, v2
	v_fma_f32 v7, v2, v6, v3
	v_div_scale_f32 v10, s[4:5], v7, v7, 1.0
	v_rcp_f32_e32 v11, v10
	v_pk_fma_f32 v[8:9], v[6:7], v[4:5], v[4:5] op_sel:[0,0,1] op_sel_hi:[1,1,0]
	s_mov_b64 s[4:5], 0
	v_fma_f32 v9, -v10, v11, 1.0
	v_fmac_f32_e32 v11, v9, v11
	v_div_scale_f32 v9, vcc, 1.0, v7, 1.0
	v_mul_f32_e32 v12, v9, v11
	v_fma_f32 v13, -v10, v12, v9
	v_fmac_f32_e32 v12, v13, v11
	v_fma_f32 v9, -v10, v12, v9
	v_div_fmas_f32 v9, v9, v11, v12
	v_div_fixup_f32 v9, v9, v7, 1.0
	v_fma_f32 v7, v6, v5, -v4
	v_mov_b32_e32 v6, v9
	v_pk_mul_f32 v[6:7], v[8:9], v[6:7]
.LBB147_105:                            ;   in Loop: Header=BB147_89 Depth=1
	s_andn2_b64 vcc, exec, s[4:5]
	s_cbranch_vccnz .LBB147_107
; %bb.106:                              ;   in Loop: Header=BB147_89 Depth=1
	v_div_scale_f32 v6, s[4:5], v2, v2, v3
	v_rcp_f32_e32 v7, v6
	v_div_scale_f32 v8, vcc, v3, v2, v3
	v_fma_f32 v9, -v6, v7, 1.0
	v_fmac_f32_e32 v7, v9, v7
	v_mul_f32_e32 v9, v8, v7
	v_fma_f32 v10, -v6, v9, v8
	v_fmac_f32_e32 v9, v10, v7
	v_fma_f32 v6, -v6, v9, v8
	v_div_fmas_f32 v6, v6, v7, v9
	v_div_fixup_f32 v6, v6, v2, v3
	v_fmac_f32_e32 v2, v3, v6
	v_div_scale_f32 v3, s[4:5], v2, v2, 1.0
	v_rcp_f32_e32 v7, v3
	s_nop 0
	v_fma_f32 v8, -v3, v7, 1.0
	v_fmac_f32_e32 v7, v8, v7
	v_div_scale_f32 v8, vcc, 1.0, v2, 1.0
	v_mul_f32_e32 v9, v8, v7
	v_fma_f32 v10, -v3, v9, v8
	v_fmac_f32_e32 v9, v10, v7
	v_fma_f32 v3, -v3, v9, v8
	v_div_fmas_f32 v3, v3, v7, v9
	v_pk_fma_f32 v[8:9], v[6:7], v[4:5], v[4:5] op_sel:[0,1,0] op_sel_hi:[1,0,1]
	v_pk_fma_f32 v[4:5], v[6:7], v[4:5], v[4:5] op_sel:[0,1,0] op_sel_hi:[0,0,1] neg_lo:[1,0,0] neg_hi:[1,0,0]
	v_div_fixup_f32 v2, v3, v2, 1.0
	v_mov_b32_e32 v9, v5
	v_pk_mul_f32 v[6:7], v[8:9], v[2:3] op_sel_hi:[1,0]
.LBB147_107:                            ;   in Loop: Header=BB147_89 Depth=1
	s_add_i32 s12, s11, -4
	s_addk_i32 s10, 0xfe80
	s_cmp_lt_i32 s11, 7
	ds_write_b64 v15, v[6:7]
	s_cbranch_scc1 .LBB147_109
; %bb.108:                              ;   in Loop: Header=BB147_89 Depth=1
	s_mov_b32 s11, s12
	s_branch .LBB147_89
.LBB147_109:
	s_cmp_lt_i32 s12, 0
	s_cbranch_scc1 .LBB147_118
; %bb.110:
	s_mul_i32 s4, s12, 0x60
	s_lshl_b32 s5, s26, 3
	v_lshl_add_u32 v2, v0, 3, s9
	s_add_i32 s4, s4, s5
	v_add_u32_e32 v8, 0x420, v2
	s_add_i32 s9, s4, -8
	s_branch .LBB147_112
.LBB147_111:                            ;   in Loop: Header=BB147_112 Depth=1
	v_sub_co_u32_e64 v2, s[4:5], s12, 1
	s_nop 0
	v_readfirstlane_b32 s12, v2
	s_addk_i32 s9, 0xffa0
	s_and_b64 vcc, exec, s[4:5]
	ds_write_b64 v9, v[6:7]
	s_cbranch_vccnz .LBB147_118
.LBB147_112:                            ; =>This Loop Header: Depth=1
                                        ;     Child Loop BB147_113 Depth 2
	s_mul_i32 s4, s12, 0x60
	v_add_u32_e32 v9, s4, v1
	ds_read_b64 v[2:3], v9
	s_cmp_le_i32 s7, s12
	s_mov_b32 s4, s9
	v_mov_b32_e32 v4, v8
	s_mov_b32 s5, s7
	s_cbranch_scc1 .LBB147_114
.LBB147_113:                            ;   Parent Loop BB147_112 Depth=1
                                        ; =>  This Inner Loop Header: Depth=2
	v_mov_b32_e32 v5, s4
	ds_read_b64 v[6:7], v4
	ds_read_b64 v[10:11], v5
	s_add_i32 s5, s5, -1
	s_add_i32 s4, s4, -8
	v_add_u32_e32 v4, 0xffffffa0, v4
	s_cmp_le_u32 s5, s12
	s_waitcnt lgkmcnt(0)
	v_pk_mul_f32 v[12:13], v[10:11], v[6:7] op_sel:[1,1] op_sel_hi:[0,1]
	v_pk_fma_f32 v[14:15], v[10:11], v[6:7], v[12:13] op_sel_hi:[1,0,1]
	v_pk_fma_f32 v[6:7], v[10:11], v[6:7], v[12:13] op_sel_hi:[1,0,1] neg_lo:[0,0,1] neg_hi:[0,0,1]
	s_nop 0
	v_mov_b32_e32 v7, v15
	v_pk_add_f32 v[2:3], v[2:3], v[6:7] neg_lo:[0,1] neg_hi:[0,1]
	s_cbranch_scc0 .LBB147_113
.LBB147_114:                            ;   in Loop: Header=BB147_112 Depth=1
	s_mul_i32 s4, s12, 0x68
	v_mov_b32_e32 v4, s4
	ds_read_b64 v[4:5], v4
	s_mov_b64 s[4:5], -1
                                        ; implicit-def: $vgpr6_vgpr7
	s_waitcnt lgkmcnt(0)
	v_cmp_ngt_f32_e64 s[10:11], |v4|, |v5|
	s_and_b64 vcc, exec, s[10:11]
	s_cbranch_vccz .LBB147_116
; %bb.115:                              ;   in Loop: Header=BB147_112 Depth=1
	v_div_scale_f32 v6, s[4:5], v5, v5, v4
	v_rcp_f32_e32 v7, v6
	v_div_scale_f32 v10, vcc, v4, v5, v4
	v_fma_f32 v11, -v6, v7, 1.0
	v_fmac_f32_e32 v7, v11, v7
	v_mul_f32_e32 v11, v10, v7
	v_fma_f32 v12, -v6, v11, v10
	v_fmac_f32_e32 v11, v12, v7
	v_fma_f32 v6, -v6, v11, v10
	v_div_fmas_f32 v6, v6, v7, v11
	v_div_fixup_f32 v6, v6, v5, v4
	v_fma_f32 v7, v4, v6, v5
	v_div_scale_f32 v10, s[4:5], v7, v7, 1.0
	v_rcp_f32_e32 v11, v10
	s_mov_b64 s[4:5], 0
	v_fma_f32 v12, -v10, v11, 1.0
	v_fmac_f32_e32 v11, v12, v11
	v_div_scale_f32 v12, vcc, 1.0, v7, 1.0
	v_mul_f32_e32 v13, v12, v11
	v_fma_f32 v14, -v10, v13, v12
	v_fmac_f32_e32 v13, v14, v11
	v_fma_f32 v10, -v10, v13, v12
	v_div_fmas_f32 v10, v10, v11, v13
	v_div_fixup_f32 v10, v10, v7, 1.0
	v_pk_fma_f32 v[12:13], v[2:3], v[6:7], v[2:3] op_sel:[0,0,1] op_sel_hi:[1,0,0] neg_lo:[0,0,1] neg_hi:[0,0,1]
	v_pk_fma_f32 v[6:7], v[2:3], v[6:7], v[2:3] op_sel:[0,0,1] op_sel_hi:[1,0,0]
	s_nop 0
	v_mov_b32_e32 v7, v13
	v_pk_mul_f32 v[6:7], v[6:7], v[10:11] op_sel_hi:[1,0]
.LBB147_116:                            ;   in Loop: Header=BB147_112 Depth=1
	s_andn2_b64 vcc, exec, s[4:5]
	s_cbranch_vccnz .LBB147_111
; %bb.117:                              ;   in Loop: Header=BB147_112 Depth=1
	v_div_scale_f32 v6, s[4:5], v4, v4, v5
	v_rcp_f32_e32 v7, v6
	v_div_scale_f32 v10, vcc, v5, v4, v5
	v_fma_f32 v11, -v6, v7, 1.0
	v_fmac_f32_e32 v7, v11, v7
	v_mul_f32_e32 v11, v10, v7
	v_fma_f32 v12, -v6, v11, v10
	v_fmac_f32_e32 v11, v12, v7
	v_fma_f32 v6, -v6, v11, v10
	v_div_fmas_f32 v6, v6, v7, v11
	v_div_fixup_f32 v6, v6, v4, v5
	v_fmac_f32_e32 v4, v5, v6
	v_div_scale_f32 v5, s[4:5], v4, v4, 1.0
	v_rcp_f32_e32 v7, v5
	s_nop 0
	v_fma_f32 v10, -v5, v7, 1.0
	v_fmac_f32_e32 v7, v10, v7
	v_div_scale_f32 v10, vcc, 1.0, v4, 1.0
	v_mul_f32_e32 v11, v10, v7
	v_fma_f32 v12, -v5, v11, v10
	v_fmac_f32_e32 v11, v12, v7
	v_fma_f32 v5, -v5, v11, v10
	v_div_fmas_f32 v5, v5, v7, v11
	v_pk_fma_f32 v[10:11], v[2:3], v[6:7], v[2:3] op_sel:[1,0,0] op_sel_hi:[0,0,1] neg_lo:[1,0,0] neg_hi:[1,0,0]
	v_pk_fma_f32 v[2:3], v[2:3], v[6:7], v[2:3] op_sel:[1,0,0] op_sel_hi:[0,0,1]
	v_div_fixup_f32 v4, v5, v4, 1.0
	v_mov_b32_e32 v3, v11
	v_pk_mul_f32 v[6:7], v[2:3], v[4:5] op_sel_hi:[1,0]
	s_branch .LBB147_111
.LBB147_118:
	s_mov_b64 s[14:15], 0
.LBB147_119:
	s_andn2_b64 vcc, exec, s[14:15]
	s_cbranch_vccnz .LBB147_151
; %bb.120:
	v_mov_b32_e32 v1, 0x480
	v_lshl_or_b32 v1, v0, 3, v1
	s_cmp_lt_i32 s8, 4
	s_mov_b32 s10, 0
	s_cbranch_scc1 .LBB147_142
; %bb.121:
	s_mov_b32 s7, 0
	s_mov_b32 s9, 0
.LBB147_122:                            ; =>This Loop Header: Depth=1
                                        ;     Child Loop BB147_123 Depth 2
	s_mul_i32 s10, s9, 12
	v_lshl_add_u32 v16, s10, 3, v1
	ds_read2_b64 v[6:9], v16 offset1:12
	ds_read2_b64 v[2:5], v16 offset0:24 offset1:36
	s_cmp_eq_u32 s9, 0
	s_mov_b32 s4, s7
	v_mov_b32_e32 v10, v1
	s_mov_b32 s5, s9
	s_cbranch_scc1 .LBB147_124
.LBB147_123:                            ;   Parent Loop BB147_122 Depth=1
                                        ; =>  This Inner Loop Header: Depth=2
	v_mov_b32_e32 v11, s4
	ds_read_b64 v[22:23], v10
	ds_read2_b64 v[12:15], v11 offset1:12
	ds_read2_b64 v[18:21], v11 offset0:24 offset1:36
	s_add_i32 s5, s5, -1
	s_add_i32 s4, s4, 8
	v_add_u32_e32 v10, 0x60, v10
	s_waitcnt lgkmcnt(1)
	v_mul_f32_e32 v11, v13, v23
	v_mul_f32_e32 v17, v12, v23
	;; [unrolled: 1-line block ×4, first 2 shown]
	s_waitcnt lgkmcnt(0)
	v_pk_mul_f32 v[24:25], v[18:19], v[22:23] op_sel:[0,1]
	v_pk_mul_f32 v[26:27], v[20:21], v[22:23] op_sel:[0,1]
	v_fma_f32 v11, v12, v22, -v11
	v_fmac_f32_e32 v17, v13, v22
	v_fma_f32 v28, v14, v22, -v28
	v_fmac_f32_e32 v29, v14, v23
	v_pk_fma_f32 v[12:13], v[18:19], v[22:23], v[24:25] op_sel:[0,0,1] op_sel_hi:[1,1,0] neg_lo:[0,0,1] neg_hi:[0,0,1]
	v_pk_fma_f32 v[14:15], v[18:19], v[22:23], v[24:25] op_sel:[0,0,1] op_sel_hi:[1,0,0]
	v_pk_fma_f32 v[18:19], v[20:21], v[22:23], v[26:27] op_sel:[0,0,1] op_sel_hi:[1,1,0] neg_lo:[0,0,1] neg_hi:[0,0,1]
	v_pk_fma_f32 v[20:21], v[20:21], v[22:23], v[26:27] op_sel:[0,0,1] op_sel_hi:[1,0,0]
	v_mov_b32_e32 v13, v15
	v_mov_b32_e32 v19, v21
	s_cmp_eq_u32 s5, 0
	v_sub_f32_e32 v6, v6, v11
	v_sub_f32_e32 v7, v7, v17
	;; [unrolled: 1-line block ×4, first 2 shown]
	v_pk_add_f32 v[2:3], v[2:3], v[12:13] neg_lo:[0,1] neg_hi:[0,1]
	v_pk_add_f32 v[4:5], v[4:5], v[18:19] neg_lo:[0,1] neg_hi:[0,1]
	s_cbranch_scc0 .LBB147_123
.LBB147_124:                            ;   in Loop: Header=BB147_122 Depth=1
	s_mul_i32 s4, s9, 0x68
	v_mov_b32_e32 v10, s4
	ds_read_b64 v[10:11], v10
	s_mov_b64 s[4:5], -1
                                        ; implicit-def: $vgpr15
	s_waitcnt lgkmcnt(0)
	v_cmp_ngt_f32_e64 s[12:13], |v10|, |v11|
	s_and_b64 vcc, exec, s[12:13]
	s_cbranch_vccz .LBB147_126
; %bb.125:                              ;   in Loop: Header=BB147_122 Depth=1
	v_div_scale_f32 v12, s[4:5], v11, v11, v10
	v_rcp_f32_e32 v13, v12
	v_div_scale_f32 v14, vcc, v10, v11, v10
	v_fma_f32 v15, -v12, v13, 1.0
	v_fmac_f32_e32 v13, v15, v13
	v_mul_f32_e32 v15, v14, v13
	v_fma_f32 v17, -v12, v15, v14
	v_fmac_f32_e32 v15, v17, v13
	v_fma_f32 v12, -v12, v15, v14
	v_div_fmas_f32 v12, v12, v13, v15
	v_div_fixup_f32 v12, v12, v11, v10
	v_fma_f32 v13, v10, v12, v11
	v_div_scale_f32 v14, s[4:5], v13, v13, 1.0
	v_rcp_f32_e32 v15, v14
	s_mov_b64 s[4:5], 0
	v_fma_f32 v17, -v14, v15, 1.0
	v_fmac_f32_e32 v15, v17, v15
	v_div_scale_f32 v17, vcc, 1.0, v13, 1.0
	v_mul_f32_e32 v18, v17, v15
	v_fma_f32 v19, -v14, v18, v17
	v_fmac_f32_e32 v18, v19, v15
	v_fma_f32 v14, -v14, v18, v17
	v_div_fmas_f32 v14, v14, v15, v18
	v_div_fixup_f32 v13, v14, v13, 1.0
	v_fma_f32 v14, v6, v12, v7
	v_fma_f32 v12, v7, v12, -v6
	v_mul_f32_e32 v14, v14, v13
	v_mul_f32_e32 v15, v12, v13
.LBB147_126:                            ;   in Loop: Header=BB147_122 Depth=1
	s_andn2_b64 vcc, exec, s[4:5]
	s_cbranch_vccnz .LBB147_128
; %bb.127:                              ;   in Loop: Header=BB147_122 Depth=1
	v_div_scale_f32 v12, s[4:5], v10, v10, v11
	v_rcp_f32_e32 v13, v12
	v_div_scale_f32 v14, vcc, v11, v10, v11
	v_fma_f32 v15, -v12, v13, 1.0
	v_fmac_f32_e32 v13, v15, v13
	v_mul_f32_e32 v15, v14, v13
	v_fma_f32 v17, -v12, v15, v14
	v_fmac_f32_e32 v15, v17, v13
	v_fma_f32 v12, -v12, v15, v14
	v_div_fmas_f32 v12, v12, v13, v15
	v_div_fixup_f32 v12, v12, v10, v11
	v_fmac_f32_e32 v10, v11, v12
	v_div_scale_f32 v11, s[4:5], v10, v10, 1.0
	v_rcp_f32_e32 v13, v11
	s_nop 0
	v_fma_f32 v14, -v11, v13, 1.0
	v_fmac_f32_e32 v13, v14, v13
	v_div_scale_f32 v14, vcc, 1.0, v10, 1.0
	v_mul_f32_e32 v15, v14, v13
	v_fma_f32 v17, -v11, v15, v14
	v_fmac_f32_e32 v15, v17, v13
	v_fma_f32 v11, -v11, v15, v14
	v_div_fmas_f32 v11, v11, v13, v15
	v_div_fixup_f32 v10, v11, v10, 1.0
	v_fma_f32 v11, v7, v12, v6
	v_fma_f32 v6, -v6, v12, v7
	v_mul_f32_e32 v14, v11, v10
	v_mul_f32_e32 v15, v6, v10
.LBB147_128:                            ;   in Loop: Header=BB147_122 Depth=1
	s_lshl_b32 s10, s10, 3
	s_addk_i32 s10, 0x60
	s_lshl_b32 s11, s9, 3
	s_add_i32 s4, s10, s11
	v_mov_b32_e32 v6, s4
	ds_read_b128 v[10:13], v6
	s_mov_b64 s[4:5], -1
	ds_write_b64 v16, v[14:15]
	s_waitcnt lgkmcnt(1)
	v_mul_f32_e32 v6, v15, v11
	v_mul_f32_e32 v7, v14, v11
	v_fma_f32 v6, v14, v10, -v6
	v_fmac_f32_e32 v7, v15, v10
	v_cmp_ngt_f32_e64 s[12:13], |v12|, |v13|
	v_sub_f32_e32 v6, v8, v6
	v_sub_f32_e32 v7, v9, v7
	s_and_b64 vcc, exec, s[12:13]
                                        ; implicit-def: $vgpr11
	s_cbranch_vccz .LBB147_130
; %bb.129:                              ;   in Loop: Header=BB147_122 Depth=1
	v_div_scale_f32 v8, s[4:5], v13, v13, v12
	v_rcp_f32_e32 v9, v8
	v_div_scale_f32 v10, vcc, v12, v13, v12
	v_fma_f32 v11, -v8, v9, 1.0
	v_fmac_f32_e32 v9, v11, v9
	v_mul_f32_e32 v11, v10, v9
	v_fma_f32 v17, -v8, v11, v10
	v_fmac_f32_e32 v11, v17, v9
	v_fma_f32 v8, -v8, v11, v10
	v_div_fmas_f32 v8, v8, v9, v11
	v_div_fixup_f32 v8, v8, v13, v12
	v_fma_f32 v9, v12, v8, v13
	v_div_scale_f32 v10, s[4:5], v9, v9, 1.0
	v_rcp_f32_e32 v11, v10
	s_mov_b64 s[4:5], 0
	v_fma_f32 v17, -v10, v11, 1.0
	v_fmac_f32_e32 v11, v17, v11
	v_div_scale_f32 v17, vcc, 1.0, v9, 1.0
	v_mul_f32_e32 v18, v17, v11
	v_fma_f32 v19, -v10, v18, v17
	v_fmac_f32_e32 v18, v19, v11
	v_fma_f32 v10, -v10, v18, v17
	v_div_fmas_f32 v10, v10, v11, v18
	v_div_fixup_f32 v9, v10, v9, 1.0
	v_fma_f32 v10, v8, v6, v7
	v_fma_f32 v8, v8, v7, -v6
	v_mul_f32_e32 v10, v10, v9
	v_mul_f32_e32 v11, v8, v9
.LBB147_130:                            ;   in Loop: Header=BB147_122 Depth=1
	s_andn2_b64 vcc, exec, s[4:5]
	s_cbranch_vccnz .LBB147_132
; %bb.131:                              ;   in Loop: Header=BB147_122 Depth=1
	v_div_scale_f32 v8, s[4:5], v12, v12, v13
	v_rcp_f32_e32 v9, v8
	v_div_scale_f32 v10, vcc, v13, v12, v13
	v_fma_f32 v11, -v8, v9, 1.0
	v_fmac_f32_e32 v9, v11, v9
	v_mul_f32_e32 v11, v10, v9
	v_fma_f32 v17, -v8, v11, v10
	v_fmac_f32_e32 v11, v17, v9
	v_fma_f32 v8, -v8, v11, v10
	v_div_fmas_f32 v8, v8, v9, v11
	v_div_fixup_f32 v8, v8, v12, v13
	v_fmac_f32_e32 v12, v13, v8
	v_div_scale_f32 v9, s[4:5], v12, v12, 1.0
	v_rcp_f32_e32 v10, v9
	s_nop 0
	v_fma_f32 v11, -v9, v10, 1.0
	v_fmac_f32_e32 v10, v11, v10
	v_div_scale_f32 v11, vcc, 1.0, v12, 1.0
	v_mul_f32_e32 v13, v11, v10
	v_fma_f32 v17, -v9, v13, v11
	v_fmac_f32_e32 v13, v17, v10
	v_fma_f32 v9, -v9, v13, v11
	v_div_fmas_f32 v9, v9, v10, v13
	v_div_fixup_f32 v9, v9, v12, 1.0
	v_fma_f32 v10, v8, v7, v6
	v_fma_f32 v6, -v8, v6, v7
	v_mul_f32_e32 v10, v10, v9
	v_mul_f32_e32 v11, v6, v9
.LBB147_132:                            ;   in Loop: Header=BB147_122 Depth=1
	s_addk_i32 s10, 0x60
	s_add_i32 s10, s10, s11
	v_mov_b32_e32 v6, s10
	ds_read_b128 v[18:21], v6
	v_mov_b32_e32 v8, v15
	ds_read_b64 v[6:7], v6 offset:16
	s_mov_b64 s[4:5], -1
	ds_write_b64 v16, v[10:11] offset:96
	s_waitcnt lgkmcnt(2)
	v_pk_mul_f32 v[8:9], v[8:9], v[18:19] op_sel_hi:[0,1]
	v_pk_fma_f32 v[12:13], v[14:15], v[18:19], v[8:9] op_sel:[0,0,1] op_sel_hi:[1,1,0] neg_lo:[0,0,1] neg_hi:[0,0,1]
	v_pk_fma_f32 v[8:9], v[14:15], v[18:19], v[8:9] op_sel:[0,0,1] op_sel_hi:[0,1,0]
	v_mov_b32_e32 v8, v11
	v_mov_b32_e32 v13, v9
	v_pk_mul_f32 v[8:9], v[8:9], v[20:21] op_sel_hi:[0,1]
	v_pk_add_f32 v[2:3], v[2:3], v[12:13] neg_lo:[0,1] neg_hi:[0,1]
	v_pk_fma_f32 v[12:13], v[10:11], v[20:21], v[8:9] op_sel:[0,0,1] op_sel_hi:[1,1,0] neg_lo:[0,0,1] neg_hi:[0,0,1]
	v_pk_fma_f32 v[8:9], v[10:11], v[20:21], v[8:9] op_sel:[0,0,1] op_sel_hi:[0,1,0]
	v_mov_b32_e32 v13, v9
	s_waitcnt lgkmcnt(1)
	v_cmp_ngt_f32_e64 s[12:13], |v6|, |v7|
	v_pk_add_f32 v[2:3], v[2:3], v[12:13] neg_lo:[0,1] neg_hi:[0,1]
	s_and_b64 vcc, exec, s[12:13]
                                        ; implicit-def: $vgpr12_vgpr13
	s_cbranch_vccz .LBB147_134
; %bb.133:                              ;   in Loop: Header=BB147_122 Depth=1
	v_div_scale_f32 v8, s[4:5], v7, v7, v6
	v_rcp_f32_e32 v9, v8
	v_div_scale_f32 v12, vcc, v6, v7, v6
	v_fma_f32 v13, -v8, v9, 1.0
	v_fmac_f32_e32 v9, v13, v9
	v_mul_f32_e32 v13, v12, v9
	v_fma_f32 v17, -v8, v13, v12
	v_fmac_f32_e32 v13, v17, v9
	v_fma_f32 v8, -v8, v13, v12
	v_div_fmas_f32 v8, v8, v9, v13
	v_div_fixup_f32 v8, v8, v7, v6
	v_fma_f32 v9, v6, v8, v7
	v_div_scale_f32 v17, s[4:5], v9, v9, 1.0
	v_rcp_f32_e32 v18, v17
	v_pk_fma_f32 v[12:13], v[8:9], v[2:3], v[2:3] op_sel:[0,0,1] op_sel_hi:[1,1,0]
	s_mov_b64 s[4:5], 0
	v_fma_f32 v13, -v17, v18, 1.0
	v_fmac_f32_e32 v18, v13, v18
	v_div_scale_f32 v13, vcc, 1.0, v9, 1.0
	v_mul_f32_e32 v19, v13, v18
	v_fma_f32 v20, -v17, v19, v13
	v_fmac_f32_e32 v19, v20, v18
	v_fma_f32 v13, -v17, v19, v13
	v_div_fmas_f32 v13, v13, v18, v19
	v_div_fixup_f32 v13, v13, v9, 1.0
	v_fma_f32 v9, v8, v3, -v2
	v_mov_b32_e32 v8, v13
	v_pk_mul_f32 v[12:13], v[12:13], v[8:9]
.LBB147_134:                            ;   in Loop: Header=BB147_122 Depth=1
	s_andn2_b64 vcc, exec, s[4:5]
	s_cbranch_vccnz .LBB147_136
; %bb.135:                              ;   in Loop: Header=BB147_122 Depth=1
	v_div_scale_f32 v8, s[4:5], v6, v6, v7
	v_rcp_f32_e32 v9, v8
	v_div_scale_f32 v12, vcc, v7, v6, v7
	v_fma_f32 v13, -v8, v9, 1.0
	v_fmac_f32_e32 v9, v13, v9
	v_mul_f32_e32 v13, v12, v9
	v_fma_f32 v17, -v8, v13, v12
	v_fmac_f32_e32 v13, v17, v9
	v_fma_f32 v8, -v8, v13, v12
	v_div_fmas_f32 v8, v8, v9, v13
	v_div_fixup_f32 v8, v8, v6, v7
	v_fmac_f32_e32 v6, v7, v8
	v_div_scale_f32 v7, s[4:5], v6, v6, 1.0
	v_rcp_f32_e32 v9, v7
	s_nop 0
	v_fma_f32 v12, -v7, v9, 1.0
	v_fmac_f32_e32 v9, v12, v9
	v_div_scale_f32 v12, vcc, 1.0, v6, 1.0
	v_mul_f32_e32 v13, v12, v9
	v_fma_f32 v17, -v7, v13, v12
	v_fmac_f32_e32 v13, v17, v9
	v_fma_f32 v7, -v7, v13, v12
	v_div_fmas_f32 v7, v7, v9, v13
	v_pk_fma_f32 v[12:13], v[8:9], v[2:3], v[2:3] op_sel:[0,1,0] op_sel_hi:[1,0,1]
	v_pk_fma_f32 v[2:3], v[8:9], v[2:3], v[2:3] op_sel:[0,1,0] op_sel_hi:[0,0,1] neg_lo:[1,0,0] neg_hi:[1,0,0]
	v_div_fixup_f32 v6, v7, v6, 1.0
	v_mov_b32_e32 v13, v3
	v_pk_mul_f32 v[12:13], v[12:13], v[6:7] op_sel_hi:[1,0]
.LBB147_136:                            ;   in Loop: Header=BB147_122 Depth=1
	v_mov_b32_e32 v6, s10
	ds_read_b128 v[18:21], v6 offset:96
	v_mov_b32_e32 v2, v15
	v_mov_b32_e32 v3, v15
	;; [unrolled: 1-line block ×3, first 2 shown]
	ds_read_b128 v[6:9], v6 offset:112
	s_waitcnt lgkmcnt(1)
	v_pk_mul_f32 v[2:3], v[2:3], v[18:19]
	v_mov_b32_e32 v22, v11
	v_pk_fma_f32 v[24:25], v[14:15], v[18:19], v[2:3] op_sel:[0,0,1] op_sel_hi:[1,1,0] neg_lo:[0,0,1] neg_hi:[0,0,1]
	v_pk_fma_f32 v[2:3], v[14:15], v[18:19], v[2:3] op_sel:[0,0,1] op_sel_hi:[1,1,0]
	v_mov_b32_e32 v23, v11
	v_mov_b32_e32 v25, v3
	;; [unrolled: 1-line block ×3, first 2 shown]
	v_pk_add_f32 v[2:3], v[4:5], v[24:25] neg_lo:[0,1] neg_hi:[0,1]
	v_pk_mul_f32 v[4:5], v[22:23], v[20:21]
	s_waitcnt lgkmcnt(0)
	v_cmp_ngt_f32_e64 s[10:11], |v8|, |v9|
	v_pk_fma_f32 v[14:15], v[10:11], v[20:21], v[4:5] op_sel:[0,0,1] op_sel_hi:[1,1,0] neg_lo:[0,0,1] neg_hi:[0,0,1]
	v_pk_fma_f32 v[4:5], v[10:11], v[20:21], v[4:5] op_sel:[0,0,1] op_sel_hi:[1,1,0]
	s_mov_b64 s[4:5], -1
	v_mov_b32_e32 v15, v5
	v_pk_mul_f32 v[4:5], v[12:13], v[6:7] op_sel:[1,1] op_sel_hi:[1,0]
	v_pk_add_f32 v[2:3], v[2:3], v[14:15] neg_lo:[0,1] neg_hi:[0,1]
	v_pk_fma_f32 v[10:11], v[12:13], v[6:7], v[4:5] neg_lo:[0,0,1] neg_hi:[0,0,1]
	v_pk_fma_f32 v[4:5], v[12:13], v[6:7], v[4:5] op_sel_hi:[0,1,1]
	v_mov_b32_e32 v11, v5
	v_pk_add_f32 v[2:3], v[2:3], v[10:11] neg_lo:[0,1] neg_hi:[0,1]
	s_and_b64 vcc, exec, s[10:11]
	ds_write_b64 v16, v[12:13] offset:192
                                        ; implicit-def: $vgpr4_vgpr5
	s_cbranch_vccz .LBB147_138
; %bb.137:                              ;   in Loop: Header=BB147_122 Depth=1
	v_div_scale_f32 v4, s[4:5], v9, v9, v8
	v_rcp_f32_e32 v5, v4
	v_div_scale_f32 v6, vcc, v8, v9, v8
	v_fma_f32 v7, -v4, v5, 1.0
	v_fmac_f32_e32 v5, v7, v5
	v_mul_f32_e32 v7, v6, v5
	v_fma_f32 v10, -v4, v7, v6
	v_fmac_f32_e32 v7, v10, v5
	v_fma_f32 v4, -v4, v7, v6
	v_div_fmas_f32 v4, v4, v5, v7
	v_div_fixup_f32 v4, v4, v9, v8
	v_fma_f32 v5, v8, v4, v9
	v_div_scale_f32 v10, s[4:5], v5, v5, 1.0
	v_rcp_f32_e32 v11, v10
	v_pk_fma_f32 v[6:7], v[4:5], v[2:3], v[2:3] op_sel:[0,0,1] op_sel_hi:[1,1,0]
	s_mov_b64 s[4:5], 0
	v_fma_f32 v7, -v10, v11, 1.0
	v_fmac_f32_e32 v11, v7, v11
	v_div_scale_f32 v7, vcc, 1.0, v5, 1.0
	v_mul_f32_e32 v12, v7, v11
	v_fma_f32 v13, -v10, v12, v7
	v_fmac_f32_e32 v12, v13, v11
	v_fma_f32 v7, -v10, v12, v7
	v_div_fmas_f32 v7, v7, v11, v12
	v_div_fixup_f32 v7, v7, v5, 1.0
	v_fma_f32 v5, v4, v3, -v2
	v_mov_b32_e32 v4, v7
	v_pk_mul_f32 v[4:5], v[6:7], v[4:5]
.LBB147_138:                            ;   in Loop: Header=BB147_122 Depth=1
	s_andn2_b64 vcc, exec, s[4:5]
	s_cbranch_vccnz .LBB147_140
; %bb.139:                              ;   in Loop: Header=BB147_122 Depth=1
	v_div_scale_f32 v4, s[4:5], v8, v8, v9
	v_rcp_f32_e32 v5, v4
	v_div_scale_f32 v6, vcc, v9, v8, v9
	v_fma_f32 v7, -v4, v5, 1.0
	v_fmac_f32_e32 v5, v7, v5
	v_mul_f32_e32 v7, v6, v5
	v_fma_f32 v10, -v4, v7, v6
	v_fmac_f32_e32 v7, v10, v5
	v_fma_f32 v4, -v4, v7, v6
	v_div_fmas_f32 v4, v4, v5, v7
	v_div_fixup_f32 v4, v4, v8, v9
	v_fmac_f32_e32 v8, v9, v4
	v_div_scale_f32 v5, s[4:5], v8, v8, 1.0
	v_rcp_f32_e32 v6, v5
	s_nop 0
	v_fma_f32 v7, -v5, v6, 1.0
	v_fmac_f32_e32 v6, v7, v6
	v_div_scale_f32 v7, vcc, 1.0, v8, 1.0
	v_mul_f32_e32 v9, v7, v6
	v_fma_f32 v10, -v5, v9, v7
	v_fmac_f32_e32 v9, v10, v6
	v_fma_f32 v5, -v5, v9, v7
	v_div_fmas_f32 v5, v5, v6, v9
	v_div_fixup_f32 v6, v5, v8, 1.0
	v_pk_fma_f32 v[8:9], v[4:5], v[2:3], v[2:3] op_sel:[0,1,0] op_sel_hi:[1,0,1]
	v_pk_fma_f32 v[2:3], v[4:5], v[2:3], v[2:3] op_sel:[0,1,0] op_sel_hi:[0,0,1] neg_lo:[1,0,0] neg_hi:[1,0,0]
	v_mov_b32_e32 v9, v3
	v_pk_mul_f32 v[4:5], v[8:9], v[6:7] op_sel_hi:[1,0]
.LBB147_140:                            ;   in Loop: Header=BB147_122 Depth=1
	s_add_i32 s10, s9, 4
	s_add_i32 s4, s9, 7
	s_addk_i32 s7, 0x180
	s_cmp_ge_i32 s4, s26
	ds_write_b64 v16, v[4:5] offset:288
	s_cbranch_scc1 .LBB147_142
; %bb.141:                              ;   in Loop: Header=BB147_122 Depth=1
	s_mov_b32 s9, s10
	s_branch .LBB147_122
.LBB147_142:
	s_cmp_ge_i32 s10, s26
	s_cbranch_scc1 .LBB147_151
; %bb.143:
	v_mov_b32_e32 v2, 0x480
	v_lshl_or_b32 v8, v0, 3, v2
	s_mul_i32 s7, s10, 0x60
	s_branch .LBB147_145
.LBB147_144:                            ;   in Loop: Header=BB147_145 Depth=1
	s_add_i32 s10, s10, 1
	s_addk_i32 s7, 0x60
	s_cmp_ge_i32 s10, s26
	ds_write_b64 v9, v[6:7]
	s_cbranch_scc1 .LBB147_151
.LBB147_145:                            ; =>This Loop Header: Depth=1
                                        ;     Child Loop BB147_146 Depth 2
	s_mul_i32 s4, s10, 0x60
	v_add_u32_e32 v9, s4, v1
	ds_read_b64 v[2:3], v9
	s_cmp_eq_u32 s10, 0
	s_mov_b32 s4, s7
	v_mov_b32_e32 v4, v8
	s_mov_b32 s5, s10
	s_cbranch_scc1 .LBB147_147
.LBB147_146:                            ;   Parent Loop BB147_145 Depth=1
                                        ; =>  This Inner Loop Header: Depth=2
	v_mov_b32_e32 v5, s4
	ds_read_b64 v[6:7], v4
	ds_read_b64 v[10:11], v5
	s_add_i32 s5, s5, -1
	s_add_i32 s4, s4, 8
	v_add_u32_e32 v4, 0x60, v4
	s_cmp_eq_u32 s5, 0
	s_waitcnt lgkmcnt(0)
	v_pk_mul_f32 v[12:13], v[10:11], v[6:7] op_sel:[1,1] op_sel_hi:[0,1]
	v_pk_fma_f32 v[14:15], v[10:11], v[6:7], v[12:13] op_sel_hi:[1,0,1]
	v_pk_fma_f32 v[6:7], v[10:11], v[6:7], v[12:13] op_sel_hi:[1,0,1] neg_lo:[0,0,1] neg_hi:[0,0,1]
	s_nop 0
	v_mov_b32_e32 v7, v15
	v_pk_add_f32 v[2:3], v[2:3], v[6:7] neg_lo:[0,1] neg_hi:[0,1]
	s_cbranch_scc0 .LBB147_146
.LBB147_147:                            ;   in Loop: Header=BB147_145 Depth=1
	s_mul_i32 s4, s10, 0x68
	v_mov_b32_e32 v4, s4
	ds_read_b64 v[4:5], v4
	s_mov_b64 s[4:5], -1
                                        ; implicit-def: $vgpr6_vgpr7
	s_waitcnt lgkmcnt(0)
	v_cmp_ngt_f32_e64 s[12:13], |v4|, |v5|
	s_and_b64 vcc, exec, s[12:13]
	s_cbranch_vccz .LBB147_149
; %bb.148:                              ;   in Loop: Header=BB147_145 Depth=1
	v_div_scale_f32 v6, s[4:5], v5, v5, v4
	v_rcp_f32_e32 v7, v6
	v_div_scale_f32 v10, vcc, v4, v5, v4
	v_fma_f32 v11, -v6, v7, 1.0
	v_fmac_f32_e32 v7, v11, v7
	v_mul_f32_e32 v11, v10, v7
	v_fma_f32 v12, -v6, v11, v10
	v_fmac_f32_e32 v11, v12, v7
	v_fma_f32 v6, -v6, v11, v10
	v_div_fmas_f32 v6, v6, v7, v11
	v_div_fixup_f32 v6, v6, v5, v4
	v_fma_f32 v7, v4, v6, v5
	v_div_scale_f32 v10, s[4:5], v7, v7, 1.0
	v_rcp_f32_e32 v11, v10
	s_mov_b64 s[4:5], 0
	v_fma_f32 v12, -v10, v11, 1.0
	v_fmac_f32_e32 v11, v12, v11
	v_div_scale_f32 v12, vcc, 1.0, v7, 1.0
	v_mul_f32_e32 v13, v12, v11
	v_fma_f32 v14, -v10, v13, v12
	v_fmac_f32_e32 v13, v14, v11
	v_fma_f32 v10, -v10, v13, v12
	v_div_fmas_f32 v10, v10, v11, v13
	v_div_fixup_f32 v10, v10, v7, 1.0
	v_pk_fma_f32 v[12:13], v[2:3], v[6:7], v[2:3] op_sel:[0,0,1] op_sel_hi:[1,0,0] neg_lo:[0,0,1] neg_hi:[0,0,1]
	v_pk_fma_f32 v[6:7], v[2:3], v[6:7], v[2:3] op_sel:[0,0,1] op_sel_hi:[1,0,0]
	s_nop 0
	v_mov_b32_e32 v7, v13
	v_pk_mul_f32 v[6:7], v[6:7], v[10:11] op_sel_hi:[1,0]
.LBB147_149:                            ;   in Loop: Header=BB147_145 Depth=1
	s_andn2_b64 vcc, exec, s[4:5]
	s_cbranch_vccnz .LBB147_144
; %bb.150:                              ;   in Loop: Header=BB147_145 Depth=1
	v_div_scale_f32 v6, s[4:5], v4, v4, v5
	v_rcp_f32_e32 v7, v6
	v_div_scale_f32 v10, vcc, v5, v4, v5
	v_fma_f32 v11, -v6, v7, 1.0
	v_fmac_f32_e32 v7, v11, v7
	v_mul_f32_e32 v11, v10, v7
	v_fma_f32 v12, -v6, v11, v10
	v_fmac_f32_e32 v11, v12, v7
	v_fma_f32 v6, -v6, v11, v10
	v_div_fmas_f32 v6, v6, v7, v11
	v_div_fixup_f32 v6, v6, v4, v5
	v_fmac_f32_e32 v4, v5, v6
	v_div_scale_f32 v5, s[4:5], v4, v4, 1.0
	v_rcp_f32_e32 v7, v5
	s_nop 0
	v_fma_f32 v10, -v5, v7, 1.0
	v_fmac_f32_e32 v7, v10, v7
	v_div_scale_f32 v10, vcc, 1.0, v4, 1.0
	v_mul_f32_e32 v11, v10, v7
	v_fma_f32 v12, -v5, v11, v10
	v_fmac_f32_e32 v11, v12, v7
	v_fma_f32 v5, -v5, v11, v10
	v_div_fmas_f32 v5, v5, v7, v11
	v_pk_fma_f32 v[10:11], v[2:3], v[6:7], v[2:3] op_sel:[1,0,0] op_sel_hi:[0,0,1] neg_lo:[1,0,0] neg_hi:[1,0,0]
	v_pk_fma_f32 v[2:3], v[2:3], v[6:7], v[2:3] op_sel:[1,0,0] op_sel_hi:[0,0,1]
	v_div_fixup_f32 v4, v5, v4, 1.0
	v_mov_b32_e32 v3, v11
	v_pk_mul_f32 v[6:7], v[2:3], v[4:5] op_sel_hi:[1,0]
	s_branch .LBB147_144
.LBB147_151:
	s_and_saveexec_b64 s[4:5], s[0:1]
	s_cbranch_execz .LBB147_155
; %bb.152:
	s_cmp_lt_i32 s8, 1
	s_cbranch_scc1 .LBB147_155
; %bb.153:
	s_ashr_i32 s7, s6, 31
	v_lshlrev_b32_e32 v2, 3, v0
	v_mov_b32_e32 v3, 0
	v_lshl_add_u64 v[0:1], s[2:3], 0, v[2:3]
	s_lshl_b64 s[0:1], s[6:7], 3
	v_or_b32_e32 v2, 0x480, v2
.LBB147_154:                            ; =>This Inner Loop Header: Depth=1
	ds_read_b64 v[4:5], v2
	s_add_i32 s8, s8, -1
	v_add_u32_e32 v2, 0x60, v2
	s_cmp_lg_u32 s8, 0
	s_waitcnt lgkmcnt(0)
	flat_store_dwordx2 v[0:1], v[4:5]
	v_lshl_add_u64 v[0:1], v[0:1], 0, s[0:1]
	s_cbranch_scc1 .LBB147_154
.LBB147_155:
	s_endpgm
	.section	.rodata,"a",@progbits
	.p2align	6, 0x0
	.amdhsa_kernel _ZL31rocblas_trsm_small_right_deviceI19rocblas_complex_numIfES1_PKPKS1_PKPS1_Li12EEv13rocblas_fill_18rocblas_operation_17rocblas_diagonal_iiT0_T1_lilT2_lili
		.amdhsa_group_segment_fixed_size 2304
		.amdhsa_private_segment_fixed_size 0
		.amdhsa_kernarg_size 360
		.amdhsa_user_sgpr_count 2
		.amdhsa_user_sgpr_dispatch_ptr 0
		.amdhsa_user_sgpr_queue_ptr 0
		.amdhsa_user_sgpr_kernarg_segment_ptr 1
		.amdhsa_user_sgpr_dispatch_id 0
		.amdhsa_user_sgpr_kernarg_preload_length 0
		.amdhsa_user_sgpr_kernarg_preload_offset 0
		.amdhsa_user_sgpr_private_segment_size 0
		.amdhsa_uses_dynamic_stack 0
		.amdhsa_enable_private_segment 0
		.amdhsa_system_sgpr_workgroup_id_x 1
		.amdhsa_system_sgpr_workgroup_id_y 0
		.amdhsa_system_sgpr_workgroup_id_z 1
		.amdhsa_system_sgpr_workgroup_info 0
		.amdhsa_system_vgpr_workitem_id 0
		.amdhsa_next_free_vgpr 34
		.amdhsa_next_free_sgpr 32
		.amdhsa_accum_offset 36
		.amdhsa_reserve_vcc 1
		.amdhsa_float_round_mode_32 0
		.amdhsa_float_round_mode_16_64 0
		.amdhsa_float_denorm_mode_32 3
		.amdhsa_float_denorm_mode_16_64 3
		.amdhsa_dx10_clamp 1
		.amdhsa_ieee_mode 1
		.amdhsa_fp16_overflow 0
		.amdhsa_tg_split 0
		.amdhsa_exception_fp_ieee_invalid_op 0
		.amdhsa_exception_fp_denorm_src 0
		.amdhsa_exception_fp_ieee_div_zero 0
		.amdhsa_exception_fp_ieee_overflow 0
		.amdhsa_exception_fp_ieee_underflow 0
		.amdhsa_exception_fp_ieee_inexact 0
		.amdhsa_exception_int_div_zero 0
	.end_amdhsa_kernel
	.section	.text._ZL31rocblas_trsm_small_right_deviceI19rocblas_complex_numIfES1_PKPKS1_PKPS1_Li12EEv13rocblas_fill_18rocblas_operation_17rocblas_diagonal_iiT0_T1_lilT2_lili,"axG",@progbits,_ZL31rocblas_trsm_small_right_deviceI19rocblas_complex_numIfES1_PKPKS1_PKPS1_Li12EEv13rocblas_fill_18rocblas_operation_17rocblas_diagonal_iiT0_T1_lilT2_lili,comdat
.Lfunc_end147:
	.size	_ZL31rocblas_trsm_small_right_deviceI19rocblas_complex_numIfES1_PKPKS1_PKPS1_Li12EEv13rocblas_fill_18rocblas_operation_17rocblas_diagonal_iiT0_T1_lilT2_lili, .Lfunc_end147-_ZL31rocblas_trsm_small_right_deviceI19rocblas_complex_numIfES1_PKPKS1_PKPS1_Li12EEv13rocblas_fill_18rocblas_operation_17rocblas_diagonal_iiT0_T1_lilT2_lili
                                        ; -- End function
	.set _ZL31rocblas_trsm_small_right_deviceI19rocblas_complex_numIfES1_PKPKS1_PKPS1_Li12EEv13rocblas_fill_18rocblas_operation_17rocblas_diagonal_iiT0_T1_lilT2_lili.num_vgpr, 34
	.set _ZL31rocblas_trsm_small_right_deviceI19rocblas_complex_numIfES1_PKPKS1_PKPS1_Li12EEv13rocblas_fill_18rocblas_operation_17rocblas_diagonal_iiT0_T1_lilT2_lili.num_agpr, 0
	.set _ZL31rocblas_trsm_small_right_deviceI19rocblas_complex_numIfES1_PKPKS1_PKPS1_Li12EEv13rocblas_fill_18rocblas_operation_17rocblas_diagonal_iiT0_T1_lilT2_lili.numbered_sgpr, 32
	.set _ZL31rocblas_trsm_small_right_deviceI19rocblas_complex_numIfES1_PKPKS1_PKPS1_Li12EEv13rocblas_fill_18rocblas_operation_17rocblas_diagonal_iiT0_T1_lilT2_lili.num_named_barrier, 0
	.set _ZL31rocblas_trsm_small_right_deviceI19rocblas_complex_numIfES1_PKPKS1_PKPS1_Li12EEv13rocblas_fill_18rocblas_operation_17rocblas_diagonal_iiT0_T1_lilT2_lili.private_seg_size, 0
	.set _ZL31rocblas_trsm_small_right_deviceI19rocblas_complex_numIfES1_PKPKS1_PKPS1_Li12EEv13rocblas_fill_18rocblas_operation_17rocblas_diagonal_iiT0_T1_lilT2_lili.uses_vcc, 1
	.set _ZL31rocblas_trsm_small_right_deviceI19rocblas_complex_numIfES1_PKPKS1_PKPS1_Li12EEv13rocblas_fill_18rocblas_operation_17rocblas_diagonal_iiT0_T1_lilT2_lili.uses_flat_scratch, 0
	.set _ZL31rocblas_trsm_small_right_deviceI19rocblas_complex_numIfES1_PKPKS1_PKPS1_Li12EEv13rocblas_fill_18rocblas_operation_17rocblas_diagonal_iiT0_T1_lilT2_lili.has_dyn_sized_stack, 0
	.set _ZL31rocblas_trsm_small_right_deviceI19rocblas_complex_numIfES1_PKPKS1_PKPS1_Li12EEv13rocblas_fill_18rocblas_operation_17rocblas_diagonal_iiT0_T1_lilT2_lili.has_recursion, 0
	.set _ZL31rocblas_trsm_small_right_deviceI19rocblas_complex_numIfES1_PKPKS1_PKPS1_Li12EEv13rocblas_fill_18rocblas_operation_17rocblas_diagonal_iiT0_T1_lilT2_lili.has_indirect_call, 0
	.section	.AMDGPU.csdata,"",@progbits
; Kernel info:
; codeLenInByte = 12932
; TotalNumSgprs: 38
; NumVgprs: 34
; NumAgprs: 0
; TotalNumVgprs: 34
; ScratchSize: 0
; MemoryBound: 0
; FloatMode: 240
; IeeeMode: 1
; LDSByteSize: 2304 bytes/workgroup (compile time only)
; SGPRBlocks: 4
; VGPRBlocks: 4
; NumSGPRsForWavesPerEU: 38
; NumVGPRsForWavesPerEU: 34
; AccumOffset: 36
; Occupancy: 8
; WaveLimiterHint : 1
; COMPUTE_PGM_RSRC2:SCRATCH_EN: 0
; COMPUTE_PGM_RSRC2:USER_SGPR: 2
; COMPUTE_PGM_RSRC2:TRAP_HANDLER: 0
; COMPUTE_PGM_RSRC2:TGID_X_EN: 1
; COMPUTE_PGM_RSRC2:TGID_Y_EN: 0
; COMPUTE_PGM_RSRC2:TGID_Z_EN: 1
; COMPUTE_PGM_RSRC2:TIDIG_COMP_CNT: 0
; COMPUTE_PGM_RSRC3_GFX90A:ACCUM_OFFSET: 8
; COMPUTE_PGM_RSRC3_GFX90A:TG_SPLIT: 0
	.section	.text._ZL38rocblas_trsm_small_left_device_sharedBILi16ELi16ELb0E19rocblas_complex_numIfES1_PKPKS1_PKPS1_Ev13rocblas_fill_18rocblas_operation_17rocblas_diagonal_iiT3_T4_lilT5_lili,"axG",@progbits,_ZL38rocblas_trsm_small_left_device_sharedBILi16ELi16ELb0E19rocblas_complex_numIfES1_PKPKS1_PKPS1_Ev13rocblas_fill_18rocblas_operation_17rocblas_diagonal_iiT3_T4_lilT5_lili,comdat
	.globl	_ZL38rocblas_trsm_small_left_device_sharedBILi16ELi16ELb0E19rocblas_complex_numIfES1_PKPKS1_PKPS1_Ev13rocblas_fill_18rocblas_operation_17rocblas_diagonal_iiT3_T4_lilT5_lili ; -- Begin function _ZL38rocblas_trsm_small_left_device_sharedBILi16ELi16ELb0E19rocblas_complex_numIfES1_PKPKS1_PKPS1_Ev13rocblas_fill_18rocblas_operation_17rocblas_diagonal_iiT3_T4_lilT5_lili
	.p2align	8
	.type	_ZL38rocblas_trsm_small_left_device_sharedBILi16ELi16ELb0E19rocblas_complex_numIfES1_PKPKS1_PKPS1_Ev13rocblas_fill_18rocblas_operation_17rocblas_diagonal_iiT3_T4_lilT5_lili,@function
_ZL38rocblas_trsm_small_left_device_sharedBILi16ELi16ELb0E19rocblas_complex_numIfES1_PKPKS1_PKPS1_Ev13rocblas_fill_18rocblas_operation_17rocblas_diagonal_iiT3_T4_lilT5_lili: ; @_ZL38rocblas_trsm_small_left_device_sharedBILi16ELi16ELb0E19rocblas_complex_numIfES1_PKPKS1_PKPS1_Ev13rocblas_fill_18rocblas_operation_17rocblas_diagonal_iiT3_T4_lilT5_lili
; %bb.0:
	s_load_dwordx4 s[12:15], s[2:3], 0x40
	s_load_dwordx4 s[8:11], s[2:3], 0x4
	s_load_dwordx2 s[16:17], s[2:3], 0x14
	s_mov_b32 s6, s5
	s_mov_b32 s7, 0
	s_lshl_b64 s[20:21], s[6:7], 3
	s_waitcnt lgkmcnt(0)
	s_add_u32 s6, s12, s20
	s_addc_u32 s7, s13, s21
	s_load_dword s5, s[2:3], 0x68
	s_load_dwordx2 s[12:13], s[6:7], 0x0
	v_and_b32_e32 v78, 0x3ff, v0
	s_min_i32 s30, s10, 16
	v_cmp_gt_i32_e32 vcc, s30, v78
	s_and_saveexec_b64 s[6:7], vcc
	s_cbranch_execz .LBB148_15
; %bb.1:
	s_load_dword s22, s[2:3], 0x30
	s_load_dwordx4 s[24:27], s[2:3], 0x20
	v_lshlrev_b32_e32 v2, 3, v78
	v_mov_b32_e32 v3, 0
	v_mov_b32_e32 v1, v2
	s_waitcnt lgkmcnt(0)
	s_ashr_i32 s23, s22, 31
	s_cmpk_lg_i32 s8, 0x71
	s_cselect_b64 s[18:19], -1, 0
	s_add_u32 s20, s24, s20
	s_addc_u32 s21, s25, s21
	s_load_dwordx2 s[20:21], s[20:21], 0x0
	s_lshl_b64 s[24:25], s[26:27], 3
	s_waitcnt lgkmcnt(0)
	s_add_u32 s24, s20, s24
	s_addc_u32 s25, s21, s25
	s_lshl_b64 s[20:21], s[22:23], 3
	v_lshl_add_u64 v[4:5], s[24:25], 0, v[2:3]
	s_mov_b32 s24, s30
	s_branch .LBB148_3
.LBB148_2:                              ;   in Loop: Header=BB148_3 Depth=1
	flat_load_dword v6, v[4:5]
	s_add_i32 s24, s24, -1
	v_lshl_add_u64 v[4:5], v[4:5], 0, s[20:21]
	s_cmp_eq_u32 s24, 0
	s_waitcnt vmcnt(0) lgkmcnt(0)
	ds_write_b64 v1, v[6:7]
	v_add_u32_e32 v1, 0x80, v1
	s_cbranch_scc1 .LBB148_7
.LBB148_3:                              ; =>This Inner Loop Header: Depth=1
	s_mov_b64 s[22:23], -1
	s_and_b64 vcc, exec, s[18:19]
                                        ; implicit-def: $vgpr7
	s_cbranch_vccz .LBB148_5
; %bb.4:                                ;   in Loop: Header=BB148_3 Depth=1
	flat_load_dword v7, v[4:5] offset:4
	s_mov_b64 s[22:23], 0
.LBB148_5:                              ;   in Loop: Header=BB148_3 Depth=1
	s_andn2_b64 vcc, exec, s[22:23]
	s_cbranch_vccnz .LBB148_2
; %bb.6:                                ;   in Loop: Header=BB148_3 Depth=1
	flat_load_dword v3, v[4:5] offset:4
	s_waitcnt vmcnt(0) lgkmcnt(0)
	v_xor_b32_e32 v7, 0x80000000, v3
	s_branch .LBB148_2
.LBB148_7:
	v_lshlrev_b32_e32 v1, 7, v78
	s_cmpk_lg_i32 s9, 0x84
	s_mov_b64 s[18:19], -1
	v_add_u32_e32 v1, v2, v1
	s_cbranch_scc0 .LBB148_13
; %bb.8:
	ds_read_b64 v[2:3], v1
                                        ; implicit-def: $vgpr4_vgpr5
	s_waitcnt lgkmcnt(0)
	v_cmp_ngt_f32_e64 s[18:19], |v2|, |v3|
	s_and_saveexec_b64 s[20:21], s[18:19]
	s_xor_b64 s[18:19], exec, s[20:21]
	s_cbranch_execz .LBB148_10
; %bb.9:
	v_div_scale_f32 v4, s[20:21], v3, v3, v2
	v_rcp_f32_e32 v5, v4
	v_div_scale_f32 v6, vcc, v2, v3, v2
	v_fma_f32 v7, -v4, v5, 1.0
	v_fmac_f32_e32 v5, v7, v5
	v_mul_f32_e32 v7, v6, v5
	v_fma_f32 v8, -v4, v7, v6
	v_fmac_f32_e32 v7, v8, v5
	v_fma_f32 v4, -v4, v7, v6
	v_div_fmas_f32 v4, v4, v5, v7
	v_div_fixup_f32 v4, v4, v3, v2
	v_fmac_f32_e32 v3, v2, v4
	v_div_scale_f32 v2, s[20:21], v3, v3, 1.0
	v_rcp_f32_e32 v5, v2
	s_mov_b32 s20, 0
	s_mov_b32 s21, -1.0
	v_fma_f32 v6, -v2, v5, 1.0
	v_fmac_f32_e32 v5, v6, v5
	v_div_scale_f32 v6, vcc, 1.0, v3, 1.0
	v_mul_f32_e32 v7, v6, v5
	v_fma_f32 v8, -v2, v7, v6
	v_fmac_f32_e32 v7, v8, v5
	v_fma_f32 v2, -v2, v7, v6
	v_div_fmas_f32 v2, v2, v5, v7
	v_mul_f32_e32 v5, 0, v4
	v_div_fixup_f32 v2, v2, v3, 1.0
	v_pk_add_f32 v[4:5], v[4:5], s[20:21]
	s_nop 0
	v_pk_mul_f32 v[4:5], v[4:5], v[2:3] op_sel_hi:[1,0]
                                        ; implicit-def: $vgpr2_vgpr3
.LBB148_10:
	s_andn2_saveexec_b64 s[18:19], s[18:19]
	s_cbranch_execz .LBB148_12
; %bb.11:
	v_div_scale_f32 v4, s[20:21], v2, v2, v3
	v_rcp_f32_e32 v5, v4
	v_div_scale_f32 v6, vcc, v3, v2, v3
	v_fma_f32 v7, -v4, v5, 1.0
	v_fmac_f32_e32 v5, v7, v5
	v_mul_f32_e32 v7, v6, v5
	v_fma_f32 v8, -v4, v7, v6
	v_fmac_f32_e32 v7, v8, v5
	v_fma_f32 v4, -v4, v7, v6
	v_div_fmas_f32 v4, v4, v5, v7
	v_div_fixup_f32 v5, v4, v2, v3
	v_fmac_f32_e32 v2, v3, v5
	v_div_scale_f32 v3, s[20:21], v2, v2, 1.0
	v_rcp_f32_e32 v4, v3
	s_nop 0
	v_fma_f32 v6, -v3, v4, 1.0
	v_fmac_f32_e32 v4, v6, v4
	v_div_scale_f32 v6, vcc, 1.0, v2, 1.0
	v_mul_f32_e32 v7, v6, v4
	v_fma_f32 v8, -v3, v7, v6
	v_fmac_f32_e32 v7, v8, v4
	v_fma_f32 v3, -v3, v7, v6
	v_div_fmas_f32 v3, v3, v4, v7
	v_div_fixup_f32 v2, v3, v2, 1.0
	v_mul_f32_e32 v3, 0, v5
	v_add_f32_e32 v4, 1.0, v3
	v_sub_f32_e32 v5, 0, v5
	v_pk_mul_f32 v[4:5], v[4:5], v[2:3] op_sel_hi:[1,0]
.LBB148_12:
	s_or_b64 exec, exec, s[18:19]
	s_mov_b64 s[18:19], 0
	ds_write_b64 v1, v[4:5]
.LBB148_13:
	s_and_b64 vcc, exec, s[18:19]
	s_cbranch_vccz .LBB148_15
; %bb.14:
	v_mov_b32_e32 v2, 1.0
	v_mov_b32_e32 v3, 0
	ds_write_b64 v1, v[2:3]
.LBB148_15:
	s_or_b64 exec, exec, s[6:7]
	s_load_dword s9, s[2:3], 0x50
	s_lshl_b64 s[18:19], s[14:15], 3
	s_waitcnt lgkmcnt(0)
	s_ashr_i32 s31, s9, 31
	s_add_u32 s6, s12, s18
	s_addc_u32 s7, s13, s19
	s_lshl_b32 s20, s4, 4
	s_add_i32 s5, s5, -1
	s_sub_i32 s2, s11, s20
	s_cmp_ge_u32 s4, s5
	s_mul_hi_i32 s3, s9, s20
	s_cselect_b32 s11, s2, 16
	s_mul_i32 s2, s9, s20
	s_lshl_b64 s[2:3], s[2:3], 3
	s_add_u32 s4, s6, s2
	s_addc_u32 s5, s7, s3
	s_cmp_gt_i32 s10, 0
	v_cmp_gt_i32_e64 s[2:3], s11, v78
	s_cselect_b64 s[6:7], -1, 0
	s_mov_b32 s11, 0
	s_and_b64 s[22:23], s[2:3], s[6:7]
	s_and_saveexec_b64 s[14:15], s[22:23]
	s_cbranch_execz .LBB148_23
; %bb.16:
	s_cmp_lt_i32 s10, 2
	s_mov_b64 s[22:23], -1
	s_cbranch_scc1 .LBB148_20
; %bb.17:
	v_mad_i64_i32 v[2:3], s[22:23], s9, v78, 0
	v_mov_b32_e32 v1, 0x800
	s_and_b32 s11, s30, 30
	s_mov_b32 s29, 0
	v_lshl_add_u64 v[2:3], v[2:3], 3, s[4:5]
	v_lshl_add_u32 v1, v78, 3, v1
	s_mov_b32 s22, s16
	s_mov_b32 s23, s16
	;; [unrolled: 1-line block ×7, first 2 shown]
.LBB148_18:                             ; =>This Inner Loop Header: Depth=1
	v_lshl_add_u64 v[4:5], s[28:29], 3, v[2:3]
	s_mov_b32 s27, s29
	v_lshl_add_u64 v[6:7], s[26:27], 3, v[2:3]
	flat_load_dwordx2 v[12:13], v[4:5]
	flat_load_dwordx2 v[8:9], v[6:7]
	v_lshl_add_u32 v10, s28, 7, v1
	v_lshl_add_u32 v11, s26, 7, v1
	s_add_i32 s28, s28, 2
	s_add_i32 s21, s21, -2
	s_add_i32 s26, s26, 2
	s_cmp_lg_u32 s21, 0
	s_waitcnt vmcnt(0) lgkmcnt(0)
	v_mov_b32_e32 v4, v12
	v_mov_b32_e32 v5, v8
	;; [unrolled: 1-line block ×3, first 2 shown]
	v_pk_mul_f32 v[6:7], s[24:25], v[8:9]
	v_pk_mul_f32 v[8:9], s[22:23], v[8:9]
	v_pk_fma_f32 v[6:7], s[22:23], v[4:5], v[6:7] neg_lo:[0,0,1] neg_hi:[0,0,1]
	v_pk_fma_f32 v[4:5], s[24:25], v[4:5], v[8:9]
	ds_write_b32 v10, v6
	ds_write_b32 v11, v7
	ds_write_b32 v10, v4 offset:4
	ds_write_b32 v11, v5 offset:4
	s_cbranch_scc1 .LBB148_18
; %bb.19:
	s_cmp_lg_u32 s30, s11
	s_cselect_b64 s[22:23], -1, 0
.LBB148_20:
	s_and_b64 vcc, exec, s[22:23]
	s_cbranch_vccz .LBB148_23
; %bb.21:
	s_ashr_i32 s21, s20, 31
	v_lshlrev_b32_e32 v4, 3, v78
	v_mov_b32_e32 v5, 0
	s_sub_i32 s24, s30, s11
	v_lshl_add_u64 v[6:7], s[20:21], 3, v[4:5]
	s_lshl_b32 s20, s11, 3
	s_add_u32 s12, s12, s20
	s_addc_u32 s13, s13, 0
	s_add_u32 s12, s12, s18
	s_addc_u32 s13, s13, s19
	v_mov_b64_e32 v[2:3], s[12:13]
	v_mad_u64_u32 v[2:3], s[12:13], v6, s9, v[2:3]
	v_mul_lo_u32 v1, v6, s31
	v_mul_lo_u32 v5, v7, s9
	v_add3_u32 v3, v5, v3, v1
	v_lshl_add_u32 v1, s11, 7, v4
	s_mov_b32 s22, s17
	s_mov_b32 s23, s16
	v_add_u32_e32 v1, 0x800, v1
.LBB148_22:                             ; =>This Inner Loop Header: Depth=1
	flat_load_dwordx2 v[4:5], v[2:3]
	s_add_i32 s24, s24, -1
	v_lshl_add_u64 v[2:3], v[2:3], 0, 8
	s_cmp_lg_u32 s24, 0
	s_waitcnt vmcnt(0) lgkmcnt(0)
	v_pk_mul_f32 v[6:7], s[22:23], v[4:5] op_sel:[0,1]
	s_nop 0
	v_pk_fma_f32 v[8:9], s[16:17], v[4:5], v[6:7] neg_lo:[0,0,1] neg_hi:[0,0,1]
	v_pk_fma_f32 v[4:5], s[16:17], v[4:5], v[6:7] op_sel_hi:[1,0,1]
	s_nop 0
	v_mov_b32_e32 v9, v5
	ds_write_b64 v1, v[8:9]
	v_add_u32_e32 v1, 0x80, v1
	s_cbranch_scc1 .LBB148_22
.LBB148_23:
	s_or_b64 exec, exec, s[14:15]
	s_load_dwordx2 s[12:13], s[0:1], 0x4
	v_bfe_u32 v2, v0, 10, 10
	v_bfe_u32 v3, v0, 20, 10
	v_mov_b64_e32 v[0:1], 0x1000
	s_waitcnt lgkmcnt(0)
	s_lshr_b32 s0, s12, 16
	s_mul_i32 s0, s0, s13
	v_mul_u32_u24_e32 v2, s13, v2
	v_mul_u32_u24_e32 v4, s0, v78
	v_add3_u32 v2, v4, v2, v3
	v_mad_u64_u32 v[64:65], s[0:1], v2, 56, v[0:1]
	v_mov_b32_e32 v0, 0x800
	s_cmpk_eq_i32 s8, 0x6f
	v_lshl_add_u32 v65, v78, 3, v0
	s_mov_b64 s[0:1], -1
	; wave barrier
	s_cbranch_scc1 .LBB148_41
; %bb.24:
	s_cmp_gt_i32 s10, 15
	s_cselect_b64 s[0:1], -1, 0
	s_mov_b32 s12, 0
	s_and_b64 vcc, exec, s[0:1]
	s_cbranch_vccz .LBB148_26
; %bb.25:
	ds_read2_b64 v[12:15], v65 offset1:16
	ds_read2_b64 v[24:27], v65 offset0:32 offset1:48
	ds_read2_b64 v[0:3], v65 offset0:64 offset1:80
	;; [unrolled: 1-line block ×3, first 2 shown]
	v_mov_b32_e32 v74, 0
	s_movk_i32 s8, 0x400
	s_mov_b32 s12, 16
	s_waitcnt lgkmcnt(3)
	ds_write_b128 v64, v[12:15]
	s_waitcnt lgkmcnt(3)
	ds_write_b128 v64, v[24:27] offset:16
	s_waitcnt lgkmcnt(3)
	ds_write_b128 v64, v[0:3] offset:32
	s_waitcnt lgkmcnt(3)
	ds_write_b64 v64, v[18:19] offset:48
	ds_read2_b64 v[26:29], v74 offset1:34
	ds_read2_b64 v[16:19], v65 offset0:128 offset1:144
	ds_read2_b64 v[8:11], v65 offset0:160 offset1:176
	;; [unrolled: 1-line block ×4, first 2 shown]
	ds_read_b128 v[30:33], v74 offset:128
	ds_read_b128 v[34:37], v74 offset:256
	s_waitcnt lgkmcnt(6)
	v_mul_f32_e32 v23, v26, v13
	v_mul_f32_e32 v22, v27, v13
	v_fmac_f32_e32 v23, v27, v12
	v_fma_f32 v22, v26, v12, -v22
	s_waitcnt lgkmcnt(1)
	v_mul_f32_e32 v13, v30, v23
	v_mul_f32_e32 v12, v31, v23
	v_fmac_f32_e32 v13, v31, v22
	v_fma_f32 v12, v30, v22, -v12
	v_sub_f32_e32 v13, v15, v13
	v_sub_f32_e32 v12, v14, v12
	v_mul_f32_e32 v41, v32, v13
	v_mul_f32_e32 v14, v33, v13
	v_fmac_f32_e32 v41, v33, v12
	s_waitcnt lgkmcnt(0)
	v_mul_f32_e32 v13, v34, v23
	v_fma_f32 v40, v32, v12, -v14
	v_mul_f32_e32 v12, v35, v23
	v_fmac_f32_e32 v13, v35, v22
	v_mul_f32_e32 v15, v36, v41
	v_fma_f32 v12, v34, v22, -v12
	v_sub_f32_e32 v13, v25, v13
	v_mul_f32_e32 v14, v37, v41
	v_fmac_f32_e32 v15, v37, v40
	v_sub_f32_e32 v12, v24, v12
	v_fma_f32 v14, v36, v40, -v14
	v_sub_f32_e32 v25, v13, v15
	ds_write2_b64 v64, v[22:23], v[40:41] offset1:1
	ds_write2_b64 v65, v[22:23], v[40:41] offset1:16
	v_sub_f32_e32 v24, v12, v14
	v_mul_f32_e32 v12, v29, v25
	v_fma_f32 v42, v28, v24, -v12
	ds_read_b128 v[12:15], v74 offset:384
	v_mul_f32_e32 v43, v28, v25
	v_fmac_f32_e32 v43, v29, v24
	ds_read2_b64 v[24:27], v64 offset0:3 offset1:4
	ds_read_b128 v[28:31], v74 offset:400
	s_waitcnt lgkmcnt(2)
	v_mul_f32_e32 v32, v13, v23
	v_fma_f32 v36, v12, v22, -v32
	v_mul_f32_e32 v12, v12, v23
	v_fmac_f32_e32 v12, v13, v22
	s_waitcnt lgkmcnt(1)
	v_sub_f32_e32 v13, v24, v36
	v_mul_f32_e32 v24, v15, v41
	v_fma_f32 v24, v14, v40, -v24
	v_mul_f32_e32 v14, v14, v41
	v_sub_f32_e32 v12, v25, v12
	v_fmac_f32_e32 v14, v15, v40
	s_waitcnt lgkmcnt(0)
	v_mul_f32_e32 v15, v28, v43
	v_sub_f32_e32 v12, v12, v14
	v_mul_f32_e32 v14, v29, v43
	v_fmac_f32_e32 v15, v29, v42
	v_sub_f32_e32 v13, v13, v24
	v_fma_f32 v14, v28, v42, -v14
	v_sub_f32_e32 v12, v12, v15
	v_sub_f32_e32 v24, v13, v14
	v_mul_f32_e32 v13, v31, v12
	v_fma_f32 v44, v30, v24, -v13
	v_mul_f32_e32 v45, v30, v12
	ds_read_b128 v[12:15], v74 offset:512
	v_fmac_f32_e32 v45, v31, v24
	ds_read2_b64 v[32:35], v64 offset0:5 offset1:6
	ds_write2_b64 v64, v[42:43], v[44:45] offset0:2 offset1:3
	ds_write2_b64 v65, v[42:43], v[44:45] offset0:32 offset1:48
	ds_read_b128 v[28:31], v74 offset:528
	s_waitcnt lgkmcnt(4)
	v_mul_f32_e32 v24, v13, v23
	v_fma_f32 v24, v12, v22, -v24
	v_mul_f32_e32 v12, v12, v23
	v_fmac_f32_e32 v12, v13, v22
	v_sub_f32_e32 v13, v26, v24
	v_mul_f32_e32 v24, v15, v41
	v_fma_f32 v24, v14, v40, -v24
	v_mul_f32_e32 v14, v14, v41
	v_sub_f32_e32 v12, v27, v12
	v_fmac_f32_e32 v14, v15, v40
	s_waitcnt lgkmcnt(0)
	v_mul_f32_e32 v15, v28, v43
	v_sub_f32_e32 v12, v12, v14
	v_mul_f32_e32 v14, v29, v43
	v_fmac_f32_e32 v15, v29, v42
	v_sub_f32_e32 v13, v13, v24
	v_fma_f32 v14, v28, v42, -v14
	v_sub_f32_e32 v25, v12, v15
	v_mul_f32_e32 v12, v31, v45
	v_sub_f32_e32 v24, v13, v14
	v_fma_f32 v26, v30, v44, -v12
	ds_read2_b64 v[12:15], v74 offset0:68 offset1:102
	v_mul_f32_e32 v27, v30, v45
	v_fmac_f32_e32 v27, v31, v44
	v_sub_f32_e32 v29, v25, v27
	v_sub_f32_e32 v28, v24, v26
	s_waitcnt lgkmcnt(0)
	v_mul_f32_e32 v24, v13, v29
	v_fma_f32 v46, v12, v28, -v24
	ds_read_b128 v[24:27], v74 offset:640
	v_mul_f32_e32 v47, v12, v29
	v_fmac_f32_e32 v47, v13, v28
	ds_read_b128 v[28:31], v74 offset:656
	ds_read_b128 v[36:39], v74 offset:672
	s_waitcnt lgkmcnt(2)
	v_mul_f32_e32 v12, v25, v23
	v_mul_f32_e32 v13, v24, v23
	v_fma_f32 v12, v24, v22, -v12
	v_fmac_f32_e32 v13, v25, v22
	v_mul_f32_e32 v24, v27, v41
	v_mul_f32_e32 v25, v26, v41
	v_sub_f32_e32 v12, v32, v12
	v_sub_f32_e32 v13, v33, v13
	v_fma_f32 v24, v26, v40, -v24
	v_fmac_f32_e32 v25, v27, v40
	v_sub_f32_e32 v12, v12, v24
	v_sub_f32_e32 v13, v13, v25
	s_waitcnt lgkmcnt(1)
	v_mul_f32_e32 v24, v29, v43
	v_mul_f32_e32 v25, v28, v43
	v_fma_f32 v24, v28, v42, -v24
	v_fmac_f32_e32 v25, v29, v42
	v_sub_f32_e32 v12, v12, v24
	v_sub_f32_e32 v13, v13, v25
	v_mul_f32_e32 v24, v31, v45
	v_mul_f32_e32 v25, v30, v45
	v_fma_f32 v24, v30, v44, -v24
	v_fmac_f32_e32 v25, v31, v44
	v_sub_f32_e32 v12, v12, v24
	v_sub_f32_e32 v13, v13, v25
	ds_read_b128 v[24:27], v74 offset:768
	s_waitcnt lgkmcnt(1)
	v_mul_f32_e32 v29, v36, v47
	v_mul_f32_e32 v28, v37, v47
	v_fmac_f32_e32 v29, v37, v46
	v_fma_f32 v28, v36, v46, -v28
	v_sub_f32_e32 v13, v13, v29
	v_sub_f32_e32 v28, v12, v28
	v_mul_f32_e32 v12, v39, v13
	v_mul_f32_e32 v13, v38, v13
	v_fma_f32 v12, v38, v28, -v12
	v_fmac_f32_e32 v13, v39, v28
	s_waitcnt lgkmcnt(0)
	v_mul_f32_e32 v28, v25, v23
	v_fma_f32 v28, v24, v22, -v28
	v_mul_f32_e32 v24, v24, v23
	ds_write2_b64 v64, v[46:47], v[12:13] offset0:4 offset1:5
	ds_write2_b64 v65, v[46:47], v[12:13] offset0:64 offset1:80
	v_fmac_f32_e32 v24, v25, v22
	v_sub_f32_e32 v25, v34, v28
	v_mul_f32_e32 v28, v27, v41
	v_fma_f32 v32, v26, v40, -v28
	ds_read_b128 v[28:31], v74 offset:784
	v_mul_f32_e32 v26, v26, v41
	v_sub_f32_e32 v24, v35, v24
	v_fmac_f32_e32 v26, v27, v40
	v_sub_f32_e32 v32, v25, v32
	v_sub_f32_e32 v33, v24, v26
	ds_read_b128 v[24:27], v74 offset:800
	s_waitcnt lgkmcnt(1)
	v_mul_f32_e32 v34, v29, v43
	v_fma_f32 v34, v28, v42, -v34
	v_mul_f32_e32 v28, v28, v43
	v_fmac_f32_e32 v28, v29, v42
	v_sub_f32_e32 v29, v32, v34
	v_mul_f32_e32 v32, v31, v45
	v_fma_f32 v32, v30, v44, -v32
	v_mul_f32_e32 v30, v30, v45
	v_sub_f32_e32 v28, v33, v28
	v_fmac_f32_e32 v30, v31, v44
	v_sub_f32_e32 v28, v28, v30
	s_waitcnt lgkmcnt(0)
	v_mul_f32_e32 v30, v25, v47
	v_fma_f32 v30, v24, v46, -v30
	v_mul_f32_e32 v24, v24, v47
	v_fmac_f32_e32 v24, v25, v46
	v_sub_f32_e32 v24, v28, v24
	v_mul_f32_e32 v28, v27, v13
	v_mul_f32_e32 v13, v26, v13
	ds_read_b128 v[40:43], v74 offset:896
	v_sub_f32_e32 v29, v29, v32
	v_fmac_f32_e32 v13, v27, v12
	v_sub_f32_e32 v25, v29, v30
	v_fma_f32 v28, v26, v12, -v28
	v_sub_f32_e32 v13, v24, v13
	v_sub_f32_e32 v12, v25, v28
	v_mul_f32_e32 v24, v15, v13
	v_mul_f32_e32 v67, v14, v13
	v_fma_f32 v66, v14, v12, -v24
	v_fmac_f32_e32 v67, v15, v12
	ds_write_b64 v64, v[66:67] offset:48
	s_waitcnt lgkmcnt(1)
	v_mul_f32_e32 v24, v41, v23
	ds_read2_b64 v[12:15], v64 offset0:5 offset1:6
	ds_read_b128 v[36:39], v74 offset:912
	v_fma_f32 v28, v40, v22, -v24
	ds_read_b128 v[24:27], v64
	v_mul_f32_e32 v23, v40, v23
	v_fmac_f32_e32 v23, v41, v22
	v_sub_f32_e32 v40, v20, v28
	v_sub_f32_e32 v41, v21, v23
	s_waitcnt lgkmcnt(0)
	v_mul_f32_e32 v28, v43, v27
	ds_read_b128 v[20:23], v64 offset:16
	ds_read2_b64 v[32:35], v64 offset1:1
	v_fma_f32 v44, v42, v26, -v28
	ds_read2_b64 v[28:31], v64 offset0:1 offset1:2
	v_mul_f32_e32 v27, v42, v27
	v_fmac_f32_e32 v27, v43, v26
	v_sub_f32_e32 v26, v40, v44
	ds_read_b128 v[44:47], v64
	s_waitcnt lgkmcnt(1)
	v_mul_f32_e32 v40, v37, v31
	v_fma_f32 v40, v36, v30, -v40
	v_sub_f32_e32 v27, v41, v27
	v_mul_f32_e32 v31, v36, v31
	v_sub_f32_e32 v26, v26, v40
	ds_read2_b64 v[40:43], v64 offset0:1 offset1:2
	ds_read2_b64 v[58:61], v64 offset0:3 offset1:4
	ds_read_b128 v[52:55], v74 offset:928
	v_fmac_f32_e32 v31, v37, v30
	v_mul_f32_e32 v30, v39, v23
	v_mul_f32_e32 v23, v38, v23
	v_fma_f32 v30, v38, v22, -v30
	v_fmac_f32_e32 v23, v39, v22
	ds_read_b128 v[68:71], v74 offset:944
	ds_read_b128 v[36:39], v64 offset:16
	;; [unrolled: 1-line block ×3, first 2 shown]
	v_sub_f32_e32 v27, v27, v31
	v_sub_f32_e32 v23, v27, v23
	s_waitcnt lgkmcnt(3)
	v_mul_f32_e32 v27, v52, v61
	v_sub_f32_e32 v22, v26, v30
	v_mul_f32_e32 v26, v53, v61
	v_fmac_f32_e32 v27, v53, v60
	v_fma_f32 v26, v52, v60, -v26
	v_sub_f32_e32 v23, v23, v27
	ds_read2_b64 v[60:63], v64 offset0:4 offset1:5
	s_waitcnt lgkmcnt(1)
	v_mul_f32_e32 v27, v54, v51
	v_sub_f32_e32 v22, v22, v26
	v_mul_f32_e32 v26, v55, v51
	v_fmac_f32_e32 v27, v55, v50
	v_fma_f32 v26, v54, v50, -v26
	v_sub_f32_e32 v23, v23, v27
	v_mul_f32_e32 v27, v68, v15
	ds_read_b128 v[54:57], v74 offset:1024
	v_sub_f32_e32 v22, v22, v26
	v_mul_f32_e32 v26, v69, v15
	v_fmac_f32_e32 v27, v69, v14
	v_fma_f32 v26, v68, v14, -v26
	v_sub_f32_e32 v23, v23, v27
	v_sub_f32_e32 v22, v22, v26
	v_mul_f32_e32 v26, v71, v23
	v_mul_f32_e32 v69, v70, v23
	v_fma_f32 v68, v70, v22, -v26
	v_fmac_f32_e32 v69, v71, v22
	ds_read_b128 v[80:83], v74 offset:1152
	ds_write2_b64 v65, v[14:15], v[68:69] offset0:96 offset1:112
	ds_read_b128 v[70:73], v74 offset:1040
	s_waitcnt lgkmcnt(3)
	v_mul_f32_e32 v14, v55, v33
	v_mul_f32_e32 v15, v54, v33
	ds_read2_b64 v[50:53], v64 offset0:5 offset1:6
	v_fma_f32 v14, v54, v32, -v14
	v_fmac_f32_e32 v15, v55, v32
	ds_read_b128 v[30:33], v64 offset:16
	ds_read2_b64 v[84:87], v64 offset0:2 offset1:3
	ds_read_b128 v[88:91], v74 offset:1168
	v_mul_f32_e32 v23, v56, v35
	v_mul_f32_e32 v22, v57, v35
	v_fmac_f32_e32 v23, v57, v34
	s_waitcnt lgkmcnt(6)
	v_mul_f32_e32 v26, v81, v25
	v_sub_f32_e32 v15, v17, v15
	v_fma_f32 v22, v56, v34, -v22
	v_fma_f32 v75, v80, v24, -v26
	v_mul_f32_e32 v76, v80, v25
	v_sub_f32_e32 v14, v16, v14
	v_sub_f32_e32 v26, v15, v23
	s_waitcnt lgkmcnt(1)
	v_mul_f32_e32 v15, v71, v85
	v_fmac_f32_e32 v76, v81, v24
	v_mul_f32_e32 v24, v83, v29
	v_mul_f32_e32 v79, v82, v29
	v_sub_f32_e32 v14, v14, v22
	v_fma_f32 v15, v70, v84, -v15
	ds_read2_b64 v[92:95], v64 offset0:3 offset1:4
	v_fma_f32 v77, v82, v28, -v24
	v_fmac_f32_e32 v79, v83, v28
	v_sub_f32_e32 v28, v14, v15
	v_mul_f32_e32 v14, v73, v87
	v_fma_f32 v29, v72, v86, -v14
	ds_read_b128 v[14:17], v74 offset:1056
	ds_read_b128 v[22:25], v74 offset:1072
	v_mul_f32_e32 v27, v70, v85
	v_fmac_f32_e32 v27, v71, v84
	v_mul_f32_e32 v34, v72, v87
	s_waitcnt lgkmcnt(1)
	v_mul_f32_e32 v54, v15, v95
	v_sub_f32_e32 v35, v28, v29
	v_fma_f32 v54, v14, v94, -v54
	v_mul_f32_e32 v14, v14, v95
	v_fmac_f32_e32 v34, v73, v86
	v_sub_f32_e32 v26, v26, v27
	v_fmac_f32_e32 v14, v15, v94
	v_sub_f32_e32 v15, v35, v54
	v_mul_f32_e32 v35, v17, v63
	v_sub_f32_e32 v34, v26, v34
	v_fma_f32 v35, v16, v62, -v35
	v_mul_f32_e32 v16, v16, v63
	ds_read2_b64 v[80:83], v74 offset0:136 offset1:170
	v_fmac_f32_e32 v16, v17, v62
	v_sub_f32_e32 v14, v34, v14
	s_waitcnt lgkmcnt(1)
	v_mul_f32_e32 v17, v22, v67
	v_sub_f32_e32 v14, v14, v16
	v_mul_f32_e32 v16, v23, v67
	v_fmac_f32_e32 v17, v23, v66
	v_mul_f32_e32 v23, v24, v69
	v_sub_f32_e32 v15, v15, v35
	v_fma_f32 v16, v22, v66, -v16
	v_mul_f32_e32 v22, v25, v69
	v_fmac_f32_e32 v23, v25, v68
	v_sub_f32_e32 v14, v14, v17
	v_fma_f32 v22, v24, v68, -v22
	v_sub_f32_e32 v15, v15, v16
	v_sub_f32_e32 v14, v14, v23
	;; [unrolled: 1-line block ×3, first 2 shown]
	s_waitcnt lgkmcnt(0)
	v_mul_f32_e32 v16, v81, v14
	v_fma_f32 v34, v80, v15, -v16
	v_mul_f32_e32 v35, v80, v14
	v_sub_f32_e32 v14, v18, v75
	v_mul_f32_e32 v16, v89, v85
	v_fmac_f32_e32 v35, v81, v15
	v_sub_f32_e32 v15, v19, v76
	v_sub_f32_e32 v14, v14, v77
	v_fma_f32 v16, v88, v84, -v16
	v_mul_f32_e32 v17, v88, v85
	v_sub_f32_e32 v15, v15, v79
	v_fmac_f32_e32 v17, v89, v84
	v_sub_f32_e32 v18, v14, v16
	v_mul_f32_e32 v14, v91, v87
	v_sub_f32_e32 v19, v15, v17
	v_fma_f32 v22, v90, v86, -v14
	ds_read_b128 v[14:17], v74 offset:1184
	v_mul_f32_e32 v23, v90, v87
	v_fmac_f32_e32 v23, v91, v86
	v_sub_f32_e32 v18, v18, v22
	v_sub_f32_e32 v19, v19, v23
	ds_read_b128 v[22:25], v74 offset:1200
	s_waitcnt lgkmcnt(1)
	v_mul_f32_e32 v66, v15, v95
	v_fma_f32 v66, v14, v94, -v66
	v_mul_f32_e32 v14, v14, v95
	v_fmac_f32_e32 v14, v15, v94
	v_sub_f32_e32 v15, v18, v66
	v_mul_f32_e32 v18, v17, v63
	v_fma_f32 v18, v16, v62, -v18
	v_mul_f32_e32 v16, v16, v63
	v_sub_f32_e32 v14, v19, v14
	v_fmac_f32_e32 v16, v17, v62
	s_waitcnt lgkmcnt(0)
	v_mul_f32_e32 v17, v22, v53
	v_sub_f32_e32 v14, v14, v16
	v_mul_f32_e32 v16, v23, v53
	v_fmac_f32_e32 v17, v23, v52
	v_sub_f32_e32 v15, v15, v18
	v_fma_f32 v16, v22, v52, -v16
	v_sub_f32_e32 v19, v14, v17
	v_mul_f32_e32 v14, v25, v69
	v_sub_f32_e32 v18, v15, v16
	v_fma_f32 v22, v24, v68, -v14
	ds_read_b128 v[14:17], v74 offset:1216
	ds_read_b128 v[70:73], v74 offset:1280
	v_mul_f32_e32 v23, v24, v69
	v_sub_f32_e32 v18, v18, v22
	v_fmac_f32_e32 v23, v25, v68
	s_waitcnt lgkmcnt(1)
	v_mul_f32_e32 v22, v15, v35
	v_fma_f32 v22, v14, v34, -v22
	v_mul_f32_e32 v14, v14, v35
	v_sub_f32_e32 v19, v19, v23
	v_fmac_f32_e32 v14, v15, v34
	v_sub_f32_e32 v14, v19, v14
	ds_read_b128 v[84:87], v74 offset:1296
	v_sub_f32_e32 v15, v18, v22
	v_mul_f32_e32 v18, v17, v14
	v_mul_f32_e32 v53, v16, v14
	ds_read2_b64 v[26:29], v64 offset0:3 offset1:4
	ds_read_b128 v[54:57], v64 offset:16
	v_fma_f32 v52, v16, v15, -v18
	v_fmac_f32_e32 v53, v17, v15
	ds_read_b128 v[22:25], v64
	ds_read_b128 v[88:91], v64
	ds_read_b128 v[16:19], v74 offset:1312
	s_waitcnt lgkmcnt(5)
	v_mul_f32_e32 v14, v85, v21
	v_mul_f32_e32 v79, v84, v21
	v_fma_f32 v75, v84, v20, -v14
	v_fmac_f32_e32 v79, v85, v20
	v_mul_f32_e32 v14, v87, v93
	s_waitcnt lgkmcnt(1)
	v_pk_mul_f32 v[20:21], v[70:71], v[88:89]
	v_fma_f32 v80, v86, v92, -v14
	v_mov_b32_e32 v14, v71
	v_sub_f32_e32 v20, v20, v21
	v_mov_b32_e32 v76, v89
	v_mov_b32_e32 v77, v91
	;; [unrolled: 1-line block ×6, first 2 shown]
	v_sub_f32_e32 v8, v8, v20
	v_pk_mul_f32 v[20:21], v[70:71], v[76:77]
	ds_read_b64 v[98:99], v64 offset:40
	v_pk_fma_f32 v[66:67], v[14:15], v[62:63], v[20:21] neg_lo:[0,0,1] neg_hi:[0,0,1]
	v_pk_fma_f32 v[14:15], v[14:15], v[62:63], v[20:21]
	v_mul_f32_e32 v72, v72, v91
	v_pk_mov_b32 v[14:15], v[66:67], v[14:15] op_sel:[1,0]
	v_fmac_f32_e32 v72, v73, v90
	ds_read_b64 v[100:101], v64 offset:48
	v_pk_add_f32 v[8:9], v[8:9], v[14:15] neg_lo:[0,1] neg_hi:[0,1]
	v_mul_f32_e32 v81, v86, v93
	v_sub_f32_e32 v9, v9, v72
	v_fmac_f32_e32 v81, v87, v92
	v_sub_f32_e32 v8, v8, v75
	v_sub_f32_e32 v9, v9, v79
	s_waitcnt lgkmcnt(2)
	v_mul_f32_e32 v14, v17, v61
	v_mul_f32_e32 v21, v16, v61
	v_sub_f32_e32 v8, v8, v80
	v_fma_f32 v20, v16, v60, -v14
	v_fmac_f32_e32 v21, v17, v60
	ds_read2_b64 v[14:17], v64 offset0:5 offset1:6
	s_waitcnt lgkmcnt(2)
	v_mul_f32_e32 v66, v19, v99
	v_mul_f32_e32 v67, v18, v99
	v_sub_f32_e32 v9, v9, v81
	v_fma_f32 v66, v18, v98, -v66
	v_fmac_f32_e32 v67, v19, v98
	v_sub_f32_e32 v8, v8, v20
	v_sub_f32_e32 v9, v9, v21
	ds_read_b128 v[18:21], v74 offset:1328
	ds_read_b128 v[84:87], v74 offset:1344
	ds_read_b64 v[102:103], v64 offset:48
	ds_read_b64 v[72:73], v64 offset:48
	;; [unrolled: 1-line block ×3, first 2 shown]
	v_sub_f32_e32 v8, v8, v66
	s_waitcnt lgkmcnt(4)
	v_mul_f32_e32 v66, v19, v101
	v_fma_f32 v66, v18, v100, -v66
	v_mul_f32_e32 v18, v18, v101
	v_fmac_f32_e32 v18, v19, v100
	v_mul_f32_e32 v19, v21, v69
	v_fma_f32 v19, v20, v68, -v19
	v_mul_f32_e32 v20, v20, v69
	v_sub_f32_e32 v9, v9, v67
	v_sub_f32_e32 v8, v8, v66
	v_fmac_f32_e32 v20, v21, v68
	v_sub_f32_e32 v9, v9, v18
	v_sub_f32_e32 v8, v8, v19
	s_waitcnt lgkmcnt(3)
	v_mul_f32_e32 v19, v84, v35
	v_mul_f32_e32 v18, v85, v35
	v_fmac_f32_e32 v19, v85, v34
	v_mul_f32_e32 v66, v86, v53
	v_sub_f32_e32 v9, v9, v20
	v_fma_f32 v18, v84, v34, -v18
	v_mul_f32_e32 v21, v87, v53
	v_fmac_f32_e32 v66, v87, v52
	v_sub_f32_e32 v9, v9, v19
	v_fma_f32 v21, v86, v52, -v21
	v_sub_f32_e32 v8, v8, v18
	v_sub_f32_e32 v9, v9, v66
	;; [unrolled: 1-line block ×3, first 2 shown]
	v_mul_f32_e32 v18, v83, v9
	v_mul_f32_e32 v67, v82, v9
	v_fma_f32 v66, v82, v8, -v18
	v_fmac_f32_e32 v67, v83, v8
	v_mov_b32_e32 v8, 0x58c
	ds_read_b96 v[90:92], v74 offset:1408
	ds_read2_b32 v[104:105], v8 offset1:1
	ds_write2_b64 v65, v[34:35], v[52:53] offset0:128 offset1:144
	v_mov_b32_e32 v18, 0x59c
	v_mov_b32_e32 v19, 0x5a4
	s_waitcnt lgkmcnt(2)
	v_mov_b32_e32 v8, v91
	v_pk_mul_f32 v[88:89], v[90:91], v[88:89]
	s_waitcnt lgkmcnt(1)
	v_mov_b32_e32 v91, v104
	ds_read_b96 v[94:96], v74 offset:1536
	v_mov_b32_e32 v9, v92
	v_mov_b32_e32 v20, 0x5ac
	ds_read2_b32 v[106:107], v18 offset1:1
	ds_read2_b32 v[108:109], v19 offset1:1
	;; [unrolled: 1-line block ×3, first 2 shown]
	v_pk_mul_f32 v[18:19], v[90:91], v[76:77]
	ds_read_b128 v[80:83], v64
	v_pk_fma_f32 v[20:21], v[8:9], v[62:63], v[18:19] neg_lo:[0,0,1] neg_hi:[0,0,1]
	v_pk_fma_f32 v[8:9], v[8:9], v[62:63], v[18:19]
	v_mov_b32_e32 v63, 0x594
	v_pk_mov_b32 v[8:9], v[20:21], v[8:9] op_sel:[1,0]
	ds_read2_b64 v[18:21], v64 offset0:1 offset1:2
	ds_read2_b64 v[84:87], v64 offset0:1 offset1:2
	ds_read2_b32 v[76:77], v63 offset1:1
	v_sub_f32_e32 v62, v88, v89
	v_sub_f32_e32 v10, v10, v62
	v_pk_add_f32 v[88:89], v[10:11], v[8:9] neg_lo:[0,1] neg_hi:[0,1]
	s_waitcnt lgkmcnt(1)
	v_mov_b32_e32 v8, v84
	v_mov_b32_e32 v9, v86
	;; [unrolled: 1-line block ×3, first 2 shown]
	v_pk_mul_f32 v[90:91], v[104:105], v[8:9]
	v_mov_b32_e32 v93, v92
	s_waitcnt lgkmcnt(0)
	v_mov_b32_e32 v92, v76
	v_mul_f32_e32 v75, v105, v87
	v_pk_fma_f32 v[112:113], v[92:93], v[84:85], v[90:91] op_sel:[0,0,1] op_sel_hi:[1,1,0] neg_lo:[1,0,0] neg_hi:[1,0,0]
	v_pk_fma_f32 v[84:85], v[92:93], v[84:85], v[90:91] op_sel:[0,0,1] op_sel_hi:[1,1,0]
	v_fmac_f32_e32 v75, v76, v86
	v_mul_f32_e32 v76, v106, v59
	v_mov_b32_e32 v113, v85
	v_fma_f32 v76, v77, v58, -v76
	v_mul_f32_e32 v77, v77, v59
	v_fmac_f32_e32 v77, v106, v58
	v_pk_add_f32 v[58:59], v[88:89], v[112:113] neg_lo:[0,1] neg_hi:[0,1]
	ds_read_b96 v[8:10], v74 offset:1920
	ds_read_b32 v11, v74 offset:2036
	ds_read_b64 v[62:63], v74 offset:2040
	v_sub_f32_e32 v75, v59, v75
	v_sub_f32_e32 v76, v58, v76
	v_mul_f32_e32 v58, v108, v61
	v_fma_f32 v79, v107, v60, -v58
	v_sub_f32_e32 v75, v75, v77
	v_mul_f32_e32 v77, v110, v99
	v_sub_f32_e32 v76, v76, v79
	v_fma_f32 v77, v109, v98, -v77
	v_sub_f32_e32 v90, v76, v77
	v_mov_b32_e32 v76, 0x5b4
	v_mul_f32_e32 v84, v107, v61
	ds_read2_b32 v[76:77], v76 offset1:1
	v_fmac_f32_e32 v84, v108, v60
	v_mul_f32_e32 v79, v109, v99
	v_sub_f32_e32 v75, v75, v84
	v_fmac_f32_e32 v79, v110, v98
	v_sub_f32_e32 v75, v75, v79
	v_mov_b32_e32 v79, 0x5bc
	v_mov_b32_e32 v86, 0x5c4
	v_mov_b32_e32 v88, 0x5cc
	ds_read2_b64 v[58:61], v64 offset0:1 offset1:2
	ds_read2_b32 v[84:85], v79 offset1:1
	ds_read2_b32 v[86:87], v86 offset1:1
	;; [unrolled: 1-line block ×3, first 2 shown]
	s_waitcnt lgkmcnt(4)
	v_mul_f32_e32 v79, v76, v101
	v_fma_f32 v79, v111, v100, -v79
	v_mul_f32_e32 v91, v111, v101
	v_fmac_f32_e32 v91, v76, v100
	v_sub_f32_e32 v76, v90, v79
	s_waitcnt lgkmcnt(2)
	v_mul_f32_e32 v79, v84, v69
	v_fma_f32 v79, v77, v68, -v79
	v_mul_f32_e32 v77, v77, v69
	v_sub_f32_e32 v75, v75, v91
	v_fmac_f32_e32 v77, v84, v68
	v_sub_f32_e32 v75, v75, v77
	s_waitcnt lgkmcnt(1)
	v_mul_f32_e32 v77, v86, v35
	v_sub_f32_e32 v76, v76, v79
	v_fma_f32 v77, v85, v34, -v77
	v_mul_f32_e32 v79, v85, v35
	v_fmac_f32_e32 v79, v86, v34
	v_sub_f32_e32 v76, v76, v77
	s_waitcnt lgkmcnt(0)
	v_mul_f32_e32 v77, v88, v53
	v_sub_f32_e32 v75, v75, v79
	v_fma_f32 v77, v87, v52, -v77
	v_mul_f32_e32 v79, v87, v53
	v_fmac_f32_e32 v79, v88, v52
	v_sub_f32_e32 v88, v76, v77
	v_mov_b32_e32 v76, 0x60c
	ds_read2_b32 v[76:77], v76 offset1:1
	v_sub_f32_e32 v75, v75, v79
	v_mov_b32_e32 v79, 0x5d4
	v_mov_b32_e32 v90, v95
	ds_read_b128 v[84:87], v64
	v_mov_b32_e32 v92, v80
	v_mov_b32_e32 v93, v82
	;; [unrolled: 1-line block ×3, first 2 shown]
	v_pk_mul_f32 v[98:99], v[94:95], v[80:81]
	v_mov_b32_e32 v80, 0x614
	v_mov_b32_e32 v81, 0x61c
	ds_read2_b32 v[100:101], v79 offset1:1
	ds_read2_b32 v[104:105], v80 offset1:1
	;; [unrolled: 1-line block ×3, first 2 shown]
	s_waitcnt lgkmcnt(4)
	v_mov_b32_e32 v95, v76
	v_mov_b32_e32 v91, v96
	v_pk_mul_f32 v[80:81], v[94:95], v[82:83]
	v_mov_b32_e32 v97, v60
	v_pk_fma_f32 v[94:95], v[90:91], v[92:93], v[80:81] neg_lo:[0,0,1] neg_hi:[0,0,1]
	v_pk_fma_f32 v[90:91], v[90:91], v[92:93], v[80:81]
	v_mov_b32_e32 v93, v96
	v_mov_b32_e32 v96, v58
	v_add_u32_e64 v108, s8, 0
	v_mov_b32_e32 v58, v61
	v_pk_mul_f32 v[60:61], v[76:77], v[96:97]
	ds_read2_b32 v[96:97], v108 offset0:119 offset1:153
	s_waitcnt lgkmcnt(2)
	v_mov_b32_e32 v92, v104
	v_pk_fma_f32 v[92:93], v[92:93], v[58:59], v[60:61] op_sel:[0,0,1] op_sel_hi:[1,1,0]
	v_pk_fma_f32 v[60:61], v[104:105], v[58:59], v[60:61] op_sel:[0,0,1] op_sel_hi:[1,1,0] neg_lo:[1,0,0] neg_hi:[1,0,0]
	v_mul_f32_e32 v58, v89, v67
	v_mul_f32_e32 v79, v100, v67
	v_fmac_f32_e32 v58, v100, v66
	v_fma_f32 v79, v89, v66, -v79
	v_sub_f32_e32 v59, v75, v58
	v_sub_f32_e32 v61, v88, v79
	s_waitcnt lgkmcnt(0)
	v_mul_f32_e32 v58, v96, v59
	v_mul_f32_e32 v59, v101, v59
	v_fma_f32 v58, v101, v61, -v58
	v_fmac_f32_e32 v59, v96, v61
	v_sub_f32_e32 v61, v98, v99
	v_pk_mov_b32 v[88:89], v[94:95], v[90:91] op_sel:[1,0]
	v_sub_f32_e32 v4, v4, v61
	v_pk_add_f32 v[4:5], v[4:5], v[88:89] neg_lo:[0,1] neg_hi:[0,1]
	v_mov_b32_e32 v61, v93
	v_mov_b32_e32 v92, v54
	;; [unrolled: 1-line block ×4, first 2 shown]
	v_pk_add_f32 v[4:5], v[4:5], v[60:61] neg_lo:[0,1] neg_hi:[0,1]
	v_pk_mul_f32 v[60:61], v[104:105], v[92:93]
	v_mov_b32_e32 v76, v106
	v_pk_fma_f32 v[92:93], v[76:77], v[54:55], v[60:61] op_sel:[0,0,1] op_sel_hi:[1,1,0] neg_lo:[1,0,0] neg_hi:[1,0,0]
	v_pk_fma_f32 v[54:55], v[76:77], v[54:55], v[60:61] op_sel:[0,0,1] op_sel_hi:[1,1,0]
	ds_write2_b64 v65, v[66:67], v[58:59] offset0:160 offset1:176
	v_mov_b32_e32 v93, v55
	v_mul_f32_e32 v54, v105, v57
	v_fmac_f32_e32 v54, v106, v56
	v_pk_add_f32 v[4:5], v[4:5], v[92:93] neg_lo:[0,1] neg_hi:[0,1]
	v_mov_b32_e32 v56, 0x62c
	v_sub_f32_e32 v5, v5, v54
	v_mov_b32_e32 v54, 0x624
	ds_read2_b32 v[54:55], v54 offset1:1
	v_mov_b32_e32 v60, 0x634
	ds_read2_b64 v[80:83], v64 offset0:1 offset1:2
	ds_read_b128 v[88:91], v64 offset:16
	v_mov_b32_e32 v75, 0x63c
	ds_read2_b32 v[56:57], v56 offset1:1
	ds_read2_b32 v[60:61], v60 offset1:1
	;; [unrolled: 1-line block ×3, first 2 shown]
	s_waitcnt lgkmcnt(5)
	v_mul_f32_e32 v75, v54, v49
	v_mul_f32_e32 v49, v107, v49
	v_fma_f32 v75, v107, v48, -v75
	v_fmac_f32_e32 v49, v54, v48
	s_waitcnt lgkmcnt(2)
	v_mul_f32_e32 v48, v56, v51
	v_sub_f32_e32 v4, v4, v75
	v_sub_f32_e32 v5, v5, v49
	v_fma_f32 v48, v55, v50, -v48
	v_mul_f32_e32 v49, v55, v51
	v_fmac_f32_e32 v49, v56, v50
	v_sub_f32_e32 v4, v4, v48
	s_waitcnt lgkmcnt(1)
	v_mul_f32_e32 v48, v60, v103
	v_sub_f32_e32 v5, v5, v49
	v_fma_f32 v48, v57, v102, -v48
	v_mul_f32_e32 v49, v57, v103
	v_fmac_f32_e32 v49, v60, v102
	v_sub_f32_e32 v4, v4, v48
	s_waitcnt lgkmcnt(0)
	v_mul_f32_e32 v48, v76, v69
	v_sub_f32_e32 v5, v5, v49
	v_fma_f32 v48, v61, v68, -v48
	v_mul_f32_e32 v49, v61, v69
	v_fmac_f32_e32 v49, v76, v68
	v_sub_f32_e32 v56, v4, v48
	v_mov_b32_e32 v4, 0x644
	v_sub_f32_e32 v57, v5, v49
	ds_read2_b32 v[4:5], v4 offset1:1
	v_mov_b32_e32 v48, 0x64c
	v_mov_b32_e32 v50, 0x654
	;; [unrolled: 1-line block ×3, first 2 shown]
	ds_read2_b32 v[48:49], v48 offset1:1
	ds_read2_b32 v[50:51], v50 offset1:1
	;; [unrolled: 1-line block ×3, first 2 shown]
	s_waitcnt lgkmcnt(3)
	v_mul_f32_e32 v60, v4, v35
	v_mul_f32_e32 v61, v77, v35
	v_fma_f32 v60, v77, v34, -v60
	v_fmac_f32_e32 v61, v4, v34
	v_sub_f32_e32 v4, v56, v60
	v_sub_f32_e32 v56, v57, v61
	s_waitcnt lgkmcnt(2)
	v_mul_f32_e32 v57, v48, v53
	v_fma_f32 v57, v5, v52, -v57
	v_mul_f32_e32 v5, v5, v53
	v_fmac_f32_e32 v5, v48, v52
	s_waitcnt lgkmcnt(1)
	v_mul_f32_e32 v48, v50, v67
	v_fma_f32 v48, v49, v66, -v48
	v_mul_f32_e32 v49, v49, v67
	v_sub_f32_e32 v5, v56, v5
	v_fmac_f32_e32 v49, v50, v66
	v_sub_f32_e32 v4, v4, v57
	v_sub_f32_e32 v5, v5, v49
	v_mul_f32_e32 v49, v51, v59
	v_sub_f32_e32 v4, v4, v48
	s_waitcnt lgkmcnt(0)
	v_mul_f32_e32 v48, v54, v59
	v_fmac_f32_e32 v49, v54, v58
	v_fma_f32 v48, v51, v58, -v48
	v_sub_f32_e32 v5, v5, v49
	v_sub_f32_e32 v51, v4, v48
	v_mul_f32_e32 v4, v97, v5
	ds_read_b96 v[48:50], v74 offset:1664
	v_mov_b32_e32 v57, 0x68c
	v_fma_f32 v4, v55, v51, -v4
	v_mul_f32_e32 v5, v55, v5
	ds_read_b96 v[54:56], v74 offset:1792
	ds_read2_b32 v[74:75], v57 offset1:1
	s_waitcnt lgkmcnt(2)
	v_mov_b32_e32 v60, v49
	v_mov_b32_e32 v76, v84
	;; [unrolled: 1-line block ×4, first 2 shown]
	v_pk_mul_f32 v[84:85], v[48:49], v[84:85]
	v_mov_b32_e32 v49, 0x694
	v_fmac_f32_e32 v5, v97, v51
	v_mov_b32_e32 v51, 0x6a4
	v_mov_b32_e32 v57, 0x69c
	ds_read2_b32 v[92:93], v49 offset1:1
	ds_read2_b32 v[94:95], v57 offset1:1
	;; [unrolled: 1-line block ×3, first 2 shown]
	s_waitcnt lgkmcnt(3)
	v_mov_b32_e32 v49, v74
	v_mov_b32_e32 v61, v50
	v_pk_mul_f32 v[48:49], v[48:49], v[86:87]
	v_sub_f32_e32 v51, v84, v85
	v_pk_fma_f32 v[86:87], v[60:61], v[76:77], v[48:49] neg_lo:[0,0,1] neg_hi:[0,0,1]
	v_pk_fma_f32 v[48:49], v[60:61], v[76:77], v[48:49]
	v_sub_f32_e32 v6, v6, v51
	v_pk_mov_b32 v[48:49], v[86:87], v[48:49] op_sel:[1,0]
	v_mov_b32_e32 v51, v50
	v_pk_add_f32 v[6:7], v[6:7], v[48:49] neg_lo:[0,1] neg_hi:[0,1]
	v_mov_b32_e32 v48, v80
	v_mov_b32_e32 v49, v82
	;; [unrolled: 1-line block ×3, first 2 shown]
	v_pk_mul_f32 v[48:49], v[74:75], v[48:49]
	s_waitcnt lgkmcnt(2)
	v_mov_b32_e32 v50, v92
	v_pk_fma_f32 v[50:51], v[50:51], v[80:81], v[48:49] op_sel:[0,0,1] op_sel_hi:[1,1,0]
	v_pk_fma_f32 v[48:49], v[92:93], v[80:81], v[48:49] op_sel:[0,0,1] op_sel_hi:[1,1,0] neg_lo:[1,0,0] neg_hi:[1,0,0]
	s_waitcnt lgkmcnt(1)
	v_mov_b32_e32 v74, v94
	v_mov_b32_e32 v49, v51
	v_pk_add_f32 v[6:7], v[6:7], v[48:49] neg_lo:[0,1] neg_hi:[0,1]
	v_mov_b32_e32 v48, v88
	v_mov_b32_e32 v49, v90
	;; [unrolled: 1-line block ×3, first 2 shown]
	v_pk_mul_f32 v[48:49], v[92:93], v[48:49]
	v_mov_b32_e32 v60, v26
	v_pk_fma_f32 v[50:51], v[74:75], v[88:89], v[48:49] op_sel:[0,0,1] op_sel_hi:[1,1,0]
	v_pk_fma_f32 v[48:49], v[94:95], v[88:89], v[48:49] op_sel:[0,0,1] op_sel_hi:[1,1,0] neg_lo:[1,0,0] neg_hi:[1,0,0]
	v_mov_b32_e32 v61, v28
	v_mov_b32_e32 v49, v51
	;; [unrolled: 1-line block ×3, first 2 shown]
	v_pk_add_f32 v[6:7], v[6:7], v[48:49] neg_lo:[0,1] neg_hi:[0,1]
	v_pk_mul_f32 v[48:49], v[94:95], v[60:61]
	s_waitcnt lgkmcnt(0)
	v_mov_b32_e32 v92, v96
	v_pk_fma_f32 v[50:51], v[92:93], v[26:27], v[48:49] op_sel:[0,0,1] op_sel_hi:[1,1,0] neg_lo:[1,0,0] neg_hi:[1,0,0]
	v_pk_fma_f32 v[26:27], v[92:93], v[26:27], v[48:49] op_sel:[0,0,1] op_sel_hi:[1,1,0]
	v_mov_b32_e32 v48, 0x6bc
	v_mov_b32_e32 v51, v27
	v_mul_f32_e32 v26, v95, v29
	v_fmac_f32_e32 v26, v96, v28
	v_pk_add_f32 v[6:7], v[6:7], v[50:51] neg_lo:[0,1] neg_hi:[0,1]
	v_mov_b32_e32 v28, 0x6b4
	v_sub_f32_e32 v7, v7, v26
	v_mov_b32_e32 v26, 0x6ac
	ds_read2_b32 v[26:27], v26 offset1:1
	v_mov_b32_e32 v50, 0x6c4
	ds_read2_b32 v[28:29], v28 offset1:1
	ds_read2_b32 v[48:49], v48 offset1:1
	;; [unrolled: 1-line block ×3, first 2 shown]
	v_mov_b32_e32 v60, v55
	v_mov_b32_e32 v61, v56
	s_waitcnt lgkmcnt(3)
	v_mul_f32_e32 v57, v26, v13
	v_mul_f32_e32 v13, v97, v13
	v_fma_f32 v57, v97, v12, -v57
	v_fmac_f32_e32 v13, v26, v12
	s_waitcnt lgkmcnt(2)
	v_mul_f32_e32 v12, v28, v73
	v_sub_f32_e32 v6, v6, v57
	v_sub_f32_e32 v7, v7, v13
	v_fma_f32 v12, v27, v72, -v12
	v_mul_f32_e32 v13, v27, v73
	v_fmac_f32_e32 v13, v28, v72
	v_sub_f32_e32 v6, v6, v12
	s_waitcnt lgkmcnt(1)
	v_mul_f32_e32 v12, v48, v69
	v_sub_f32_e32 v7, v7, v13
	v_fma_f32 v12, v29, v68, -v12
	v_mul_f32_e32 v13, v29, v69
	v_fmac_f32_e32 v13, v48, v68
	v_sub_f32_e32 v6, v6, v12
	s_waitcnt lgkmcnt(0)
	v_mul_f32_e32 v12, v50, v35
	v_sub_f32_e32 v7, v7, v13
	v_fma_f32 v12, v49, v34, -v12
	v_mul_f32_e32 v13, v49, v35
	v_fmac_f32_e32 v13, v50, v34
	v_sub_f32_e32 v48, v6, v12
	v_mov_b32_e32 v6, 0x6cc
	v_sub_f32_e32 v49, v7, v13
	ds_read2_b32 v[6:7], v6 offset1:1
	v_mov_b32_e32 v12, 0x6d4
	v_mov_b32_e32 v26, 0x6dc
	;; [unrolled: 1-line block ×3, first 2 shown]
	ds_read2_b32 v[12:13], v12 offset1:1
	ds_read2_b32 v[26:27], v26 offset1:1
	;; [unrolled: 1-line block ×3, first 2 shown]
	s_waitcnt lgkmcnt(3)
	v_mul_f32_e32 v50, v6, v53
	v_fma_f32 v50, v51, v52, -v50
	v_mul_f32_e32 v51, v51, v53
	v_fmac_f32_e32 v51, v6, v52
	v_sub_f32_e32 v6, v48, v50
	v_sub_f32_e32 v48, v49, v51
	s_waitcnt lgkmcnt(2)
	v_mul_f32_e32 v49, v12, v67
	v_fma_f32 v49, v7, v66, -v49
	v_mul_f32_e32 v7, v7, v67
	v_fmac_f32_e32 v7, v12, v66
	s_waitcnt lgkmcnt(1)
	v_mul_f32_e32 v12, v26, v59
	v_sub_f32_e32 v6, v6, v49
	v_fma_f32 v12, v13, v58, -v12
	v_mul_f32_e32 v13, v13, v59
	v_sub_f32_e32 v7, v48, v7
	v_fmac_f32_e32 v13, v26, v58
	v_sub_f32_e32 v6, v6, v12
	s_waitcnt lgkmcnt(0)
	v_mul_f32_e32 v12, v28, v5
	v_mov_b32_e32 v72, v44
	v_mov_b32_e32 v73, v46
	;; [unrolled: 1-line block ×3, first 2 shown]
	v_pk_mul_f32 v[44:45], v[54:55], v[44:45]
	v_sub_f32_e32 v7, v7, v13
	v_fma_f32 v26, v27, v4, -v12
	ds_read2_b32 v[12:13], v108 offset0:187 offset1:221
	v_sub_f32_e32 v44, v44, v45
	v_sub_f32_e32 v0, v0, v44
	v_mov_b32_e32 v44, v40
	v_mov_b32_e32 v40, 0x70c
	v_mul_f32_e32 v27, v27, v5
	ds_read2_b32 v[74:75], v40 offset1:1
	v_fmac_f32_e32 v27, v28, v4
	v_sub_f32_e32 v7, v7, v27
	v_sub_f32_e32 v26, v6, v26
	s_waitcnt lgkmcnt(1)
	v_mul_f32_e32 v6, v12, v7
	v_mul_f32_e32 v7, v29, v7
	v_fma_f32 v6, v29, v26, -v6
	v_fmac_f32_e32 v7, v12, v26
	ds_write2_b64 v65, v[4:5], v[6:7] offset0:192 offset1:208
	v_mov_b32_e32 v45, v42
	v_mov_b32_e32 v40, v43
	;; [unrolled: 1-line block ×4, first 2 shown]
	s_waitcnt lgkmcnt(1)
	v_mov_b32_e32 v55, v74
	v_mov_b32_e32 v12, 0x72c
	ds_read_b128 v[26:29], v64 offset:32
	ds_read2_b64 v[48:51], v64 offset0:3 offset1:4
	ds_read2_b32 v[76:77], v42 offset1:1
	ds_read2_b32 v[80:81], v43 offset1:1
	;; [unrolled: 1-line block ×3, first 2 shown]
	v_pk_mul_f32 v[42:43], v[54:55], v[46:47]
	v_pk_mul_f32 v[44:45], v[74:75], v[44:45]
	v_pk_fma_f32 v[46:47], v[60:61], v[72:73], v[42:43] neg_lo:[0,0,1] neg_hi:[0,0,1]
	v_pk_fma_f32 v[42:43], v[60:61], v[72:73], v[42:43]
	v_mov_b32_e32 v12, 0x724
	v_pk_mov_b32 v[42:43], v[46:47], v[42:43] op_sel:[1,0]
	s_waitcnt lgkmcnt(2)
	v_pk_fma_f32 v[46:47], v[76:77], v[40:41], v[44:45] op_sel:[0,0,1] op_sel_hi:[1,1,0] neg_lo:[1,0,0] neg_hi:[1,0,0]
	v_pk_add_f32 v[0:1], v[0:1], v[42:43] neg_lo:[0,1] neg_hi:[0,1]
	v_mov_b32_e32 v42, v36
	v_mov_b32_e32 v43, v38
	;; [unrolled: 1-line block ×5, first 2 shown]
	v_pk_fma_f32 v[38:39], v[38:39], v[40:41], v[44:45] op_sel:[0,0,1] op_sel_hi:[1,1,0]
	v_pk_mul_f32 v[42:43], v[76:77], v[42:43]
	v_mov_b32_e32 v47, v39
	v_pk_add_f32 v[0:1], v[0:1], v[46:47] neg_lo:[0,1] neg_hi:[0,1]
	v_mov_b32_e32 v46, v48
	v_mov_b32_e32 v47, v50
	;; [unrolled: 1-line block ×3, first 2 shown]
	ds_read2_b32 v[50:51], v12 offset1:1
	s_waitcnt lgkmcnt(2)
	v_mov_b32_e32 v74, v80
	v_pk_fma_f32 v[44:45], v[80:81], v[36:37], v[42:43] op_sel:[0,0,1] op_sel_hi:[1,1,0] neg_lo:[1,0,0] neg_hi:[1,0,0]
	v_pk_fma_f32 v[36:37], v[74:75], v[36:37], v[42:43] op_sel:[0,0,1] op_sel_hi:[1,1,0]
	v_pk_mul_f32 v[46:47], v[80:81], v[46:47]
	v_mov_b32_e32 v45, v37
	v_mov_b32_e32 v36, v26
	;; [unrolled: 1-line block ×3, first 2 shown]
	s_waitcnt lgkmcnt(0)
	v_mov_b32_e32 v76, v50
	v_mov_b32_e32 v26, v29
	v_mov_b32_e32 v12, 0x734
	v_mov_b32_e32 v56, 0x73c
	v_mov_b32_e32 v60, 0x744
	v_pk_fma_f32 v[72:73], v[50:51], v[48:49], v[46:47] op_sel:[0,0,1] op_sel_hi:[1,1,0] neg_lo:[1,0,0] neg_hi:[1,0,0]
	v_pk_fma_f32 v[46:47], v[76:77], v[48:49], v[46:47] op_sel:[0,0,1] op_sel_hi:[1,1,0]
	v_pk_mul_f32 v[36:37], v[50:51], v[36:37]
	v_mov_b32_e32 v80, v82
	ds_read2_b64 v[38:41], v64 offset0:3 offset1:4
	v_pk_add_f32 v[0:1], v[0:1], v[44:45] neg_lo:[0,1] neg_hi:[0,1]
	ds_read_b128 v[42:45], v64 offset:32
	ds_read2_b32 v[54:55], v12 offset1:1
	ds_read2_b32 v[56:57], v56 offset1:1
	ds_read2_b32 v[60:61], v60 offset1:1
	v_mov_b32_e32 v73, v47
	v_pk_fma_f32 v[46:47], v[80:81], v[26:27], v[36:37] op_sel:[0,0,1] op_sel_hi:[1,1,0] neg_lo:[1,0,0] neg_hi:[1,0,0]
	v_pk_fma_f32 v[26:27], v[80:81], v[26:27], v[36:37] op_sel:[0,0,1] op_sel_hi:[1,1,0]
	v_pk_add_f32 v[0:1], v[0:1], v[72:73] neg_lo:[0,1] neg_hi:[0,1]
	v_mov_b32_e32 v47, v27
	v_mul_f32_e32 v12, v51, v29
	v_fmac_f32_e32 v12, v82, v28
	v_pk_add_f32 v[0:1], v[0:1], v[46:47] neg_lo:[0,1] neg_hi:[0,1]
	v_mul_f32_e32 v26, v83, v71
	v_sub_f32_e32 v1, v1, v12
	s_waitcnt lgkmcnt(2)
	v_mul_f32_e32 v12, v54, v71
	v_fma_f32 v12, v83, v70, -v12
	v_fmac_f32_e32 v26, v54, v70
	v_sub_f32_e32 v0, v0, v12
	s_waitcnt lgkmcnt(1)
	v_mul_f32_e32 v12, v56, v69
	v_sub_f32_e32 v1, v1, v26
	v_fma_f32 v12, v55, v68, -v12
	v_mul_f32_e32 v26, v55, v69
	v_fmac_f32_e32 v26, v56, v68
	v_sub_f32_e32 v0, v0, v12
	s_waitcnt lgkmcnt(0)
	v_mul_f32_e32 v12, v60, v35
	v_sub_f32_e32 v1, v1, v26
	v_fma_f32 v12, v57, v34, -v12
	v_mul_f32_e32 v26, v57, v35
	v_fmac_f32_e32 v26, v60, v34
	v_sub_f32_e32 v12, v0, v12
	v_mov_b32_e32 v0, 0x74c
	v_sub_f32_e32 v46, v1, v26
	ds_read2_b32 v[0:1], v0 offset1:1
	v_mov_b32_e32 v26, 0x754
	v_mov_b32_e32 v28, 0x75c
	;; [unrolled: 1-line block ×3, first 2 shown]
	ds_read2_b32 v[26:27], v26 offset1:1
	ds_read2_b32 v[28:29], v28 offset1:1
	;; [unrolled: 1-line block ×3, first 2 shown]
	s_waitcnt lgkmcnt(3)
	v_mul_f32_e32 v47, v0, v53
	v_mul_f32_e32 v48, v61, v53
	v_fma_f32 v47, v61, v52, -v47
	v_fmac_f32_e32 v48, v0, v52
	v_sub_f32_e32 v0, v12, v47
	v_sub_f32_e32 v12, v46, v48
	s_waitcnt lgkmcnt(2)
	v_mul_f32_e32 v46, v26, v67
	v_fma_f32 v46, v1, v66, -v46
	v_mul_f32_e32 v1, v1, v67
	v_fmac_f32_e32 v1, v26, v66
	v_sub_f32_e32 v1, v12, v1
	s_waitcnt lgkmcnt(1)
	v_mul_f32_e32 v12, v28, v59
	v_sub_f32_e32 v0, v0, v46
	v_fma_f32 v12, v27, v58, -v12
	v_mul_f32_e32 v26, v27, v59
	v_fmac_f32_e32 v26, v28, v58
	v_sub_f32_e32 v0, v0, v12
	s_waitcnt lgkmcnt(0)
	v_mul_f32_e32 v12, v36, v5
	v_sub_f32_e32 v1, v1, v26
	v_fma_f32 v12, v29, v4, -v12
	v_mul_f32_e32 v26, v29, v5
	v_fmac_f32_e32 v26, v36, v4
	v_sub_f32_e32 v12, v0, v12
	v_mov_b32_e32 v0, 0x76c
	v_sub_f32_e32 v36, v1, v26
	ds_read2_b32 v[0:1], v0 offset1:1
	v_mov_b32_e32 v26, 0x78c
	v_mov_b32_e32 v28, 0x794
	v_mov_b32_e32 v46, 0x79c
	ds_read2_b32 v[26:27], v26 offset1:1
	ds_read2_b32 v[28:29], v28 offset1:1
	;; [unrolled: 1-line block ×3, first 2 shown]
	s_waitcnt lgkmcnt(3)
	v_mul_f32_e32 v48, v0, v7
	v_fma_f32 v48, v37, v6, -v48
	v_mul_f32_e32 v37, v37, v7
	v_fmac_f32_e32 v37, v0, v6
	v_sub_f32_e32 v36, v36, v37
	v_sub_f32_e32 v12, v12, v48
	v_mul_f32_e32 v0, v13, v36
	v_fma_f32 v0, v1, v12, -v0
	v_mul_f32_e32 v1, v1, v36
	v_mov_b32_e32 v36, v22
	v_mov_b32_e32 v37, v24
	;; [unrolled: 1-line block ×3, first 2 shown]
	v_pk_mul_f32 v[22:23], v[8:9], v[22:23]
	v_fmac_f32_e32 v1, v13, v12
	v_mov_b32_e32 v12, v9
	v_sub_f32_e32 v9, v22, v23
	v_sub_f32_e32 v2, v2, v9
	s_waitcnt lgkmcnt(2)
	v_mov_b32_e32 v9, v26
	v_mov_b32_e32 v13, v10
	v_pk_mul_f32 v[8:9], v[8:9], v[24:25]
	v_mov_b32_e32 v22, v18
	v_mov_b32_e32 v23, v20
	;; [unrolled: 1-line block ×3, first 2 shown]
	v_pk_fma_f32 v[20:21], v[12:13], v[36:37], v[8:9] neg_lo:[0,0,1] neg_hi:[0,0,1]
	v_pk_fma_f32 v[8:9], v[12:13], v[36:37], v[8:9]
	v_pk_mul_f32 v[12:13], v[26:27], v[22:23]
	v_pk_mov_b32 v[8:9], v[20:21], v[8:9] op_sel:[1,0]
	s_waitcnt lgkmcnt(1)
	v_mov_b32_e32 v20, v28
	v_pk_add_f32 v[2:3], v[2:3], v[8:9] neg_lo:[0,1] neg_hi:[0,1]
	v_mov_b32_e32 v8, v30
	v_mov_b32_e32 v9, v32
	;; [unrolled: 1-line block ×4, first 2 shown]
	v_pk_fma_f32 v[22:23], v[28:29], v[18:19], v[12:13] op_sel:[0,0,1] op_sel_hi:[1,1,0] neg_lo:[1,0,0] neg_hi:[1,0,0]
	v_pk_fma_f32 v[12:13], v[20:21], v[18:19], v[12:13] op_sel:[0,0,1] op_sel_hi:[1,1,0]
	v_pk_mul_f32 v[8:9], v[28:29], v[8:9]
	s_waitcnt lgkmcnt(0)
	v_mov_b32_e32 v26, v46
	v_mov_b32_e32 v23, v13
	v_pk_fma_f32 v[18:19], v[46:47], v[30:31], v[8:9] op_sel:[0,0,1] op_sel_hi:[1,1,0] neg_lo:[1,0,0] neg_hi:[1,0,0]
	v_pk_fma_f32 v[8:9], v[26:27], v[30:31], v[8:9] op_sel:[0,0,1] op_sel_hi:[1,1,0]
	v_pk_add_f32 v[2:3], v[2:3], v[22:23] neg_lo:[0,1] neg_hi:[0,1]
	v_mov_b32_e32 v19, v9
	v_mov_b32_e32 v10, 0x7a4
	v_pk_add_f32 v[2:3], v[2:3], v[18:19] neg_lo:[0,1] neg_hi:[0,1]
	ds_read2_b32 v[18:19], v10 offset1:1
	v_mov_b32_e32 v10, 0x7ac
	v_mov_b32_e32 v22, 0x7bc
	;; [unrolled: 1-line block ×5, first 2 shown]
	ds_read2_b32 v[20:21], v10 offset1:1
	ds_read2_b32 v[22:23], v22 offset1:1
	;; [unrolled: 1-line block ×3, first 2 shown]
	v_mov_b32_e32 v38, v41
	v_pk_mul_f32 v[12:13], v[46:47], v[12:13]
	s_waitcnt lgkmcnt(3)
	v_mov_b32_e32 v28, v18
	v_mov_b32_e32 v8, v42
	;; [unrolled: 1-line block ×3, first 2 shown]
	v_pk_fma_f32 v[26:27], v[18:19], v[38:39], v[12:13] op_sel:[0,0,1] op_sel_hi:[1,1,0] neg_lo:[1,0,0] neg_hi:[1,0,0]
	v_pk_fma_f32 v[12:13], v[28:29], v[38:39], v[12:13] op_sel:[0,0,1] op_sel_hi:[1,1,0]
	v_mov_b32_e32 v42, v45
	v_mov_b32_e32 v27, v13
	v_pk_mul_f32 v[8:9], v[18:19], v[8:9]
	s_waitcnt lgkmcnt(2)
	v_mov_b32_e32 v46, v20
	v_pk_add_f32 v[2:3], v[2:3], v[26:27] neg_lo:[0,1] neg_hi:[0,1]
	v_mov_b32_e32 v12, v14
	v_mov_b32_e32 v13, v16
	v_pk_fma_f32 v[26:27], v[20:21], v[42:43], v[8:9] op_sel:[0,0,1] op_sel_hi:[1,1,0] neg_lo:[1,0,0] neg_hi:[1,0,0]
	v_pk_fma_f32 v[8:9], v[46:47], v[42:43], v[8:9] op_sel:[0,0,1] op_sel_hi:[1,1,0]
	v_mov_b32_e32 v14, v17
	v_mov_b32_e32 v27, v9
	v_pk_mul_f32 v[8:9], v[20:21], v[12:13]
	s_waitcnt lgkmcnt(0)
	v_mov_b32_e32 v18, v24
	v_pk_fma_f32 v[12:13], v[24:25], v[14:15], v[8:9] op_sel:[0,0,1] op_sel_hi:[1,1,0] neg_lo:[1,0,0] neg_hi:[1,0,0]
	v_pk_fma_f32 v[8:9], v[18:19], v[14:15], v[8:9] op_sel:[0,0,1] op_sel_hi:[1,1,0]
	v_pk_add_f32 v[2:3], v[2:3], v[26:27] neg_lo:[0,1] neg_hi:[0,1]
	v_mov_b32_e32 v13, v9
	v_pk_add_f32 v[2:3], v[2:3], v[12:13] neg_lo:[0,1] neg_hi:[0,1]
	v_mov_b32_e32 v8, v21
	v_mov_b32_e32 v9, v25
	;; [unrolled: 1-line block ×4, first 2 shown]
	v_mul_f32_e32 v10, v22, v69
	v_pk_mul_f32 v[8:9], v[8:9], v[12:13]
	v_mov_b32_e32 v12, v24
	v_mov_b32_e32 v13, v22
	;; [unrolled: 1-line block ×3, first 2 shown]
	v_pk_fma_f32 v[8:9], v[12:13], v[16:17], v[8:9]
	v_fma_f32 v10, v25, v68, -v10
	v_sub_f32_e32 v10, v2, v10
	v_sub_f32_e32 v2, v3, v8
	;; [unrolled: 1-line block ×3, first 2 shown]
	v_mov_b32_e32 v2, 0x7c4
	ds_read2_b32 v[2:3], v2 offset1:1
	v_mov_b32_e32 v8, 0x7cc
	v_mov_b32_e32 v12, 0x7d4
	;; [unrolled: 1-line block ×3, first 2 shown]
	ds_read2_b32 v[8:9], v8 offset1:1
	ds_read2_b32 v[12:13], v12 offset1:1
	;; [unrolled: 1-line block ×3, first 2 shown]
	s_waitcnt lgkmcnt(3)
	v_mul_f32_e32 v17, v2, v35
	v_mul_f32_e32 v18, v23, v35
	v_fma_f32 v17, v23, v34, -v17
	v_fmac_f32_e32 v18, v2, v34
	v_sub_f32_e32 v2, v10, v17
	v_sub_f32_e32 v10, v16, v18
	s_waitcnt lgkmcnt(2)
	v_mul_f32_e32 v16, v8, v53
	v_fma_f32 v16, v3, v52, -v16
	v_mul_f32_e32 v3, v3, v53
	v_fmac_f32_e32 v3, v8, v52
	s_waitcnt lgkmcnt(1)
	v_mul_f32_e32 v8, v12, v67
	v_sub_f32_e32 v2, v2, v16
	v_fma_f32 v8, v9, v66, -v8
	v_mul_f32_e32 v9, v9, v67
	v_sub_f32_e32 v8, v2, v8
	s_waitcnt lgkmcnt(0)
	v_mul_f32_e32 v2, v14, v59
	v_sub_f32_e32 v3, v10, v3
	v_fmac_f32_e32 v9, v12, v66
	v_fma_f32 v10, v13, v58, -v2
	v_mov_b32_e32 v2, 0x7e4
	v_sub_f32_e32 v9, v3, v9
	v_mul_f32_e32 v12, v13, v59
	ds_read2_b32 v[2:3], v2 offset1:1
	v_fmac_f32_e32 v12, v14, v58
	v_sub_f32_e32 v10, v8, v10
	v_mov_b32_e32 v8, 0x7ec
	v_sub_f32_e32 v12, v9, v12
	ds_read2_b32 v[8:9], v8 offset1:1
	s_waitcnt lgkmcnt(1)
	v_mul_f32_e32 v13, v2, v5
	v_mul_f32_e32 v5, v15, v5
	v_fmac_f32_e32 v5, v2, v4
	v_fma_f32 v13, v15, v4, -v13
	v_sub_f32_e32 v4, v12, v5
	s_waitcnt lgkmcnt(0)
	v_mul_f32_e32 v5, v8, v7
	v_fma_f32 v5, v3, v6, -v5
	v_mul_f32_e32 v3, v3, v7
	v_sub_f32_e32 v2, v10, v13
	v_fmac_f32_e32 v3, v8, v6
	v_sub_f32_e32 v2, v2, v5
	v_sub_f32_e32 v3, v4, v3
	v_mul_f32_e32 v4, v11, v1
	v_mul_f32_e32 v5, v9, v1
	v_fma_f32 v4, v9, v0, -v4
	v_fmac_f32_e32 v5, v11, v0
	v_sub_f32_e32 v2, v2, v4
	v_sub_f32_e32 v4, v3, v5
	v_pk_mul_f32 v[4:5], v[62:63], v[4:5] op_sel:[1,0] op_sel_hi:[0,0]
	v_pk_fma_f32 v[6:7], v[62:63], v[2:3], v[4:5] neg_lo:[0,0,1] neg_hi:[0,0,1]
	v_pk_fma_f32 v[2:3], v[62:63], v[2:3], v[4:5] op_sel_hi:[1,0,1]
	s_nop 0
	v_mov_b32_e32 v7, v3
	ds_write2_b64 v65, v[0:1], v[6:7] offset0:224 offset1:240
.LBB148_26:
	s_cmp_lt_i32 s12, s30
	s_cbranch_scc0 .LBB148_40
; %bb.27:
	s_or_b32 s8, s12, 11
	s_cmp_ge_u32 s8, s30
	s_cbranch_scc1 .LBB148_33
; %bb.28:
	s_lshl_b32 s11, s12, 7
	v_add_u32_e32 v20, s11, v65
	ds_read2_b64 v[12:15], v20 offset1:16
	ds_read2_b64 v[8:11], v20 offset0:32 offset1:48
	ds_read2_b64 v[16:19], v20 offset0:64 offset1:80
	s_lshl_b32 s8, s8, 7
	v_add_u32_e32 v36, s8, v65
	s_andn2_b64 vcc, exec, s[0:1]
	s_waitcnt lgkmcnt(2)
	ds_write_b128 v64, v[12:15]
	s_waitcnt lgkmcnt(2)
	ds_write_b128 v64, v[8:11] offset:16
	s_waitcnt lgkmcnt(2)
	ds_write_b128 v64, v[16:19] offset:32
	ds_read2_b64 v[4:7], v20 offset0:96 offset1:112
	ds_read2_b64 v[0:3], v20 offset0:128 offset1:144
	ds_read_b64 v[34:35], v20 offset:1280
	ds_read_b64 v[32:33], v36
	s_waitcnt lgkmcnt(3)
	ds_write_b64 v64, v[4:5] offset:48
	s_cbranch_vccnz .LBB148_32
; %bb.29:
	v_mov_b32_e32 v21, 0x800
	v_lshl_add_u32 v21, v78, 3, v21
	s_mov_b32 s0, s11
	s_mov_b32 s1, s12
.LBB148_30:                             ; =>This Inner Loop Header: Depth=1
	v_mov_b32_e32 v37, s0
	ds_read_b64 v[30:31], v21
	ds_read2_b64 v[22:25], v37 offset1:16
	ds_read2_b64 v[26:29], v37 offset0:32 offset1:48
	ds_read2_b64 v[38:41], v37 offset0:64 offset1:80
	ds_read2_b64 v[42:45], v37 offset0:96 offset1:112
	ds_read2_b64 v[46:49], v37 offset0:128 offset1:144
	ds_read2_b64 v[50:53], v37 offset0:160 offset1:176
	s_add_i32 s1, s1, -1
	s_add_i32 s0, s0, 8
	v_add_u32_e32 v21, 0x80, v21
	s_waitcnt lgkmcnt(5)
	v_pk_mul_f32 v[54:55], v[22:23], v[30:31] op_sel:[0,1]
	v_pk_mul_f32 v[56:57], v[24:25], v[30:31] op_sel:[0,1]
	s_waitcnt lgkmcnt(4)
	v_pk_mul_f32 v[58:59], v[26:27], v[30:31] op_sel:[0,1]
	v_pk_mul_f32 v[60:61], v[28:29], v[30:31] op_sel:[0,1]
	;; [unrolled: 3-line block ×6, first 2 shown]
	v_pk_fma_f32 v[82:83], v[22:23], v[30:31], v[54:55] op_sel:[0,0,1] op_sel_hi:[1,1,0] neg_lo:[0,0,1] neg_hi:[0,0,1]
	v_pk_fma_f32 v[22:23], v[22:23], v[30:31], v[54:55] op_sel:[0,0,1] op_sel_hi:[1,0,0]
	v_pk_fma_f32 v[54:55], v[24:25], v[30:31], v[56:57] op_sel:[0,0,1] op_sel_hi:[1,1,0] neg_lo:[0,0,1] neg_hi:[0,0,1]
	v_pk_fma_f32 v[24:25], v[24:25], v[30:31], v[56:57] op_sel:[0,0,1] op_sel_hi:[1,0,0]
	v_pk_fma_f32 v[56:57], v[26:27], v[30:31], v[58:59] op_sel:[0,0,1] op_sel_hi:[1,1,0] neg_lo:[0,0,1] neg_hi:[0,0,1]
	v_pk_fma_f32 v[26:27], v[26:27], v[30:31], v[58:59] op_sel:[0,0,1] op_sel_hi:[1,0,0]
	v_pk_fma_f32 v[58:59], v[28:29], v[30:31], v[60:61] op_sel:[0,0,1] op_sel_hi:[1,1,0] neg_lo:[0,0,1] neg_hi:[0,0,1]
	v_pk_fma_f32 v[28:29], v[28:29], v[30:31], v[60:61] op_sel:[0,0,1] op_sel_hi:[1,0,0]
	v_pk_fma_f32 v[60:61], v[38:39], v[30:31], v[62:63] op_sel:[0,0,1] op_sel_hi:[1,1,0] neg_lo:[0,0,1] neg_hi:[0,0,1]
	v_pk_fma_f32 v[38:39], v[38:39], v[30:31], v[62:63] op_sel:[0,0,1] op_sel_hi:[1,0,0]
	v_pk_fma_f32 v[62:63], v[40:41], v[30:31], v[66:67] op_sel:[0,0,1] op_sel_hi:[1,1,0] neg_lo:[0,0,1] neg_hi:[0,0,1]
	v_pk_fma_f32 v[40:41], v[40:41], v[30:31], v[66:67] op_sel:[0,0,1] op_sel_hi:[1,0,0]
	v_pk_fma_f32 v[66:67], v[42:43], v[30:31], v[68:69] op_sel:[0,0,1] op_sel_hi:[1,1,0] neg_lo:[0,0,1] neg_hi:[0,0,1]
	v_pk_fma_f32 v[42:43], v[42:43], v[30:31], v[68:69] op_sel:[0,0,1] op_sel_hi:[1,0,0]
	v_pk_fma_f32 v[68:69], v[44:45], v[30:31], v[70:71] op_sel:[0,0,1] op_sel_hi:[1,1,0] neg_lo:[0,0,1] neg_hi:[0,0,1]
	v_pk_fma_f32 v[44:45], v[44:45], v[30:31], v[70:71] op_sel:[0,0,1] op_sel_hi:[1,0,0]
	v_pk_fma_f32 v[70:71], v[46:47], v[30:31], v[72:73] op_sel:[0,0,1] op_sel_hi:[1,1,0] neg_lo:[0,0,1] neg_hi:[0,0,1]
	v_pk_fma_f32 v[46:47], v[46:47], v[30:31], v[72:73] op_sel:[0,0,1] op_sel_hi:[1,0,0]
	v_pk_fma_f32 v[72:73], v[48:49], v[30:31], v[74:75] op_sel:[0,0,1] op_sel_hi:[1,1,0] neg_lo:[0,0,1] neg_hi:[0,0,1]
	v_pk_fma_f32 v[48:49], v[48:49], v[30:31], v[74:75] op_sel:[0,0,1] op_sel_hi:[1,0,0]
	v_pk_fma_f32 v[74:75], v[50:51], v[30:31], v[76:77] op_sel:[0,0,1] op_sel_hi:[1,1,0] neg_lo:[0,0,1] neg_hi:[0,0,1]
	v_pk_fma_f32 v[50:51], v[50:51], v[30:31], v[76:77] op_sel:[0,0,1] op_sel_hi:[1,0,0]
	v_pk_fma_f32 v[76:77], v[52:53], v[30:31], v[80:81] op_sel:[0,0,1] op_sel_hi:[1,1,0] neg_lo:[0,0,1] neg_hi:[0,0,1]
	v_pk_fma_f32 v[30:31], v[52:53], v[30:31], v[80:81] op_sel:[0,0,1] op_sel_hi:[1,0,0]
	v_mov_b32_e32 v83, v23
	v_mov_b32_e32 v55, v25
	;; [unrolled: 1-line block ×12, first 2 shown]
	s_cmp_lg_u32 s1, 0
	v_pk_add_f32 v[12:13], v[12:13], v[82:83] neg_lo:[0,1] neg_hi:[0,1]
	v_pk_add_f32 v[14:15], v[14:15], v[54:55] neg_lo:[0,1] neg_hi:[0,1]
	v_pk_add_f32 v[8:9], v[8:9], v[56:57] neg_lo:[0,1] neg_hi:[0,1]
	v_pk_add_f32 v[10:11], v[10:11], v[58:59] neg_lo:[0,1] neg_hi:[0,1]
	v_pk_add_f32 v[16:17], v[16:17], v[60:61] neg_lo:[0,1] neg_hi:[0,1]
	v_pk_add_f32 v[18:19], v[18:19], v[62:63] neg_lo:[0,1] neg_hi:[0,1]
	v_pk_add_f32 v[4:5], v[4:5], v[66:67] neg_lo:[0,1] neg_hi:[0,1]
	v_pk_add_f32 v[6:7], v[6:7], v[68:69] neg_lo:[0,1] neg_hi:[0,1]
	v_pk_add_f32 v[0:1], v[0:1], v[70:71] neg_lo:[0,1] neg_hi:[0,1]
	v_pk_add_f32 v[2:3], v[2:3], v[72:73] neg_lo:[0,1] neg_hi:[0,1]
	v_pk_add_f32 v[34:35], v[34:35], v[74:75] neg_lo:[0,1] neg_hi:[0,1]
	v_pk_add_f32 v[32:33], v[32:33], v[76:77] neg_lo:[0,1] neg_hi:[0,1]
	s_cbranch_scc1 .LBB148_30
; %bb.31:
	ds_write_b128 v64, v[12:15]
	ds_write_b128 v64, v[8:11] offset:16
	ds_write_b128 v64, v[16:19] offset:32
	ds_write_b64 v64, v[4:5] offset:48
.LBB148_32:
	s_lshl_b32 s1, s12, 3
	s_add_i32 s0, s1, s11
	v_mov_b32_e32 v37, s0
	ds_read2_b64 v[16:19], v37 offset1:34
	s_or_b32 s0, s12, 12
	s_or_b32 s12, s11, 0x80
	s_add_i32 s13, s1, s12
	s_waitcnt lgkmcnt(0)
	v_mul_f32_e32 v4, v17, v13
	v_mul_f32_e32 v29, v16, v13
	v_fma_f32 v28, v16, v12, -v4
	v_mov_b32_e32 v4, s13
	v_fmac_f32_e32 v29, v17, v12
	ds_read_b128 v[10:13], v4
	s_or_b32 s13, s11, 0x100
	s_add_i32 s14, s1, s13
	v_mov_b32_e32 v4, s14
	ds_write_b64 v20, v[28:29]
	ds_read_b128 v[20:23], v4
	s_waitcnt lgkmcnt(2)
	v_mul_f32_e32 v5, v10, v29
	v_mul_f32_e32 v4, v11, v29
	v_fmac_f32_e32 v5, v11, v28
	v_fma_f32 v4, v10, v28, -v4
	v_sub_f32_e32 v5, v15, v5
	v_sub_f32_e32 v10, v14, v4
	v_mul_f32_e32 v4, v13, v5
	v_mul_f32_e32 v5, v12, v5
	v_fma_f32 v4, v12, v10, -v4
	v_fmac_f32_e32 v5, v13, v10
	v_add_u32_e32 v10, s12, v65
	s_waitcnt lgkmcnt(0)
	v_mul_f32_e32 v11, v20, v29
	ds_write_b64 v10, v[4:5]
	v_mul_f32_e32 v10, v21, v29
	v_fmac_f32_e32 v11, v21, v28
	v_fma_f32 v10, v20, v28, -v10
	v_sub_f32_e32 v9, v9, v11
	v_mul_f32_e32 v11, v22, v5
	v_sub_f32_e32 v8, v8, v10
	v_mul_f32_e32 v10, v23, v5
	v_fmac_f32_e32 v11, v23, v4
	s_or_b32 s12, s11, 0x180
	v_fma_f32 v10, v22, v4, -v10
	v_sub_f32_e32 v9, v9, v11
	s_add_i32 s14, s1, s12
	v_sub_f32_e32 v8, v8, v10
	v_mul_f32_e32 v10, v19, v9
	v_mul_f32_e32 v21, v18, v9
	v_mov_b32_e32 v16, s14
	v_fma_f32 v20, v18, v8, -v10
	v_fmac_f32_e32 v21, v19, v8
	ds_read_b128 v[8:11], v16
	v_add_u32_e32 v12, s13, v65
	ds_write2_b64 v64, v[28:29], v[4:5] offset1:1
	ds_write_b64 v12, v[20:21]
	ds_read2_b64 v[12:15], v64 offset0:3 offset1:4
	ds_read_b128 v[16:19], v16 offset:16
	s_waitcnt lgkmcnt(4)
	v_mul_f32_e32 v22, v9, v29
	v_fma_f32 v22, v8, v28, -v22
	v_mul_f32_e32 v8, v8, v29
	v_fmac_f32_e32 v8, v9, v28
	s_waitcnt lgkmcnt(1)
	v_sub_f32_e32 v9, v12, v22
	v_mul_f32_e32 v12, v11, v5
	v_fma_f32 v12, v10, v4, -v12
	v_mul_f32_e32 v10, v10, v5
	v_sub_f32_e32 v8, v13, v8
	v_fmac_f32_e32 v10, v11, v4
	s_waitcnt lgkmcnt(0)
	v_mul_f32_e32 v11, v16, v21
	v_sub_f32_e32 v8, v8, v10
	v_mul_f32_e32 v10, v17, v21
	v_fmac_f32_e32 v11, v17, v20
	s_or_b32 s13, s11, 0x200
	v_sub_f32_e32 v9, v9, v12
	v_fma_f32 v10, v16, v20, -v10
	v_sub_f32_e32 v8, v8, v11
	s_add_i32 s14, s1, s13
	v_sub_f32_e32 v9, v9, v10
	v_mul_f32_e32 v10, v19, v8
	v_mul_f32_e32 v23, v18, v8
	v_mov_b32_e32 v12, s14
	v_fma_f32 v22, v18, v9, -v10
	v_fmac_f32_e32 v23, v19, v9
	ds_read_b128 v[8:11], v12
	ds_read_b128 v[16:19], v12 offset:16
	v_add_u32_e32 v13, s12, v65
	ds_write_b64 v13, v[22:23]
	s_or_b32 s12, s11, 0x280
	s_waitcnt lgkmcnt(2)
	v_mul_f32_e32 v12, v9, v29
	v_fma_f32 v12, v8, v28, -v12
	v_mul_f32_e32 v8, v8, v29
	v_fmac_f32_e32 v8, v9, v28
	v_sub_f32_e32 v9, v14, v12
	v_mul_f32_e32 v12, v11, v5
	v_fma_f32 v12, v10, v4, -v12
	v_mul_f32_e32 v10, v10, v5
	v_sub_f32_e32 v8, v15, v8
	v_fmac_f32_e32 v10, v11, v4
	s_waitcnt lgkmcnt(1)
	v_mul_f32_e32 v11, v16, v21
	v_sub_f32_e32 v8, v8, v10
	v_mul_f32_e32 v10, v17, v21
	v_fmac_f32_e32 v11, v17, v20
	v_sub_f32_e32 v9, v9, v12
	v_fma_f32 v10, v16, v20, -v10
	v_sub_f32_e32 v13, v8, v11
	v_mul_f32_e32 v8, v19, v23
	v_sub_f32_e32 v12, v9, v10
	v_fma_f32 v14, v18, v22, -v8
	ds_read2_b64 v[8:11], v37 offset0:68 offset1:102
	v_mul_f32_e32 v15, v18, v23
	v_fmac_f32_e32 v15, v19, v22
	v_sub_f32_e32 v13, v13, v15
	v_sub_f32_e32 v12, v12, v14
	s_waitcnt lgkmcnt(0)
	v_mul_f32_e32 v14, v9, v13
	s_add_i32 s14, s1, s12
	v_fma_f32 v30, v8, v12, -v14
	v_mul_f32_e32 v31, v8, v13
	v_mov_b32_e32 v8, s14
	v_fmac_f32_e32 v31, v9, v12
	ds_read_b128 v[12:15], v8
	ds_read2_b64 v[38:41], v64 offset0:5 offset1:6
	v_add_u32_e32 v9, s13, v65
	ds_write2_b64 v64, v[20:21], v[22:23] offset0:2 offset1:3
	ds_write_b64 v9, v[30:31]
	ds_read_b128 v[16:19], v8 offset:16
	ds_read_b128 v[24:27], v8 offset:32
	s_waitcnt lgkmcnt(5)
	v_mul_f32_e32 v8, v13, v29
	v_mul_f32_e32 v9, v12, v29
	v_fma_f32 v8, v12, v28, -v8
	v_fmac_f32_e32 v9, v13, v28
	v_mul_f32_e32 v12, v15, v5
	v_mul_f32_e32 v5, v14, v5
	s_waitcnt lgkmcnt(4)
	v_sub_f32_e32 v9, v39, v9
	v_fmac_f32_e32 v5, v15, v4
	v_sub_f32_e32 v8, v38, v8
	v_fma_f32 v12, v14, v4, -v12
	v_sub_f32_e32 v5, v9, v5
	s_waitcnt lgkmcnt(1)
	v_mul_f32_e32 v9, v16, v21
	v_sub_f32_e32 v4, v8, v12
	v_mul_f32_e32 v8, v17, v21
	v_fmac_f32_e32 v9, v17, v20
	v_fma_f32 v8, v16, v20, -v8
	v_sub_f32_e32 v5, v5, v9
	v_mul_f32_e32 v9, v18, v23
	v_sub_f32_e32 v4, v4, v8
	v_mul_f32_e32 v8, v19, v23
	v_fmac_f32_e32 v9, v19, v22
	s_waitcnt lgkmcnt(0)
	v_mul_f32_e32 v12, v24, v31
	v_fma_f32 v8, v18, v22, -v8
	v_sub_f32_e32 v5, v5, v9
	v_mul_f32_e32 v9, v25, v31
	v_fmac_f32_e32 v12, v25, v30
	v_sub_f32_e32 v4, v4, v8
	s_or_b32 s13, s11, 0x300
	v_fma_f32 v9, v24, v30, -v9
	v_sub_f32_e32 v5, v5, v12
	s_add_i32 s14, s1, s13
	v_sub_f32_e32 v9, v4, v9
	v_mul_f32_e32 v4, v27, v5
	v_mul_f32_e32 v5, v26, v5
	v_mov_b32_e32 v8, s14
	v_fma_f32 v4, v26, v9, -v4
	v_fmac_f32_e32 v5, v27, v9
	ds_read_b128 v[20:23], v8
	ds_write2_b64 v64, v[30:31], v[4:5] offset0:4 offset1:5
	ds_read_b128 v[16:19], v8 offset:16
	ds_read_b128 v[12:15], v8 offset:32
	ds_read2_b64 v[24:27], v64 offset0:1 offset1:2
	ds_read_b64 v[76:77], v64 offset:40
	s_waitcnt lgkmcnt(5)
	v_mul_f32_e32 v8, v21, v29
	v_mul_f32_e32 v9, v20, v29
	v_fma_f32 v8, v20, v28, -v8
	v_fmac_f32_e32 v9, v21, v28
	ds_read_b128 v[28:31], v64
	s_waitcnt lgkmcnt(2)
	v_mul_f32_e32 v20, v23, v25
	v_sub_f32_e32 v8, v40, v8
	v_fma_f32 v20, v22, v24, -v20
	v_mul_f32_e32 v21, v22, v25
	v_sub_f32_e32 v9, v41, v9
	v_fmac_f32_e32 v21, v23, v24
	v_sub_f32_e32 v8, v8, v20
	v_mul_f32_e32 v20, v17, v27
	v_sub_f32_e32 v9, v9, v21
	v_fma_f32 v24, v16, v26, -v20
	ds_read2_b64 v[20:23], v64 offset0:3 offset1:4
	v_mul_f32_e32 v16, v16, v27
	v_fmac_f32_e32 v16, v17, v26
	v_sub_f32_e32 v8, v8, v24
	v_sub_f32_e32 v9, v9, v16
	ds_read2_b64 v[24:27], v64 offset0:2 offset1:3
	s_waitcnt lgkmcnt(1)
	v_mul_f32_e32 v16, v19, v21
	v_fma_f32 v16, v18, v20, -v16
	v_mul_f32_e32 v17, v18, v21
	v_sub_f32_e32 v8, v8, v16
	v_mul_f32_e32 v16, v13, v23
	v_fmac_f32_e32 v17, v19, v20
	v_fma_f32 v16, v12, v22, -v16
	v_mul_f32_e32 v12, v12, v23
	v_sub_f32_e32 v9, v9, v17
	v_fmac_f32_e32 v12, v13, v22
	v_mul_f32_e32 v13, v14, v5
	v_sub_f32_e32 v9, v9, v12
	v_mul_f32_e32 v12, v15, v5
	v_fmac_f32_e32 v13, v15, v4
	v_sub_f32_e32 v8, v8, v16
	v_fma_f32 v12, v14, v4, -v12
	v_sub_f32_e32 v9, v9, v13
	v_sub_f32_e32 v8, v8, v12
	v_mul_f32_e32 v12, v11, v9
	v_mul_f32_e32 v75, v10, v9
	v_fma_f32 v74, v10, v8, -v12
	v_fmac_f32_e32 v75, v11, v8
	ds_write_b64 v64, v[74:75] offset:48
	ds_read2_b64 v[8:11], v64 offset0:5 offset1:6
	v_add_u32_e32 v12, s12, v65
	ds_write_b64 v12, v[4:5]
	v_add_u32_e32 v4, s13, v65
	s_or_b32 s12, s11, 0x380
	s_waitcnt lgkmcnt(1)
	ds_write_b64 v4, v[10:11]
	s_add_i32 s13, s1, s12
	ds_read_b64 v[4:5], v64
	ds_read_b128 v[18:21], v64 offset:16
	v_mov_b32_e32 v22, s13
	ds_read_b128 v[10:13], v22
	ds_read_b128 v[14:17], v22 offset:16
	ds_read_b128 v[38:41], v22 offset:32
	;; [unrolled: 1-line block ×3, first 2 shown]
	ds_read_b128 v[46:49], v64
	ds_read2_b64 v[50:53], v64 offset0:1 offset1:2
	s_waitcnt lgkmcnt(5)
	v_mul_f32_e32 v22, v11, v5
	v_mul_f32_e32 v5, v10, v5
	v_fma_f32 v22, v10, v4, -v22
	v_fmac_f32_e32 v5, v11, v4
	v_sub_f32_e32 v4, v6, v22
	v_sub_f32_e32 v5, v7, v5
	s_waitcnt lgkmcnt(1)
	v_mul_f32_e32 v6, v13, v49
	v_mul_f32_e32 v7, v12, v49
	v_fma_f32 v6, v12, v48, -v6
	v_fmac_f32_e32 v7, v13, v48
	v_sub_f32_e32 v10, v4, v6
	v_sub_f32_e32 v11, v5, v7
	ds_read2_b64 v[4:7], v64 offset0:1 offset1:2
	s_waitcnt lgkmcnt(1)
	v_mul_f32_e32 v12, v15, v53
	v_fma_f32 v12, v14, v52, -v12
	v_mul_f32_e32 v13, v14, v53
	v_fmac_f32_e32 v13, v15, v52
	v_sub_f32_e32 v14, v10, v12
	v_mul_f32_e32 v10, v17, v21
	v_sub_f32_e32 v15, v11, v13
	ds_read_b64 v[48:49], v64 offset:16
	v_fma_f32 v22, v16, v20, -v10
	ds_read2_b64 v[10:13], v64 offset0:3 offset1:4
	v_mul_f32_e32 v16, v16, v21
	v_fmac_f32_e32 v16, v17, v20
	v_sub_f32_e32 v52, v14, v22
	v_sub_f32_e32 v53, v15, v16
	s_waitcnt lgkmcnt(0)
	v_mul_f32_e32 v14, v39, v13
	v_fma_f32 v54, v38, v12, -v14
	ds_read_b128 v[14:17], v64 offset:32
	v_mul_f32_e32 v13, v38, v13
	v_fmac_f32_e32 v13, v39, v12
	v_sub_f32_e32 v13, v53, v13
	v_sub_f32_e32 v12, v52, v54
	s_waitcnt lgkmcnt(0)
	v_mul_f32_e32 v38, v41, v17
	v_mul_f32_e32 v17, v40, v17
	v_fmac_f32_e32 v17, v41, v16
	v_sub_f32_e32 v13, v13, v17
	v_mul_f32_e32 v17, v42, v75
	v_fma_f32 v38, v40, v16, -v38
	v_mul_f32_e32 v16, v43, v75
	v_fmac_f32_e32 v17, v43, v74
	v_sub_f32_e32 v12, v12, v38
	v_fma_f32 v16, v42, v74, -v16
	v_sub_f32_e32 v13, v13, v17
	v_sub_f32_e32 v16, v12, v16
	v_mul_f32_e32 v12, v45, v13
	v_mul_f32_e32 v13, v44, v13
	v_fma_f32 v12, v44, v16, -v12
	v_fmac_f32_e32 v13, v45, v16
	v_add_u32_e32 v16, s12, v65
	ds_write_b64 v16, v[12:13]
	ds_read2_b64 v[20:23], v64 offset0:3 offset1:4
	ds_read_b64 v[80:81], v64 offset:24
	s_or_b32 s12, s11, 0x400
	ds_read2_b64 v[38:41], v64 offset1:1
	ds_read2_b64 v[42:45], v64 offset0:4 offset1:5
	s_add_i32 s13, s1, s12
	v_mov_b32_e32 v16, s13
	ds_read_b128 v[52:55], v16
	ds_read_b128 v[56:59], v16 offset:16
	ds_read_b128 v[60:63], v16 offset:32
	;; [unrolled: 1-line block ×3, first 2 shown]
	ds_read_b128 v[70:73], v64
	s_waitcnt lgkmcnt(4)
	v_mul_f32_e32 v17, v52, v39
	v_mul_f32_e32 v16, v53, v39
	v_fmac_f32_e32 v17, v53, v38
	v_fma_f32 v16, v52, v38, -v16
	v_sub_f32_e32 v1, v1, v17
	v_mul_f32_e32 v17, v54, v41
	v_sub_f32_e32 v0, v0, v16
	v_mul_f32_e32 v16, v55, v41
	v_fmac_f32_e32 v17, v55, v40
	v_fma_f32 v16, v54, v40, -v16
	v_sub_f32_e32 v1, v1, v17
	s_waitcnt lgkmcnt(3)
	v_mul_f32_e32 v17, v56, v49
	v_sub_f32_e32 v0, v0, v16
	v_mul_f32_e32 v16, v57, v49
	v_fmac_f32_e32 v17, v57, v48
	v_fma_f32 v16, v56, v48, -v16
	v_sub_f32_e32 v1, v1, v17
	v_mul_f32_e32 v17, v58, v27
	v_sub_f32_e32 v0, v0, v16
	v_mul_f32_e32 v16, v59, v27
	v_fmac_f32_e32 v17, v59, v26
	v_fma_f32 v16, v58, v26, -v16
	v_sub_f32_e32 v1, v1, v17
	s_waitcnt lgkmcnt(2)
	v_mul_f32_e32 v17, v60, v23
	v_sub_f32_e32 v0, v0, v16
	v_mul_f32_e32 v16, v61, v23
	v_fmac_f32_e32 v17, v61, v22
	v_mul_f32_e32 v23, v62, v45
	v_fma_f32 v16, v60, v22, -v16
	v_sub_f32_e32 v1, v1, v17
	v_mul_f32_e32 v22, v63, v45
	v_fmac_f32_e32 v23, v63, v44
	v_sub_f32_e32 v0, v0, v16
	v_fma_f32 v22, v62, v44, -v22
	v_sub_f32_e32 v1, v1, v23
	s_waitcnt lgkmcnt(1)
	v_mul_f32_e32 v23, v66, v75
	ds_read2_b64 v[38:41], v37 offset0:136 offset1:170
	v_sub_f32_e32 v0, v0, v22
	v_mul_f32_e32 v22, v67, v75
	v_fmac_f32_e32 v23, v67, v74
	v_fma_f32 v22, v66, v74, -v22
	v_sub_f32_e32 v1, v1, v23
	v_mul_f32_e32 v23, v68, v13
	v_sub_f32_e32 v0, v0, v22
	v_mul_f32_e32 v22, v69, v13
	v_fmac_f32_e32 v23, v69, v12
	v_fma_f32 v22, v68, v12, -v22
	v_sub_f32_e32 v1, v1, v23
	v_sub_f32_e32 v22, v0, v22
	s_waitcnt lgkmcnt(0)
	v_mul_f32_e32 v0, v39, v1
	v_mul_f32_e32 v1, v38, v1
	v_fma_f32 v0, v38, v22, -v0
	v_fmac_f32_e32 v1, v39, v22
	v_add_u32_e32 v22, s12, v65
	s_or_b32 s12, s11, 0x480
	s_add_i32 s13, s1, s12
	v_mov_b32_e32 v23, s13
	ds_read_b128 v[52:55], v23
	ds_write_b64 v22, v[0:1]
	ds_read_b64 v[16:17], v64 offset:32
	ds_read_b128 v[56:59], v23 offset:16
	ds_read_b128 v[60:63], v23 offset:32
	;; [unrolled: 1-line block ×3, first 2 shown]
	s_or_b32 s11, s11, 0x500
	s_waitcnt lgkmcnt(5)
	v_mul_f32_e32 v22, v53, v47
	v_fma_f32 v22, v52, v46, -v22
	v_sub_f32_e32 v2, v2, v22
	v_mul_f32_e32 v22, v55, v51
	v_mul_f32_e32 v26, v52, v47
	v_fma_f32 v22, v54, v50, -v22
	v_fmac_f32_e32 v26, v53, v46
	v_sub_f32_e32 v2, v2, v22
	s_waitcnt lgkmcnt(2)
	v_mul_f32_e32 v22, v57, v25
	v_sub_f32_e32 v3, v3, v26
	v_mul_f32_e32 v26, v54, v51
	v_fma_f32 v22, v56, v24, -v22
	v_fmac_f32_e32 v26, v55, v50
	v_mul_f32_e32 v25, v56, v25
	v_sub_f32_e32 v2, v2, v22
	v_mul_f32_e32 v22, v59, v81
	v_sub_f32_e32 v3, v3, v26
	ds_read2_b64 v[44:47], v64 offset0:5 offset1:6
	v_fmac_f32_e32 v25, v57, v24
	v_fma_f32 v22, v58, v80, -v22
	v_mul_f32_e32 v24, v58, v81
	v_sub_f32_e32 v3, v3, v25
	v_fmac_f32_e32 v24, v59, v80
	v_sub_f32_e32 v2, v2, v22
	s_waitcnt lgkmcnt(2)
	v_mul_f32_e32 v22, v61, v17
	v_mul_f32_e32 v17, v60, v17
	v_sub_f32_e32 v3, v3, v24
	v_fmac_f32_e32 v17, v61, v16
	v_fma_f32 v22, v60, v16, -v22
	v_sub_f32_e32 v3, v3, v17
	v_mul_f32_e32 v16, v63, v77
	v_mul_f32_e32 v17, v62, v77
	v_sub_f32_e32 v2, v2, v22
	v_fma_f32 v16, v62, v76, -v16
	v_fmac_f32_e32 v17, v63, v76
	v_sub_f32_e32 v16, v2, v16
	v_sub_f32_e32 v17, v3, v17
	ds_read_b64 v[2:3], v64 offset:48
	s_waitcnt lgkmcnt(1)
	v_mul_f32_e32 v22, v67, v47
	v_mul_f32_e32 v24, v66, v47
	v_fma_f32 v22, v66, v46, -v22
	v_fmac_f32_e32 v24, v67, v46
	v_sub_f32_e32 v16, v16, v22
	v_sub_f32_e32 v17, v17, v24
	v_mul_f32_e32 v22, v69, v13
	v_mul_f32_e32 v24, v68, v13
	v_fma_f32 v22, v68, v12, -v22
	v_fmac_f32_e32 v24, v69, v12
	v_sub_f32_e32 v16, v16, v22
	v_sub_f32_e32 v17, v17, v24
	ds_read_b128 v[22:25], v23 offset:64
	s_add_i32 s13, s1, s11
	v_mov_b32_e32 v62, s13
	ds_read_b128 v[46:49], v62
	v_mov_b32_e32 v58, v71
	s_waitcnt lgkmcnt(1)
	v_mul_f32_e32 v26, v23, v1
	v_fma_f32 v26, v22, v0, -v26
	v_mul_f32_e32 v22, v22, v1
	v_fmac_f32_e32 v22, v23, v0
	v_sub_f32_e32 v17, v17, v22
	v_sub_f32_e32 v16, v16, v26
	v_mul_f32_e32 v22, v25, v17
	v_mul_f32_e32 v27, v24, v17
	v_fma_f32 v26, v24, v16, -v22
	v_fmac_f32_e32 v27, v25, v16
	v_add_u32_e32 v16, s12, v65
	s_waitcnt lgkmcnt(0)
	v_pk_mul_f32 v[60:61], v[46:47], v[70:71]
	ds_write_b64 v16, v[26:27]
	v_mov_b32_e32 v16, v47
	v_sub_f32_e32 v47, v60, v61
	v_mov_b32_e32 v59, v73
	v_sub_f32_e32 v34, v34, v47
	v_mov_b32_e32 v47, v49
	ds_read_b128 v[22:25], v62 offset:16
	ds_read_b128 v[50:53], v62 offset:32
	;; [unrolled: 1-line block ×3, first 2 shown]
	v_mov_b32_e32 v17, v48
	v_mov_b32_e32 v38, v70
	;; [unrolled: 1-line block ×3, first 2 shown]
	v_pk_mul_f32 v[46:47], v[46:47], v[58:59]
	s_add_i32 s1, s1, s8
	v_pk_fma_f32 v[58:59], v[16:17], v[38:39], v[46:47] neg_lo:[0,0,1] neg_hi:[0,0,1]
	v_pk_fma_f32 v[16:17], v[16:17], v[38:39], v[46:47]
	v_mul_f32_e32 v38, v48, v73
	v_pk_mov_b32 v[16:17], v[58:59], v[16:17] op_sel:[1,0]
	v_fmac_f32_e32 v38, v49, v72
	v_pk_add_f32 v[16:17], v[34:35], v[16:17] neg_lo:[0,1] neg_hi:[0,1]
	s_waitcnt lgkmcnt(2)
	v_mul_f32_e32 v34, v23, v19
	v_mul_f32_e32 v19, v22, v19
	v_sub_f32_e32 v17, v17, v38
	v_fmac_f32_e32 v19, v23, v18
	v_fma_f32 v34, v22, v18, -v34
	v_sub_f32_e32 v17, v17, v19
	v_mul_f32_e32 v18, v25, v21
	v_mul_f32_e32 v19, v24, v21
	v_sub_f32_e32 v16, v16, v34
	v_fma_f32 v18, v24, v20, -v18
	v_fmac_f32_e32 v19, v25, v20
	v_sub_f32_e32 v16, v16, v18
	v_sub_f32_e32 v17, v17, v19
	s_waitcnt lgkmcnt(1)
	v_mul_f32_e32 v18, v51, v43
	v_mul_f32_e32 v19, v50, v43
	v_fma_f32 v18, v50, v42, -v18
	v_fmac_f32_e32 v19, v51, v42
	v_sub_f32_e32 v16, v16, v18
	v_sub_f32_e32 v17, v17, v19
	v_mul_f32_e32 v18, v53, v45
	v_mul_f32_e32 v19, v52, v45
	v_fma_f32 v18, v52, v44, -v18
	v_fmac_f32_e32 v19, v53, v44
	v_sub_f32_e32 v20, v16, v18
	v_sub_f32_e32 v21, v17, v19
	ds_read_b128 v[16:19], v62 offset:64
	s_waitcnt lgkmcnt(1)
	v_mul_f32_e32 v22, v55, v3
	v_fma_f32 v22, v54, v2, -v22
	v_mul_f32_e32 v3, v54, v3
	v_fmac_f32_e32 v3, v55, v2
	v_sub_f32_e32 v2, v20, v22
	v_mul_f32_e32 v20, v57, v13
	v_fma_f32 v20, v56, v12, -v20
	v_sub_f32_e32 v3, v21, v3
	v_mul_f32_e32 v21, v56, v13
	v_sub_f32_e32 v2, v2, v20
	s_waitcnt lgkmcnt(0)
	v_mul_f32_e32 v20, v17, v1
	v_fmac_f32_e32 v21, v57, v12
	v_fma_f32 v20, v16, v0, -v20
	v_mul_f32_e32 v16, v16, v1
	v_sub_f32_e32 v3, v3, v21
	v_fmac_f32_e32 v16, v17, v0
	v_sub_f32_e32 v3, v3, v16
	v_mul_f32_e32 v16, v19, v27
	v_mul_f32_e32 v17, v18, v27
	v_sub_f32_e32 v2, v2, v20
	v_fma_f32 v16, v18, v26, -v16
	v_fmac_f32_e32 v17, v19, v26
	v_mov_b32_e32 v42, s1
	v_sub_f32_e32 v19, v2, v16
	v_sub_f32_e32 v3, v3, v17
	ds_read_b96 v[16:18], v42
	ds_read2_b32 v[20:21], v42 offset0:3 offset1:4
	v_mov_b32_e32 v34, v28
	v_mov_b32_e32 v35, v30
	;; [unrolled: 1-line block ×3, first 2 shown]
	s_waitcnt lgkmcnt(1)
	v_pk_mul_f32 v[28:29], v[16:17], v[28:29]
	v_mul_f32_e32 v2, v41, v3
	v_mul_f32_e32 v3, v40, v3
	v_mov_b32_e32 v22, v17
	v_sub_f32_e32 v17, v28, v29
	v_fma_f32 v2, v40, v19, -v2
	v_fmac_f32_e32 v3, v41, v19
	v_add_u32_e32 v19, s11, v65
	v_sub_f32_e32 v32, v32, v17
	s_waitcnt lgkmcnt(0)
	v_mov_b32_e32 v17, v20
	ds_write_b64 v19, v[2:3]
	v_mov_b32_e32 v23, v18
	v_pk_mul_f32 v[16:17], v[16:17], v[30:31]
	ds_read_b64 v[24:25], v64 offset:48
	v_pk_fma_f32 v[30:31], v[22:23], v[34:35], v[16:17] neg_lo:[0,0,1] neg_hi:[0,0,1]
	v_pk_fma_f32 v[16:17], v[22:23], v[34:35], v[16:17]
	ds_read2_b32 v[22:23], v42 offset0:7 offset1:8
	ds_read2_b32 v[34:35], v42 offset0:9 offset1:10
	;; [unrolled: 1-line block ×4, first 2 shown]
	v_mov_b32_e32 v28, v4
	v_mov_b32_e32 v29, v6
	;; [unrolled: 1-line block ×3, first 2 shown]
	v_pk_mov_b32 v[16:17], v[30:31], v[16:17] op_sel:[1,0]
	v_pk_mul_f32 v[28:29], v[20:21], v[28:29]
	s_waitcnt lgkmcnt(0)
	v_mov_b32_e32 v30, v40
	v_mov_b32_e32 v31, v18
	v_pk_fma_f32 v[18:19], v[40:41], v[4:5], v[28:29] op_sel:[0,0,1] op_sel_hi:[1,1,0] neg_lo:[1,0,0] neg_hi:[1,0,0]
	v_pk_fma_f32 v[4:5], v[30:31], v[4:5], v[28:29] op_sel:[0,0,1] op_sel_hi:[1,1,0]
	v_pk_add_f32 v[16:17], v[32:33], v[16:17] neg_lo:[0,1] neg_hi:[0,1]
	v_mov_b32_e32 v19, v5
	v_pk_add_f32 v[4:5], v[16:17], v[18:19] neg_lo:[0,1] neg_hi:[0,1]
	v_mov_b32_e32 v16, v21
	v_mov_b32_e32 v17, v41
	;; [unrolled: 1-line block ×4, first 2 shown]
	v_pk_mul_f32 v[16:17], v[16:17], v[18:19]
	v_mov_b32_e32 v18, v40
	v_mov_b32_e32 v19, v22
	;; [unrolled: 1-line block ×3, first 2 shown]
	v_pk_fma_f32 v[6:7], v[18:19], v[6:7], v[16:17]
	v_mul_f32_e32 v20, v22, v11
	v_sub_f32_e32 v5, v5, v6
	v_fma_f32 v10, v41, v10, -v20
	v_sub_f32_e32 v5, v5, v7
	v_mul_f32_e32 v6, v34, v15
	v_mul_f32_e32 v7, v23, v15
	v_sub_f32_e32 v4, v4, v10
	v_fma_f32 v6, v23, v14, -v6
	v_fmac_f32_e32 v7, v34, v14
	v_sub_f32_e32 v4, v4, v6
	v_sub_f32_e32 v6, v5, v7
	v_mul_f32_e32 v5, v38, v9
	v_fma_f32 v5, v35, v8, -v5
	v_sub_f32_e32 v14, v4, v5
	ds_read2_b32 v[4:5], v42 offset0:13 offset1:14
	v_mul_f32_e32 v7, v35, v9
	v_fmac_f32_e32 v7, v38, v8
	v_sub_f32_e32 v15, v6, v7
	ds_read2_b32 v[6:7], v42 offset0:15 offset1:16
	ds_read2_b32 v[8:9], v42 offset0:17 offset1:18
	;; [unrolled: 1-line block ×3, first 2 shown]
	s_waitcnt lgkmcnt(3)
	v_mul_f32_e32 v16, v4, v25
	v_mul_f32_e32 v17, v39, v25
	v_fma_f32 v16, v39, v24, -v16
	v_fmac_f32_e32 v17, v4, v24
	v_sub_f32_e32 v4, v14, v16
	v_sub_f32_e32 v14, v15, v17
	s_waitcnt lgkmcnt(2)
	v_mul_f32_e32 v15, v6, v13
	v_fma_f32 v15, v5, v12, -v15
	v_mul_f32_e32 v5, v5, v13
	v_fmac_f32_e32 v5, v6, v12
	s_waitcnt lgkmcnt(1)
	v_mul_f32_e32 v6, v8, v1
	v_mul_f32_e32 v1, v7, v1
	v_sub_f32_e32 v5, v14, v5
	v_fmac_f32_e32 v1, v8, v0
	v_sub_f32_e32 v1, v5, v1
	ds_read_b32 v5, v42 offset:84
	v_sub_f32_e32 v4, v4, v15
	v_fma_f32 v6, v7, v0, -v6
	v_sub_f32_e32 v0, v4, v6
	s_waitcnt lgkmcnt(1)
	v_mul_f32_e32 v4, v10, v27
	v_fma_f32 v4, v9, v26, -v4
	v_mul_f32_e32 v6, v9, v27
	v_fmac_f32_e32 v6, v10, v26
	v_sub_f32_e32 v4, v0, v4
	s_waitcnt lgkmcnt(0)
	v_mul_f32_e32 v0, v5, v3
	v_sub_f32_e32 v6, v1, v6
	v_fma_f32 v7, v11, v2, -v0
	ds_read_b64 v[0:1], v37 offset:1496
	v_mul_f32_e32 v3, v11, v3
	v_fmac_f32_e32 v3, v5, v2
	v_sub_f32_e32 v2, v4, v7
	v_sub_f32_e32 v4, v6, v3
	s_waitcnt lgkmcnt(0)
	v_pk_mul_f32 v[4:5], v[0:1], v[4:5] op_sel:[1,0] op_sel_hi:[0,0]
	v_pk_fma_f32 v[6:7], v[0:1], v[2:3], v[4:5] neg_lo:[0,0,1] neg_hi:[0,0,1]
	v_pk_fma_f32 v[0:1], v[0:1], v[2:3], v[4:5] op_sel_hi:[1,0,1]
	s_mov_b32 s12, s0
	v_mov_b32_e32 v7, v1
	ds_write_b64 v36, v[6:7]
.LBB148_33:
	s_cmp_ge_i32 s12, s30
	s_cbranch_scc1 .LBB148_40
; %bb.34:
	v_mov_b32_e32 v0, 0x800
	s_lshl_b32 s0, s12, 7
	v_lshl_add_u32 v3, v78, 3, v0
	s_branch .LBB148_36
.LBB148_35:                             ;   in Loop: Header=BB148_36 Depth=1
	s_mul_i32 s1, s12, 0x88
	v_mov_b32_e32 v2, v1
	v_mov_b32_e32 v1, s1
	ds_read_b64 v[6:7], v1
	s_add_i32 s12, s12, 1
	s_addk_i32 s0, 0x80
	s_cmp_ge_i32 s12, s30
	s_waitcnt lgkmcnt(0)
	v_pk_mul_f32 v[8:9], v[6:7], v[2:3] op_sel:[1,0] op_sel_hi:[0,0]
	v_pk_fma_f32 v[10:11], v[6:7], v[0:1], v[8:9] op_sel_hi:[1,0,1] neg_lo:[0,0,1] neg_hi:[0,0,1]
	v_pk_fma_f32 v[0:1], v[6:7], v[0:1], v[8:9] op_sel_hi:[1,0,1]
	s_nop 0
	v_mov_b32_e32 v11, v1
	ds_write_b64 v64, v[10:11]
	ds_write_b64 v4, v[10:11]
	s_cbranch_scc1 .LBB148_40
.LBB148_36:                             ; =>This Loop Header: Depth=1
                                        ;     Child Loop BB148_38 Depth 2
	s_lshl_b32 s1, s12, 7
	v_add_u32_e32 v4, s1, v65
	ds_read_b64 v[0:1], v4
	s_cmp_eq_u32 s12, 0
	s_waitcnt lgkmcnt(0)
	ds_write_b64 v64, v[0:1]
	s_cbranch_scc1 .LBB148_35
; %bb.37:                               ;   in Loop: Header=BB148_36 Depth=1
	v_mov_b32_e32 v2, v3
	s_mov_b32 s1, s12
	s_mov_b32 s8, s0
.LBB148_38:                             ;   Parent Loop BB148_36 Depth=1
                                        ; =>  This Inner Loop Header: Depth=2
	v_mov_b32_e32 v5, s8
	ds_read_b64 v[6:7], v2
	ds_read_b64 v[8:9], v5
	s_add_i32 s8, s8, 8
	s_add_i32 s1, s1, -1
	v_add_u32_e32 v2, 0x80, v2
	s_cmp_lg_u32 s1, 0
	s_waitcnt lgkmcnt(0)
	v_pk_mul_f32 v[10:11], v[8:9], v[6:7] op_sel:[1,1] op_sel_hi:[0,1]
	v_pk_fma_f32 v[12:13], v[8:9], v[6:7], v[10:11] neg_lo:[0,0,1] neg_hi:[0,0,1]
	v_pk_fma_f32 v[6:7], v[8:9], v[6:7], v[10:11] op_sel_hi:[1,0,1]
	s_nop 0
	v_mov_b32_e32 v13, v7
	v_pk_add_f32 v[0:1], v[0:1], v[12:13] neg_lo:[0,1] neg_hi:[0,1]
	s_cbranch_scc1 .LBB148_38
; %bb.39:                               ;   in Loop: Header=BB148_36 Depth=1
	ds_write_b64 v64, v[0:1]
	s_branch .LBB148_35
.LBB148_40:
	s_mov_b64 s[0:1], 0
.LBB148_41:
	s_and_b64 vcc, exec, s[0:1]
	s_cbranch_vccz .LBB148_69
; %bb.42:
	s_add_i32 s0, s30, -1
	s_cmp_gt_i32 s10, 15
	s_mov_b32 s1, s0
	s_cbranch_scc0 .LBB148_44
; %bb.43:
	ds_read2_b64 v[20:23], v65 offset0:224 offset1:240
	ds_read2_b64 v[24:27], v65 offset0:192 offset1:208
	;; [unrolled: 1-line block ×3, first 2 shown]
	v_mov_b32_e32 v48, 0
	s_mov_b32 s1, -1
	s_waitcnt lgkmcnt(2)
	v_mov_b32_e32 v0, v22
	v_mov_b32_e32 v1, v23
	;; [unrolled: 1-line block ×4, first 2 shown]
	ds_write_b128 v64, v[0:3]
	s_waitcnt lgkmcnt(2)
	v_mov_b32_e32 v0, v26
	v_mov_b32_e32 v1, v27
	;; [unrolled: 1-line block ×4, first 2 shown]
	ds_write_b128 v64, v[0:3] offset:16
	ds_read2_b64 v[2:5], v65 offset0:160 offset1:176
	s_waitcnt lgkmcnt(3)
	ds_write_b64 v64, v[18:19] offset:48
	s_waitcnt lgkmcnt(1)
	v_mov_b32_e32 v0, v4
	v_mov_b32_e32 v1, v5
	ds_write_b128 v64, v[0:3] offset:32
	ds_read2_b64 v[12:15], v65 offset0:96 offset1:112
	ds_read2_b64 v[8:11], v65 offset0:64 offset1:80
	;; [unrolled: 1-line block ×3, first 2 shown]
	ds_read2_b64 v[4:7], v65 offset1:16
	ds_read_b128 v[28:31], v48 offset:2032
	s_waitcnt lgkmcnt(0)
	v_mul_f32_e32 v19, v30, v23
	v_mul_f32_e32 v18, v31, v23
	v_fmac_f32_e32 v19, v31, v22
	v_fma_f32 v18, v30, v22, -v18
	v_mul_f32_e32 v22, v29, v19
	v_mul_f32_e32 v23, v28, v19
	v_fma_f32 v22, v28, v18, -v22
	v_fmac_f32_e32 v23, v29, v18
	v_sub_f32_e32 v28, v20, v22
	v_sub_f32_e32 v25, v21, v23
	ds_read2_b64 v[20:23], v48 offset0:204 offset1:238
	s_waitcnt lgkmcnt(0)
	v_mul_f32_e32 v24, v23, v25
	v_mul_f32_e32 v25, v22, v25
	v_fma_f32 v24, v22, v28, -v24
	v_fmac_f32_e32 v25, v23, v28
	ds_write2_b64 v64, v[18:19], v[24:25] offset1:1
	ds_write2_b64 v65, v[24:25], v[18:19] offset0:224 offset1:240
	ds_read_b128 v[28:31], v48 offset:2016
	s_waitcnt lgkmcnt(0)
	v_mul_f32_e32 v22, v31, v19
	v_mul_f32_e32 v23, v30, v19
	v_fma_f32 v22, v30, v18, -v22
	v_fmac_f32_e32 v23, v31, v18
	ds_read_b128 v[30:33], v48 offset:1888
	v_sub_f32_e32 v22, v26, v22
	v_sub_f32_e32 v23, v27, v23
	s_waitcnt lgkmcnt(0)
	v_mul_f32_e32 v26, v33, v25
	v_mul_f32_e32 v27, v32, v25
	v_fma_f32 v26, v32, v24, -v26
	v_fmac_f32_e32 v27, v33, v24
	ds_read_b128 v[32:35], v48 offset:1760
	v_sub_f32_e32 v23, v23, v27
	v_sub_f32_e32 v22, v22, v26
	s_waitcnt lgkmcnt(0)
	v_mul_f32_e32 v26, v35, v23
	v_mul_f32_e32 v27, v34, v23
	v_fma_f32 v26, v34, v22, -v26
	v_fmac_f32_e32 v27, v35, v22
	ds_read2_b64 v[34:37], v64 offset0:3 offset1:4
	v_mul_f32_e32 v23, v28, v19
	v_mul_f32_e32 v22, v29, v19
	v_fmac_f32_e32 v23, v29, v18
	v_mul_f32_e32 v29, v30, v25
	v_fma_f32 v22, v28, v18, -v22
	s_waitcnt lgkmcnt(0)
	v_sub_f32_e32 v23, v35, v23
	v_mul_f32_e32 v28, v31, v25
	v_fmac_f32_e32 v29, v31, v24
	v_sub_f32_e32 v22, v34, v22
	v_fma_f32 v28, v30, v24, -v28
	v_sub_f32_e32 v23, v23, v29
	v_mul_f32_e32 v29, v32, v27
	v_sub_f32_e32 v22, v22, v28
	v_mul_f32_e32 v28, v33, v27
	v_fmac_f32_e32 v29, v33, v26
	v_fma_f32 v28, v32, v26, -v28
	v_sub_f32_e32 v23, v23, v29
	v_sub_f32_e32 v22, v22, v28
	v_mul_f32_e32 v28, v21, v23
	v_mul_f32_e32 v47, v20, v23
	v_fma_f32 v46, v20, v22, -v28
	v_fmac_f32_e32 v47, v21, v22
	ds_write2_b64 v64, v[26:27], v[46:47] offset0:2 offset1:3
	ds_write2_b64 v65, v[46:47], v[26:27] offset0:192 offset1:208
	ds_read_b128 v[20:23], v48 offset:2000
	s_waitcnt lgkmcnt(0)
	v_mul_f32_e32 v28, v23, v19
	v_fma_f32 v28, v22, v18, -v28
	v_mul_f32_e32 v22, v22, v19
	v_fmac_f32_e32 v22, v23, v18
	v_sub_f32_e32 v23, v36, v28
	ds_read_b128 v[28:31], v48 offset:1872
	v_sub_f32_e32 v22, v37, v22
	s_waitcnt lgkmcnt(0)
	v_mul_f32_e32 v32, v31, v25
	v_fma_f32 v32, v30, v24, -v32
	v_mul_f32_e32 v30, v30, v25
	v_fmac_f32_e32 v30, v31, v24
	v_sub_f32_e32 v23, v23, v32
	v_sub_f32_e32 v22, v22, v30
	ds_read_b128 v[30:33], v48 offset:1744
	s_waitcnt lgkmcnt(0)
	v_mul_f32_e32 v34, v33, v27
	v_fma_f32 v34, v32, v26, -v34
	v_mul_f32_e32 v32, v32, v27
	v_fmac_f32_e32 v32, v33, v26
	v_sub_f32_e32 v23, v23, v34
	v_sub_f32_e32 v22, v22, v32
	ds_read_b128 v[32:35], v48 offset:1616
	;; [unrolled: 8-line block ×3, first 2 shown]
	s_waitcnt lgkmcnt(0)
	v_mul_f32_e32 v38, v37, v22
	v_mul_f32_e32 v51, v36, v22
	v_fma_f32 v50, v36, v23, -v38
	v_fmac_f32_e32 v51, v37, v23
	ds_read2_b64 v[36:39], v64 offset0:5 offset1:6
	v_mul_f32_e32 v22, v21, v19
	v_fma_f32 v22, v20, v18, -v22
	v_mul_f32_e32 v20, v20, v19
	v_fmac_f32_e32 v20, v21, v18
	v_mul_f32_e32 v23, v28, v25
	s_waitcnt lgkmcnt(0)
	v_sub_f32_e32 v21, v36, v22
	v_sub_f32_e32 v20, v37, v20
	v_mul_f32_e32 v22, v29, v25
	v_fmac_f32_e32 v23, v29, v24
	v_fma_f32 v22, v28, v24, -v22
	v_sub_f32_e32 v20, v20, v23
	v_mul_f32_e32 v23, v30, v27
	v_sub_f32_e32 v21, v21, v22
	v_mul_f32_e32 v22, v31, v27
	v_fmac_f32_e32 v23, v31, v26
	v_fma_f32 v22, v30, v26, -v22
	v_sub_f32_e32 v20, v20, v23
	v_mul_f32_e32 v23, v32, v47
	ds_read2_b64 v[28:31], v48 offset0:136 offset1:170
	v_sub_f32_e32 v21, v21, v22
	v_mul_f32_e32 v22, v33, v47
	v_fmac_f32_e32 v23, v33, v46
	v_fma_f32 v22, v32, v46, -v22
	v_sub_f32_e32 v20, v20, v23
	v_mul_f32_e32 v23, v34, v51
	v_sub_f32_e32 v21, v21, v22
	v_mul_f32_e32 v22, v35, v51
	v_fmac_f32_e32 v23, v35, v50
	v_fma_f32 v22, v34, v50, -v22
	v_sub_f32_e32 v20, v20, v23
	v_sub_f32_e32 v21, v21, v22
	s_waitcnt lgkmcnt(0)
	v_mul_f32_e32 v22, v31, v20
	v_mul_f32_e32 v53, v30, v20
	v_fma_f32 v52, v30, v21, -v22
	v_fmac_f32_e32 v53, v31, v21
	ds_write2_b64 v64, v[50:51], v[52:53] offset0:4 offset1:5
	ds_write2_b64 v65, v[52:53], v[50:51] offset0:160 offset1:176
	ds_read_b128 v[30:33], v48 offset:1984
	s_waitcnt lgkmcnt(0)
	v_mul_f32_e32 v20, v33, v19
	v_mul_f32_e32 v21, v32, v19
	v_fma_f32 v20, v32, v18, -v20
	v_fmac_f32_e32 v21, v33, v18
	ds_read_b128 v[32:35], v48 offset:1856
	v_sub_f32_e32 v20, v38, v20
	v_sub_f32_e32 v21, v39, v21
	s_waitcnt lgkmcnt(0)
	v_mul_f32_e32 v22, v35, v25
	v_mul_f32_e32 v23, v34, v25
	v_fma_f32 v22, v34, v24, -v22
	v_fmac_f32_e32 v23, v35, v24
	ds_read_b128 v[34:37], v48 offset:1728
	v_sub_f32_e32 v20, v20, v22
	v_sub_f32_e32 v21, v21, v23
	;; [unrolled: 8-line block ×6, first 2 shown]
	s_waitcnt lgkmcnt(0)
	v_mul_f32_e32 v22, v45, v21
	v_fma_f32 v66, v44, v20, -v22
	v_mul_f32_e32 v67, v44, v21
	v_mul_f32_e32 v44, v31, v19
	;; [unrolled: 1-line block ×3, first 2 shown]
	v_fmac_f32_e32 v19, v31, v18
	v_sub_f32_e32 v17, v17, v19
	v_mul_f32_e32 v19, v32, v25
	v_fma_f32 v44, v30, v18, -v44
	v_mul_f32_e32 v18, v33, v25
	v_fmac_f32_e32 v19, v33, v24
	v_sub_f32_e32 v16, v16, v44
	v_fma_f32 v18, v32, v24, -v18
	v_sub_f32_e32 v17, v17, v19
	v_mul_f32_e32 v19, v34, v27
	v_fmac_f32_e32 v67, v45, v20
	v_sub_f32_e32 v16, v16, v18
	v_mul_f32_e32 v18, v35, v27
	v_fmac_f32_e32 v19, v35, v26
	ds_write_b64 v64, v[66:67] offset:48
	v_fma_f32 v18, v34, v26, -v18
	v_sub_f32_e32 v17, v17, v19
	v_mul_f32_e32 v19, v36, v47
	ds_read2_b64 v[20:23], v64 offset0:5 offset1:6
	v_sub_f32_e32 v16, v16, v18
	v_mul_f32_e32 v18, v37, v47
	v_fmac_f32_e32 v19, v37, v46
	v_fma_f32 v18, v36, v46, -v18
	v_sub_f32_e32 v17, v17, v19
	v_mul_f32_e32 v19, v38, v51
	v_sub_f32_e32 v16, v16, v18
	v_mul_f32_e32 v18, v39, v51
	v_fmac_f32_e32 v19, v39, v50
	v_fma_f32 v18, v38, v50, -v18
	v_sub_f32_e32 v17, v17, v19
	v_mul_f32_e32 v19, v40, v53
	v_sub_f32_e32 v16, v16, v18
	v_mul_f32_e32 v18, v41, v53
	v_fmac_f32_e32 v19, v41, v52
	v_fma_f32 v18, v40, v52, -v18
	v_sub_f32_e32 v17, v17, v19
	s_waitcnt lgkmcnt(0)
	v_mul_f32_e32 v19, v42, v23
	v_sub_f32_e32 v16, v16, v18
	v_mul_f32_e32 v18, v43, v23
	v_fmac_f32_e32 v19, v43, v22
	v_fma_f32 v18, v42, v22, -v18
	v_sub_f32_e32 v17, v17, v19
	v_sub_f32_e32 v16, v16, v18
	v_mul_f32_e32 v18, v29, v17
	v_mul_f32_e32 v63, v28, v17
	v_fma_f32 v62, v28, v16, -v18
	v_fmac_f32_e32 v63, v29, v16
	ds_write2_b64 v65, v[62:63], v[22:23] offset0:128 offset1:144
	ds_read2_b64 v[22:25], v64 offset1:2
	ds_read_b128 v[26:29], v64 offset:16
	ds_read_b128 v[30:33], v48 offset:1968
	s_waitcnt lgkmcnt(0)
	v_mul_f32_e32 v16, v33, v23
	v_mul_f32_e32 v17, v32, v23
	v_fma_f32 v16, v32, v22, -v16
	v_fmac_f32_e32 v17, v33, v22
	ds_read_b128 v[32:35], v64
	ds_read_b128 v[36:39], v48 offset:1840
	v_sub_f32_e32 v14, v14, v16
	v_sub_f32_e32 v15, v15, v17
	s_waitcnt lgkmcnt(0)
	v_mul_f32_e32 v16, v39, v35
	v_mul_f32_e32 v17, v38, v35
	v_fma_f32 v16, v38, v34, -v16
	v_fmac_f32_e32 v17, v39, v34
	ds_read2_b64 v[38:41], v64 offset0:1 offset1:2
	ds_read_b128 v[42:45], v48 offset:1712
	v_sub_f32_e32 v14, v14, v16
	v_sub_f32_e32 v15, v15, v17
	s_waitcnt lgkmcnt(0)
	v_mul_f32_e32 v16, v45, v41
	v_mul_f32_e32 v17, v44, v41
	v_fma_f32 v16, v44, v40, -v16
	v_fmac_f32_e32 v17, v45, v40
	ds_read_b128 v[44:47], v48 offset:1584
	ds_read2_b64 v[50:53], v64 offset0:3 offset1:4
	ds_read_b128 v[54:57], v48 offset:1456
	v_sub_f32_e32 v14, v14, v16
	v_sub_f32_e32 v15, v15, v17
	s_waitcnt lgkmcnt(2)
	v_mul_f32_e32 v16, v47, v29
	v_mul_f32_e32 v17, v46, v29
	v_fma_f32 v16, v46, v28, -v16
	v_fmac_f32_e32 v17, v47, v28
	v_sub_f32_e32 v14, v14, v16
	v_sub_f32_e32 v15, v15, v17
	s_waitcnt lgkmcnt(0)
	v_mul_f32_e32 v16, v57, v53
	v_mul_f32_e32 v17, v56, v53
	v_fma_f32 v16, v56, v52, -v16
	v_fmac_f32_e32 v17, v57, v52
	v_sub_f32_e32 v18, v14, v16
	v_sub_f32_e32 v19, v15, v17
	ds_read_b128 v[14:17], v64 offset:32
	ds_read_b128 v[56:59], v48 offset:1328
	;; [unrolled: 1-line block ×3, first 2 shown]
	s_waitcnt lgkmcnt(1)
	v_mul_f32_e32 v22, v59, v17
	v_mul_f32_e32 v17, v58, v17
	v_fma_f32 v22, v58, v16, -v22
	v_fmac_f32_e32 v17, v59, v16
	ds_read_b128 v[58:61], v48 offset:1200
	v_sub_f32_e32 v16, v18, v22
	v_sub_f32_e32 v17, v19, v17
	s_waitcnt lgkmcnt(0)
	v_mul_f32_e32 v18, v61, v67
	v_mul_f32_e32 v19, v60, v67
	v_fma_f32 v18, v60, v66, -v18
	v_fmac_f32_e32 v19, v61, v66
	v_sub_f32_e32 v16, v16, v18
	v_sub_f32_e32 v17, v17, v19
	v_mul_f32_e32 v18, v71, v63
	v_mul_f32_e32 v19, v70, v63
	v_fma_f32 v18, v70, v62, -v18
	v_fmac_f32_e32 v19, v71, v62
	ds_read_b128 v[70:73], v48 offset:944
	v_sub_f32_e32 v17, v17, v19
	v_sub_f32_e32 v16, v16, v18
	s_waitcnt lgkmcnt(0)
	v_mul_f32_e32 v18, v73, v17
	v_mul_f32_e32 v67, v72, v17
	v_fma_f32 v66, v72, v16, -v18
	v_fmac_f32_e32 v67, v73, v16
	v_mul_f32_e32 v16, v31, v33
	v_mul_f32_e32 v17, v30, v33
	v_fma_f32 v16, v30, v32, -v16
	v_fmac_f32_e32 v17, v31, v32
	v_sub_f32_e32 v12, v12, v16
	v_sub_f32_e32 v13, v13, v17
	v_mul_f32_e32 v16, v37, v39
	v_mul_f32_e32 v17, v36, v39
	v_fma_f32 v16, v36, v38, -v16
	v_fmac_f32_e32 v17, v37, v38
	v_sub_f32_e32 v22, v12, v16
	v_sub_f32_e32 v23, v13, v17
	ds_read_b64 v[12:13], v64 offset:24
	ds_read2_b64 v[28:31], v64 offset0:3 offset1:4
	ds_read2_b64 v[32:35], v64 offset0:4 offset1:5
	;; [unrolled: 1-line block ×3, first 2 shown]
	v_mul_f32_e32 v36, v43, v25
	v_mul_f32_e32 v25, v42, v25
	v_fma_f32 v36, v42, v24, -v36
	v_fmac_f32_e32 v25, v43, v24
	s_waitcnt lgkmcnt(3)
	v_mul_f32_e32 v24, v45, v13
	v_sub_f32_e32 v22, v22, v36
	v_fma_f32 v24, v44, v12, -v24
	v_mul_f32_e32 v13, v44, v13
	v_sub_f32_e32 v23, v23, v25
	v_fmac_f32_e32 v13, v45, v12
	v_sub_f32_e32 v12, v22, v24
	s_waitcnt lgkmcnt(2)
	v_mul_f32_e32 v22, v55, v31
	v_sub_f32_e32 v13, v23, v13
	v_fma_f32 v22, v54, v30, -v22
	v_mul_f32_e32 v23, v54, v31
	v_fmac_f32_e32 v23, v55, v30
	v_sub_f32_e32 v12, v12, v22
	s_waitcnt lgkmcnt(1)
	v_mul_f32_e32 v22, v57, v35
	v_sub_f32_e32 v13, v13, v23
	v_fma_f32 v22, v56, v34, -v22
	v_mul_f32_e32 v23, v56, v35
	v_fmac_f32_e32 v23, v57, v34
	v_sub_f32_e32 v12, v12, v22
	s_waitcnt lgkmcnt(0)
	v_mul_f32_e32 v22, v59, v19
	v_mul_f32_e32 v19, v58, v19
	v_sub_f32_e32 v13, v13, v23
	v_fma_f32 v22, v58, v18, -v22
	v_fmac_f32_e32 v19, v59, v18
	v_sub_f32_e32 v12, v12, v22
	v_sub_f32_e32 v13, v13, v19
	v_mul_f32_e32 v19, v68, v63
	ds_read2_b64 v[22:25], v48 offset0:68 offset1:102
	v_mul_f32_e32 v18, v69, v63
	v_fmac_f32_e32 v19, v69, v62
	v_fma_f32 v18, v68, v62, -v18
	v_sub_f32_e32 v13, v13, v19
	v_mul_f32_e32 v19, v70, v67
	v_sub_f32_e32 v12, v12, v18
	v_mul_f32_e32 v18, v71, v67
	v_fmac_f32_e32 v19, v71, v66
	v_fma_f32 v18, v70, v66, -v18
	v_sub_f32_e32 v13, v13, v19
	v_sub_f32_e32 v12, v12, v18
	s_waitcnt lgkmcnt(0)
	v_mul_f32_e32 v18, v25, v13
	v_mul_f32_e32 v69, v24, v13
	v_fma_f32 v68, v24, v12, -v18
	v_fmac_f32_e32 v69, v25, v12
	ds_write2_b64 v65, v[68:69], v[66:67] offset0:96 offset1:112
	ds_read_b128 v[34:37], v48 offset:1952
	ds_read_b128 v[38:41], v64
	ds_read_b64 v[18:19], v64 offset:32
	ds_read_b64 v[46:47], v64 offset:40
	;; [unrolled: 1-line block ×3, first 2 shown]
	ds_read_b128 v[42:45], v48 offset:1824
	s_waitcnt lgkmcnt(4)
	v_pk_mul_f32 v[30:31], v[36:37], v[38:39]
	v_mov_b32_e32 v24, v39
	v_sub_f32_e32 v30, v30, v31
	v_mov_b32_e32 v25, v41
	v_sub_f32_e32 v10, v10, v30
	v_mov_b32_e32 v30, v37
	s_waitcnt lgkmcnt(0)
	v_mov_b32_e32 v37, v45
	v_mov_b32_e32 v12, v38
	;; [unrolled: 1-line block ×4, first 2 shown]
	v_pk_mul_f32 v[24:25], v[36:37], v[24:25]
	s_nop 0
	v_pk_fma_f32 v[36:37], v[30:31], v[12:13], v[24:25] neg_lo:[0,0,1] neg_hi:[0,0,1]
	v_pk_fma_f32 v[12:13], v[30:31], v[12:13], v[24:25]
	s_nop 0
	v_pk_mov_b32 v[12:13], v[36:37], v[12:13] op_sel:[1,0]
	ds_read_b128 v[36:39], v48 offset:1184
	v_pk_add_f32 v[24:25], v[10:11], v[12:13] neg_lo:[0,1] neg_hi:[0,1]
	v_mul_f32_e32 v10, v45, v40
	v_fmac_f32_e32 v10, v44, v41
	v_sub_f32_e32 v25, v25, v10
	ds_read_b128 v[10:13], v48 offset:1696
	s_waitcnt lgkmcnt(0)
	v_mul_f32_e32 v30, v13, v27
	v_fma_f32 v30, v12, v26, -v30
	v_mul_f32_e32 v12, v12, v27
	v_fmac_f32_e32 v12, v13, v26
	v_sub_f32_e32 v13, v24, v30
	v_sub_f32_e32 v12, v25, v12
	ds_read_b128 v[24:27], v48 offset:1568
	s_waitcnt lgkmcnt(0)
	v_mul_f32_e32 v30, v27, v29
	v_fma_f32 v30, v26, v28, -v30
	v_mul_f32_e32 v26, v26, v29
	v_fmac_f32_e32 v26, v27, v28
	v_sub_f32_e32 v12, v12, v26
	ds_read_b128 v[26:29], v48 offset:1440
	v_sub_f32_e32 v13, v13, v30
	s_waitcnt lgkmcnt(0)
	v_mul_f32_e32 v30, v29, v19
	v_fma_f32 v30, v28, v18, -v30
	v_mul_f32_e32 v19, v28, v19
	v_fmac_f32_e32 v19, v29, v18
	v_sub_f32_e32 v13, v13, v30
	ds_read_b128 v[28:31], v48 offset:1312
	v_sub_f32_e32 v12, v12, v19
	s_waitcnt lgkmcnt(0)
	v_mul_f32_e32 v18, v31, v47
	v_mul_f32_e32 v19, v30, v47
	v_fma_f32 v18, v30, v46, -v18
	v_fmac_f32_e32 v19, v31, v46
	v_sub_f32_e32 v13, v13, v18
	v_sub_f32_e32 v12, v12, v19
	v_mul_f32_e32 v18, v39, v53
	v_mul_f32_e32 v19, v38, v53
	v_fma_f32 v18, v38, v52, -v18
	v_fmac_f32_e32 v19, v39, v52
	ds_read_b128 v[38:41], v48 offset:1056
	ds_read_b128 v[44:47], v48 offset:928
	;; [unrolled: 1-line block ×3, first 2 shown]
	v_sub_f32_e32 v13, v13, v18
	v_sub_f32_e32 v12, v12, v19
	s_waitcnt lgkmcnt(2)
	v_mul_f32_e32 v18, v41, v63
	v_mul_f32_e32 v19, v40, v63
	v_fma_f32 v18, v40, v62, -v18
	v_fmac_f32_e32 v19, v41, v62
	v_sub_f32_e32 v13, v13, v18
	v_sub_f32_e32 v12, v12, v19
	s_waitcnt lgkmcnt(1)
	v_mul_f32_e32 v18, v47, v67
	v_mul_f32_e32 v19, v46, v67
	v_fma_f32 v18, v46, v66, -v18
	v_fmac_f32_e32 v19, v47, v66
	;; [unrolled: 7-line block ×3, first 2 shown]
	ds_read_b128 v[54:57], v48 offset:672
	v_sub_f32_e32 v12, v12, v19
	v_sub_f32_e32 v13, v13, v18
	v_mov_b32_e32 v46, v35
	v_mov_b32_e32 v47, v42
	s_waitcnt lgkmcnt(0)
	v_mul_f32_e32 v18, v57, v12
	v_mul_f32_e32 v71, v56, v12
	v_fma_f32 v70, v56, v13, -v18
	v_fmac_f32_e32 v71, v57, v13
	ds_read2_b64 v[56:59], v64 offset0:1 offset1:2
	ds_read_b128 v[72:75], v64
	ds_read_b64 v[12:13], v64 offset:40
	ds_read_b64 v[18:19], v64 offset:48
	s_waitcnt lgkmcnt(2)
	v_mov_b32_e32 v31, v74
	v_mov_b32_e32 v74, v73
	v_pk_mul_f32 v[40:41], v[34:35], v[72:73]
	v_mov_b32_e32 v35, v43
	v_mov_b32_e32 v30, v72
	v_pk_mul_f32 v[34:35], v[34:35], v[74:75]
	v_sub_f32_e32 v40, v40, v41
	v_pk_fma_f32 v[60:61], v[46:47], v[30:31], v[34:35] neg_lo:[0,0,1] neg_hi:[0,0,1]
	v_pk_fma_f32 v[30:31], v[46:47], v[30:31], v[34:35]
	v_sub_f32_e32 v8, v8, v40
	v_pk_mov_b32 v[30:31], v[60:61], v[30:31] op_sel:[1,0]
	v_mov_b32_e32 v40, v56
	v_mov_b32_e32 v56, v57
	v_mov_b32_e32 v57, v59
	v_pk_add_f32 v[8:9], v[8:9], v[30:31] neg_lo:[0,1] neg_hi:[0,1]
	v_mov_b32_e32 v30, v43
	v_mov_b32_e32 v43, v11
	;; [unrolled: 1-line block ×4, first 2 shown]
	v_pk_mul_f32 v[34:35], v[42:43], v[56:57]
	v_mul_f32_e32 v11, v11, v58
	v_pk_fma_f32 v[42:43], v[30:31], v[40:41], v[34:35] neg_lo:[0,0,1] neg_hi:[0,0,1]
	v_pk_fma_f32 v[30:31], v[30:31], v[40:41], v[34:35]
	v_fmac_f32_e32 v11, v10, v59
	v_pk_mov_b32 v[30:31], v[42:43], v[30:31] op_sel:[1,0]
	v_mul_f32_e32 v10, v25, v51
	v_pk_add_f32 v[8:9], v[8:9], v[30:31] neg_lo:[0,1] neg_hi:[0,1]
	v_fma_f32 v10, v24, v50, -v10
	v_sub_f32_e32 v9, v9, v11
	v_mul_f32_e32 v11, v24, v51
	v_fmac_f32_e32 v11, v25, v50
	v_sub_f32_e32 v9, v9, v11
	v_mul_f32_e32 v11, v26, v33
	v_sub_f32_e32 v8, v8, v10
	v_mul_f32_e32 v10, v27, v33
	v_fmac_f32_e32 v11, v27, v32
	v_fma_f32 v10, v26, v32, -v10
	v_sub_f32_e32 v9, v9, v11
	s_waitcnt lgkmcnt(1)
	v_mul_f32_e32 v11, v28, v13
	v_sub_f32_e32 v8, v8, v10
	v_mul_f32_e32 v10, v29, v13
	v_fmac_f32_e32 v11, v29, v12
	v_fma_f32 v10, v28, v12, -v10
	v_sub_f32_e32 v9, v9, v11
	s_waitcnt lgkmcnt(0)
	v_mul_f32_e32 v11, v36, v19
	v_sub_f32_e32 v8, v8, v10
	v_mul_f32_e32 v10, v37, v19
	v_fmac_f32_e32 v11, v37, v18
	v_fma_f32 v10, v36, v18, -v10
	v_sub_f32_e32 v9, v9, v11
	v_mul_f32_e32 v11, v38, v63
	v_sub_f32_e32 v8, v8, v10
	v_mul_f32_e32 v10, v39, v63
	v_fmac_f32_e32 v11, v39, v62
	v_fma_f32 v10, v38, v62, -v10
	v_sub_f32_e32 v9, v9, v11
	;; [unrolled: 6-line block ×5, first 2 shown]
	v_sub_f32_e32 v8, v8, v10
	v_mul_f32_e32 v10, v23, v9
	v_mul_f32_e32 v73, v22, v9
	v_fma_f32 v72, v22, v8, -v10
	v_fmac_f32_e32 v73, v23, v8
	ds_write2_b64 v65, v[72:73], v[70:71] offset0:64 offset1:80
	ds_read_b128 v[8:11], v48 offset:1936
	ds_read2_b64 v[22:25], v64 offset0:1 offset1:2
	ds_read_b128 v[26:29], v64
	ds_read_b128 v[30:33], v64 offset:16
	ds_read_b64 v[18:19], v64 offset:48
	ds_read_b128 v[42:45], v48 offset:1808
	s_waitcnt lgkmcnt(5)
	v_mov_b32_e32 v34, v11
	s_waitcnt lgkmcnt(3)
	v_mov_b32_e32 v12, v26
	v_mov_b32_e32 v13, v28
	;; [unrolled: 1-line block ×3, first 2 shown]
	v_pk_mul_f32 v[26:27], v[10:11], v[26:27]
	s_waitcnt lgkmcnt(0)
	v_mov_b32_e32 v11, v45
	v_sub_f32_e32 v26, v26, v27
	v_mov_b32_e32 v35, v44
	v_pk_mul_f32 v[10:11], v[10:11], v[28:29]
	v_sub_f32_e32 v2, v2, v26
	v_mov_b32_e32 v26, v22
	v_mov_b32_e32 v27, v24
	;; [unrolled: 1-line block ×3, first 2 shown]
	v_pk_fma_f32 v[22:23], v[34:35], v[12:13], v[10:11] neg_lo:[0,0,1] neg_hi:[0,0,1]
	v_pk_fma_f32 v[10:11], v[34:35], v[12:13], v[10:11]
	v_mov_b32_e32 v28, v30
	v_pk_mov_b32 v[10:11], v[22:23], v[10:11] op_sel:[1,0]
	v_mov_b32_e32 v22, v45
	v_pk_add_f32 v[2:3], v[2:3], v[10:11] neg_lo:[0,1] neg_hi:[0,1]
	ds_read_b128 v[10:13], v48 offset:1680
	v_mov_b32_e32 v30, v31
	v_mov_b32_e32 v31, v33
	;; [unrolled: 1-line block ×3, first 2 shown]
	ds_read_b128 v[50:53], v48 offset:1296
	s_waitcnt lgkmcnt(1)
	v_mov_b32_e32 v45, v13
	v_mov_b32_e32 v23, v12
	v_pk_mul_f32 v[24:25], v[44:45], v[24:25]
	ds_read_b128 v[80:83], v48 offset:656
	v_pk_fma_f32 v[34:35], v[22:23], v[26:27], v[24:25] neg_lo:[0,0,1] neg_hi:[0,0,1]
	v_pk_fma_f32 v[22:23], v[22:23], v[26:27], v[24:25]
	v_mov_b32_e32 v26, v13
	v_pk_mov_b32 v[22:23], v[34:35], v[22:23] op_sel:[1,0]
	s_nop 0
	v_pk_add_f32 v[2:3], v[2:3], v[22:23] neg_lo:[0,1] neg_hi:[0,1]
	ds_read_b128 v[22:25], v48 offset:1552
	s_waitcnt lgkmcnt(0)
	v_mov_b32_e32 v13, v25
	v_mov_b32_e32 v27, v24
	v_pk_mul_f32 v[12:13], v[12:13], v[30:31]
	s_nop 0
	v_pk_fma_f32 v[30:31], v[26:27], v[28:29], v[12:13] neg_lo:[0,0,1] neg_hi:[0,0,1]
	v_pk_fma_f32 v[12:13], v[26:27], v[28:29], v[12:13]
	s_nop 0
	v_pk_mov_b32 v[12:13], v[30:31], v[12:13] op_sel:[1,0]
	s_nop 0
	v_pk_add_f32 v[2:3], v[2:3], v[12:13] neg_lo:[0,1] neg_hi:[0,1]
	v_mul_f32_e32 v12, v25, v32
	v_fmac_f32_e32 v12, v24, v33
	ds_read_b128 v[24:27], v48 offset:1424
	v_sub_f32_e32 v3, v3, v12
	s_waitcnt lgkmcnt(0)
	v_mul_f32_e32 v12, v27, v15
	v_mul_f32_e32 v13, v26, v15
	v_fma_f32 v12, v26, v14, -v12
	v_fmac_f32_e32 v13, v27, v14
	v_sub_f32_e32 v2, v2, v12
	v_sub_f32_e32 v3, v3, v13
	v_mul_f32_e32 v12, v53, v17
	v_mul_f32_e32 v13, v52, v17
	v_fma_f32 v12, v52, v16, -v12
	v_fmac_f32_e32 v13, v53, v16
	ds_read_b128 v[52:55], v48 offset:1168
	v_sub_f32_e32 v2, v2, v12
	v_sub_f32_e32 v3, v3, v13
	s_waitcnt lgkmcnt(0)
	v_mul_f32_e32 v12, v55, v19
	v_mul_f32_e32 v13, v54, v19
	v_fma_f32 v12, v54, v18, -v12
	v_fmac_f32_e32 v13, v55, v18
	ds_read_b128 v[54:57], v48 offset:1040
	v_sub_f32_e32 v2, v2, v12
	v_sub_f32_e32 v3, v3, v13
	s_waitcnt lgkmcnt(0)
	;; [unrolled: 8-line block ×4, first 2 shown]
	v_mul_f32_e32 v12, v61, v69
	v_mul_f32_e32 v13, v60, v69
	v_fma_f32 v12, v60, v68, -v12
	v_fmac_f32_e32 v13, v61, v68
	v_sub_f32_e32 v2, v2, v12
	v_sub_f32_e32 v3, v3, v13
	v_mul_f32_e32 v12, v83, v71
	v_mul_f32_e32 v13, v82, v71
	v_fma_f32 v12, v82, v70, -v12
	v_fmac_f32_e32 v13, v83, v70
	ds_read_b128 v[82:85], v48 offset:528
	v_sub_f32_e32 v2, v2, v12
	v_sub_f32_e32 v3, v3, v13
	s_waitcnt lgkmcnt(0)
	v_mul_f32_e32 v12, v85, v73
	v_mul_f32_e32 v13, v84, v73
	v_fma_f32 v12, v84, v72, -v12
	v_fmac_f32_e32 v13, v85, v72
	ds_read_b128 v[84:87], v48 offset:400
	v_sub_f32_e32 v3, v3, v13
	v_sub_f32_e32 v2, v2, v12
	s_waitcnt lgkmcnt(0)
	v_mul_f32_e32 v12, v87, v3
	v_mul_f32_e32 v75, v86, v3
	v_fma_f32 v74, v86, v2, -v12
	v_fmac_f32_e32 v75, v87, v2
	ds_read_b128 v[86:89], v64
	ds_read_b128 v[12:15], v64 offset:16
	ds_read_b128 v[26:29], v64 offset:32
	ds_read_b64 v[34:35], v64 offset:48
	ds_read2_b64 v[30:33], v64 offset0:3 offset1:4
	s_waitcnt lgkmcnt(4)
	v_pk_mul_f32 v[2:3], v[8:9], v[86:87]
	v_mov_b32_e32 v36, v87
	v_sub_f32_e32 v2, v2, v3
	v_sub_f32_e32 v0, v0, v2
	v_mov_b32_e32 v2, v9
	v_mov_b32_e32 v9, v43
	;; [unrolled: 1-line block ×4, first 2 shown]
	v_pk_mul_f32 v[8:9], v[8:9], v[36:37]
	v_mov_b32_e32 v38, v86
	v_mov_b32_e32 v39, v88
	v_pk_fma_f32 v[16:17], v[2:3], v[38:39], v[8:9] neg_lo:[0,0,1] neg_hi:[0,0,1]
	v_pk_fma_f32 v[2:3], v[2:3], v[38:39], v[8:9]
	s_waitcnt lgkmcnt(3)
	v_mov_b32_e32 v44, v13
	v_pk_mov_b32 v[2:3], v[16:17], v[2:3] op_sel:[1,0]
	ds_read2_b64 v[16:19], v64 offset0:1 offset1:2
	v_pk_add_f32 v[0:1], v[0:1], v[2:3] neg_lo:[0,1] neg_hi:[0,1]
	v_mov_b32_e32 v2, v43
	v_mov_b32_e32 v43, v11
	;; [unrolled: 1-line block ×3, first 2 shown]
	s_waitcnt lgkmcnt(0)
	v_mov_b32_e32 v40, v17
	v_mov_b32_e32 v41, v19
	v_pk_mul_f32 v[8:9], v[42:43], v[40:41]
	v_mov_b32_e32 v17, v18
	v_pk_fma_f32 v[18:19], v[2:3], v[16:17], v[8:9] neg_lo:[0,0,1] neg_hi:[0,0,1]
	v_pk_fma_f32 v[2:3], v[2:3], v[16:17], v[8:9]
	v_mov_b32_e32 v45, v15
	v_pk_mov_b32 v[2:3], v[18:19], v[2:3] op_sel:[1,0]
	v_mov_b32_e32 v13, v14
	v_pk_add_f32 v[0:1], v[0:1], v[2:3] neg_lo:[0,1] neg_hi:[0,1]
	v_mov_b32_e32 v2, v11
	v_mov_b32_e32 v11, v23
	;; [unrolled: 1-line block ×3, first 2 shown]
	v_pk_mul_f32 v[8:9], v[10:11], v[44:45]
	v_mov_b32_e32 v42, v31
	v_pk_fma_f32 v[10:11], v[2:3], v[12:13], v[8:9] neg_lo:[0,0,1] neg_hi:[0,0,1]
	v_pk_fma_f32 v[2:3], v[2:3], v[12:13], v[8:9]
	v_mov_b32_e32 v43, v33
	v_pk_mov_b32 v[2:3], v[10:11], v[2:3] op_sel:[1,0]
	v_mov_b32_e32 v31, v32
	v_pk_add_f32 v[0:1], v[0:1], v[2:3] neg_lo:[0,1] neg_hi:[0,1]
	v_mov_b32_e32 v2, v23
	v_mov_b32_e32 v23, v25
	;; [unrolled: 1-line block ×3, first 2 shown]
	v_pk_mul_f32 v[8:9], v[22:23], v[42:43]
	s_nop 0
	v_pk_fma_f32 v[10:11], v[2:3], v[30:31], v[8:9] neg_lo:[0,0,1] neg_hi:[0,0,1]
	v_pk_fma_f32 v[2:3], v[2:3], v[30:31], v[8:9]
	s_nop 0
	v_pk_mov_b32 v[2:3], v[10:11], v[2:3] op_sel:[1,0]
	s_nop 0
	v_pk_add_f32 v[0:1], v[0:1], v[2:3] neg_lo:[0,1] neg_hi:[0,1]
	v_mul_f32_e32 v2, v25, v32
	v_fmac_f32_e32 v2, v24, v33
	v_sub_f32_e32 v1, v1, v2
	v_mul_f32_e32 v2, v51, v21
	v_mul_f32_e32 v3, v50, v21
	v_fma_f32 v2, v50, v20, -v2
	v_fmac_f32_e32 v3, v51, v20
	v_sub_f32_e32 v0, v0, v2
	v_sub_f32_e32 v1, v1, v3
	v_mul_f32_e32 v2, v53, v35
	v_mul_f32_e32 v3, v52, v35
	v_fma_f32 v2, v52, v34, -v2
	v_fmac_f32_e32 v3, v53, v34
	v_sub_f32_e32 v0, v0, v2
	;; [unrolled: 6-line block ×8, first 2 shown]
	v_sub_f32_e32 v9, v1, v3
	ds_read2_b64 v[0:3], v48 offset1:34
	ds_read_b128 v[22:25], v48 offset:1792
	ds_read_b128 v[18:21], v48 offset:1664
	s_waitcnt lgkmcnt(2)
	v_mul_f32_e32 v10, v3, v9
	v_mul_f32_e32 v77, v2, v9
	v_fma_f32 v76, v2, v8, -v10
	v_fmac_f32_e32 v77, v3, v8
	ds_read_b128 v[8:11], v48 offset:1920
	ds_write2_b64 v65, v[76:77], v[74:75] offset0:32 offset1:48
	s_waitcnt lgkmcnt(1)
	v_pk_mul_f32 v[2:3], v[10:11], v[86:87]
	s_nop 0
	v_sub_f32_e32 v2, v2, v3
	v_sub_f32_e32 v6, v6, v2
	v_mov_b32_e32 v2, v11
	v_mov_b32_e32 v11, v25
	;; [unrolled: 1-line block ×3, first 2 shown]
	v_pk_mul_f32 v[10:11], v[10:11], v[36:37]
	s_nop 0
	v_pk_fma_f32 v[14:15], v[2:3], v[38:39], v[10:11] neg_lo:[0,0,1] neg_hi:[0,0,1]
	v_pk_fma_f32 v[2:3], v[2:3], v[38:39], v[10:11]
	s_nop 0
	v_pk_mov_b32 v[2:3], v[14:15], v[2:3] op_sel:[1,0]
	s_nop 0
	v_pk_add_f32 v[2:3], v[6:7], v[2:3] neg_lo:[0,1] neg_hi:[0,1]
	v_mov_b32_e32 v6, v25
	v_mov_b32_e32 v25, v21
	;; [unrolled: 1-line block ×3, first 2 shown]
	v_pk_mul_f32 v[10:11], v[24:25], v[40:41]
	s_nop 0
	v_pk_fma_f32 v[14:15], v[6:7], v[16:17], v[10:11] neg_lo:[0,0,1] neg_hi:[0,0,1]
	v_pk_fma_f32 v[6:7], v[6:7], v[16:17], v[10:11]
	s_nop 0
	v_pk_mov_b32 v[6:7], v[14:15], v[6:7] op_sel:[1,0]
	ds_read_b128 v[14:17], v48 offset:1536
	v_pk_add_f32 v[2:3], v[2:3], v[6:7] neg_lo:[0,1] neg_hi:[0,1]
	v_mov_b32_e32 v6, v21
	s_waitcnt lgkmcnt(0)
	v_mov_b32_e32 v21, v17
	v_mov_b32_e32 v7, v16
	v_pk_mul_f32 v[10:11], v[20:21], v[44:45]
	v_mov_b32_e32 v24, v17
	v_pk_fma_f32 v[20:21], v[6:7], v[12:13], v[10:11] neg_lo:[0,0,1] neg_hi:[0,0,1]
	v_pk_fma_f32 v[6:7], v[6:7], v[12:13], v[10:11]
	ds_read_b128 v[10:13], v48 offset:1408
	v_pk_mov_b32 v[6:7], v[20:21], v[6:7] op_sel:[1,0]
	ds_read_b128 v[44:47], v48 offset:1024
	v_pk_add_f32 v[20:21], v[2:3], v[6:7] neg_lo:[0,1] neg_hi:[0,1]
	v_mov_b32_e32 v2, v26
	s_waitcnt lgkmcnt(1)
	v_mov_b32_e32 v17, v13
	v_mov_b32_e32 v25, v12
	v_pk_mul_f32 v[16:17], v[16:17], v[42:43]
	v_mov_b32_e32 v6, v27
	v_pk_fma_f32 v[26:27], v[24:25], v[30:31], v[16:17] neg_lo:[0,0,1] neg_hi:[0,0,1]
	v_pk_fma_f32 v[16:17], v[24:25], v[30:31], v[16:17]
	v_mov_b32_e32 v7, v29
	v_pk_mov_b32 v[16:17], v[26:27], v[16:17] op_sel:[1,0]
	ds_read_b128 v[24:27], v48 offset:1280
	v_pk_add_f32 v[16:17], v[20:21], v[16:17] neg_lo:[0,1] neg_hi:[0,1]
	v_mov_b32_e32 v20, v13
	v_mov_b32_e32 v3, v28
	s_waitcnt lgkmcnt(0)
	v_mov_b32_e32 v13, v27
	v_mov_b32_e32 v21, v26
	v_pk_mul_f32 v[6:7], v[12:13], v[6:7]
	s_nop 0
	v_pk_fma_f32 v[12:13], v[20:21], v[2:3], v[6:7] neg_lo:[0,0,1] neg_hi:[0,0,1]
	v_pk_fma_f32 v[2:3], v[20:21], v[2:3], v[6:7]
	v_mul_f32_e32 v6, v27, v28
	v_fmac_f32_e32 v6, v26, v29
	ds_read_b128 v[26:29], v48 offset:1152
	v_pk_mov_b32 v[2:3], v[12:13], v[2:3] op_sel:[1,0]
	s_waitcnt lgkmcnt(0)
	v_mul_f32_e32 v7, v28, v35
	v_pk_add_f32 v[2:3], v[16:17], v[2:3] neg_lo:[0,1] neg_hi:[0,1]
	v_fmac_f32_e32 v7, v29, v34
	v_sub_f32_e32 v3, v3, v6
	v_mul_f32_e32 v6, v29, v35
	v_fma_f32 v6, v28, v34, -v6
	ds_read_b128 v[28:31], v48 offset:896
	v_sub_f32_e32 v2, v2, v6
	v_sub_f32_e32 v3, v3, v7
	v_mul_f32_e32 v6, v47, v63
	v_mul_f32_e32 v7, v46, v63
	v_fma_f32 v6, v46, v62, -v6
	v_fmac_f32_e32 v7, v47, v62
	v_sub_f32_e32 v2, v2, v6
	v_sub_f32_e32 v3, v3, v7
	s_waitcnt lgkmcnt(0)
	v_mul_f32_e32 v6, v31, v67
	v_mul_f32_e32 v7, v30, v67
	v_fma_f32 v6, v30, v66, -v6
	v_fmac_f32_e32 v7, v31, v66
	ds_read_b128 v[30:33], v48 offset:768
	v_sub_f32_e32 v2, v2, v6
	v_sub_f32_e32 v3, v3, v7
	v_mov_b32_e32 v16, v9
	v_mov_b32_e32 v17, v22
	s_waitcnt lgkmcnt(0)
	v_mul_f32_e32 v6, v33, v69
	v_mul_f32_e32 v7, v32, v69
	v_fma_f32 v6, v32, v68, -v6
	v_fmac_f32_e32 v7, v33, v68
	ds_read_b128 v[32:35], v48 offset:640
	v_sub_f32_e32 v2, v2, v6
	v_sub_f32_e32 v3, v3, v7
	s_waitcnt lgkmcnt(0)
	v_mul_f32_e32 v6, v35, v71
	v_mul_f32_e32 v7, v34, v71
	v_fma_f32 v6, v34, v70, -v6
	v_fmac_f32_e32 v7, v35, v70
	ds_read_b128 v[34:37], v48 offset:512
	v_sub_f32_e32 v2, v2, v6
	v_sub_f32_e32 v3, v3, v7
	;; [unrolled: 8-line block ×4, first 2 shown]
	s_waitcnt lgkmcnt(0)
	v_mul_f32_e32 v6, v41, v77
	v_mul_f32_e32 v7, v40, v77
	v_fma_f32 v6, v40, v76, -v6
	v_fmac_f32_e32 v7, v41, v76
	ds_read_b128 v[40:43], v48 offset:128
	ds_read2_b64 v[46:49], v64 offset0:1 offset1:2
	ds_read_b128 v[80:83], v64
	ds_read_b128 v[58:61], v64 offset:16
	ds_read_b128 v[50:53], v64 offset:32
	v_sub_f32_e32 v3, v3, v7
	v_sub_f32_e32 v2, v2, v6
	s_waitcnt lgkmcnt(2)
	v_pk_mul_f32 v[12:13], v[8:9], v[80:81]
	v_mul_f32_e32 v6, v43, v3
	v_mul_f32_e32 v7, v42, v3
	v_mov_b32_e32 v3, v82
	v_mov_b32_e32 v82, v81
	;; [unrolled: 1-line block ×3, first 2 shown]
	v_fma_f32 v6, v42, v2, -v6
	v_fmac_f32_e32 v7, v43, v2
	v_mov_b32_e32 v2, v80
	v_pk_mul_f32 v[8:9], v[8:9], v[82:83]
	ds_read2_b64 v[54:57], v64 offset0:3 offset1:4
	v_pk_fma_f32 v[20:21], v[16:17], v[2:3], v[8:9] neg_lo:[0,0,1] neg_hi:[0,0,1]
	v_pk_fma_f32 v[2:3], v[16:17], v[2:3], v[8:9]
	v_sub_f32_e32 v12, v12, v13
	v_mov_b32_e32 v13, v48
	v_mov_b32_e32 v48, v47
	v_pk_mov_b32 v[2:3], v[20:21], v[2:3] op_sel:[1,0]
	v_mov_b32_e32 v20, v23
	v_mov_b32_e32 v23, v19
	v_sub_f32_e32 v4, v4, v12
	v_mov_b32_e32 v12, v46
	v_mov_b32_e32 v21, v18
	v_pk_mul_f32 v[22:23], v[22:23], v[48:49]
	s_waitcnt lgkmcnt(2)
	v_mov_b32_e32 v9, v60
	v_mov_b32_e32 v60, v59
	v_pk_fma_f32 v[42:43], v[20:21], v[12:13], v[22:23] neg_lo:[0,0,1] neg_hi:[0,0,1]
	v_pk_fma_f32 v[12:13], v[20:21], v[12:13], v[22:23]
	v_mov_b32_e32 v20, v19
	v_mov_b32_e32 v19, v15
	v_pk_add_f32 v[16:17], v[4:5], v[2:3] neg_lo:[0,1] neg_hi:[0,1]
	v_mov_b32_e32 v8, v58
	v_pk_mov_b32 v[12:13], v[42:43], v[12:13] op_sel:[1,0]
	v_mov_b32_e32 v21, v14
	v_pk_mul_f32 v[18:19], v[18:19], v[60:61]
	ds_read2_b64 v[2:5], v64 offset0:5 offset1:6
	v_pk_add_f32 v[12:13], v[16:17], v[12:13] neg_lo:[0,1] neg_hi:[0,1]
	s_waitcnt lgkmcnt(1)
	v_mov_b32_e32 v17, v56
	v_mov_b32_e32 v56, v55
	v_pk_fma_f32 v[22:23], v[20:21], v[8:9], v[18:19] neg_lo:[0,0,1] neg_hi:[0,0,1]
	v_pk_fma_f32 v[8:9], v[20:21], v[8:9], v[18:19]
	v_mov_b32_e32 v18, v15
	v_mov_b32_e32 v15, v11
	v_mov_b32_e32 v16, v54
	v_pk_mov_b32 v[8:9], v[22:23], v[8:9] op_sel:[1,0]
	v_mov_b32_e32 v19, v10
	v_pk_mul_f32 v[14:15], v[14:15], v[56:57]
	v_pk_add_f32 v[8:9], v[12:13], v[8:9] neg_lo:[0,1] neg_hi:[0,1]
	v_mov_b32_e32 v13, v52
	v_mov_b32_e32 v52, v51
	v_pk_fma_f32 v[20:21], v[18:19], v[16:17], v[14:15] neg_lo:[0,0,1] neg_hi:[0,0,1]
	v_pk_fma_f32 v[14:15], v[18:19], v[16:17], v[14:15]
	v_mov_b32_e32 v16, v11
	v_mov_b32_e32 v11, v25
	;; [unrolled: 1-line block ×4, first 2 shown]
	v_pk_mul_f32 v[10:11], v[10:11], v[52:53]
	v_pk_mov_b32 v[14:15], v[20:21], v[14:15] op_sel:[1,0]
	v_pk_fma_f32 v[18:19], v[16:17], v[12:13], v[10:11] neg_lo:[0,0,1] neg_hi:[0,0,1]
	v_pk_fma_f32 v[10:11], v[16:17], v[12:13], v[10:11]
	v_pk_add_f32 v[8:9], v[8:9], v[14:15] neg_lo:[0,1] neg_hi:[0,1]
	v_pk_mov_b32 v[10:11], v[18:19], v[10:11] op_sel:[1,0]
	s_waitcnt lgkmcnt(0)
	v_mov_b32_e32 v14, v2
	v_mov_b32_e32 v2, v3
	;; [unrolled: 1-line block ×3, first 2 shown]
	v_pk_add_f32 v[8:9], v[8:9], v[10:11] neg_lo:[0,1] neg_hi:[0,1]
	v_mov_b32_e32 v10, v25
	v_mov_b32_e32 v25, v27
	;; [unrolled: 1-line block ×4, first 2 shown]
	v_pk_mul_f32 v[2:3], v[24:25], v[2:3]
	s_nop 0
	v_pk_fma_f32 v[12:13], v[10:11], v[14:15], v[2:3] neg_lo:[0,0,1] neg_hi:[0,0,1]
	v_pk_fma_f32 v[2:3], v[10:11], v[14:15], v[2:3]
	v_mov_b32_e32 v10, v5
	v_pk_mov_b32 v[2:3], v[12:13], v[2:3] op_sel:[1,0]
	v_mov_b32_e32 v11, v63
	v_pk_add_f32 v[2:3], v[8:9], v[2:3] neg_lo:[0,1] neg_hi:[0,1]
	v_mov_b32_e32 v8, v26
	v_mov_b32_e32 v9, v44
	v_pk_mul_f32 v[8:9], v[8:9], v[10:11]
	v_mov_b32_e32 v10, v27
	v_mov_b32_e32 v11, v45
	;; [unrolled: 1-line block ×3, first 2 shown]
	v_pk_fma_f32 v[4:5], v[10:11], v[4:5], v[8:9]
	v_mul_f32_e32 v8, v45, v63
	v_sub_f32_e32 v3, v3, v4
	v_fma_f32 v8, v44, v62, -v8
	v_sub_f32_e32 v3, v3, v5
	v_mul_f32_e32 v4, v29, v67
	v_mul_f32_e32 v5, v28, v67
	v_sub_f32_e32 v2, v2, v8
	v_fma_f32 v4, v28, v66, -v4
	v_fmac_f32_e32 v5, v29, v66
	v_sub_f32_e32 v2, v2, v4
	v_sub_f32_e32 v3, v3, v5
	v_mul_f32_e32 v4, v31, v69
	v_mul_f32_e32 v5, v30, v69
	v_fma_f32 v4, v30, v68, -v4
	v_fmac_f32_e32 v5, v31, v68
	v_sub_f32_e32 v2, v2, v4
	v_sub_f32_e32 v3, v3, v5
	v_mul_f32_e32 v4, v33, v71
	v_mul_f32_e32 v5, v32, v71
	;; [unrolled: 6-line block ×6, first 2 shown]
	v_fma_f32 v4, v40, v6, -v4
	v_fmac_f32_e32 v5, v41, v6
	v_sub_f32_e32 v2, v2, v4
	v_sub_f32_e32 v4, v3, v5
	v_pk_mul_f32 v[4:5], v[0:1], v[4:5] op_sel:[1,0] op_sel_hi:[0,0]
	v_pk_fma_f32 v[8:9], v[0:1], v[2:3], v[4:5] neg_lo:[0,0,1] neg_hi:[0,0,1]
	v_pk_fma_f32 v[0:1], v[0:1], v[2:3], v[4:5] op_sel_hi:[1,0,1]
	s_nop 0
	v_mov_b32_e32 v9, v1
	ds_write2_b64 v65, v[8:9], v[6:7] offset1:16
.LBB148_44:
	s_cmp_gt_i32 s1, -1
	s_cbranch_scc0 .LBB148_69
; %bb.45:
	s_cmp_lt_u32 s1, 11
	s_cbranch_scc1 .LBB148_51
; %bb.46:
	s_lshl_b32 s8, s1, 7
	v_add_u32_e32 v46, s8, v65
	v_add_u32_e32 v0, 0xffffff80, v46
	ds_read_b64 v[4:5], v46
	ds_read_b64 v[6:7], v0
	v_add_u32_e32 v0, 0xffffff00, v46
	v_add_u32_e32 v2, 0xfffffe80, v46
	ds_read_b64 v[0:1], v0
	ds_read_b64 v[2:3], v2
	v_add_u32_e32 v8, 0xfffffe00, v46
	s_waitcnt lgkmcnt(2)
	ds_write_b128 v64, v[4:7]
	v_add_u32_e32 v10, 0xfffffd80, v46
	v_add_u32_e32 v12, 0xfffffd00, v46
	v_add_u32_e32 v14, 0xfffffc80, v46
	ds_read_b64 v[8:9], v8
	ds_read_b64 v[10:11], v10
	;; [unrolled: 1-line block ×4, first 2 shown]
	v_add_u32_e32 v14, 0xfffffc00, v46
	v_add_u32_e32 v15, 0xfffffb80, v46
	;; [unrolled: 1-line block ×4, first 2 shown]
	ds_read_b64 v[34:35], v14
	ds_read_b64 v[32:33], v15
	;; [unrolled: 1-line block ×4, first 2 shown]
	s_cmp_le_i32 s0, s1
	s_waitcnt lgkmcnt(9)
	ds_write_b128 v64, v[0:3] offset:16
	s_waitcnt lgkmcnt(7)
	ds_write_b128 v64, v[8:11] offset:32
	s_waitcnt lgkmcnt(7)
	ds_write_b64 v64, v[12:13] offset:48
	s_cbranch_scc1 .LBB148_50
; %bb.47:
	s_lshl_b32 s10, s30, 7
	s_lshl_b32 s11, s1, 3
	v_lshl_add_u32 v14, v78, 3, s10
	s_add_i32 s10, s10, s11
	v_add_u32_e32 v14, 0x780, v14
	s_addk_i32 s10, 0xff28
	s_mov_b32 s11, s0
.LBB148_48:                             ; =>This Inner Loop Header: Depth=1
	v_mov_b32_e32 v15, s10
	ds_read_b64 v[52:53], v14
	ds_read2_b64 v[16:19], v15 offset0:10 offset1:11
	ds_read2_b64 v[20:23], v15 offset0:8 offset1:9
	;; [unrolled: 1-line block ×5, first 2 shown]
	ds_read2_b64 v[48:51], v15 offset1:1
	s_add_i32 s11, s11, -1
	s_addk_i32 s10, 0xff80
	v_add_u32_e32 v14, 0xffffff80, v14
	s_waitcnt lgkmcnt(5)
	v_pk_mul_f32 v[54:55], v[18:19], v[52:53] op_sel:[0,1]
	v_pk_mul_f32 v[56:57], v[16:17], v[52:53] op_sel:[0,1]
	s_waitcnt lgkmcnt(4)
	v_pk_mul_f32 v[58:59], v[22:23], v[52:53] op_sel:[0,1]
	v_pk_mul_f32 v[60:61], v[20:21], v[52:53] op_sel:[0,1]
	;; [unrolled: 3-line block ×6, first 2 shown]
	v_pk_fma_f32 v[82:83], v[18:19], v[52:53], v[54:55] op_sel:[0,0,1] op_sel_hi:[1,1,0] neg_lo:[0,0,1] neg_hi:[0,0,1]
	v_pk_fma_f32 v[18:19], v[18:19], v[52:53], v[54:55] op_sel:[0,0,1] op_sel_hi:[1,0,0]
	v_pk_fma_f32 v[54:55], v[16:17], v[52:53], v[56:57] op_sel:[0,0,1] op_sel_hi:[1,1,0] neg_lo:[0,0,1] neg_hi:[0,0,1]
	v_pk_fma_f32 v[16:17], v[16:17], v[52:53], v[56:57] op_sel:[0,0,1] op_sel_hi:[1,0,0]
	;; [unrolled: 2-line block ×12, first 2 shown]
	v_mov_b32_e32 v83, v19
	v_mov_b32_e32 v55, v17
	;; [unrolled: 1-line block ×12, first 2 shown]
	s_cmp_gt_i32 s11, s1
	v_pk_add_f32 v[4:5], v[4:5], v[82:83] neg_lo:[0,1] neg_hi:[0,1]
	v_pk_add_f32 v[6:7], v[6:7], v[54:55] neg_lo:[0,1] neg_hi:[0,1]
	;; [unrolled: 1-line block ×12, first 2 shown]
	s_cbranch_scc1 .LBB148_48
; %bb.49:
	ds_write_b128 v64, v[4:7]
	ds_write_b128 v64, v[0:3] offset:16
	ds_write_b128 v64, v[8:11] offset:32
	ds_write_b64 v64, v[12:13] offset:48
.LBB148_50:
	s_add_i32 s10, s1, -1
	s_lshl_b32 s11, s10, 3
	s_add_i32 s12, s11, s8
	v_mov_b32_e32 v2, s12
	ds_read2_b64 v[8:11], v2 offset1:1
	s_lshl_b32 s10, s10, 7
	s_add_i32 s11, s11, s10
	v_mov_b32_e32 v2, s11
	ds_read_b64 v[2:3], v2
	s_waitcnt lgkmcnt(1)
	v_mul_f32_e32 v39, v10, v5
	v_mul_f32_e32 v12, v11, v5
	v_fmac_f32_e32 v39, v11, v4
	v_fma_f32 v38, v10, v4, -v12
	v_mul_f32_e32 v5, v8, v39
	v_mul_f32_e32 v4, v9, v39
	v_fmac_f32_e32 v5, v9, v38
	s_add_i32 s12, s1, -3
	v_fma_f32 v4, v8, v38, -v4
	v_sub_f32_e32 v5, v7, v5
	s_lshl_b32 s13, s12, 3
	v_sub_f32_e32 v4, v6, v4
	s_waitcnt lgkmcnt(0)
	v_mul_f32_e32 v6, v3, v5
	s_add_i32 s11, s13, s8
	v_fma_f32 v40, v2, v4, -v6
	v_mul_f32_e32 v41, v2, v5
	v_mov_b32_e32 v2, s11
	v_fmac_f32_e32 v41, v3, v4
	ds_read2_b64 v[2:5], v2 offset1:1
	s_add_i32 s11, s13, s10
	v_mov_b32_e32 v6, s11
	ds_read2_b64 v[8:11], v6 offset1:1
	s_add_i32 s11, s8, 0xffffff00
	s_waitcnt lgkmcnt(1)
	v_mul_f32_e32 v6, v5, v39
	v_fma_f32 v6, v4, v38, -v6
	v_mul_f32_e32 v4, v4, v39
	v_fmac_f32_e32 v4, v5, v38
	v_sub_f32_e32 v1, v1, v4
	s_waitcnt lgkmcnt(0)
	v_mul_f32_e32 v4, v11, v41
	v_sub_f32_e32 v0, v0, v6
	v_fma_f32 v4, v10, v40, -v4
	s_add_i32 s14, s13, s11
	v_mul_f32_e32 v5, v10, v41
	v_sub_f32_e32 v0, v0, v4
	v_mov_b32_e32 v4, s14
	v_fmac_f32_e32 v5, v11, v40
	ds_read2_b64 v[10:13], v4 offset1:1
	s_lshl_b32 s12, s12, 7
	s_add_i32 s13, s13, s12
	v_sub_f32_e32 v1, v1, v5
	v_mov_b32_e32 v4, s13
	ds_read_b64 v[14:15], v4
	s_waitcnt lgkmcnt(1)
	v_mul_f32_e32 v4, v13, v1
	v_fma_f32 v42, v12, v0, -v4
	ds_read2_b64 v[4:7], v64 offset0:3 offset1:4
	v_mul_f32_e32 v43, v12, v1
	v_fmac_f32_e32 v43, v13, v0
	v_mul_f32_e32 v0, v3, v39
	v_fma_f32 v12, v2, v38, -v0
	v_mul_f32_e32 v13, v2, v39
	v_fmac_f32_e32 v13, v3, v38
	ds_read2_b64 v[0:3], v64 offset0:5 offset1:6
	s_waitcnt lgkmcnt(1)
	v_sub_f32_e32 v4, v4, v12
	v_mul_f32_e32 v12, v9, v41
	v_fma_f32 v12, v8, v40, -v12
	v_mul_f32_e32 v8, v8, v41
	v_sub_f32_e32 v5, v5, v13
	v_fmac_f32_e32 v8, v9, v40
	v_mul_f32_e32 v9, v10, v43
	v_sub_f32_e32 v5, v5, v8
	v_mul_f32_e32 v8, v11, v43
	v_fmac_f32_e32 v9, v11, v42
	v_sub_f32_e32 v4, v4, v12
	v_fma_f32 v8, v10, v42, -v8
	v_sub_f32_e32 v5, v5, v9
	s_add_i32 s13, s1, -9
	v_sub_f32_e32 v4, v4, v8
	v_mul_f32_e32 v8, v15, v5
	v_mul_f32_e32 v45, v14, v5
	s_lshl_b32 s14, s13, 3
	v_fma_f32 v44, v14, v4, -v8
	v_fmac_f32_e32 v45, v15, v4
	s_add_i32 s15, s14, s8
	ds_write2_b64 v64, v[38:39], v[40:41] offset1:1
	ds_write2_b64 v64, v[42:43], v[44:45] offset0:2 offset1:3
	v_mov_b32_e32 v4, s15
	s_add_i32 s15, s14, s10
	ds_read2_b64 v[8:11], v64 offset1:2
	ds_read2_b64 v[16:19], v4 offset1:1
	v_mov_b32_e32 v4, s15
	ds_read2_b64 v[12:15], v4 offset1:1
	ds_read_b128 v[20:23], v64
	s_add_i32 s15, s14, s11
	ds_read2_b64 v[48:51], v64 offset0:1 offset1:2
	s_waitcnt lgkmcnt(3)
	v_mul_f32_e32 v4, v19, v9
	v_fma_f32 v47, v18, v8, -v4
	s_waitcnt lgkmcnt(1)
	v_mul_f32_e32 v4, v15, v23
	v_mul_f32_e32 v18, v18, v9
	v_fma_f32 v79, v14, v22, -v4
	v_mul_f32_e32 v4, v17, v21
	v_fmac_f32_e32 v18, v19, v8
	v_fma_f32 v19, v16, v20, -v4
	v_mov_b32_e32 v4, s15
	ds_read2_b64 v[52:55], v4 offset1:1
	s_add_i32 s15, s14, s12
	v_mov_b32_e32 v4, s15
	s_add_i32 s16, s1, -5
	ds_read2_b64 v[56:59], v4 offset1:1
	s_waitcnt lgkmcnt(1)
	v_mul_f32_e32 v4, v55, v51
	s_lshl_b32 s17, s16, 3
	v_fma_f32 v88, v54, v50, -v4
	v_mul_f32_e32 v4, v53, v11
	s_add_i32 s15, s17, s8
	v_mul_f32_e32 v21, v16, v21
	v_mul_f32_e32 v5, v13, v49
	v_mul_f32_e32 v87, v12, v49
	v_mul_f32_e32 v89, v54, v51
	v_fma_f32 v90, v52, v10, -v4
	v_mov_b32_e32 v4, s15
	v_fmac_f32_e32 v21, v17, v20
	v_fma_f32 v20, v12, v48, -v5
	v_fmac_f32_e32 v87, v13, v48
	v_fmac_f32_e32 v89, v55, v50
	ds_read2_b64 v[48:51], v4 offset1:1
	s_add_i32 s15, s17, s10
	v_mul_f32_e32 v91, v52, v11
	v_mov_b32_e32 v4, s15
	v_fmac_f32_e32 v91, v53, v10
	ds_read2_b64 v[8:11], v4 offset1:1
	s_waitcnt lgkmcnt(1)
	v_mul_f32_e32 v4, v51, v39
	v_fma_f32 v4, v50, v38, -v4
	v_sub_f32_e32 v12, v6, v4
	v_mul_f32_e32 v4, v49, v39
	v_mul_f32_e32 v86, v14, v23
	;; [unrolled: 1-line block ×3, first 2 shown]
	v_fma_f32 v50, v48, v38, -v4
	s_waitcnt lgkmcnt(0)
	v_mul_f32_e32 v4, v11, v41
	v_fmac_f32_e32 v86, v15, v22
	v_mul_f32_e32 v48, v48, v39
	v_fma_f32 v22, v10, v40, -v4
	v_mul_f32_e32 v4, v9, v41
	s_add_i32 s15, s17, s11
	v_fmac_f32_e32 v5, v51, v38
	v_fmac_f32_e32 v48, v49, v38
	v_fma_f32 v49, v8, v40, -v4
	v_mov_b32_e32 v4, s15
	v_sub_f32_e32 v13, v7, v5
	ds_read2_b64 v[4:7], v4 offset1:1
	s_add_i32 s15, s17, s12
	v_mul_f32_e32 v23, v10, v41
	v_mul_f32_e32 v51, v8, v41
	v_mov_b32_e32 v8, s15
	v_fmac_f32_e32 v23, v11, v40
	v_fmac_f32_e32 v51, v9, v40
	ds_read2_b64 v[8:11], v8 offset1:1
	s_waitcnt lgkmcnt(1)
	v_mul_f32_e32 v52, v7, v43
	v_fma_f32 v52, v6, v42, -v52
	v_mul_f32_e32 v6, v6, v43
	v_fmac_f32_e32 v6, v7, v42
	v_mul_f32_e32 v7, v5, v43
	v_fma_f32 v53, v4, v42, -v7
	s_waitcnt lgkmcnt(0)
	v_mul_f32_e32 v7, v9, v45
	v_mul_f32_e32 v54, v4, v43
	;; [unrolled: 1-line block ×3, first 2 shown]
	v_fma_f32 v55, v8, v44, -v7
	v_sub_f32_e32 v7, v12, v22
	s_add_i32 s15, s8, 0xfffffe00
	v_fmac_f32_e32 v54, v5, v42
	v_fma_f32 v4, v10, v44, -v4
	v_mul_f32_e32 v5, v10, v45
	v_mul_f32_e32 v60, v8, v45
	v_sub_f32_e32 v8, v13, v23
	v_sub_f32_e32 v7, v7, v52
	s_add_i32 s18, s17, s15
	v_fmac_f32_e32 v5, v11, v44
	v_sub_f32_e32 v6, v8, v6
	v_sub_f32_e32 v10, v7, v4
	v_mov_b32_e32 v4, s18
	v_fmac_f32_e32 v60, v9, v44
	v_sub_f32_e32 v9, v6, v5
	ds_read2_b64 v[4:7], v4 offset1:1
	s_lshl_b32 s16, s16, 7
	s_add_i32 s17, s17, s16
	v_mov_b32_e32 v8, s17
	s_add_i32 s18, s1, -7
	ds_read_b64 v[22:23], v8
	s_waitcnt lgkmcnt(1)
	v_mul_f32_e32 v8, v7, v9
	v_mul_f32_e32 v9, v6, v9
	s_lshl_b32 s19, s18, 3
	v_fmac_f32_e32 v9, v7, v10
	s_add_i32 s17, s19, s8
	v_fma_f32 v8, v6, v10, -v8
	v_mul_f32_e32 v6, v5, v9
	v_mul_f32_e32 v61, v4, v9
	v_sub_f32_e32 v50, v0, v50
	v_mov_b32_e32 v0, s17
	v_fma_f32 v52, v4, v8, -v6
	v_fmac_f32_e32 v61, v5, v8
	ds_read2_b64 v[4:7], v0 offset1:1
	s_add_i32 s17, s19, s10
	v_mov_b32_e32 v0, s17
	ds_read2_b64 v[10:13], v0 offset1:1
	v_sub_f32_e32 v48, v1, v48
	s_waitcnt lgkmcnt(1)
	v_mul_f32_e32 v0, v7, v39
	v_fma_f32 v0, v6, v38, -v0
	v_sub_f32_e32 v62, v2, v0
	v_mul_f32_e32 v0, v5, v39
	v_fma_f32 v92, v4, v38, -v0
	s_waitcnt lgkmcnt(0)
	v_mul_f32_e32 v0, v13, v41
	v_mul_f32_e32 v1, v6, v39
	v_fma_f32 v66, v12, v40, -v0
	v_mul_f32_e32 v0, v11, v41
	s_add_i32 s17, s19, s11
	v_fmac_f32_e32 v1, v7, v38
	v_fma_f32 v94, v10, v40, -v0
	v_mov_b32_e32 v0, s17
	v_sub_f32_e32 v63, v3, v1
	ds_read2_b64 v[0:3], v0 offset1:1
	s_add_i32 s17, s19, s12
	v_mul_f32_e32 v93, v4, v39
	v_mov_b32_e32 v4, s17
	v_fmac_f32_e32 v93, v5, v38
	ds_read2_b64 v[4:7], v4 offset1:1
	v_mul_f32_e32 v12, v12, v41
	v_mul_f32_e32 v95, v10, v41
	s_waitcnt lgkmcnt(1)
	v_mul_f32_e32 v10, v3, v43
	v_fmac_f32_e32 v12, v13, v40
	v_fma_f32 v13, v2, v42, -v10
	v_mul_f32_e32 v67, v2, v43
	v_mul_f32_e32 v2, v1, v43
	v_fma_f32 v96, v0, v42, -v2
	v_mul_f32_e32 v97, v0, v43
	s_waitcnt lgkmcnt(0)
	v_mul_f32_e32 v0, v7, v45
	v_fma_f32 v68, v6, v44, -v0
	v_mul_f32_e32 v0, v5, v45
	s_add_i32 s17, s19, s15
	v_fma_f32 v98, v4, v44, -v0
	v_mov_b32_e32 v0, s17
	v_fmac_f32_e32 v67, v3, v42
	v_fmac_f32_e32 v97, v1, v42
	ds_read2_b64 v[0:3], v0 offset1:1
	s_add_i32 s17, s19, s16
	v_mul_f32_e32 v69, v6, v45
	v_mul_f32_e32 v99, v4, v45
	v_mov_b32_e32 v4, s17
	v_fmac_f32_e32 v69, v7, v44
	v_fmac_f32_e32 v99, v5, v44
	ds_read2_b64 v[4:7], v4 offset1:1
	s_waitcnt lgkmcnt(1)
	v_mul_f32_e32 v10, v3, v9
	v_fma_f32 v70, v2, v8, -v10
	v_mul_f32_e32 v2, v2, v9
	v_mul_f32_e32 v101, v0, v9
	v_fmac_f32_e32 v2, v3, v8
	v_mul_f32_e32 v3, v1, v9
	v_fmac_f32_e32 v101, v1, v8
	v_sub_f32_e32 v1, v48, v51
	v_fma_f32 v100, v0, v8, -v3
	v_sub_f32_e32 v0, v50, v49
	v_sub_f32_e32 v1, v1, v54
	;; [unrolled: 1-line block ×6, first 2 shown]
	v_fmac_f32_e32 v95, v11, v40
	v_sub_f32_e32 v0, v0, v52
	v_mul_f32_e32 v11, v22, v1
	v_mul_f32_e32 v3, v23, v1
	v_fmac_f32_e32 v11, v23, v0
	s_add_i32 s17, s8, 0xfffffd00
	v_fma_f32 v10, v22, v0, -v3
	s_waitcnt lgkmcnt(0)
	v_mul_f32_e32 v1, v6, v11
	s_add_i32 s20, s19, s17
	v_mul_f32_e32 v0, v7, v11
	v_fmac_f32_e32 v1, v7, v10
	v_mov_b32_e32 v7, s20
	v_fma_f32 v0, v6, v10, -v0
	v_sub_f32_e32 v6, v63, v12
	ds_read2_b64 v[48:51], v7 offset1:1
	v_sub_f32_e32 v3, v62, v66
	v_sub_f32_e32 v6, v6, v67
	;; [unrolled: 1-line block ×4, first 2 shown]
	s_lshl_b32 s18, s18, 7
	v_sub_f32_e32 v3, v3, v68
	v_sub_f32_e32 v2, v6, v2
	s_add_i32 s19, s19, s18
	v_sub_f32_e32 v3, v3, v70
	v_sub_f32_e32 v1, v2, v1
	v_mov_b32_e32 v2, s19
	v_sub_f32_e32 v0, v3, v0
	ds_read_b64 v[12:13], v2
	s_waitcnt lgkmcnt(1)
	v_mul_f32_e32 v2, v51, v1
	v_mul_f32_e32 v23, v50, v1
	ds_read_b128 v[24:27], v64
	ds_read_b128 v[14:17], v64
	v_fma_f32 v22, v50, v0, -v2
	v_fmac_f32_e32 v23, v51, v0
	ds_write2_b64 v64, v[8:9], v[10:11] offset0:4 offset1:5
	ds_write_b64 v64, v[22:23] offset:48
	ds_read2_b64 v[0:3], v64 offset0:5 offset1:6
	v_mul_f32_e32 v6, v5, v11
	v_mul_f32_e32 v103, v4, v11
	v_fma_f32 v102, v4, v10, -v6
	v_fmac_f32_e32 v103, v5, v10
	ds_read2_b64 v[50:53], v64 offset0:4 offset1:5
	ds_read_b64 v[4:5], v64 offset:24
	ds_read_b128 v[60:63], v64 offset:16
	ds_read2_b64 v[66:69], v64 offset0:3 offset1:4
	s_waitcnt lgkmcnt(4)
	v_mul_f32_e32 v6, v49, v3
	v_fma_f32 v104, v48, v2, -v6
	s_add_i32 s19, s14, s15
	s_waitcnt lgkmcnt(2)
	v_mul_f32_e32 v6, v57, v5
	v_mul_f32_e32 v107, v56, v5
	v_fma_f32 v106, v56, v4, -v6
	v_fmac_f32_e32 v107, v57, v4
	s_waitcnt lgkmcnt(1)
	v_mul_f32_e32 v4, v59, v63
	v_fma_f32 v108, v58, v62, -v4
	v_mov_b32_e32 v4, s19
	ds_read2_b64 v[70:73], v4 offset1:1
	s_add_i32 s19, s14, s16
	v_mov_b32_e32 v4, s19
	v_mul_f32_e32 v58, v58, v63
	ds_read2_b64 v[74:77], v4 offset1:1
	s_waitcnt lgkmcnt(1)
	v_mul_f32_e32 v4, v73, v69
	ds_read2_b64 v[54:57], v64 offset0:1 offset1:2
	v_fmac_f32_e32 v58, v59, v62
	v_fma_f32 v59, v72, v68, -v4
	ds_read2_b64 v[80:83], v64 offset0:3 offset1:4
	ds_read_b128 v[4:7], v64 offset:32
	v_mul_f32_e32 v105, v48, v3
	s_add_i32 s19, s14, s17
	v_mul_f32_e32 v62, v72, v69
	s_waitcnt lgkmcnt(1)
	v_mul_f32_e32 v48, v71, v83
	v_fma_f32 v109, v70, v82, -v48
	s_waitcnt lgkmcnt(0)
	v_mul_f32_e32 v48, v77, v7
	v_fma_f32 v63, v76, v6, -v48
	v_mul_f32_e32 v76, v76, v7
	v_fmac_f32_e32 v76, v77, v6
	v_mul_f32_e32 v6, v75, v53
	v_mul_f32_e32 v110, v70, v83
	v_fma_f32 v77, v74, v52, -v6
	v_mul_f32_e32 v111, v74, v53
	s_add_i32 s20, s14, s18
	v_mov_b32_e32 v6, s19
	v_fmac_f32_e32 v105, v49, v2
	v_fmac_f32_e32 v62, v73, v68
	;; [unrolled: 1-line block ×4, first 2 shown]
	v_mov_b32_e32 v7, s20
	ds_read2_b64 v[68:71], v6 offset1:1
	ds_read2_b64 v[72:75], v7 offset1:1
	ds_read_b64 v[48:49], v64 offset:48
	ds_read2_b64 v[82:85], v64 offset0:5 offset1:6
	v_sub_f32_e32 v7, v37, v93
	v_sub_f32_e32 v7, v7, v95
	s_waitcnt lgkmcnt(3)
	v_mul_f32_e32 v6, v71, v23
	v_fma_f32 v52, v70, v22, -v6
	s_waitcnt lgkmcnt(0)
	v_mul_f32_e32 v6, v69, v85
	v_fma_f32 v112, v68, v84, -v6
	v_sub_f32_e32 v6, v36, v92
	v_sub_f32_e32 v6, v6, v94
	v_sub_f32_e32 v7, v7, v97
	v_sub_f32_e32 v6, v6, v96
	v_sub_f32_e32 v7, v7, v99
	v_sub_f32_e32 v6, v6, v98
	v_sub_f32_e32 v7, v7, v101
	v_sub_f32_e32 v6, v6, v100
	v_sub_f32_e32 v7, v7, v103
	v_mul_f32_e32 v23, v70, v23
	v_sub_f32_e32 v6, v6, v102
	v_sub_f32_e32 v7, v7, v105
	v_fmac_f32_e32 v23, v71, v22
	v_sub_f32_e32 v22, v6, v104
	v_mul_f32_e32 v6, v13, v7
	v_mul_f32_e32 v7, v12, v7
	v_fmac_f32_e32 v7, v13, v22
	v_mul_f32_e32 v85, v68, v85
	v_fma_f32 v6, v12, v22, -v6
	v_mul_f32_e32 v22, v73, v7
	v_fmac_f32_e32 v85, v69, v84
	v_fma_f32 v84, v72, v6, -v22
	v_sub_f32_e32 v22, v34, v47
	v_sub_f32_e32 v18, v35, v18
	s_add_i32 s19, s8, 0xfffffc00
	v_sub_f32_e32 v22, v22, v79
	v_sub_f32_e32 v18, v18, v86
	s_add_i32 s20, s14, s19
	v_sub_f32_e32 v22, v22, v88
	v_sub_f32_e32 v18, v18, v89
	v_mov_b32_e32 v34, s20
	v_sub_f32_e32 v22, v22, v108
	v_sub_f32_e32 v18, v18, v58
	ds_read2_b64 v[34:37], v34 offset1:1
	v_sub_f32_e32 v22, v22, v59
	v_sub_f32_e32 v18, v18, v62
	v_mul_f32_e32 v12, v75, v7
	v_mul_f32_e32 v13, v74, v7
	v_sub_f32_e32 v22, v22, v63
	v_sub_f32_e32 v18, v18, v76
	s_lshl_b32 s20, s13, 7
	v_fma_f32 v12, v74, v6, -v12
	v_fmac_f32_e32 v13, v75, v6
	v_sub_f32_e32 v22, v22, v52
	v_sub_f32_e32 v18, v18, v23
	s_add_i32 s13, s14, s20
	v_sub_f32_e32 v22, v22, v12
	v_sub_f32_e32 v13, v18, v13
	v_mov_b32_e32 v12, s13
	ds_read_b64 v[52:53], v12
	s_waitcnt lgkmcnt(1)
	v_mul_f32_e32 v12, v37, v13
	v_mul_f32_e32 v13, v36, v13
	s_add_i32 s13, s1, -11
	v_fmac_f32_e32 v13, v37, v22
	s_lshl_b32 s14, s13, 3
	v_fma_f32 v12, v36, v22, -v12
	v_mul_f32_e32 v18, v35, v13
	s_add_i32 s21, s14, s8
	v_fma_f32 v18, v34, v12, -v18
	v_mul_f32_e32 v47, v34, v13
	s_add_i32 s22, s14, s10
	v_mov_b32_e32 v34, s21
	v_fmac_f32_e32 v47, v35, v12
	v_mov_b32_e32 v62, s22
	ds_read2_b64 v[34:37], v34 offset1:1
	ds_read2_b64 v[68:71], v62 offset1:1
	v_mov_b32_e32 v58, v25
	v_mov_b32_e32 v59, v27
	;; [unrolled: 1-line block ×3, first 2 shown]
	s_waitcnt lgkmcnt(1)
	v_mov_b32_e32 v62, v37
	v_pk_mul_f32 v[74:75], v[36:37], v[24:25]
	s_waitcnt lgkmcnt(0)
	v_mov_b32_e32 v37, v71
	v_mov_b32_e32 v23, v26
	;; [unrolled: 1-line block ×3, first 2 shown]
	v_pk_mul_f32 v[24:25], v[36:37], v[58:59]
	s_add_i32 s21, s14, s11
	v_mul_f32_e32 v92, v72, v7
	v_pk_fma_f32 v[36:37], v[62:63], v[22:23], v[24:25] neg_lo:[0,0,1] neg_hi:[0,0,1]
	v_pk_fma_f32 v[62:63], v[62:63], v[22:23], v[24:25]
	v_mul_f32_e32 v76, v71, v26
	s_add_i32 s22, s14, s12
	v_mov_b32_e32 v22, s21
	v_fmac_f32_e32 v92, v73, v6
	v_fmac_f32_e32 v76, v70, v27
	v_mov_b32_e32 v26, s22
	ds_read2_b64 v[22:25], v22 offset1:1
	ds_read2_b64 v[70:73], v26 offset1:1
	s_add_i32 s21, s14, s15
	s_add_i32 s22, s14, s16
	v_mov_b32_e32 v58, s22
	s_waitcnt lgkmcnt(1)
	v_mul_f32_e32 v26, v25, v61
	v_fma_f32 v79, v24, v60, -v26
	v_mul_f32_e32 v86, v24, v61
	s_waitcnt lgkmcnt(0)
	v_mul_f32_e32 v24, v73, v81
	v_fma_f32 v88, v72, v80, -v24
	v_mov_b32_e32 v24, s21
	v_fmac_f32_e32 v86, v25, v60
	ds_read2_b64 v[24:27], v24 offset1:1
	ds_read2_b64 v[58:61], v58 offset1:1
	v_mul_f32_e32 v72, v72, v81
	v_fmac_f32_e32 v72, v73, v80
	ds_write_b64 v46, v[38:39]
	s_waitcnt lgkmcnt(2)
	v_mul_f32_e32 v73, v27, v51
	v_fma_f32 v73, v26, v50, -v73
	v_mul_f32_e32 v80, v26, v51
	s_waitcnt lgkmcnt(1)
	v_mul_f32_e32 v26, v61, v83
	v_fmac_f32_e32 v80, v27, v50
	v_fma_f32 v81, v60, v82, -v26
	v_mul_f32_e32 v83, v60, v83
	v_mov_b32_e32 v27, v16
	v_mov_b32_e32 v16, v15
	v_pk_mul_f32 v[50:51], v[34:35], v[14:15]
	v_mov_b32_e32 v60, v35
	v_mov_b32_e32 v35, v69
	v_pk_mul_f32 v[16:17], v[34:35], v[16:17]
	v_mul_f32_e32 v34, v71, v67
	v_fmac_f32_e32 v83, v61, v82
	v_mov_b32_e32 v26, v14
	v_mov_b32_e32 v14, v57
	;; [unrolled: 1-line block ×5, first 2 shown]
	v_fma_f32 v82, v70, v66, -v34
	v_mov_b32_e32 v66, v22
	v_mov_b32_e32 v67, v70
	v_pk_mul_f32 v[14:15], v[66:67], v[14:15]
	v_mov_b32_e32 v67, v71
	v_mov_b32_e32 v66, v23
	v_pk_fma_f32 v[66:67], v[66:67], v[56:57], v[14:15]
	v_add_u32_e32 v14, s10, v65
	ds_write_b64 v14, v[40:41]
	v_add_u32_e32 v14, s11, v65
	ds_write_b64 v14, v[42:43]
	;; [unrolled: 2-line block ×4, first 2 shown]
	v_add_u32_e32 v8, s16, v65
	v_sub_f32_e32 v9, v33, v21
	ds_write_b64 v8, v[10:11]
	v_sub_f32_e32 v8, v32, v19
	v_sub_f32_e32 v9, v9, v87
	;; [unrolled: 1-line block ×17, first 2 shown]
	v_mul_f32_e32 v10, v53, v9
	v_fma_f32 v38, v52, v8, -v10
	v_mul_f32_e32 v39, v52, v9
	v_sub_f32_e32 v10, v74, v75
	v_fmac_f32_e32 v39, v53, v8
	v_pk_mov_b32 v[8:9], v[36:37], v[62:63] op_sel:[1,0]
	v_sub_f32_e32 v30, v30, v10
	s_add_i32 s10, s14, s17
	v_pk_add_f32 v[14:15], v[30:31], v[8:9] neg_lo:[0,1] neg_hi:[0,1]
	v_mov_b32_e32 v8, s10
	ds_read2_b64 v[8:11], v8 offset1:1
	s_add_i32 s10, s14, s18
	v_mov_b32_e32 v61, v68
	v_sub_f32_e32 v19, v14, v79
	v_mov_b32_e32 v14, s10
	v_mov_b32_e32 v70, v54
	;; [unrolled: 1-line block ×3, first 2 shown]
	v_pk_fma_f32 v[54:55], v[60:61], v[26:27], v[16:17] neg_lo:[0,0,1] neg_hi:[0,0,1]
	v_pk_fma_f32 v[26:27], v[60:61], v[26:27], v[16:17]
	v_sub_f32_e32 v18, v15, v76
	ds_read2_b64 v[14:17], v14 offset1:1
	s_waitcnt lgkmcnt(1)
	v_mul_f32_e32 v20, v11, v49
	v_fma_f32 v20, v10, v48, -v20
	v_mul_f32_e32 v10, v10, v49
	v_fmac_f32_e32 v10, v11, v48
	v_add_u32_e32 v11, s17, v65
	ds_write_b64 v11, v[2:3]
	v_add_u32_e32 v2, s18, v65
	ds_write_b64 v2, v[6:7]
	v_add_u32_e32 v2, s19, v65
	ds_write_b64 v2, v[12:13]
	v_add_u32_e32 v2, s20, v65
	ds_write_b64 v2, v[38:39]
	v_sub_f32_e32 v2, v18, v86
	v_sub_f32_e32 v2, v2, v72
	;; [unrolled: 1-line block ×8, first 2 shown]
	s_waitcnt lgkmcnt(4)
	v_mul_f32_e32 v10, v17, v7
	v_sub_f32_e32 v3, v3, v20
	v_fma_f32 v10, v16, v6, -v10
	s_add_i32 s10, s14, s19
	v_mul_f32_e32 v11, v16, v7
	v_sub_f32_e32 v30, v3, v10
	v_mov_b32_e32 v10, s10
	s_add_i32 s10, s14, s20
	v_fmac_f32_e32 v11, v17, v6
	ds_read2_b64 v[16:19], v10 offset1:1
	v_mov_b32_e32 v20, s10
	v_sub_f32_e32 v31, v2, v11
	v_mov_b32_e32 v2, v69
	v_mov_b32_e32 v3, v22
	;; [unrolled: 1-line block ×3, first 2 shown]
	ds_read2_b64 v[20:23], v20 offset1:1
	v_mov_b32_e32 v71, v56
	v_pk_mul_f32 v[10:11], v[68:69], v[34:35]
	s_addk_i32 s8, 0xfb00
	v_pk_fma_f32 v[34:35], v[2:3], v[70:71], v[10:11] neg_lo:[0,0,1] neg_hi:[0,0,1]
	v_pk_fma_f32 v[2:3], v[2:3], v[70:71], v[10:11]
	s_waitcnt lgkmcnt(1)
	v_mul_f32_e32 v10, v19, v13
	v_fma_f32 v10, v18, v12, -v10
	v_mul_f32_e32 v11, v18, v13
	s_waitcnt lgkmcnt(0)
	v_mul_f32_e32 v18, v23, v39
	v_sub_f32_e32 v10, v30, v10
	v_fma_f32 v18, v22, v38, -v18
	s_add_i32 s10, s14, s8
	v_fmac_f32_e32 v11, v19, v12
	v_sub_f32_e32 v36, v10, v18
	v_mov_b32_e32 v18, s10
	v_sub_f32_e32 v11, v31, v11
	ds_read2_b64 v[30:33], v18 offset1:1
	v_mul_f32_e32 v19, v22, v39
	v_fmac_f32_e32 v19, v23, v38
	v_sub_f32_e32 v23, v11, v19
	v_pk_mov_b32 v[10:11], v[54:55], v[26:27] op_sel:[1,0]
	s_waitcnt lgkmcnt(0)
	v_mul_f32_e32 v22, v33, v23
	v_mul_f32_e32 v23, v32, v23
	v_fma_f32 v22, v32, v36, -v22
	v_fmac_f32_e32 v23, v33, v36
	v_add_u32_e32 v26, s8, v65
	ds_write_b64 v26, v[22:23]
	v_sub_f32_e32 v26, v50, v51
	v_sub_f32_e32 v28, v28, v26
	v_pk_add_f32 v[10:11], v[28:29], v[10:11] neg_lo:[0,1] neg_hi:[0,1]
	ds_read_b64 v[26:27], v64 offset:48
	v_pk_mov_b32 v[2:3], v[34:35], v[2:3] op_sel:[1,0]
	s_lshl_b32 s10, s13, 7
	v_pk_add_f32 v[2:3], v[10:11], v[2:3] neg_lo:[0,1] neg_hi:[0,1]
	v_mul_f32_e32 v10, v25, v5
	v_sub_f32_e32 v3, v3, v66
	v_mul_f32_e32 v5, v24, v5
	v_sub_f32_e32 v2, v2, v82
	v_sub_f32_e32 v3, v3, v67
	v_fma_f32 v10, v24, v4, -v10
	v_fmac_f32_e32 v5, v25, v4
	v_mul_f32_e32 v4, v59, v1
	v_mul_f32_e32 v1, v58, v1
	v_sub_f32_e32 v2, v2, v10
	v_sub_f32_e32 v3, v3, v5
	v_fma_f32 v4, v58, v0, -v4
	v_fmac_f32_e32 v1, v59, v0
	v_sub_f32_e32 v0, v2, v4
	v_sub_f32_e32 v1, v3, v1
	s_waitcnt lgkmcnt(0)
	v_mul_f32_e32 v2, v9, v27
	v_mul_f32_e32 v3, v8, v27
	v_fma_f32 v2, v8, v26, -v2
	v_fmac_f32_e32 v3, v9, v26
	v_sub_f32_e32 v0, v0, v2
	v_sub_f32_e32 v1, v1, v3
	v_mul_f32_e32 v2, v15, v7
	v_mul_f32_e32 v3, v14, v7
	v_fma_f32 v2, v14, v6, -v2
	v_fmac_f32_e32 v3, v15, v6
	s_add_i32 s11, s14, s10
	v_sub_f32_e32 v0, v0, v2
	v_sub_f32_e32 v1, v1, v3
	v_mul_f32_e32 v2, v17, v13
	v_mul_f32_e32 v3, v16, v13
	v_mov_b32_e32 v18, s11
	v_fma_f32 v2, v16, v12, -v2
	v_fmac_f32_e32 v3, v17, v12
	ds_read_b64 v[18:19], v18
	v_sub_f32_e32 v0, v0, v2
	v_sub_f32_e32 v1, v1, v3
	v_mul_f32_e32 v2, v21, v39
	v_mul_f32_e32 v3, v20, v39
	v_fma_f32 v2, v20, v38, -v2
	v_fmac_f32_e32 v3, v21, v38
	v_sub_f32_e32 v0, v0, v2
	v_sub_f32_e32 v1, v1, v3
	v_mul_f32_e32 v2, v31, v23
	v_mul_f32_e32 v3, v30, v23
	v_fma_f32 v2, v30, v22, -v2
	v_fmac_f32_e32 v3, v31, v22
	v_sub_f32_e32 v0, v0, v2
	v_sub_f32_e32 v2, v1, v3
	s_waitcnt lgkmcnt(0)
	v_pk_mul_f32 v[2:3], v[18:19], v[2:3] op_sel:[1,0] op_sel_hi:[0,0]
	v_pk_fma_f32 v[4:5], v[18:19], v[0:1], v[2:3] neg_lo:[0,0,1] neg_hi:[0,0,1]
	v_pk_fma_f32 v[0:1], v[18:19], v[0:1], v[2:3] op_sel_hi:[1,0,1]
	s_add_i32 s1, s1, -12
	v_mov_b32_e32 v5, v1
	v_add_u32_e32 v0, s10, v65
	ds_write_b64 v0, v[4:5]
.LBB148_51:
	s_cmp_lt_i32 s1, 0
	s_cbranch_scc1 .LBB148_69
; %bb.52:
	s_bitcmp1_b32 s1, 0
	s_cselect_b64 s[10:11], -1, 0
	s_and_b64 vcc, exec, s[10:11]
	s_mov_b32 s8, s1
	s_cbranch_vccnz .LBB148_58
; %bb.53:
	s_lshl_b32 s8, s1, 7
	v_add_u32_e32 v2, s8, v65
	ds_read_b64 v[0:1], v2
	s_cmp_le_i32 s0, s1
	s_waitcnt lgkmcnt(0)
	ds_write_b64 v64, v[0:1]
	s_cbranch_scc1 .LBB148_57
; %bb.54:
	s_lshl_b32 s10, s30, 7
	s_lshl_b32 s8, s1, 3
	s_add_i32 s8, s10, s8
	v_lshl_add_u32 v3, v78, 3, s10
	s_addk_i32 s8, 0xff80
	v_add_u32_e32 v3, 0x780, v3
	s_mov_b32 s10, s0
.LBB148_55:                             ; =>This Inner Loop Header: Depth=1
	v_mov_b32_e32 v6, s8
	ds_read_b64 v[4:5], v3
	ds_read_b64 v[6:7], v6
	s_add_i32 s10, s10, -1
	s_addk_i32 s8, 0xff80
	v_add_u32_e32 v3, 0xffffff80, v3
	s_cmp_gt_i32 s10, s1
	s_waitcnt lgkmcnt(0)
	v_pk_mul_f32 v[8:9], v[6:7], v[4:5] op_sel:[1,1] op_sel_hi:[0,1]
	v_pk_fma_f32 v[10:11], v[6:7], v[4:5], v[8:9] neg_lo:[0,0,1] neg_hi:[0,0,1]
	v_pk_fma_f32 v[4:5], v[6:7], v[4:5], v[8:9] op_sel_hi:[1,0,1]
	s_nop 0
	v_mov_b32_e32 v11, v5
	v_pk_add_f32 v[0:1], v[0:1], v[10:11] neg_lo:[0,1] neg_hi:[0,1]
	s_cbranch_scc1 .LBB148_55
; %bb.56:
	ds_write_b64 v64, v[0:1]
.LBB148_57:
	s_mul_i32 s8, s1, 0x88
	v_mov_b32_e32 v3, s8
	ds_read_b64 v[4:5], v3
	v_mov_b32_e32 v6, v1
	s_add_i32 s8, s1, -1
	s_waitcnt lgkmcnt(0)
	v_pk_mul_f32 v[6:7], v[4:5], v[6:7] op_sel:[1,0] op_sel_hi:[0,0]
	v_pk_fma_f32 v[8:9], v[4:5], v[0:1], v[6:7] op_sel_hi:[1,0,1] neg_lo:[0,0,1] neg_hi:[0,0,1]
	v_pk_fma_f32 v[0:1], v[4:5], v[0:1], v[6:7] op_sel_hi:[1,0,1]
	s_nop 0
	v_mov_b32_e32 v9, v1
	ds_write_b64 v64, v[8:9]
	ds_write_b64 v2, v[8:9]
.LBB148_58:
	s_cmp_eq_u32 s1, 0
	s_cbranch_scc1 .LBB148_69
; %bb.59:
	s_lshl_b32 s10, s30, 7
	s_lshl_b32 s1, s8, 3
	s_add_i32 s11, s10, s1
	v_lshl_add_u32 v0, v78, 3, s10
	s_add_i32 s1, s11, 0xffffff80
	v_add_u32_e32 v5, 0x780, v0
	s_add_i32 s10, s11, 0xffffff78
	s_branch .LBB148_61
.LBB148_60:                             ;   in Loop: Header=BB148_61 Depth=1
	s_addk_i32 s11, 0xff78
	v_mov_b32_e32 v2, v1
	v_mov_b32_e32 v1, s11
	ds_read_b64 v[6:7], v1
	s_add_i32 s11, s8, -2
	s_add_i32 s1, s1, -16
	;; [unrolled: 1-line block ×3, first 2 shown]
	s_cmp_lt_i32 s8, 2
	s_waitcnt lgkmcnt(0)
	v_pk_mul_f32 v[8:9], v[6:7], v[2:3] op_sel:[1,0] op_sel_hi:[0,0]
	v_pk_fma_f32 v[10:11], v[6:7], v[0:1], v[8:9] op_sel_hi:[1,0,1] neg_lo:[0,0,1] neg_hi:[0,0,1]
	v_pk_fma_f32 v[0:1], v[6:7], v[0:1], v[8:9] op_sel_hi:[1,0,1]
	s_mov_b32 s8, s11
	v_mov_b32_e32 v11, v1
	ds_write_b64 v64, v[10:11]
	ds_write_b64 v3, v[10:11]
	s_cbranch_scc1 .LBB148_69
.LBB148_61:                             ; =>This Loop Header: Depth=1
                                        ;     Child Loop BB148_63 Depth 2
                                        ;     Child Loop BB148_67 Depth 2
	s_lshl_b32 s12, s8, 7
	v_add_u32_e32 v6, s12, v65
	ds_read_b64 v[2:3], v6
	s_cmp_le_i32 s0, s8
	s_waitcnt lgkmcnt(0)
	ds_write_b64 v64, v[2:3]
	s_cbranch_scc1 .LBB148_65
; %bb.62:                               ;   in Loop: Header=BB148_61 Depth=1
	v_mov_b32_e32 v0, v5
	s_mov_b32 s11, s1
	s_mov_b32 s13, s0
.LBB148_63:                             ;   Parent Loop BB148_61 Depth=1
                                        ; =>  This Inner Loop Header: Depth=2
	v_mov_b32_e32 v1, s11
	ds_read_b64 v[8:9], v0
	ds_read_b64 v[10:11], v1
	s_add_i32 s13, s13, -1
	s_addk_i32 s11, 0xff80
	v_add_u32_e32 v0, 0xffffff80, v0
	s_cmp_gt_i32 s13, s8
	s_waitcnt lgkmcnt(0)
	v_pk_mul_f32 v[12:13], v[10:11], v[8:9] op_sel:[1,1] op_sel_hi:[0,1]
	v_pk_fma_f32 v[14:15], v[10:11], v[8:9], v[12:13] neg_lo:[0,0,1] neg_hi:[0,0,1]
	v_pk_fma_f32 v[8:9], v[10:11], v[8:9], v[12:13] op_sel_hi:[1,0,1]
	s_nop 0
	v_mov_b32_e32 v15, v9
	v_pk_add_f32 v[2:3], v[2:3], v[14:15] neg_lo:[0,1] neg_hi:[0,1]
	s_cbranch_scc1 .LBB148_63
; %bb.64:                               ;   in Loop: Header=BB148_61 Depth=1
	ds_write_b64 v64, v[2:3]
.LBB148_65:                             ;   in Loop: Header=BB148_61 Depth=1
	s_mul_i32 s11, s8, 0x88
	v_mov_b32_e32 v0, s11
	ds_read_b64 v[8:9], v0
	s_addk_i32 s12, 0xff80
	v_mov_b32_e32 v4, v3
	v_add_u32_e32 v3, s12, v65
	ds_read_b64 v[0:1], v3
	s_waitcnt lgkmcnt(1)
	v_pk_mul_f32 v[10:11], v[8:9], v[4:5] op_sel:[1,0] op_sel_hi:[0,0]
	v_pk_fma_f32 v[12:13], v[8:9], v[2:3], v[10:11] op_sel_hi:[1,0,1] neg_lo:[0,0,1] neg_hi:[0,0,1]
	v_pk_fma_f32 v[8:9], v[8:9], v[2:3], v[10:11] op_sel_hi:[1,0,1]
	s_cmp_le_i32 s30, s8
	v_mov_b32_e32 v13, v9
	ds_write_b64 v6, v[12:13]
	s_waitcnt lgkmcnt(1)
	ds_write_b64 v64, v[0:1]
	s_cbranch_scc1 .LBB148_60
; %bb.66:                               ;   in Loop: Header=BB148_61 Depth=1
	v_mov_b32_e32 v2, v5
	s_mov_b32 s12, s10
	s_mov_b32 s13, s30
.LBB148_67:                             ;   Parent Loop BB148_61 Depth=1
                                        ; =>  This Inner Loop Header: Depth=2
	v_mov_b32_e32 v4, s12
	ds_read_b64 v[6:7], v2
	ds_read_b64 v[8:9], v4
	s_add_i32 s13, s13, -1
	s_addk_i32 s12, 0xff80
	v_add_u32_e32 v2, 0xffffff80, v2
	s_cmp_gt_i32 s13, s8
	s_waitcnt lgkmcnt(0)
	v_pk_mul_f32 v[10:11], v[8:9], v[6:7] op_sel:[1,1] op_sel_hi:[0,1]
	v_pk_fma_f32 v[12:13], v[8:9], v[6:7], v[10:11] neg_lo:[0,0,1] neg_hi:[0,0,1]
	v_pk_fma_f32 v[6:7], v[8:9], v[6:7], v[10:11] op_sel_hi:[1,0,1]
	s_nop 0
	v_mov_b32_e32 v13, v7
	v_pk_add_f32 v[0:1], v[0:1], v[12:13] neg_lo:[0,1] neg_hi:[0,1]
	s_cbranch_scc1 .LBB148_67
; %bb.68:                               ;   in Loop: Header=BB148_61 Depth=1
	ds_write_b64 v64, v[0:1]
	s_branch .LBB148_60
.LBB148_69:
	s_waitcnt lgkmcnt(0)
	; wave barrier
	s_and_saveexec_b64 s[0:1], s[2:3]
	s_cbranch_execz .LBB148_73
; %bb.70:
	s_andn2_b64 vcc, exec, s[6:7]
	s_cbranch_vccnz .LBB148_73
; %bb.71:
	v_mad_i64_i32 v[0:1], s[0:1], s9, v78, 0
	v_mov_b32_e32 v2, 0x800
	v_lshl_add_u64 v[0:1], v[0:1], 3, s[4:5]
	v_lshl_add_u32 v2, v78, 3, v2
.LBB148_72:                             ; =>This Inner Loop Header: Depth=1
	ds_read_b64 v[4:5], v2
	s_add_i32 s30, s30, -1
	v_add_u32_e32 v2, 0x80, v2
	s_cmp_lg_u32 s30, 0
	s_waitcnt lgkmcnt(0)
	flat_store_dwordx2 v[0:1], v[4:5]
	v_lshl_add_u64 v[0:1], v[0:1], 0, 8
	s_cbranch_scc1 .LBB148_72
.LBB148_73:
	s_endpgm
	.section	.rodata,"a",@progbits
	.p2align	6, 0x0
	.amdhsa_kernel _ZL38rocblas_trsm_small_left_device_sharedBILi16ELi16ELb0E19rocblas_complex_numIfES1_PKPKS1_PKPS1_Ev13rocblas_fill_18rocblas_operation_17rocblas_diagonal_iiT3_T4_lilT5_lili
		.amdhsa_group_segment_fixed_size 4992
		.amdhsa_private_segment_fixed_size 0
		.amdhsa_kernarg_size 360
		.amdhsa_user_sgpr_count 4
		.amdhsa_user_sgpr_dispatch_ptr 1
		.amdhsa_user_sgpr_queue_ptr 0
		.amdhsa_user_sgpr_kernarg_segment_ptr 1
		.amdhsa_user_sgpr_dispatch_id 0
		.amdhsa_user_sgpr_kernarg_preload_length 0
		.amdhsa_user_sgpr_kernarg_preload_offset 0
		.amdhsa_user_sgpr_private_segment_size 0
		.amdhsa_uses_dynamic_stack 0
		.amdhsa_enable_private_segment 0
		.amdhsa_system_sgpr_workgroup_id_x 1
		.amdhsa_system_sgpr_workgroup_id_y 0
		.amdhsa_system_sgpr_workgroup_id_z 1
		.amdhsa_system_sgpr_workgroup_info 0
		.amdhsa_system_vgpr_workitem_id 2
		.amdhsa_next_free_vgpr 114
		.amdhsa_next_free_sgpr 32
		.amdhsa_accum_offset 116
		.amdhsa_reserve_vcc 1
		.amdhsa_float_round_mode_32 0
		.amdhsa_float_round_mode_16_64 0
		.amdhsa_float_denorm_mode_32 3
		.amdhsa_float_denorm_mode_16_64 3
		.amdhsa_dx10_clamp 1
		.amdhsa_ieee_mode 1
		.amdhsa_fp16_overflow 0
		.amdhsa_tg_split 0
		.amdhsa_exception_fp_ieee_invalid_op 0
		.amdhsa_exception_fp_denorm_src 0
		.amdhsa_exception_fp_ieee_div_zero 0
		.amdhsa_exception_fp_ieee_overflow 0
		.amdhsa_exception_fp_ieee_underflow 0
		.amdhsa_exception_fp_ieee_inexact 0
		.amdhsa_exception_int_div_zero 0
	.end_amdhsa_kernel
	.section	.text._ZL38rocblas_trsm_small_left_device_sharedBILi16ELi16ELb0E19rocblas_complex_numIfES1_PKPKS1_PKPS1_Ev13rocblas_fill_18rocblas_operation_17rocblas_diagonal_iiT3_T4_lilT5_lili,"axG",@progbits,_ZL38rocblas_trsm_small_left_device_sharedBILi16ELi16ELb0E19rocblas_complex_numIfES1_PKPKS1_PKPS1_Ev13rocblas_fill_18rocblas_operation_17rocblas_diagonal_iiT3_T4_lilT5_lili,comdat
.Lfunc_end148:
	.size	_ZL38rocblas_trsm_small_left_device_sharedBILi16ELi16ELb0E19rocblas_complex_numIfES1_PKPKS1_PKPS1_Ev13rocblas_fill_18rocblas_operation_17rocblas_diagonal_iiT3_T4_lilT5_lili, .Lfunc_end148-_ZL38rocblas_trsm_small_left_device_sharedBILi16ELi16ELb0E19rocblas_complex_numIfES1_PKPKS1_PKPS1_Ev13rocblas_fill_18rocblas_operation_17rocblas_diagonal_iiT3_T4_lilT5_lili
                                        ; -- End function
	.set _ZL38rocblas_trsm_small_left_device_sharedBILi16ELi16ELb0E19rocblas_complex_numIfES1_PKPKS1_PKPS1_Ev13rocblas_fill_18rocblas_operation_17rocblas_diagonal_iiT3_T4_lilT5_lili.num_vgpr, 114
	.set _ZL38rocblas_trsm_small_left_device_sharedBILi16ELi16ELb0E19rocblas_complex_numIfES1_PKPKS1_PKPS1_Ev13rocblas_fill_18rocblas_operation_17rocblas_diagonal_iiT3_T4_lilT5_lili.num_agpr, 0
	.set _ZL38rocblas_trsm_small_left_device_sharedBILi16ELi16ELb0E19rocblas_complex_numIfES1_PKPKS1_PKPS1_Ev13rocblas_fill_18rocblas_operation_17rocblas_diagonal_iiT3_T4_lilT5_lili.numbered_sgpr, 32
	.set _ZL38rocblas_trsm_small_left_device_sharedBILi16ELi16ELb0E19rocblas_complex_numIfES1_PKPKS1_PKPS1_Ev13rocblas_fill_18rocblas_operation_17rocblas_diagonal_iiT3_T4_lilT5_lili.num_named_barrier, 0
	.set _ZL38rocblas_trsm_small_left_device_sharedBILi16ELi16ELb0E19rocblas_complex_numIfES1_PKPKS1_PKPS1_Ev13rocblas_fill_18rocblas_operation_17rocblas_diagonal_iiT3_T4_lilT5_lili.private_seg_size, 0
	.set _ZL38rocblas_trsm_small_left_device_sharedBILi16ELi16ELb0E19rocblas_complex_numIfES1_PKPKS1_PKPS1_Ev13rocblas_fill_18rocblas_operation_17rocblas_diagonal_iiT3_T4_lilT5_lili.uses_vcc, 1
	.set _ZL38rocblas_trsm_small_left_device_sharedBILi16ELi16ELb0E19rocblas_complex_numIfES1_PKPKS1_PKPS1_Ev13rocblas_fill_18rocblas_operation_17rocblas_diagonal_iiT3_T4_lilT5_lili.uses_flat_scratch, 0
	.set _ZL38rocblas_trsm_small_left_device_sharedBILi16ELi16ELb0E19rocblas_complex_numIfES1_PKPKS1_PKPS1_Ev13rocblas_fill_18rocblas_operation_17rocblas_diagonal_iiT3_T4_lilT5_lili.has_dyn_sized_stack, 0
	.set _ZL38rocblas_trsm_small_left_device_sharedBILi16ELi16ELb0E19rocblas_complex_numIfES1_PKPKS1_PKPS1_Ev13rocblas_fill_18rocblas_operation_17rocblas_diagonal_iiT3_T4_lilT5_lili.has_recursion, 0
	.set _ZL38rocblas_trsm_small_left_device_sharedBILi16ELi16ELb0E19rocblas_complex_numIfES1_PKPKS1_PKPS1_Ev13rocblas_fill_18rocblas_operation_17rocblas_diagonal_iiT3_T4_lilT5_lili.has_indirect_call, 0
	.section	.AMDGPU.csdata,"",@progbits
; Kernel info:
; codeLenInByte = 23456
; TotalNumSgprs: 38
; NumVgprs: 114
; NumAgprs: 0
; TotalNumVgprs: 114
; ScratchSize: 0
; MemoryBound: 0
; FloatMode: 240
; IeeeMode: 1
; LDSByteSize: 4992 bytes/workgroup (compile time only)
; SGPRBlocks: 4
; VGPRBlocks: 14
; NumSGPRsForWavesPerEU: 38
; NumVGPRsForWavesPerEU: 114
; AccumOffset: 116
; Occupancy: 4
; WaveLimiterHint : 1
; COMPUTE_PGM_RSRC2:SCRATCH_EN: 0
; COMPUTE_PGM_RSRC2:USER_SGPR: 4
; COMPUTE_PGM_RSRC2:TRAP_HANDLER: 0
; COMPUTE_PGM_RSRC2:TGID_X_EN: 1
; COMPUTE_PGM_RSRC2:TGID_Y_EN: 0
; COMPUTE_PGM_RSRC2:TGID_Z_EN: 1
; COMPUTE_PGM_RSRC2:TIDIG_COMP_CNT: 2
; COMPUTE_PGM_RSRC3_GFX90A:ACCUM_OFFSET: 28
; COMPUTE_PGM_RSRC3_GFX90A:TG_SPLIT: 0
	.section	.text._ZL30rocblas_trsm_small_left_deviceILi16ELi16ELb0E19rocblas_complex_numIfES1_PKPKS1_PKPS1_Ev13rocblas_fill_18rocblas_operation_17rocblas_diagonal_iiT3_T4_lilT5_lili,"axG",@progbits,_ZL30rocblas_trsm_small_left_deviceILi16ELi16ELb0E19rocblas_complex_numIfES1_PKPKS1_PKPS1_Ev13rocblas_fill_18rocblas_operation_17rocblas_diagonal_iiT3_T4_lilT5_lili,comdat
	.globl	_ZL30rocblas_trsm_small_left_deviceILi16ELi16ELb0E19rocblas_complex_numIfES1_PKPKS1_PKPS1_Ev13rocblas_fill_18rocblas_operation_17rocblas_diagonal_iiT3_T4_lilT5_lili ; -- Begin function _ZL30rocblas_trsm_small_left_deviceILi16ELi16ELb0E19rocblas_complex_numIfES1_PKPKS1_PKPS1_Ev13rocblas_fill_18rocblas_operation_17rocblas_diagonal_iiT3_T4_lilT5_lili
	.p2align	8
	.type	_ZL30rocblas_trsm_small_left_deviceILi16ELi16ELb0E19rocblas_complex_numIfES1_PKPKS1_PKPS1_Ev13rocblas_fill_18rocblas_operation_17rocblas_diagonal_iiT3_T4_lilT5_lili,@function
_ZL30rocblas_trsm_small_left_deviceILi16ELi16ELb0E19rocblas_complex_numIfES1_PKPKS1_PKPS1_Ev13rocblas_fill_18rocblas_operation_17rocblas_diagonal_iiT3_T4_lilT5_lili: ; @_ZL30rocblas_trsm_small_left_deviceILi16ELi16ELb0E19rocblas_complex_numIfES1_PKPKS1_PKPS1_Ev13rocblas_fill_18rocblas_operation_17rocblas_diagonal_iiT3_T4_lilT5_lili
; %bb.0:
	s_load_dwordx4 s[12:15], s[2:3], 0x40
	s_load_dwordx4 s[8:11], s[2:3], 0x4
	s_load_dwordx2 s[6:7], s[2:3], 0x14
	s_mov_b32 s16, s5
	s_mov_b32 s17, 0
	s_lshl_b64 s[20:21], s[16:17], 3
	s_waitcnt lgkmcnt(0)
	s_add_u32 s12, s12, s20
	s_addc_u32 s13, s13, s21
	s_load_dword s5, s[2:3], 0x68
	v_and_b32_e32 v1, 0x3ff, v0
	s_load_dwordx2 s[12:13], s[12:13], 0x0
	s_min_i32 s26, s10, 16
	v_cmp_gt_i32_e32 vcc, s26, v1
	s_and_saveexec_b64 s[16:17], vcc
	s_cbranch_execz .LBB149_15
; %bb.1:
	s_load_dword s22, s[2:3], 0x30
	s_load_dwordx4 s[28:31], s[2:3], 0x20
	v_lshlrev_b32_e32 v2, 3, v1
	v_mov_b32_e32 v3, 0
	v_mov_b32_e32 v8, v2
	s_waitcnt lgkmcnt(0)
	s_ashr_i32 s23, s22, 31
	s_cmpk_lg_i32 s8, 0x71
	s_cselect_b64 s[18:19], -1, 0
	s_add_u32 s20, s28, s20
	s_addc_u32 s21, s29, s21
	s_load_dwordx2 s[20:21], s[20:21], 0x0
	s_lshl_b64 s[24:25], s[30:31], 3
	s_mov_b32 s10, s26
	s_waitcnt lgkmcnt(0)
	s_add_u32 s24, s20, s24
	s_addc_u32 s25, s21, s25
	s_lshl_b64 s[20:21], s[22:23], 3
	v_lshl_add_u64 v[4:5], s[24:25], 0, v[2:3]
	s_branch .LBB149_3
.LBB149_2:                              ;   in Loop: Header=BB149_3 Depth=1
	flat_load_dword v6, v[4:5]
	s_add_i32 s10, s10, -1
	v_lshl_add_u64 v[4:5], v[4:5], 0, s[20:21]
	s_cmp_eq_u32 s10, 0
	s_waitcnt vmcnt(0) lgkmcnt(0)
	ds_write_b64 v8, v[6:7]
	v_add_u32_e32 v8, 0x80, v8
	s_cbranch_scc1 .LBB149_7
.LBB149_3:                              ; =>This Inner Loop Header: Depth=1
	s_mov_b64 s[22:23], -1
	s_and_b64 vcc, exec, s[18:19]
                                        ; implicit-def: $vgpr7
	s_cbranch_vccz .LBB149_5
; %bb.4:                                ;   in Loop: Header=BB149_3 Depth=1
	flat_load_dword v7, v[4:5] offset:4
	s_mov_b64 s[22:23], 0
.LBB149_5:                              ;   in Loop: Header=BB149_3 Depth=1
	s_andn2_b64 vcc, exec, s[22:23]
	s_cbranch_vccnz .LBB149_2
; %bb.6:                                ;   in Loop: Header=BB149_3 Depth=1
	flat_load_dword v3, v[4:5] offset:4
	s_waitcnt vmcnt(0) lgkmcnt(0)
	v_xor_b32_e32 v7, 0x80000000, v3
	s_branch .LBB149_2
.LBB149_7:
	s_cmpk_lg_i32 s9, 0x84
	v_lshlrev_b32_e32 v3, 7, v1
	s_mov_b64 s[18:19], -1
	s_cbranch_scc0 .LBB149_13
; %bb.8:
	v_add_u32_e32 v8, v2, v3
	ds_read_b64 v[4:5], v8
                                        ; implicit-def: $vgpr6_vgpr7
	s_waitcnt lgkmcnt(0)
	v_cmp_ngt_f32_e64 s[18:19], |v4|, |v5|
	s_and_saveexec_b64 s[20:21], s[18:19]
	s_xor_b64 s[18:19], exec, s[20:21]
	s_cbranch_execz .LBB149_10
; %bb.9:
	v_div_scale_f32 v6, s[20:21], v5, v5, v4
	v_rcp_f32_e32 v7, v6
	v_div_scale_f32 v9, vcc, v4, v5, v4
	v_fma_f32 v10, -v6, v7, 1.0
	v_fmac_f32_e32 v7, v10, v7
	v_mul_f32_e32 v10, v9, v7
	v_fma_f32 v11, -v6, v10, v9
	v_fmac_f32_e32 v10, v11, v7
	v_fma_f32 v6, -v6, v10, v9
	v_div_fmas_f32 v6, v6, v7, v10
	v_div_fixup_f32 v6, v6, v5, v4
	v_fmac_f32_e32 v5, v4, v6
	v_div_scale_f32 v4, s[20:21], v5, v5, 1.0
	v_rcp_f32_e32 v7, v4
	s_mov_b32 s20, 0
	s_mov_b32 s21, -1.0
	v_fma_f32 v9, -v4, v7, 1.0
	v_fmac_f32_e32 v7, v9, v7
	v_div_scale_f32 v9, vcc, 1.0, v5, 1.0
	v_mul_f32_e32 v10, v9, v7
	v_fma_f32 v11, -v4, v10, v9
	v_fmac_f32_e32 v10, v11, v7
	v_fma_f32 v4, -v4, v10, v9
	v_div_fmas_f32 v4, v4, v7, v10
	v_mul_f32_e32 v7, 0, v6
	v_div_fixup_f32 v4, v4, v5, 1.0
	v_pk_add_f32 v[6:7], v[6:7], s[20:21]
	s_nop 0
	v_pk_mul_f32 v[6:7], v[6:7], v[4:5] op_sel_hi:[1,0]
                                        ; implicit-def: $vgpr4_vgpr5
.LBB149_10:
	s_andn2_saveexec_b64 s[18:19], s[18:19]
	s_cbranch_execz .LBB149_12
; %bb.11:
	v_div_scale_f32 v6, s[20:21], v4, v4, v5
	v_rcp_f32_e32 v7, v6
	v_div_scale_f32 v9, vcc, v5, v4, v5
	v_fma_f32 v10, -v6, v7, 1.0
	v_fmac_f32_e32 v7, v10, v7
	v_mul_f32_e32 v10, v9, v7
	v_fma_f32 v11, -v6, v10, v9
	v_fmac_f32_e32 v10, v11, v7
	v_fma_f32 v6, -v6, v10, v9
	v_div_fmas_f32 v6, v6, v7, v10
	v_div_fixup_f32 v7, v6, v4, v5
	v_fmac_f32_e32 v4, v5, v7
	v_div_scale_f32 v5, s[20:21], v4, v4, 1.0
	v_rcp_f32_e32 v6, v5
	s_nop 0
	v_fma_f32 v9, -v5, v6, 1.0
	v_fmac_f32_e32 v6, v9, v6
	v_div_scale_f32 v9, vcc, 1.0, v4, 1.0
	v_mul_f32_e32 v10, v9, v6
	v_fma_f32 v11, -v5, v10, v9
	v_fmac_f32_e32 v10, v11, v6
	v_fma_f32 v5, -v5, v10, v9
	v_div_fmas_f32 v5, v5, v6, v10
	v_div_fixup_f32 v4, v5, v4, 1.0
	v_mul_f32_e32 v5, 0, v7
	v_add_f32_e32 v6, 1.0, v5
	v_sub_f32_e32 v7, 0, v7
	v_pk_mul_f32 v[6:7], v[6:7], v[4:5] op_sel_hi:[1,0]
.LBB149_12:
	s_or_b64 exec, exec, s[18:19]
	s_mov_b64 s[18:19], 0
	ds_write_b64 v8, v[6:7]
.LBB149_13:
	s_and_b64 vcc, exec, s[18:19]
	s_cbranch_vccz .LBB149_15
; %bb.14:
	v_add_u32_e32 v2, v2, v3
	v_mov_b32_e32 v4, 1.0
	v_mov_b32_e32 v5, 0
	ds_write_b64 v2, v[4:5]
.LBB149_15:
	s_or_b64 exec, exec, s[16:17]
	s_waitcnt lgkmcnt(0)
	s_add_i32 s9, s5, -1
	s_lshl_b32 s5, s4, 4
	s_sub_i32 s10, s11, s5
	s_cmp_ge_u32 s4, s9
	s_cselect_b32 s4, s10, 16
	v_cmp_gt_i32_e32 vcc, s4, v1
	; wave barrier
	s_and_saveexec_b64 s[10:11], vcc
	s_cbranch_execz .LBB149_83
; %bb.16:
	s_load_dwordx2 s[10:11], s[0:1], 0x4
	s_load_dword s4, s[2:3], 0x50
	v_bfe_u32 v2, v0, 10, 10
	v_bfe_u32 v0, v0, 20, 10
	s_lshl_b64 s[2:3], s[14:15], 3
	s_waitcnt lgkmcnt(0)
	s_lshr_b32 s0, s10, 16
	s_mul_i32 s0, s0, s11
	v_mul_u32_u24_e32 v2, s11, v2
	v_mul_u32_u24_e32 v3, s0, v1
	v_add3_u32 v15, v3, v2, v0
	s_add_u32 s0, s12, s2
	v_add_u32_e32 v0, s5, v1
	v_mov_b32_e32 v6, 0x800
	s_addc_u32 s1, s13, s3
	v_mad_i64_i32 v[2:3], s[4:5], s4, v0, 0
	v_lshl_add_u32 v14, v15, 7, v6
	v_lshl_add_u64 v[0:1], v[2:3], 3, s[0:1]
	s_cmpk_eq_i32 s8, 0x6f
	s_mov_b64 s[0:1], -1
	s_cbranch_scc1 .LBB149_50
; %bb.17:
	s_add_u32 s0, s12, s2
	s_addc_u32 s1, s13, s3
	s_mov_b32 s15, 0
	s_mov_b32 s4, s6
	;; [unrolled: 1-line block ×7, first 2 shown]
	v_lshl_add_u64 v[4:5], v[2:3], 3, s[0:1]
	v_lshl_add_u32 v16, v15, 7, v6
	s_mov_b32 s16, s15
	s_mov_b32 s27, s15
	s_branch .LBB149_19
.LBB149_18:                             ;   in Loop: Header=BB149_19 Depth=1
	s_cmp_ge_i32 s27, s26
	s_cselect_b64 s[0:1], -1, 0
	s_add_i32 s16, s16, 1
	s_cmp_eq_u32 s16, 3
	s_cselect_b64 s[18:19], -1, 0
	s_or_b64 s[0:1], s[0:1], s[18:19]
	s_andn2_b64 vcc, exec, s[0:1]
	s_cbranch_vccz .LBB149_49
.LBB149_19:                             ; =>This Loop Header: Depth=1
                                        ;     Child Loop BB149_22 Depth 2
                                        ;       Child Loop BB149_24 Depth 3
                                        ;       Child Loop BB149_28 Depth 3
	;; [unrolled: 1-line block ×3, first 2 shown]
                                        ;         Child Loop BB149_34 Depth 4
                                        ;         Child Loop BB149_40 Depth 4
                                        ;       Child Loop BB149_43 Depth 3
                                        ;         Child Loop BB149_45 Depth 4
	s_mov_b32 s17, s15
	s_lshl_b64 s[0:1], s[16:17], 2
	s_getpc_b64 s[18:19]
	s_add_u32 s18, s18, __const._ZL30rocblas_trsm_small_left_deviceILi16ELi16ELb0E19rocblas_complex_numIfES1_PKPKS1_PKPS1_Ev13rocblas_fill_18rocblas_operation_17rocblas_diagonal_iiT3_T4_lilT5_lili.step_sizes@rel32@lo+4
	s_addc_u32 s19, s19, __const._ZL30rocblas_trsm_small_left_deviceILi16ELi16ELb0E19rocblas_complex_numIfES1_PKPKS1_PKPS1_Ev13rocblas_fill_18rocblas_operation_17rocblas_diagonal_iiT3_T4_lilT5_lili.step_sizes@rel32@hi+12
	s_add_u32 s0, s18, s0
	s_addc_u32 s1, s19, s1
	s_load_dword s17, s[0:1], 0x0
	s_waitcnt lgkmcnt(0)
	s_add_i32 s28, s17, -1
	s_add_i32 s0, s28, s27
	s_cmp_ge_i32 s0, s26
	s_cbranch_scc1 .LBB149_18
; %bb.20:                               ;   in Loop: Header=BB149_19 Depth=1
	s_max_i32 s29, s17, 1
	s_cmp_lg_u32 s16, 2
	s_cselect_b64 s[18:19], -1, 0
	s_and_b32 s30, s29, 0x7ffffffe
	s_cmp_lg_u32 s29, s30
	v_cndmask_b32_e64 v6, 0, 1, s[18:19]
	s_cselect_b64 s[20:21], -1, 0
	s_ashr_i32 s31, s27, 31
	s_ashr_i32 s33, s17, 31
	s_mul_i32 s34, s27, 0x88
	s_mul_i32 s35, s17, 0x88
	v_cmp_ne_u32_e64 s[0:1], 1, v6
	s_branch .LBB149_22
.LBB149_21:                             ;   in Loop: Header=BB149_22 Depth=2
	s_add_u32 s27, s27, s17
	s_addc_u32 s31, s31, s33
	s_add_i32 s14, s28, s27
	s_add_i32 s34, s34, s35
	s_cmp_ge_i32 s14, s26
	s_cbranch_scc1 .LBB149_18
.LBB149_22:                             ;   Parent Loop BB149_19 Depth=1
                                        ; =>  This Loop Header: Depth=2
                                        ;       Child Loop BB149_24 Depth 3
                                        ;       Child Loop BB149_28 Depth 3
	;; [unrolled: 1-line block ×3, first 2 shown]
                                        ;         Child Loop BB149_34 Depth 4
                                        ;         Child Loop BB149_40 Depth 4
                                        ;       Child Loop BB149_43 Depth 3
                                        ;         Child Loop BB149_45 Depth 4
	s_and_b64 vcc, exec, s[0:1]
	s_cbranch_vccnz .LBB149_26
; %bb.23:                               ;   in Loop: Header=BB149_22 Depth=2
	s_mov_b32 s14, s27
	s_mov_b32 s24, s27
	;; [unrolled: 1-line block ×5, first 2 shown]
	v_mov_b32_e32 v6, v14
.LBB149_24:                             ;   Parent Loop BB149_19 Depth=1
                                        ;     Parent Loop BB149_22 Depth=2
                                        ; =>    This Inner Loop Header: Depth=3
	s_add_i32 s22, s36, s14
	s_add_i32 s38, s25, s24
	s_ashr_i32 s23, s22, 31
	s_ashr_i32 s39, s38, 31
	v_lshl_add_u64 v[8:9], s[22:23], 3, v[0:1]
	v_lshl_add_u64 v[10:11], s[38:39], 3, v[0:1]
	flat_load_dwordx2 v[18:19], v[8:9]
	flat_load_dwordx2 v[12:13], v[10:11]
	s_add_i32 s36, s36, 2
	s_add_i32 s25, s25, 2
	s_add_i32 s37, s37, -2
	s_mov_b32 s38, s30
	s_mov_b64 s[22:23], s[20:21]
	s_cmp_lg_u32 s37, 0
	s_waitcnt vmcnt(0) lgkmcnt(0)
	v_mov_b32_e32 v8, v18
	v_mov_b32_e32 v9, v12
	v_mov_b32_e32 v12, v19
	v_pk_mul_f32 v[10:11], v[12:13], s[8:9]
	v_pk_mul_f32 v[12:13], v[12:13], s[4:5]
	v_pk_fma_f32 v[18:19], v[8:9], s[4:5], v[10:11] neg_lo:[0,0,1] neg_hi:[0,0,1]
	v_pk_fma_f32 v[10:11], v[8:9], s[8:9], v[12:13]
	v_mov_b32_e32 v8, v18
	v_mov_b32_e32 v9, v10
	;; [unrolled: 1-line block ×3, first 2 shown]
	ds_write_b128 v6, v[8:11]
	v_add_u32_e32 v6, 16, v6
	s_cbranch_scc1 .LBB149_24
; %bb.25:                               ;   in Loop: Header=BB149_22 Depth=2
	s_and_b64 vcc, exec, s[22:23]
	s_cbranch_vccnz .LBB149_27
	s_branch .LBB149_29
.LBB149_26:                             ;   in Loop: Header=BB149_22 Depth=2
	s_mov_b32 s38, 0
	s_cbranch_execz .LBB149_29
.LBB149_27:                             ;   in Loop: Header=BB149_22 Depth=2
	s_sub_i32 s14, s29, s38
	s_add_u32 s22, s27, s38
	s_addc_u32 s23, s31, 0
	v_lshl_add_u64 v[6:7], s[22:23], 3, v[4:5]
	v_lshl_add_u32 v8, s38, 3, v16
.LBB149_28:                             ;   Parent Loop BB149_19 Depth=1
                                        ;     Parent Loop BB149_22 Depth=2
                                        ; =>    This Inner Loop Header: Depth=3
	flat_load_dwordx2 v[10:11], v[6:7]
	s_add_i32 s14, s14, -1
	v_lshl_add_u64 v[6:7], v[6:7], 0, 8
	s_cmp_eq_u32 s14, 0
	s_waitcnt vmcnt(0) lgkmcnt(0)
	v_pk_mul_f32 v[12:13], v[10:11], s[10:11] op_sel:[1,0]
	s_nop 0
	v_pk_fma_f32 v[18:19], v[10:11], s[6:7], v[12:13] neg_lo:[0,0,1] neg_hi:[0,0,1]
	v_pk_fma_f32 v[10:11], v[10:11], s[6:7], v[12:13] op_sel_hi:[0,1,1]
	v_mov_b32_e32 v19, v11
	ds_write_b64 v8, v[18:19]
	v_add_u32_e32 v8, 8, v8
	s_cbranch_scc0 .LBB149_28
.LBB149_29:                             ;   in Loop: Header=BB149_22 Depth=2
	s_cmp_lt_i32 s27, 1
	s_cbranch_scc1 .LBB149_41
; %bb.30:                               ;   in Loop: Header=BB149_22 Depth=2
	s_mov_b32 s38, 0
	s_mov_b32 s36, s27
	;; [unrolled: 1-line block ×4, first 2 shown]
	s_branch .LBB149_32
.LBB149_31:                             ;   in Loop: Header=BB149_32 Depth=3
	s_add_i32 s14, s14, 1
	s_add_i32 s38, s38, 8
	s_cmp_eq_u32 s14, s27
	s_cbranch_scc1 .LBB149_41
.LBB149_32:                             ;   Parent Loop BB149_19 Depth=1
                                        ;     Parent Loop BB149_22 Depth=2
                                        ; =>    This Loop Header: Depth=3
                                        ;         Child Loop BB149_34 Depth 4
                                        ;         Child Loop BB149_40 Depth 4
	v_lshl_add_u64 v[6:7], s[14:15], 3, v[0:1]
	flat_load_dwordx2 v[6:7], v[6:7]
	s_and_b64 vcc, exec, s[18:19]
	s_cbranch_vccz .LBB149_36
; %bb.33:                               ;   in Loop: Header=BB149_32 Depth=3
	s_lshl_b32 s22, s14, 3
	s_waitcnt vmcnt(0) lgkmcnt(0)
	v_mov_b32_e32 v10, v6
	v_mov_b32_e32 v11, v6
	;; [unrolled: 1-line block ×5, first 2 shown]
	s_mov_b32 s23, 1
	s_mov_b32 s24, 0
	;; [unrolled: 1-line block ×3, first 2 shown]
	v_mov_b32_e32 v9, v14
.LBB149_34:                             ;   Parent Loop BB149_19 Depth=1
                                        ;     Parent Loop BB149_22 Depth=2
                                        ;       Parent Loop BB149_32 Depth=3
                                        ; =>      This Inner Loop Header: Depth=4
	s_add_i32 s39, s24, s36
	s_add_i32 s40, s23, s37
	s_lshl_b32 s40, s40, 7
	s_lshl_b32 s39, s39, 7
	s_add_i32 s39, s22, s39
	s_add_i32 s40, s22, s40
	v_mov_b32_e32 v17, s39
	v_mov_b32_e32 v22, s40
	ds_read_b128 v[18:21], v9
	ds_read_b64 v[26:27], v17
	ds_read_b64 v[22:23], v22
	s_add_i32 s24, s24, 2
	s_add_i32 s23, s23, 2
	s_add_i32 s25, s25, -2
	s_waitcnt lgkmcnt(2)
	v_mov_b32_e32 v25, v20
	v_mov_b32_e32 v20, v19
	s_waitcnt lgkmcnt(0)
	v_mov_b32_e32 v19, v22
	v_mov_b32_e32 v22, v27
	;; [unrolled: 1-line block ×4, first 2 shown]
	v_pk_mul_f32 v[26:27], v[22:23], v[12:13]
	v_pk_mul_f32 v[22:23], v[22:23], v[10:11]
	v_pk_fma_f32 v[26:27], v[18:19], v[10:11], v[26:27] neg_lo:[0,0,1] neg_hi:[0,0,1]
	v_pk_fma_f32 v[18:19], v[18:19], v[12:13], v[22:23]
	v_pk_add_f32 v[22:23], v[24:25], v[26:27] neg_lo:[0,1] neg_hi:[0,1]
	v_pk_add_f32 v[20:21], v[20:21], v[18:19] neg_lo:[0,1] neg_hi:[0,1]
	v_mov_b32_e32 v18, v22
	v_mov_b32_e32 v19, v20
	;; [unrolled: 1-line block ×3, first 2 shown]
	s_cmp_lg_u32 s25, 0
	ds_write_b128 v9, v[18:21]
	v_add_u32_e32 v9, 16, v9
	s_cbranch_scc1 .LBB149_34
; %bb.35:                               ;   in Loop: Header=BB149_32 Depth=3
	s_mov_b64 s[22:23], s[20:21]
	s_mov_b32 s24, s30
	s_branch .LBB149_38
.LBB149_36:                             ;   in Loop: Header=BB149_32 Depth=3
	s_waitcnt vmcnt(0) lgkmcnt(0)
	v_mov_b32_e32 v8, v7
	s_mov_b64 s[22:23], 0
	s_mov_b32 s24, s30
	s_cbranch_execz .LBB149_38
; %bb.37:                               ;   in Loop: Header=BB149_32 Depth=3
	s_mov_b64 s[22:23], -1
	s_mov_b32 s24, 0
.LBB149_38:                             ;   in Loop: Header=BB149_32 Depth=3
	s_andn2_b64 vcc, exec, s[22:23]
	s_cbranch_vccnz .LBB149_31
; %bb.39:                               ;   in Loop: Header=BB149_32 Depth=3
	s_add_i32 s23, s27, s24
	s_lshl_b32 s23, s23, 7
	v_mov_b32_e32 v9, v7
	v_mov_b32_e32 v7, v6
	s_sub_i32 s22, s29, s24
	s_add_i32 s23, s38, s23
	v_lshl_add_u32 v10, s24, 3, v16
.LBB149_40:                             ;   Parent Loop BB149_19 Depth=1
                                        ;     Parent Loop BB149_22 Depth=2
                                        ;       Parent Loop BB149_32 Depth=3
                                        ; =>      This Inner Loop Header: Depth=4
	v_mov_b32_e32 v11, s23
	ds_read_b64 v[18:19], v11
	ds_read_b64 v[12:13], v10
	s_add_i32 s22, s22, -1
	s_addk_i32 s23, 0x80
	s_cmp_eq_u32 s22, 0
	s_waitcnt lgkmcnt(1)
	v_pk_mul_f32 v[20:21], v[18:19], v[8:9] op_sel:[1,0] op_sel_hi:[0,1]
	v_pk_fma_f32 v[22:23], v[18:19], v[6:7], v[20:21] neg_lo:[0,0,1] neg_hi:[0,0,1]
	v_pk_fma_f32 v[18:19], v[18:19], v[6:7], v[20:21]
	s_nop 0
	v_mov_b32_e32 v23, v19
	s_waitcnt lgkmcnt(0)
	v_pk_add_f32 v[12:13], v[12:13], v[22:23] neg_lo:[0,1] neg_hi:[0,1]
	ds_write_b64 v10, v[12:13]
	v_add_u32_e32 v10, 8, v10
	s_cbranch_scc0 .LBB149_40
	s_branch .LBB149_31
.LBB149_41:                             ;   in Loop: Header=BB149_22 Depth=2
	s_mov_b32 s14, 0
	s_mov_b32 s36, s34
	s_branch .LBB149_43
.LBB149_42:                             ;   in Loop: Header=BB149_43 Depth=3
	s_mul_i32 s23, s22, 0x88
	v_mov_b32_e32 v7, s23
	ds_read_b64 v[10:11], v7
	s_ashr_i32 s23, s22, 31
	s_add_i32 s14, s14, 1
	s_addk_i32 s36, 0x80
	v_lshl_add_u64 v[12:13], s[22:23], 3, v[0:1]
	s_waitcnt lgkmcnt(0)
	v_pk_mul_f32 v[18:19], v[10:11], v[8:9] op_sel:[1,0] op_sel_hi:[0,0]
	v_pk_fma_f32 v[20:21], v[10:11], v[6:7], v[18:19] neg_lo:[0,0,1] neg_hi:[0,0,1]
	v_pk_fma_f32 v[6:7], v[10:11], v[6:7], v[18:19] op_sel_hi:[1,0,1]
	s_cmp_eq_u32 s14, s29
	v_mov_b32_e32 v21, v7
	ds_write_b64 v9, v[20:21]
	flat_store_dwordx2 v[12:13], v[20:21]
	s_cbranch_scc1 .LBB149_21
.LBB149_43:                             ;   Parent Loop BB149_19 Depth=1
                                        ;     Parent Loop BB149_22 Depth=2
                                        ; =>    This Loop Header: Depth=3
                                        ;         Child Loop BB149_45 Depth 4
	s_cmp_lg_u32 s14, 0
	v_lshl_add_u32 v9, s14, 3, v14
	s_cbranch_scc0 .LBB149_47
; %bb.44:                               ;   in Loop: Header=BB149_43 Depth=3
	ds_read_b64 v[6:7], v9
	s_mov_b32 s22, s36
	v_mov_b32_e32 v8, v14
	s_mov_b32 s23, s14
.LBB149_45:                             ;   Parent Loop BB149_19 Depth=1
                                        ;     Parent Loop BB149_22 Depth=2
                                        ;       Parent Loop BB149_43 Depth=3
                                        ; =>      This Inner Loop Header: Depth=4
	v_mov_b32_e32 v12, s22
	ds_read_b64 v[10:11], v8
	ds_read_b64 v[12:13], v12
	s_add_i32 s23, s23, -1
	s_add_i32 s22, s22, 8
	v_add_u32_e32 v8, 8, v8
	s_cmp_eq_u32 s23, 0
	s_waitcnt lgkmcnt(0)
	v_pk_mul_f32 v[18:19], v[12:13], v[10:11] op_sel:[1,1] op_sel_hi:[0,1]
	v_pk_fma_f32 v[20:21], v[12:13], v[10:11], v[18:19] neg_lo:[0,0,1] neg_hi:[0,0,1]
	v_pk_fma_f32 v[10:11], v[12:13], v[10:11], v[18:19] op_sel_hi:[1,0,1]
	s_nop 0
	v_mov_b32_e32 v21, v11
	v_pk_add_f32 v[6:7], v[6:7], v[20:21] neg_lo:[0,1] neg_hi:[0,1]
	ds_write_b64 v9, v[6:7]
	s_cbranch_scc0 .LBB149_45
; %bb.46:                               ;   in Loop: Header=BB149_43 Depth=3
	s_add_i32 s22, s14, s27
	v_mov_b32_e32 v8, v7
	s_branch .LBB149_42
.LBB149_47:                             ;   in Loop: Header=BB149_43 Depth=3
                                        ; implicit-def: $vgpr6
                                        ; implicit-def: $vgpr8
                                        ; implicit-def: $sgpr22
	s_cbranch_execz .LBB149_42
; %bb.48:                               ;   in Loop: Header=BB149_43 Depth=3
	ds_read_b64 v[6:7], v14
	s_mov_b32 s22, s27
	s_waitcnt lgkmcnt(0)
	v_mov_b32_e32 v8, v7
	s_branch .LBB149_42
.LBB149_49:
	s_mov_b64 s[0:1], 0
.LBB149_50:
	s_and_b64 vcc, exec, s[0:1]
	s_cbranch_vccz .LBB149_83
; %bb.51:
	s_add_i32 s27, s26, -1
	s_add_u32 s0, s12, s2
	s_addc_u32 s1, s13, s3
	v_mov_b32_e32 v4, 0x800
	s_lshl_b32 s26, s26, 7
	s_mov_b32 s3, 0
	s_mov_b32 s4, s6
	;; [unrolled: 1-line block ×7, first 2 shown]
	v_lshl_add_u64 v[2:3], v[2:3], 3, s[0:1]
	v_lshl_add_u32 v12, v15, 7, v4
	s_addk_i32 s26, 0xff80
	s_mov_b32 s12, s27
	s_mov_b32 s14, s3
	s_branch .LBB149_53
.LBB149_52:                             ;   in Loop: Header=BB149_53 Depth=1
	s_cmp_lt_i32 s12, 0
	s_cselect_b64 s[0:1], -1, 0
	s_add_i32 s14, s14, 1
	s_cmp_eq_u32 s14, 3
	s_cselect_b64 s[16:17], -1, 0
	s_or_b64 s[0:1], s[0:1], s[16:17]
	s_and_b64 vcc, exec, s[0:1]
	s_cbranch_vccnz .LBB149_83
.LBB149_53:                             ; =>This Loop Header: Depth=1
                                        ;     Child Loop BB149_56 Depth 2
                                        ;       Child Loop BB149_58 Depth 3
                                        ;       Child Loop BB149_62 Depth 3
	;; [unrolled: 1-line block ×3, first 2 shown]
                                        ;         Child Loop BB149_68 Depth 4
                                        ;         Child Loop BB149_74 Depth 4
                                        ;       Child Loop BB149_77 Depth 3
                                        ;         Child Loop BB149_79 Depth 4
	s_mov_b32 s15, s3
	s_lshl_b64 s[0:1], s[14:15], 2
	s_getpc_b64 s[16:17]
	s_add_u32 s16, s16, __const._ZL30rocblas_trsm_small_left_deviceILi16ELi16ELb0E19rocblas_complex_numIfES1_PKPKS1_PKPS1_Ev13rocblas_fill_18rocblas_operation_17rocblas_diagonal_iiT3_T4_lilT5_lili.step_sizes@rel32@lo+4
	s_addc_u32 s17, s17, __const._ZL30rocblas_trsm_small_left_deviceILi16ELi16ELb0E19rocblas_complex_numIfES1_PKPKS1_PKPS1_Ev13rocblas_fill_18rocblas_operation_17rocblas_diagonal_iiT3_T4_lilT5_lili.step_sizes@rel32@hi+12
	s_add_u32 s0, s16, s0
	s_addc_u32 s1, s17, s1
	s_load_dword s15, s[0:1], 0x0
	s_waitcnt lgkmcnt(0)
	s_add_i32 s28, s15, -1
	s_cmp_lt_i32 s12, s28
	s_cbranch_scc1 .LBB149_52
; %bb.54:                               ;   in Loop: Header=BB149_53 Depth=1
	s_max_i32 s29, s15, 1
	s_cmp_lg_u32 s14, 2
	s_cselect_b64 s[16:17], -1, 0
	s_and_b32 s30, s29, 0x7ffffffe
	s_cmp_lg_u32 s29, s30
	s_cselect_b64 s[18:19], -1, 0
	s_lshl_b32 s0, s12, 3
	s_add_i32 s31, s26, s0
	s_lshl_b32 s0, s15, 3
	v_cndmask_b32_e64 v4, 0, 1, s[16:17]
	s_sub_i32 s33, 0, s0
	s_mul_i32 s34, s12, 0x88
	s_mul_i32 s35, s15, 0xffffff78
	v_cmp_ne_u32_e64 s[0:1], 1, v4
	s_branch .LBB149_56
.LBB149_55:                             ;   in Loop: Header=BB149_56 Depth=2
	s_sub_i32 s12, s12, s15
	s_add_i32 s31, s31, s33
	s_add_i32 s34, s34, s35
	s_cmp_lt_i32 s12, s28
	s_cbranch_scc1 .LBB149_52
.LBB149_56:                             ;   Parent Loop BB149_53 Depth=1
                                        ; =>  This Loop Header: Depth=2
                                        ;       Child Loop BB149_58 Depth 3
                                        ;       Child Loop BB149_62 Depth 3
	;; [unrolled: 1-line block ×3, first 2 shown]
                                        ;         Child Loop BB149_68 Depth 4
                                        ;         Child Loop BB149_74 Depth 4
                                        ;       Child Loop BB149_77 Depth 3
                                        ;         Child Loop BB149_79 Depth 4
	s_and_b64 vcc, exec, s[0:1]
	s_cbranch_vccnz .LBB149_60
; %bb.57:                               ;   in Loop: Header=BB149_56 Depth=2
	s_mov_b32 s13, s12
	s_mov_b32 s22, 1
	;; [unrolled: 1-line block ×4, first 2 shown]
	v_mov_b32_e32 v4, v14
.LBB149_58:                             ;   Parent Loop BB149_53 Depth=1
                                        ;     Parent Loop BB149_56 Depth=2
                                        ; =>    This Inner Loop Header: Depth=3
	s_sub_i32 s20, s12, s23
	s_sub_i32 s36, s13, s22
	s_ashr_i32 s21, s20, 31
	s_ashr_i32 s37, s36, 31
	v_lshl_add_u64 v[6:7], s[20:21], 3, v[0:1]
	v_lshl_add_u64 v[8:9], s[36:37], 3, v[0:1]
	flat_load_dwordx2 v[16:17], v[6:7]
	flat_load_dwordx2 v[10:11], v[8:9]
	s_add_i32 s23, s23, 2
	s_add_i32 s22, s22, 2
	s_add_i32 s24, s24, -2
	s_mov_b32 s2, s30
	s_mov_b64 s[20:21], s[18:19]
	s_cmp_lg_u32 s24, 0
	s_waitcnt vmcnt(0) lgkmcnt(0)
	v_mov_b32_e32 v6, v16
	v_mov_b32_e32 v7, v10
	;; [unrolled: 1-line block ×3, first 2 shown]
	v_pk_mul_f32 v[8:9], v[10:11], s[8:9]
	v_pk_mul_f32 v[10:11], v[10:11], s[4:5]
	v_pk_fma_f32 v[16:17], v[6:7], s[4:5], v[8:9] neg_lo:[0,0,1] neg_hi:[0,0,1]
	v_pk_fma_f32 v[8:9], v[6:7], s[8:9], v[10:11]
	v_mov_b32_e32 v6, v16
	v_mov_b32_e32 v7, v8
	;; [unrolled: 1-line block ×3, first 2 shown]
	ds_write_b128 v4, v[6:9]
	v_add_u32_e32 v4, 16, v4
	s_cbranch_scc1 .LBB149_58
; %bb.59:                               ;   in Loop: Header=BB149_56 Depth=2
	s_ashr_i32 s13, s12, 31
	s_and_b64 vcc, exec, s[20:21]
	s_cbranch_vccnz .LBB149_61
	s_branch .LBB149_63
.LBB149_60:                             ;   in Loop: Header=BB149_56 Depth=2
	s_mov_b32 s2, 0
	s_ashr_i32 s13, s12, 31
	s_cbranch_execz .LBB149_63
.LBB149_61:                             ;   in Loop: Header=BB149_56 Depth=2
	s_lshl_b64 s[22:23], s[12:13], 3
	s_sub_i32 s20, s29, s2
	s_lshl_b64 s[24:25], s[2:3], 3
	s_sub_u32 s22, s22, s24
	s_subb_u32 s23, s23, s25
	v_lshl_add_u64 v[4:5], v[2:3], 0, s[22:23]
	v_lshl_add_u32 v6, s2, 3, v12
.LBB149_62:                             ;   Parent Loop BB149_53 Depth=1
                                        ;     Parent Loop BB149_56 Depth=2
                                        ; =>    This Inner Loop Header: Depth=3
	flat_load_dwordx2 v[8:9], v[4:5]
	s_add_i32 s20, s20, -1
	v_lshl_add_u64 v[4:5], v[4:5], 0, -8
	s_cmp_eq_u32 s20, 0
	s_waitcnt vmcnt(0) lgkmcnt(0)
	v_pk_mul_f32 v[10:11], v[8:9], s[10:11] op_sel:[1,0]
	s_nop 0
	v_pk_fma_f32 v[16:17], v[8:9], s[6:7], v[10:11] neg_lo:[0,0,1] neg_hi:[0,0,1]
	v_pk_fma_f32 v[8:9], v[8:9], s[6:7], v[10:11] op_sel_hi:[0,1,1]
	v_mov_b32_e32 v17, v9
	ds_write_b64 v6, v[16:17]
	v_add_u32_e32 v6, 8, v6
	s_cbranch_scc0 .LBB149_62
.LBB149_63:                             ;   in Loop: Header=BB149_56 Depth=2
	s_cmp_le_i32 s27, s12
	s_cbranch_scc1 .LBB149_75
; %bb.64:                               ;   in Loop: Header=BB149_56 Depth=2
	s_mov_b32 s2, s12
	s_mov_b32 s36, s12
	;; [unrolled: 1-line block ×4, first 2 shown]
	s_branch .LBB149_66
.LBB149_65:                             ;   in Loop: Header=BB149_66 Depth=3
	s_add_i32 s20, s20, -1
	s_addk_i32 s37, 0xff80
	s_cmp_le_i32 s20, s12
	s_cbranch_scc1 .LBB149_75
.LBB149_66:                             ;   Parent Loop BB149_53 Depth=1
                                        ;     Parent Loop BB149_56 Depth=2
                                        ; =>    This Loop Header: Depth=3
                                        ;         Child Loop BB149_68 Depth 4
                                        ;         Child Loop BB149_74 Depth 4
	s_ashr_i32 s21, s20, 31
	v_lshl_add_u64 v[4:5], s[20:21], 3, v[0:1]
	flat_load_dwordx2 v[4:5], v[4:5]
	s_and_b64 vcc, exec, s[16:17]
	s_cbranch_vccz .LBB149_70
; %bb.67:                               ;   in Loop: Header=BB149_66 Depth=3
	s_lshl_b32 s21, s20, 7
	s_waitcnt vmcnt(0) lgkmcnt(0)
	v_mov_b32_e32 v8, v4
	v_mov_b32_e32 v9, v4
	;; [unrolled: 1-line block ×5, first 2 shown]
	s_mov_b32 s22, 1
	s_mov_b32 s23, 0
	;; [unrolled: 1-line block ×3, first 2 shown]
	v_mov_b32_e32 v7, v14
.LBB149_68:                             ;   Parent Loop BB149_53 Depth=1
                                        ;     Parent Loop BB149_56 Depth=2
                                        ;       Parent Loop BB149_66 Depth=3
                                        ; =>      This Inner Loop Header: Depth=4
	s_sub_i32 s38, s2, s23
	s_sub_i32 s25, s36, s22
	s_lshl_b32 s38, s38, 3
	s_lshl_b32 s25, s25, 3
	s_add_i32 s38, s21, s38
	s_add_i32 s25, s21, s25
	v_mov_b32_e32 v13, s38
	ds_read_b128 v[16:19], v7
	v_mov_b32_e32 v15, s25
	ds_read_b64 v[24:25], v13
	ds_read_b64 v[20:21], v15
	s_add_i32 s23, s23, 2
	s_add_i32 s22, s22, 2
	s_waitcnt lgkmcnt(2)
	v_mov_b32_e32 v23, v18
	v_mov_b32_e32 v18, v17
	s_waitcnt lgkmcnt(0)
	v_mov_b32_e32 v17, v20
	v_mov_b32_e32 v20, v25
	;; [unrolled: 1-line block ×4, first 2 shown]
	v_pk_mul_f32 v[24:25], v[20:21], v[10:11]
	v_pk_mul_f32 v[20:21], v[20:21], v[8:9]
	v_pk_fma_f32 v[24:25], v[16:17], v[8:9], v[24:25] neg_lo:[0,0,1] neg_hi:[0,0,1]
	v_pk_fma_f32 v[16:17], v[16:17], v[10:11], v[20:21]
	v_pk_add_f32 v[20:21], v[22:23], v[24:25] neg_lo:[0,1] neg_hi:[0,1]
	v_pk_add_f32 v[18:19], v[18:19], v[16:17] neg_lo:[0,1] neg_hi:[0,1]
	s_add_i32 s24, s24, -2
	v_mov_b32_e32 v16, v20
	v_mov_b32_e32 v17, v18
	;; [unrolled: 1-line block ×3, first 2 shown]
	s_cmp_lg_u32 s24, 0
	ds_write_b128 v7, v[16:19]
	v_add_u32_e32 v7, 16, v7
	s_cbranch_scc1 .LBB149_68
; %bb.69:                               ;   in Loop: Header=BB149_66 Depth=3
	s_mov_b64 s[22:23], s[18:19]
	s_mov_b32 s24, s30
	s_branch .LBB149_72
.LBB149_70:                             ;   in Loop: Header=BB149_66 Depth=3
	s_waitcnt vmcnt(0) lgkmcnt(0)
	v_mov_b32_e32 v6, v5
	s_mov_b64 s[22:23], 0
	s_mov_b32 s24, s30
	s_cbranch_execz .LBB149_72
; %bb.71:                               ;   in Loop: Header=BB149_66 Depth=3
	s_mov_b64 s[22:23], -1
	s_mov_b32 s24, 0
.LBB149_72:                             ;   in Loop: Header=BB149_66 Depth=3
	s_andn2_b64 vcc, exec, s[22:23]
	s_cbranch_vccnz .LBB149_65
; %bb.73:                               ;   in Loop: Header=BB149_66 Depth=3
	s_lshl_b32 s23, s24, 3
	v_mov_b32_e32 v7, v5
	v_mov_b32_e32 v5, v4
	s_sub_i32 s21, s29, s24
	s_sub_i32 s22, s37, s23
	v_add_u32_e32 v8, s23, v12
.LBB149_74:                             ;   Parent Loop BB149_53 Depth=1
                                        ;     Parent Loop BB149_56 Depth=2
                                        ;       Parent Loop BB149_66 Depth=3
                                        ; =>      This Inner Loop Header: Depth=4
	v_mov_b32_e32 v9, s22
	ds_read_b64 v[16:17], v9
	ds_read_b64 v[10:11], v8
	s_add_i32 s21, s21, -1
	s_add_i32 s22, s22, -8
	s_cmp_eq_u32 s21, 0
	s_waitcnt lgkmcnt(1)
	v_pk_mul_f32 v[18:19], v[16:17], v[6:7] op_sel:[1,0] op_sel_hi:[0,1]
	v_pk_fma_f32 v[20:21], v[16:17], v[4:5], v[18:19] neg_lo:[0,0,1] neg_hi:[0,0,1]
	v_pk_fma_f32 v[16:17], v[16:17], v[4:5], v[18:19]
	s_nop 0
	v_mov_b32_e32 v21, v17
	s_waitcnt lgkmcnt(0)
	v_pk_add_f32 v[10:11], v[10:11], v[20:21] neg_lo:[0,1] neg_hi:[0,1]
	ds_write_b64 v8, v[10:11]
	v_add_u32_e32 v8, 8, v8
	s_cbranch_scc0 .LBB149_74
	s_branch .LBB149_65
.LBB149_75:                             ;   in Loop: Header=BB149_56 Depth=2
	s_mov_b32 s2, 0
	s_mov_b32 s36, s34
	s_branch .LBB149_77
.LBB149_76:                             ;   in Loop: Header=BB149_77 Depth=3
	s_mulk_i32 s22, 0x88
	v_mov_b32_e32 v5, s22
	ds_read_b64 v[8:9], v5
	s_add_i32 s2, s2, 1
	s_add_i32 s36, s36, -8
	v_lshl_add_u64 v[10:11], s[20:21], 3, v[0:1]
	s_cmp_eq_u32 s2, s29
	s_waitcnt lgkmcnt(0)
	v_pk_mul_f32 v[16:17], v[8:9], v[6:7] op_sel:[1,0] op_sel_hi:[0,0]
	v_pk_fma_f32 v[18:19], v[8:9], v[4:5], v[16:17] neg_lo:[0,0,1] neg_hi:[0,0,1]
	v_pk_fma_f32 v[4:5], v[8:9], v[4:5], v[16:17] op_sel_hi:[1,0,1]
	s_nop 0
	v_mov_b32_e32 v19, v5
	ds_write_b64 v7, v[18:19]
	flat_store_dwordx2 v[10:11], v[18:19]
	s_cbranch_scc1 .LBB149_55
.LBB149_77:                             ;   Parent Loop BB149_53 Depth=1
                                        ;     Parent Loop BB149_56 Depth=2
                                        ; =>    This Loop Header: Depth=3
                                        ;         Child Loop BB149_79 Depth 4
	s_cmp_lg_u32 s2, 0
	v_lshl_add_u32 v7, s2, 3, v14
	s_cbranch_scc0 .LBB149_81
; %bb.78:                               ;   in Loop: Header=BB149_77 Depth=3
	ds_read_b64 v[4:5], v7
	v_mov_b32_e32 v6, v14
	s_mov_b32 s20, s36
	s_mov_b32 s21, s2
.LBB149_79:                             ;   Parent Loop BB149_53 Depth=1
                                        ;     Parent Loop BB149_56 Depth=2
                                        ;       Parent Loop BB149_77 Depth=3
                                        ; =>      This Inner Loop Header: Depth=4
	v_mov_b32_e32 v10, s20
	ds_read_b64 v[8:9], v6
	ds_read_b64 v[10:11], v10
	s_add_i32 s21, s21, -1
	s_addk_i32 s20, 0xff80
	v_add_u32_e32 v6, 8, v6
	s_cmp_eq_u32 s21, 0
	s_waitcnt lgkmcnt(0)
	v_pk_mul_f32 v[16:17], v[10:11], v[8:9] op_sel:[1,1] op_sel_hi:[0,1]
	v_pk_fma_f32 v[18:19], v[10:11], v[8:9], v[16:17] neg_lo:[0,0,1] neg_hi:[0,0,1]
	v_pk_fma_f32 v[8:9], v[10:11], v[8:9], v[16:17] op_sel_hi:[1,0,1]
	s_nop 0
	v_mov_b32_e32 v19, v9
	v_pk_add_f32 v[4:5], v[4:5], v[18:19] neg_lo:[0,1] neg_hi:[0,1]
	ds_write_b64 v7, v[4:5]
	s_cbranch_scc0 .LBB149_79
; %bb.80:                               ;   in Loop: Header=BB149_77 Depth=3
	s_sub_i32 s22, s12, s2
	s_ashr_i32 s23, s22, 31
	v_mov_b32_e32 v6, v5
	s_mov_b64 s[20:21], s[22:23]
	s_branch .LBB149_76
.LBB149_81:                             ;   in Loop: Header=BB149_77 Depth=3
                                        ; implicit-def: $vgpr4
                                        ; implicit-def: $vgpr6
                                        ; implicit-def: $sgpr22
                                        ; implicit-def: $sgpr20_sgpr21
	s_cbranch_execz .LBB149_76
; %bb.82:                               ;   in Loop: Header=BB149_77 Depth=3
	ds_read_b64 v[4:5], v14
	s_mov_b64 s[20:21], s[12:13]
	s_mov_b32 s22, s12
	s_waitcnt lgkmcnt(0)
	v_mov_b32_e32 v6, v5
	s_branch .LBB149_76
.LBB149_83:
	s_endpgm
	.section	.rodata,"a",@progbits
	.p2align	6, 0x0
	.amdhsa_kernel _ZL30rocblas_trsm_small_left_deviceILi16ELi16ELb0E19rocblas_complex_numIfES1_PKPKS1_PKPS1_Ev13rocblas_fill_18rocblas_operation_17rocblas_diagonal_iiT3_T4_lilT5_lili
		.amdhsa_group_segment_fixed_size 4096
		.amdhsa_private_segment_fixed_size 0
		.amdhsa_kernarg_size 360
		.amdhsa_user_sgpr_count 4
		.amdhsa_user_sgpr_dispatch_ptr 1
		.amdhsa_user_sgpr_queue_ptr 0
		.amdhsa_user_sgpr_kernarg_segment_ptr 1
		.amdhsa_user_sgpr_dispatch_id 0
		.amdhsa_user_sgpr_kernarg_preload_length 0
		.amdhsa_user_sgpr_kernarg_preload_offset 0
		.amdhsa_user_sgpr_private_segment_size 0
		.amdhsa_uses_dynamic_stack 0
		.amdhsa_enable_private_segment 0
		.amdhsa_system_sgpr_workgroup_id_x 1
		.amdhsa_system_sgpr_workgroup_id_y 0
		.amdhsa_system_sgpr_workgroup_id_z 1
		.amdhsa_system_sgpr_workgroup_info 0
		.amdhsa_system_vgpr_workitem_id 2
		.amdhsa_next_free_vgpr 28
		.amdhsa_next_free_sgpr 41
		.amdhsa_accum_offset 28
		.amdhsa_reserve_vcc 1
		.amdhsa_float_round_mode_32 0
		.amdhsa_float_round_mode_16_64 0
		.amdhsa_float_denorm_mode_32 3
		.amdhsa_float_denorm_mode_16_64 3
		.amdhsa_dx10_clamp 1
		.amdhsa_ieee_mode 1
		.amdhsa_fp16_overflow 0
		.amdhsa_tg_split 0
		.amdhsa_exception_fp_ieee_invalid_op 0
		.amdhsa_exception_fp_denorm_src 0
		.amdhsa_exception_fp_ieee_div_zero 0
		.amdhsa_exception_fp_ieee_overflow 0
		.amdhsa_exception_fp_ieee_underflow 0
		.amdhsa_exception_fp_ieee_inexact 0
		.amdhsa_exception_int_div_zero 0
	.end_amdhsa_kernel
	.section	.text._ZL30rocblas_trsm_small_left_deviceILi16ELi16ELb0E19rocblas_complex_numIfES1_PKPKS1_PKPS1_Ev13rocblas_fill_18rocblas_operation_17rocblas_diagonal_iiT3_T4_lilT5_lili,"axG",@progbits,_ZL30rocblas_trsm_small_left_deviceILi16ELi16ELb0E19rocblas_complex_numIfES1_PKPKS1_PKPS1_Ev13rocblas_fill_18rocblas_operation_17rocblas_diagonal_iiT3_T4_lilT5_lili,comdat
.Lfunc_end149:
	.size	_ZL30rocblas_trsm_small_left_deviceILi16ELi16ELb0E19rocblas_complex_numIfES1_PKPKS1_PKPS1_Ev13rocblas_fill_18rocblas_operation_17rocblas_diagonal_iiT3_T4_lilT5_lili, .Lfunc_end149-_ZL30rocblas_trsm_small_left_deviceILi16ELi16ELb0E19rocblas_complex_numIfES1_PKPKS1_PKPS1_Ev13rocblas_fill_18rocblas_operation_17rocblas_diagonal_iiT3_T4_lilT5_lili
                                        ; -- End function
	.set _ZL30rocblas_trsm_small_left_deviceILi16ELi16ELb0E19rocblas_complex_numIfES1_PKPKS1_PKPS1_Ev13rocblas_fill_18rocblas_operation_17rocblas_diagonal_iiT3_T4_lilT5_lili.num_vgpr, 28
	.set _ZL30rocblas_trsm_small_left_deviceILi16ELi16ELb0E19rocblas_complex_numIfES1_PKPKS1_PKPS1_Ev13rocblas_fill_18rocblas_operation_17rocblas_diagonal_iiT3_T4_lilT5_lili.num_agpr, 0
	.set _ZL30rocblas_trsm_small_left_deviceILi16ELi16ELb0E19rocblas_complex_numIfES1_PKPKS1_PKPS1_Ev13rocblas_fill_18rocblas_operation_17rocblas_diagonal_iiT3_T4_lilT5_lili.numbered_sgpr, 41
	.set _ZL30rocblas_trsm_small_left_deviceILi16ELi16ELb0E19rocblas_complex_numIfES1_PKPKS1_PKPS1_Ev13rocblas_fill_18rocblas_operation_17rocblas_diagonal_iiT3_T4_lilT5_lili.num_named_barrier, 0
	.set _ZL30rocblas_trsm_small_left_deviceILi16ELi16ELb0E19rocblas_complex_numIfES1_PKPKS1_PKPS1_Ev13rocblas_fill_18rocblas_operation_17rocblas_diagonal_iiT3_T4_lilT5_lili.private_seg_size, 0
	.set _ZL30rocblas_trsm_small_left_deviceILi16ELi16ELb0E19rocblas_complex_numIfES1_PKPKS1_PKPS1_Ev13rocblas_fill_18rocblas_operation_17rocblas_diagonal_iiT3_T4_lilT5_lili.uses_vcc, 1
	.set _ZL30rocblas_trsm_small_left_deviceILi16ELi16ELb0E19rocblas_complex_numIfES1_PKPKS1_PKPS1_Ev13rocblas_fill_18rocblas_operation_17rocblas_diagonal_iiT3_T4_lilT5_lili.uses_flat_scratch, 0
	.set _ZL30rocblas_trsm_small_left_deviceILi16ELi16ELb0E19rocblas_complex_numIfES1_PKPKS1_PKPS1_Ev13rocblas_fill_18rocblas_operation_17rocblas_diagonal_iiT3_T4_lilT5_lili.has_dyn_sized_stack, 0
	.set _ZL30rocblas_trsm_small_left_deviceILi16ELi16ELb0E19rocblas_complex_numIfES1_PKPKS1_PKPS1_Ev13rocblas_fill_18rocblas_operation_17rocblas_diagonal_iiT3_T4_lilT5_lili.has_recursion, 0
	.set _ZL30rocblas_trsm_small_left_deviceILi16ELi16ELb0E19rocblas_complex_numIfES1_PKPKS1_PKPS1_Ev13rocblas_fill_18rocblas_operation_17rocblas_diagonal_iiT3_T4_lilT5_lili.has_indirect_call, 0
	.section	.AMDGPU.csdata,"",@progbits
; Kernel info:
; codeLenInByte = 3572
; TotalNumSgprs: 47
; NumVgprs: 28
; NumAgprs: 0
; TotalNumVgprs: 28
; ScratchSize: 0
; MemoryBound: 0
; FloatMode: 240
; IeeeMode: 1
; LDSByteSize: 4096 bytes/workgroup (compile time only)
; SGPRBlocks: 5
; VGPRBlocks: 3
; NumSGPRsForWavesPerEU: 47
; NumVGPRsForWavesPerEU: 28
; AccumOffset: 28
; Occupancy: 8
; WaveLimiterHint : 1
; COMPUTE_PGM_RSRC2:SCRATCH_EN: 0
; COMPUTE_PGM_RSRC2:USER_SGPR: 4
; COMPUTE_PGM_RSRC2:TRAP_HANDLER: 0
; COMPUTE_PGM_RSRC2:TGID_X_EN: 1
; COMPUTE_PGM_RSRC2:TGID_Y_EN: 0
; COMPUTE_PGM_RSRC2:TGID_Z_EN: 1
; COMPUTE_PGM_RSRC2:TIDIG_COMP_CNT: 2
; COMPUTE_PGM_RSRC3_GFX90A:ACCUM_OFFSET: 6
; COMPUTE_PGM_RSRC3_GFX90A:TG_SPLIT: 0
	.section	.text._ZL38rocblas_trsm_small_left_device_sharedBILi16ELi16ELb1E19rocblas_complex_numIfES1_PKPKS1_PKPS1_Ev13rocblas_fill_18rocblas_operation_17rocblas_diagonal_iiT3_T4_lilT5_lili,"axG",@progbits,_ZL38rocblas_trsm_small_left_device_sharedBILi16ELi16ELb1E19rocblas_complex_numIfES1_PKPKS1_PKPS1_Ev13rocblas_fill_18rocblas_operation_17rocblas_diagonal_iiT3_T4_lilT5_lili,comdat
	.globl	_ZL38rocblas_trsm_small_left_device_sharedBILi16ELi16ELb1E19rocblas_complex_numIfES1_PKPKS1_PKPS1_Ev13rocblas_fill_18rocblas_operation_17rocblas_diagonal_iiT3_T4_lilT5_lili ; -- Begin function _ZL38rocblas_trsm_small_left_device_sharedBILi16ELi16ELb1E19rocblas_complex_numIfES1_PKPKS1_PKPS1_Ev13rocblas_fill_18rocblas_operation_17rocblas_diagonal_iiT3_T4_lilT5_lili
	.p2align	8
	.type	_ZL38rocblas_trsm_small_left_device_sharedBILi16ELi16ELb1E19rocblas_complex_numIfES1_PKPKS1_PKPS1_Ev13rocblas_fill_18rocblas_operation_17rocblas_diagonal_iiT3_T4_lilT5_lili,@function
_ZL38rocblas_trsm_small_left_device_sharedBILi16ELi16ELb1E19rocblas_complex_numIfES1_PKPKS1_PKPS1_Ev13rocblas_fill_18rocblas_operation_17rocblas_diagonal_iiT3_T4_lilT5_lili: ; @_ZL38rocblas_trsm_small_left_device_sharedBILi16ELi16ELb1E19rocblas_complex_numIfES1_PKPKS1_PKPS1_Ev13rocblas_fill_18rocblas_operation_17rocblas_diagonal_iiT3_T4_lilT5_lili
; %bb.0:
	s_load_dwordx4 s[12:15], s[2:3], 0x40
	s_load_dwordx4 s[8:11], s[2:3], 0x4
	s_load_dwordx2 s[16:17], s[2:3], 0x14
	s_mov_b32 s6, s5
	s_mov_b32 s7, 0
	s_lshl_b64 s[20:21], s[6:7], 3
	s_waitcnt lgkmcnt(0)
	s_add_u32 s6, s12, s20
	s_addc_u32 s7, s13, s21
	s_load_dword s5, s[2:3], 0x68
	s_load_dwordx2 s[12:13], s[6:7], 0x0
	v_and_b32_e32 v86, 0x3ff, v0
	s_min_i32 s30, s10, 16
	v_cmp_gt_i32_e32 vcc, s30, v86
	s_and_saveexec_b64 s[6:7], vcc
	s_cbranch_execz .LBB150_15
; %bb.1:
	s_load_dword s22, s[2:3], 0x30
	s_load_dwordx4 s[24:27], s[2:3], 0x20
	v_lshlrev_b32_e32 v2, 3, v86
	v_mov_b32_e32 v3, 0
	v_mov_b32_e32 v1, v2
	s_waitcnt lgkmcnt(0)
	s_ashr_i32 s23, s22, 31
	s_cmpk_lg_i32 s8, 0x71
	s_cselect_b64 s[18:19], -1, 0
	s_add_u32 s20, s24, s20
	s_addc_u32 s21, s25, s21
	s_load_dwordx2 s[20:21], s[20:21], 0x0
	s_lshl_b64 s[24:25], s[26:27], 3
	s_waitcnt lgkmcnt(0)
	s_add_u32 s24, s20, s24
	s_addc_u32 s25, s21, s25
	s_lshl_b64 s[20:21], s[22:23], 3
	v_lshl_add_u64 v[4:5], s[24:25], 0, v[2:3]
	s_mov_b32 s24, s30
	s_branch .LBB150_3
.LBB150_2:                              ;   in Loop: Header=BB150_3 Depth=1
	flat_load_dword v6, v[4:5]
	s_add_i32 s24, s24, -1
	v_lshl_add_u64 v[4:5], v[4:5], 0, s[20:21]
	s_cmp_eq_u32 s24, 0
	s_waitcnt vmcnt(0) lgkmcnt(0)
	ds_write_b64 v1, v[6:7]
	v_add_u32_e32 v1, 0x80, v1
	s_cbranch_scc1 .LBB150_7
.LBB150_3:                              ; =>This Inner Loop Header: Depth=1
	s_mov_b64 s[22:23], -1
	s_and_b64 vcc, exec, s[18:19]
                                        ; implicit-def: $vgpr7
	s_cbranch_vccz .LBB150_5
; %bb.4:                                ;   in Loop: Header=BB150_3 Depth=1
	flat_load_dword v7, v[4:5] offset:4
	s_mov_b64 s[22:23], 0
.LBB150_5:                              ;   in Loop: Header=BB150_3 Depth=1
	s_andn2_b64 vcc, exec, s[22:23]
	s_cbranch_vccnz .LBB150_2
; %bb.6:                                ;   in Loop: Header=BB150_3 Depth=1
	flat_load_dword v3, v[4:5] offset:4
	s_waitcnt vmcnt(0) lgkmcnt(0)
	v_xor_b32_e32 v7, 0x80000000, v3
	s_branch .LBB150_2
.LBB150_7:
	v_lshlrev_b32_e32 v1, 7, v86
	s_cmpk_lg_i32 s9, 0x84
	s_mov_b64 s[18:19], -1
	v_add_u32_e32 v1, v2, v1
	s_cbranch_scc0 .LBB150_13
; %bb.8:
	ds_read_b64 v[2:3], v1
                                        ; implicit-def: $vgpr4_vgpr5
	s_waitcnt lgkmcnt(0)
	v_cmp_ngt_f32_e64 s[18:19], |v2|, |v3|
	s_and_saveexec_b64 s[20:21], s[18:19]
	s_xor_b64 s[18:19], exec, s[20:21]
	s_cbranch_execz .LBB150_10
; %bb.9:
	v_div_scale_f32 v4, s[20:21], v3, v3, v2
	v_rcp_f32_e32 v5, v4
	v_div_scale_f32 v6, vcc, v2, v3, v2
	v_fma_f32 v7, -v4, v5, 1.0
	v_fmac_f32_e32 v5, v7, v5
	v_mul_f32_e32 v7, v6, v5
	v_fma_f32 v8, -v4, v7, v6
	v_fmac_f32_e32 v7, v8, v5
	v_fma_f32 v4, -v4, v7, v6
	v_div_fmas_f32 v4, v4, v5, v7
	v_div_fixup_f32 v4, v4, v3, v2
	v_fmac_f32_e32 v3, v2, v4
	v_div_scale_f32 v2, s[20:21], v3, v3, 1.0
	v_rcp_f32_e32 v5, v2
	s_mov_b32 s20, 0
	s_mov_b32 s21, -1.0
	v_fma_f32 v6, -v2, v5, 1.0
	v_fmac_f32_e32 v5, v6, v5
	v_div_scale_f32 v6, vcc, 1.0, v3, 1.0
	v_mul_f32_e32 v7, v6, v5
	v_fma_f32 v8, -v2, v7, v6
	v_fmac_f32_e32 v7, v8, v5
	v_fma_f32 v2, -v2, v7, v6
	v_div_fmas_f32 v2, v2, v5, v7
	v_mul_f32_e32 v5, 0, v4
	v_div_fixup_f32 v2, v2, v3, 1.0
	v_pk_add_f32 v[4:5], v[4:5], s[20:21]
	s_nop 0
	v_pk_mul_f32 v[4:5], v[4:5], v[2:3] op_sel_hi:[1,0]
                                        ; implicit-def: $vgpr2_vgpr3
.LBB150_10:
	s_andn2_saveexec_b64 s[18:19], s[18:19]
	s_cbranch_execz .LBB150_12
; %bb.11:
	v_div_scale_f32 v4, s[20:21], v2, v2, v3
	v_rcp_f32_e32 v5, v4
	v_div_scale_f32 v6, vcc, v3, v2, v3
	v_fma_f32 v7, -v4, v5, 1.0
	v_fmac_f32_e32 v5, v7, v5
	v_mul_f32_e32 v7, v6, v5
	v_fma_f32 v8, -v4, v7, v6
	v_fmac_f32_e32 v7, v8, v5
	v_fma_f32 v4, -v4, v7, v6
	v_div_fmas_f32 v4, v4, v5, v7
	v_div_fixup_f32 v5, v4, v2, v3
	v_fmac_f32_e32 v2, v3, v5
	v_div_scale_f32 v3, s[20:21], v2, v2, 1.0
	v_rcp_f32_e32 v4, v3
	s_nop 0
	v_fma_f32 v6, -v3, v4, 1.0
	v_fmac_f32_e32 v4, v6, v4
	v_div_scale_f32 v6, vcc, 1.0, v2, 1.0
	v_mul_f32_e32 v7, v6, v4
	v_fma_f32 v8, -v3, v7, v6
	v_fmac_f32_e32 v7, v8, v4
	v_fma_f32 v3, -v3, v7, v6
	v_div_fmas_f32 v3, v3, v4, v7
	v_div_fixup_f32 v2, v3, v2, 1.0
	v_mul_f32_e32 v3, 0, v5
	v_add_f32_e32 v4, 1.0, v3
	v_sub_f32_e32 v5, 0, v5
	v_pk_mul_f32 v[4:5], v[4:5], v[2:3] op_sel_hi:[1,0]
.LBB150_12:
	s_or_b64 exec, exec, s[18:19]
	s_mov_b64 s[18:19], 0
	ds_write_b64 v1, v[4:5]
.LBB150_13:
	s_and_b64 vcc, exec, s[18:19]
	s_cbranch_vccz .LBB150_15
; %bb.14:
	v_mov_b32_e32 v2, 1.0
	v_mov_b32_e32 v3, 0
	ds_write_b64 v1, v[2:3]
.LBB150_15:
	s_or_b64 exec, exec, s[6:7]
	s_load_dword s9, s[2:3], 0x50
	s_lshl_b64 s[18:19], s[14:15], 3
	s_waitcnt lgkmcnt(0)
	s_ashr_i32 s31, s9, 31
	s_add_u32 s6, s12, s18
	s_addc_u32 s7, s13, s19
	s_lshl_b32 s20, s4, 4
	s_add_i32 s5, s5, -1
	s_sub_i32 s2, s11, s20
	s_cmp_ge_u32 s4, s5
	s_mul_hi_i32 s3, s9, s20
	s_cselect_b32 s11, s2, 16
	s_mul_i32 s2, s9, s20
	s_lshl_b64 s[2:3], s[2:3], 3
	s_add_u32 s4, s6, s2
	s_addc_u32 s5, s7, s3
	s_cmp_gt_i32 s10, 0
	v_cmp_gt_i32_e64 s[2:3], s11, v86
	s_cselect_b64 s[6:7], -1, 0
	s_mov_b32 s11, 0
	s_and_b64 s[22:23], s[2:3], s[6:7]
	s_and_saveexec_b64 s[14:15], s[22:23]
	s_cbranch_execz .LBB150_23
; %bb.16:
	s_cmp_lt_i32 s10, 2
	s_mov_b64 s[22:23], -1
	s_cbranch_scc1 .LBB150_20
; %bb.17:
	v_mad_i64_i32 v[2:3], s[22:23], s9, v86, 0
	v_mov_b32_e32 v1, 0x800
	s_and_b32 s11, s30, 30
	s_mov_b32 s29, 0
	v_lshl_add_u64 v[2:3], v[2:3], 3, s[4:5]
	v_lshl_add_u32 v1, v86, 3, v1
	s_mov_b32 s22, s16
	s_mov_b32 s23, s16
	s_mov_b32 s24, s17
	s_mov_b32 s25, s17
	s_mov_b32 s26, 1
	s_mov_b32 s21, s11
	s_mov_b32 s28, s29
.LBB150_18:                             ; =>This Inner Loop Header: Depth=1
	v_lshl_add_u64 v[4:5], s[28:29], 3, v[2:3]
	s_mov_b32 s27, s29
	v_lshl_add_u64 v[6:7], s[26:27], 3, v[2:3]
	flat_load_dwordx2 v[12:13], v[4:5]
	flat_load_dwordx2 v[8:9], v[6:7]
	v_lshl_add_u32 v10, s28, 7, v1
	v_lshl_add_u32 v11, s26, 7, v1
	s_add_i32 s28, s28, 2
	s_add_i32 s21, s21, -2
	s_add_i32 s26, s26, 2
	s_cmp_lg_u32 s21, 0
	s_waitcnt vmcnt(0) lgkmcnt(0)
	v_mov_b32_e32 v4, v12
	v_mov_b32_e32 v5, v8
	;; [unrolled: 1-line block ×3, first 2 shown]
	v_pk_mul_f32 v[6:7], s[24:25], v[8:9]
	v_pk_mul_f32 v[8:9], s[22:23], v[8:9]
	v_pk_fma_f32 v[6:7], s[22:23], v[4:5], v[6:7] neg_lo:[0,0,1] neg_hi:[0,0,1]
	v_pk_fma_f32 v[4:5], s[24:25], v[4:5], v[8:9]
	ds_write_b32 v10, v6
	ds_write_b32 v11, v7
	ds_write_b32 v10, v4 offset:4
	ds_write_b32 v11, v5 offset:4
	s_cbranch_scc1 .LBB150_18
; %bb.19:
	s_cmp_lg_u32 s30, s11
	s_cselect_b64 s[22:23], -1, 0
.LBB150_20:
	s_and_b64 vcc, exec, s[22:23]
	s_cbranch_vccz .LBB150_23
; %bb.21:
	s_ashr_i32 s21, s20, 31
	v_lshlrev_b32_e32 v4, 3, v86
	v_mov_b32_e32 v5, 0
	s_sub_i32 s24, s30, s11
	v_lshl_add_u64 v[6:7], s[20:21], 3, v[4:5]
	s_lshl_b32 s20, s11, 3
	s_add_u32 s12, s12, s20
	s_addc_u32 s13, s13, 0
	s_add_u32 s12, s12, s18
	s_addc_u32 s13, s13, s19
	v_mov_b64_e32 v[2:3], s[12:13]
	v_mad_u64_u32 v[2:3], s[12:13], v6, s9, v[2:3]
	v_mul_lo_u32 v1, v6, s31
	v_mul_lo_u32 v5, v7, s9
	v_add3_u32 v3, v5, v3, v1
	v_lshl_add_u32 v1, s11, 7, v4
	s_mov_b32 s22, s17
	s_mov_b32 s23, s16
	v_add_u32_e32 v1, 0x800, v1
.LBB150_22:                             ; =>This Inner Loop Header: Depth=1
	flat_load_dwordx2 v[4:5], v[2:3]
	s_add_i32 s24, s24, -1
	v_lshl_add_u64 v[2:3], v[2:3], 0, 8
	s_cmp_lg_u32 s24, 0
	s_waitcnt vmcnt(0) lgkmcnt(0)
	v_pk_mul_f32 v[6:7], s[22:23], v[4:5] op_sel:[0,1]
	s_nop 0
	v_pk_fma_f32 v[8:9], s[16:17], v[4:5], v[6:7] neg_lo:[0,0,1] neg_hi:[0,0,1]
	v_pk_fma_f32 v[4:5], s[16:17], v[4:5], v[6:7] op_sel_hi:[1,0,1]
	s_nop 0
	v_mov_b32_e32 v9, v5
	ds_write_b64 v1, v[8:9]
	v_add_u32_e32 v1, 0x80, v1
	s_cbranch_scc1 .LBB150_22
.LBB150_23:
	s_or_b64 exec, exec, s[14:15]
	s_load_dwordx2 s[12:13], s[0:1], 0x4
	v_bfe_u32 v2, v0, 10, 10
	v_bfe_u32 v3, v0, 20, 10
	v_mov_b64_e32 v[0:1], 0x1000
	s_waitcnt lgkmcnt(0)
	s_lshr_b32 s0, s12, 16
	s_mul_i32 s0, s0, s13
	v_mul_u32_u24_e32 v2, s13, v2
	v_mul_u32_u24_e32 v4, s0, v86
	v_add3_u32 v2, v4, v2, v3
	v_mad_u64_u32 v[70:71], s[0:1], v2, 56, v[0:1]
	v_mov_b32_e32 v0, 0x800
	s_cmpk_eq_i32 s8, 0x6f
	v_lshl_add_u32 v71, v86, 3, v0
	s_mov_b64 s[0:1], -1
	; wave barrier
	s_cbranch_scc1 .LBB150_52
; %bb.24:
	s_add_i32 s0, s30, -1
	s_cmp_gt_i32 s10, 15
	s_mov_b32 s1, s0
	s_cbranch_scc0 .LBB150_26
; %bb.25:
	ds_read2_b64 v[12:15], v71 offset0:224 offset1:240
	ds_read2_b64 v[18:21], v71 offset0:192 offset1:208
	;; [unrolled: 1-line block ×4, first 2 shown]
	v_mov_b32_e32 v50, 0
	s_waitcnt lgkmcnt(3)
	v_mov_b32_e32 v0, v14
	v_mov_b32_e32 v1, v15
	;; [unrolled: 1-line block ×4, first 2 shown]
	ds_write_b128 v70, v[0:3]
	s_waitcnt lgkmcnt(3)
	v_mov_b32_e32 v0, v20
	v_mov_b32_e32 v1, v21
	;; [unrolled: 1-line block ×4, first 2 shown]
	ds_write_b128 v70, v[0:3] offset:16
	s_waitcnt lgkmcnt(3)
	v_mov_b32_e32 v0, v6
	v_mov_b32_e32 v1, v7
	;; [unrolled: 1-line block ×4, first 2 shown]
	ds_write_b128 v70, v[0:3] offset:32
	s_waitcnt lgkmcnt(3)
	ds_write_b64 v70, v[26:27] offset:48
	ds_read2_b64 v[30:33], v50 offset0:223 offset1:255
	ds_read2_b64 v[16:19], v71 offset0:96 offset1:112
	;; [unrolled: 1-line block ×4, first 2 shown]
	ds_read2_b64 v[0:3], v71 offset1:16
	ds_read_b128 v[34:37], v50 offset:1904
	ds_read2_b64 v[38:41], v50 offset0:221 offset1:222
	s_waitcnt lgkmcnt(6)
	v_mul_f32_e32 v27, v32, v15
	v_mul_f32_e32 v22, v33, v15
	v_fmac_f32_e32 v27, v33, v14
	v_fma_f32 v26, v32, v14, -v22
	s_waitcnt lgkmcnt(1)
	v_mul_f32_e32 v15, v36, v27
	v_mul_f32_e32 v14, v37, v27
	v_fmac_f32_e32 v15, v37, v26
	v_fma_f32 v14, v36, v26, -v14
	v_sub_f32_e32 v13, v13, v15
	v_sub_f32_e32 v12, v12, v14
	v_mul_f32_e32 v29, v34, v13
	v_mul_f32_e32 v14, v35, v13
	v_fmac_f32_e32 v29, v35, v12
	v_mul_f32_e32 v13, v30, v27
	v_fma_f32 v28, v34, v12, -v14
	v_mul_f32_e32 v12, v31, v27
	v_fmac_f32_e32 v13, v31, v26
	s_waitcnt lgkmcnt(0)
	v_mul_f32_e32 v15, v40, v29
	v_fma_f32 v12, v30, v26, -v12
	v_sub_f32_e32 v13, v21, v13
	v_mul_f32_e32 v14, v41, v29
	v_fmac_f32_e32 v15, v41, v28
	v_sub_f32_e32 v12, v20, v12
	v_fma_f32 v14, v40, v28, -v14
	v_sub_f32_e32 v21, v13, v15
	ds_write2_b64 v70, v[26:27], v[28:29] offset1:1
	ds_write2_b64 v71, v[28:29], v[26:27] offset0:224 offset1:240
	v_sub_f32_e32 v20, v12, v14
	v_mul_f32_e32 v12, v39, v21
	v_fma_f32 v30, v38, v20, -v12
	ds_read_b128 v[12:15], v50 offset:1648
	v_mul_f32_e32 v31, v38, v21
	v_fmac_f32_e32 v31, v39, v20
	ds_read2_b64 v[20:23], v70 offset0:3 offset1:4
	ds_read_b128 v[32:35], v50 offset:1632
	s_mov_b32 s1, -1
	s_waitcnt lgkmcnt(2)
	v_mul_f32_e32 v36, v15, v27
	v_fma_f32 v40, v14, v26, -v36
	v_mul_f32_e32 v14, v14, v27
	v_fmac_f32_e32 v14, v15, v26
	s_waitcnt lgkmcnt(1)
	v_sub_f32_e32 v15, v20, v40
	v_mul_f32_e32 v20, v13, v29
	v_fma_f32 v20, v12, v28, -v20
	v_mul_f32_e32 v12, v12, v29
	v_sub_f32_e32 v14, v21, v14
	v_fmac_f32_e32 v12, v13, v28
	v_sub_f32_e32 v13, v15, v20
	s_waitcnt lgkmcnt(0)
	v_mul_f32_e32 v15, v34, v31
	v_sub_f32_e32 v12, v14, v12
	v_mul_f32_e32 v14, v35, v31
	v_fmac_f32_e32 v15, v35, v30
	v_fma_f32 v14, v34, v30, -v14
	v_sub_f32_e32 v21, v12, v15
	v_sub_f32_e32 v20, v13, v14
	v_mul_f32_e32 v12, v33, v21
	v_fma_f32 v46, v32, v20, -v12
	ds_read2_b64 v[12:15], v50 offset0:159 offset1:191
	v_mul_f32_e32 v47, v32, v21
	v_fmac_f32_e32 v47, v33, v20
	ds_read2_b64 v[36:39], v70 offset0:5 offset1:6
	ds_write2_b64 v70, v[30:31], v[46:47] offset0:2 offset1:3
	ds_write2_b64 v71, v[46:47], v[30:31] offset0:192 offset1:208
	ds_read2_b64 v[32:35], v50 offset0:189 offset1:190
	s_waitcnt lgkmcnt(4)
	v_mul_f32_e32 v20, v15, v27
	v_fma_f32 v20, v14, v26, -v20
	v_mul_f32_e32 v14, v14, v27
	v_fmac_f32_e32 v14, v15, v26
	v_sub_f32_e32 v15, v22, v20
	v_sub_f32_e32 v14, v23, v14
	ds_read2_b64 v[20:23], v50 offset0:187 offset1:188
	s_waitcnt lgkmcnt(1)
	v_mul_f32_e32 v40, v35, v29
	v_fma_f32 v40, v34, v28, -v40
	v_mul_f32_e32 v34, v34, v29
	v_fmac_f32_e32 v34, v35, v28
	v_sub_f32_e32 v14, v14, v34
	v_mul_f32_e32 v34, v33, v31
	v_fma_f32 v34, v32, v30, -v34
	v_mul_f32_e32 v32, v32, v31
	v_fmac_f32_e32 v32, v33, v30
	v_sub_f32_e32 v15, v15, v40
	v_sub_f32_e32 v14, v14, v32
	s_waitcnt lgkmcnt(0)
	v_mul_f32_e32 v32, v23, v47
	v_sub_f32_e32 v15, v15, v34
	v_fma_f32 v32, v22, v46, -v32
	v_mul_f32_e32 v22, v22, v47
	v_sub_f32_e32 v15, v15, v32
	ds_read_b128 v[32:35], v50 offset:1392
	v_fmac_f32_e32 v22, v23, v46
	v_sub_f32_e32 v14, v14, v22
	v_mul_f32_e32 v22, v21, v14
	v_mul_f32_e32 v49, v20, v14
	v_fma_f32 v48, v20, v15, -v22
	v_fmac_f32_e32 v49, v21, v15
	ds_read_b128 v[20:23], v50 offset:1376
	s_waitcnt lgkmcnt(1)
	v_mul_f32_e32 v14, v35, v27
	v_fma_f32 v14, v34, v26, -v14
	v_mul_f32_e32 v15, v34, v27
	v_mul_f32_e32 v34, v33, v29
	v_fmac_f32_e32 v15, v35, v26
	v_fma_f32 v34, v32, v28, -v34
	v_mul_f32_e32 v32, v32, v29
	v_sub_f32_e32 v15, v37, v15
	v_fmac_f32_e32 v32, v33, v28
	v_sub_f32_e32 v14, v36, v14
	v_sub_f32_e32 v15, v15, v32
	s_waitcnt lgkmcnt(0)
	v_mul_f32_e32 v32, v23, v31
	v_sub_f32_e32 v14, v14, v34
	v_fma_f32 v32, v22, v30, -v32
	v_mul_f32_e32 v22, v22, v31
	v_sub_f32_e32 v14, v14, v32
	ds_read_b128 v[32:35], v50 offset:1360
	v_fmac_f32_e32 v22, v23, v30
	v_sub_f32_e32 v15, v15, v22
	v_mul_f32_e32 v22, v21, v47
	v_fma_f32 v22, v20, v46, -v22
	v_mul_f32_e32 v20, v20, v47
	v_fmac_f32_e32 v20, v21, v46
	v_sub_f32_e32 v14, v14, v22
	v_sub_f32_e32 v15, v15, v20
	ds_read2_b64 v[20:23], v50 offset0:157 offset1:158
	s_waitcnt lgkmcnt(1)
	v_mul_f32_e32 v36, v35, v49
	v_fma_f32 v36, v34, v48, -v36
	v_mul_f32_e32 v34, v34, v49
	v_fmac_f32_e32 v34, v35, v48
	v_sub_f32_e32 v15, v15, v34
	v_sub_f32_e32 v14, v14, v36
	v_mul_f32_e32 v34, v33, v15
	v_mul_f32_e32 v53, v32, v15
	v_fma_f32 v52, v32, v14, -v34
	v_fmac_f32_e32 v53, v33, v14
	v_mul_f32_e32 v14, v13, v27
	v_fma_f32 v14, v12, v26, -v14
	v_mul_f32_e32 v12, v12, v27
	v_fmac_f32_e32 v12, v13, v26
	s_waitcnt lgkmcnt(0)
	v_mul_f32_e32 v15, v22, v29
	v_sub_f32_e32 v13, v38, v14
	v_sub_f32_e32 v12, v39, v12
	v_mul_f32_e32 v14, v23, v29
	v_fmac_f32_e32 v15, v23, v28
	ds_write2_b64 v70, v[48:49], v[52:53] offset0:4 offset1:5
	ds_write2_b64 v71, v[52:53], v[48:49] offset0:160 offset1:176
	v_fma_f32 v14, v22, v28, -v14
	v_sub_f32_e32 v23, v12, v15
	v_mul_f32_e32 v12, v21, v31
	v_sub_f32_e32 v22, v13, v14
	v_fma_f32 v32, v20, v30, -v12
	ds_read2_b64 v[12:15], v50 offset0:155 offset1:156
	v_mul_f32_e32 v20, v20, v31
	v_fmac_f32_e32 v20, v21, v30
	v_sub_f32_e32 v32, v22, v32
	v_sub_f32_e32 v33, v23, v20
	ds_read2_b64 v[20:23], v50 offset0:153 offset1:154
	s_waitcnt lgkmcnt(1)
	v_mul_f32_e32 v34, v15, v47
	v_fma_f32 v34, v14, v46, -v34
	v_mul_f32_e32 v14, v14, v47
	v_fmac_f32_e32 v14, v15, v46
	v_sub_f32_e32 v15, v32, v34
	v_mul_f32_e32 v32, v13, v49
	ds_read_b128 v[34:37], v50 offset:1120
	ds_read_b128 v[38:41], v50 offset:1136
	v_fma_f32 v32, v12, v48, -v32
	v_mul_f32_e32 v12, v12, v49
	v_sub_f32_e32 v14, v33, v14
	v_fmac_f32_e32 v12, v13, v48
	v_sub_f32_e32 v13, v15, v32
	s_waitcnt lgkmcnt(2)
	v_mul_f32_e32 v15, v22, v53
	v_sub_f32_e32 v12, v14, v12
	v_mul_f32_e32 v14, v23, v53
	v_fmac_f32_e32 v15, v23, v52
	v_fma_f32 v14, v22, v52, -v14
	v_sub_f32_e32 v12, v12, v15
	v_sub_f32_e32 v13, v13, v14
	v_mul_f32_e32 v14, v21, v12
	v_mul_f32_e32 v33, v20, v12
	s_waitcnt lgkmcnt(0)
	v_mul_f32_e32 v51, v41, v27
	v_mul_f32_e32 v27, v40, v27
	v_fma_f32 v32, v20, v13, -v14
	v_fmac_f32_e32 v33, v21, v13
	v_fmac_f32_e32 v27, v41, v26
	ds_write_b64 v70, v[32:33] offset:48
	v_sub_f32_e32 v25, v25, v27
	v_mul_f32_e32 v27, v38, v29
	ds_read2_b64 v[12:15], v70 offset0:5 offset1:6
	ds_read_b128 v[20:23], v50 offset:1088
	ds_read_b128 v[42:45], v50 offset:1104
	v_fma_f32 v51, v40, v26, -v51
	v_mul_f32_e32 v26, v39, v29
	v_fmac_f32_e32 v27, v39, v28
	v_sub_f32_e32 v24, v24, v51
	v_fma_f32 v26, v38, v28, -v26
	v_sub_f32_e32 v25, v25, v27
	v_mul_f32_e32 v27, v36, v31
	v_sub_f32_e32 v24, v24, v26
	v_mul_f32_e32 v26, v37, v31
	v_fmac_f32_e32 v27, v37, v30
	v_fma_f32 v26, v36, v30, -v26
	v_sub_f32_e32 v25, v25, v27
	v_mul_f32_e32 v27, v34, v47
	v_sub_f32_e32 v24, v24, v26
	v_mul_f32_e32 v26, v35, v47
	v_fmac_f32_e32 v27, v35, v46
	v_fma_f32 v26, v34, v46, -v26
	v_sub_f32_e32 v25, v25, v27
	s_waitcnt lgkmcnt(0)
	v_mul_f32_e32 v27, v44, v49
	v_sub_f32_e32 v24, v24, v26
	v_mul_f32_e32 v26, v45, v49
	v_fmac_f32_e32 v27, v45, v48
	v_fma_f32 v26, v44, v48, -v26
	v_sub_f32_e32 v25, v25, v27
	v_mul_f32_e32 v27, v42, v53
	v_mul_f32_e32 v30, v23, v15
	v_sub_f32_e32 v24, v24, v26
	v_mul_f32_e32 v26, v43, v53
	v_fmac_f32_e32 v27, v43, v52
	v_fma_f32 v30, v22, v14, -v30
	v_mul_f32_e32 v22, v22, v15
	v_fma_f32 v26, v42, v52, -v26
	v_sub_f32_e32 v29, v25, v27
	v_fmac_f32_e32 v22, v23, v14
	v_sub_f32_e32 v28, v24, v26
	v_sub_f32_e32 v23, v29, v22
	;; [unrolled: 1-line block ×3, first 2 shown]
	v_mul_f32_e32 v22, v21, v23
	v_mul_f32_e32 v23, v20, v23
	ds_read_b128 v[24:27], v70 offset:32
	v_fma_f32 v22, v20, v28, -v22
	ds_read2_b64 v[42:45], v70 offset1:2
	ds_read2_b64 v[46:49], v50 offset0:93 offset1:127
	v_fmac_f32_e32 v23, v21, v28
	ds_write2_b64 v71, v[22:23], v[14:15] offset0:128 offset1:144
	ds_read_b128 v[52:55], v70 offset:16
	ds_read_b128 v[34:37], v70
	ds_read2_b64 v[38:41], v50 offset0:125 offset1:126
	ds_read2_b64 v[56:59], v50 offset0:123 offset1:124
	ds_read_b128 v[60:63], v70
	ds_read2_b64 v[64:67], v70 offset0:1 offset1:2
	ds_read_b128 v[28:31], v70
	s_waitcnt lgkmcnt(8)
	v_mul_f32_e32 v14, v49, v43
	v_mul_f32_e32 v15, v48, v43
	v_fma_f32 v14, v48, v42, -v14
	v_fmac_f32_e32 v15, v49, v42
	v_sub_f32_e32 v14, v18, v14
	v_sub_f32_e32 v15, v19, v15
	s_waitcnt lgkmcnt(4)
	v_mul_f32_e32 v18, v41, v37
	v_mul_f32_e32 v19, v40, v37
	v_fma_f32 v18, v40, v36, -v18
	v_fmac_f32_e32 v19, v41, v36
	v_sub_f32_e32 v14, v14, v18
	v_sub_f32_e32 v15, v15, v19
	;; [unrolled: 7-line block ×3, first 2 shown]
	ds_read2_b64 v[18:21], v70 offset0:1 offset1:2
	ds_read2_b64 v[66:69], v70 offset0:3 offset1:4
	v_mul_f32_e32 v36, v59, v55
	v_fma_f32 v36, v58, v54, -v36
	v_mul_f32_e32 v37, v58, v55
	v_fmac_f32_e32 v37, v59, v54
	v_sub_f32_e32 v14, v14, v36
	s_waitcnt lgkmcnt(0)
	v_mul_f32_e32 v36, v57, v69
	v_sub_f32_e32 v15, v15, v37
	ds_read_b64 v[48:49], v70 offset:24
	v_fma_f32 v51, v56, v68, -v36
	ds_read_b128 v[36:39], v70 offset:32
	ds_read2_b64 v[40:43], v50 offset0:121 offset1:122
	v_mul_f32_e32 v54, v56, v69
	v_fmac_f32_e32 v54, v57, v68
	v_sub_f32_e32 v14, v14, v51
	v_sub_f32_e32 v15, v15, v54
	ds_read2_b64 v[54:57], v50 offset0:119 offset1:120
	ds_read2_b64 v[72:75], v70 offset0:4 offset1:5
	s_waitcnt lgkmcnt(2)
	v_mul_f32_e32 v51, v43, v39
	v_mul_f32_e32 v39, v42, v39
	v_fma_f32 v51, v42, v38, -v51
	v_fmac_f32_e32 v39, v43, v38
	v_mul_f32_e32 v38, v41, v33
	v_sub_f32_e32 v14, v14, v51
	v_fma_f32 v38, v40, v32, -v38
	v_mul_f32_e32 v33, v40, v33
	v_sub_f32_e32 v15, v15, v39
	v_fmac_f32_e32 v33, v41, v32
	v_sub_f32_e32 v14, v14, v38
	ds_read_b128 v[38:41], v50 offset:880
	v_sub_f32_e32 v15, v15, v33
	s_waitcnt lgkmcnt(2)
	v_mul_f32_e32 v33, v56, v23
	v_mul_f32_e32 v32, v57, v23
	v_fmac_f32_e32 v33, v57, v22
	v_fma_f32 v32, v56, v22, -v32
	v_sub_f32_e32 v15, v15, v33
	v_sub_f32_e32 v14, v14, v32
	v_mul_f32_e32 v32, v55, v15
	v_mul_f32_e32 v43, v54, v15
	v_fma_f32 v42, v54, v14, -v32
	v_fmac_f32_e32 v43, v55, v14
	ds_read_b128 v[54:57], v50 offset:864
	s_waitcnt lgkmcnt(1)
	v_mul_f32_e32 v14, v41, v35
	v_mul_f32_e32 v15, v40, v35
	v_fma_f32 v14, v40, v34, -v14
	v_fmac_f32_e32 v15, v41, v34
	v_sub_f32_e32 v14, v16, v14
	v_sub_f32_e32 v15, v17, v15
	v_mul_f32_e32 v16, v39, v65
	v_mul_f32_e32 v17, v38, v65
	v_fma_f32 v16, v38, v64, -v16
	v_fmac_f32_e32 v17, v39, v64
	v_sub_f32_e32 v32, v14, v16
	v_sub_f32_e32 v33, v15, v17
	ds_read2_b64 v[14:17], v70 offset0:3 offset1:4
	ds_read2_b64 v[38:41], v70 offset0:5 offset1:6
	ds_read_b128 v[76:79], v50 offset:816
	ds_read_b128 v[80:83], v50 offset:832
	;; [unrolled: 1-line block ×3, first 2 shown]
	s_waitcnt lgkmcnt(5)
	v_mul_f32_e32 v34, v57, v45
	v_mul_f32_e32 v35, v56, v45
	v_fma_f32 v34, v56, v44, -v34
	v_fmac_f32_e32 v35, v57, v44
	v_sub_f32_e32 v32, v32, v34
	v_sub_f32_e32 v33, v33, v35
	v_mul_f32_e32 v34, v55, v49
	v_mul_f32_e32 v35, v54, v49
	v_fma_f32 v34, v54, v48, -v34
	v_fmac_f32_e32 v35, v55, v48
	s_waitcnt lgkmcnt(0)
	v_mul_f32_e32 v48, v91, v17
	v_sub_f32_e32 v44, v32, v34
	v_fma_f32 v48, v90, v16, -v48
	v_mul_f32_e32 v17, v90, v17
	v_sub_f32_e32 v45, v33, v35
	v_fmac_f32_e32 v17, v91, v16
	v_sub_f32_e32 v16, v44, v48
	v_mul_f32_e32 v44, v89, v75
	v_sub_f32_e32 v17, v45, v17
	v_fma_f32 v44, v88, v74, -v44
	v_mul_f32_e32 v45, v88, v75
	v_fmac_f32_e32 v45, v89, v74
	v_sub_f32_e32 v16, v16, v44
	v_mul_f32_e32 v44, v83, v41
	v_mul_f32_e32 v41, v82, v41
	v_sub_f32_e32 v17, v17, v45
	v_fmac_f32_e32 v41, v83, v40
	v_sub_f32_e32 v17, v17, v41
	v_mul_f32_e32 v41, v80, v23
	ds_read_b128 v[54:57], v50 offset:752
	v_fma_f32 v44, v82, v40, -v44
	v_mul_f32_e32 v40, v81, v23
	v_fmac_f32_e32 v41, v81, v22
	v_sub_f32_e32 v16, v16, v44
	v_fma_f32 v40, v80, v22, -v40
	v_sub_f32_e32 v17, v17, v41
	v_mul_f32_e32 v41, v78, v43
	v_sub_f32_e32 v16, v16, v40
	v_mul_f32_e32 v40, v79, v43
	v_fmac_f32_e32 v41, v79, v42
	v_fma_f32 v40, v78, v42, -v40
	v_sub_f32_e32 v17, v17, v41
	v_sub_f32_e32 v16, v16, v40
	v_mul_f32_e32 v40, v77, v17
	v_mul_f32_e32 v41, v76, v17
	s_waitcnt lgkmcnt(0)
	v_mov_b32_e32 v17, v56
	v_mov_b32_e32 v44, v60
	;; [unrolled: 1-line block ×4, first 2 shown]
	v_pk_mul_f32 v[60:61], v[56:57], v[60:61]
	v_mov_b32_e32 v56, v57
	v_mov_b32_e32 v57, v54
	v_fma_f32 v40, v76, v16, -v40
	v_fmac_f32_e32 v41, v77, v16
	v_mov_b32_e32 v16, v55
	v_mov_b32_e32 v68, v63
	v_pk_mul_f32 v[44:45], v[56:57], v[44:45]
	v_sub_f32_e32 v51, v60, v61
	v_pk_fma_f32 v[56:57], v[16:17], v[68:69], v[44:45] op_sel:[0,0,1] op_sel_hi:[1,1,0] neg_lo:[1,0,0] neg_hi:[1,0,0]
	v_pk_fma_f32 v[16:17], v[16:17], v[68:69], v[44:45] op_sel:[0,0,1] op_sel_hi:[1,1,0]
	ds_write2_b64 v71, v[40:41], v[42:43] offset0:96 offset1:112
	v_sub_f32_e32 v10, v10, v51
	v_mov_b32_e32 v57, v17
	v_mul_f32_e32 v16, v55, v62
	ds_read2_b64 v[32:35], v70 offset0:3 offset1:4
	ds_read_b64 v[48:49], v70 offset:40
	ds_read_b64 v[58:59], v70 offset:32
	;; [unrolled: 1-line block ×3, first 2 shown]
	v_fmac_f32_e32 v16, v54, v63
	v_pk_add_f32 v[10:11], v[10:11], v[56:57] neg_lo:[0,1] neg_hi:[0,1]
	ds_read2_b64 v[54:57], v50 offset0:91 offset1:92
	v_sub_f32_e32 v11, v11, v16
	v_mul_f32_e32 v16, v47, v53
	v_mul_f32_e32 v17, v46, v53
	v_fma_f32 v16, v46, v52, -v16
	v_fmac_f32_e32 v17, v47, v52
	ds_read2_b64 v[44:47], v50 offset0:89 offset1:90
	v_sub_f32_e32 v10, v10, v16
	s_waitcnt lgkmcnt(1)
	v_mul_f32_e32 v16, v57, v15
	v_fma_f32 v16, v56, v14, -v16
	v_mul_f32_e32 v51, v55, v59
	v_mul_f32_e32 v15, v56, v15
	v_sub_f32_e32 v10, v10, v16
	v_fma_f32 v51, v54, v58, -v51
	v_sub_f32_e32 v11, v11, v17
	v_fmac_f32_e32 v15, v57, v14
	v_mul_f32_e32 v52, v54, v59
	v_sub_f32_e32 v10, v10, v51
	s_waitcnt lgkmcnt(0)
	v_mul_f32_e32 v51, v47, v49
	v_sub_f32_e32 v11, v11, v15
	v_fmac_f32_e32 v52, v55, v58
	v_fma_f32 v51, v46, v48, -v51
	v_mul_f32_e32 v46, v46, v49
	v_sub_f32_e32 v11, v11, v52
	v_fmac_f32_e32 v46, v47, v48
	ds_read_b128 v[14:17], v70 offset:32
	v_sub_f32_e32 v11, v11, v46
	ds_read_b64 v[46:47], v70 offset:48
	ds_read_b64 v[68:69], v70 offset:48
	;; [unrolled: 1-line block ×3, first 2 shown]
	ds_read2_b64 v[52:55], v50 offset0:87 offset1:88
	ds_read2_b64 v[56:59], v50 offset0:85 offset1:86
	v_sub_f32_e32 v10, v10, v51
	v_mul_f32_e32 v51, v45, v65
	v_fma_f32 v51, v44, v64, -v51
	v_mul_f32_e32 v44, v44, v65
	v_fmac_f32_e32 v44, v45, v64
	s_waitcnt lgkmcnt(1)
	v_mul_f32_e32 v45, v54, v23
	v_sub_f32_e32 v11, v11, v44
	v_mul_f32_e32 v44, v55, v23
	v_fmac_f32_e32 v45, v55, v22
	v_sub_f32_e32 v10, v10, v51
	v_fma_f32 v44, v54, v22, -v44
	v_sub_f32_e32 v11, v11, v45
	v_mul_f32_e32 v45, v52, v43
	v_sub_f32_e32 v10, v10, v44
	v_mul_f32_e32 v44, v53, v43
	v_fmac_f32_e32 v45, v53, v42
	v_fma_f32 v44, v52, v42, -v44
	v_sub_f32_e32 v11, v11, v45
	s_waitcnt lgkmcnt(0)
	v_mul_f32_e32 v45, v58, v41
	v_sub_f32_e32 v10, v10, v44
	v_mul_f32_e32 v44, v59, v41
	v_fmac_f32_e32 v45, v59, v40
	v_fma_f32 v44, v58, v40, -v44
	v_sub_f32_e32 v11, v11, v45
	v_sub_f32_e32 v10, v10, v44
	v_mul_f32_e32 v44, v57, v11
	v_mul_f32_e32 v45, v56, v11
	v_fma_f32 v44, v56, v10, -v44
	v_fmac_f32_e32 v45, v57, v10
	ds_read2_b32 v[82:83], v50 offset0:127 offset1:159
	ds_read2_b64 v[52:55], v70 offset0:1 offset1:2
	ds_read_b128 v[56:59], v70
	ds_read_b64 v[84:85], v70 offset:40
	ds_read2_b32 v[10:11], v50 offset0:157 offset1:158
	ds_read2_b32 v[64:65], v50 offset0:158 offset1:159
	ds_read_b128 v[60:63], v70
	s_waitcnt lgkmcnt(4)
	v_mov_b32_e32 v78, v56
	v_mov_b32_e32 v81, v57
	;; [unrolled: 1-line block ×3, first 2 shown]
	s_waitcnt lgkmcnt(1)
	v_pk_mul_f32 v[56:57], v[64:65], v[56:57]
	v_mov_b32_e32 v80, v59
	v_sub_f32_e32 v51, v56, v57
	ds_read_b96 v[74:76], v50 offset:608
	ds_read2_b32 v[64:65], v50 offset0:155 offset1:156
	ds_read2_b64 v[56:59], v70 offset0:1 offset1:2
	v_mov_b32_e32 v90, v83
	v_mov_b32_e32 v88, v52
	;; [unrolled: 1-line block ×3, first 2 shown]
	s_waitcnt lgkmcnt(1)
	v_mov_b32_e32 v91, v65
	v_pk_mul_f32 v[78:79], v[90:91], v[78:79]
	v_mov_b32_e32 v52, v55
	v_pk_fma_f32 v[90:91], v[10:11], v[80:81], v[78:79] op_sel:[0,0,1] op_sel_hi:[1,1,0] neg_lo:[1,0,0] neg_hi:[1,0,0]
	v_pk_fma_f32 v[78:79], v[10:11], v[80:81], v[78:79] op_sel:[0,0,1] op_sel_hi:[1,1,0]
	v_mov_b32_e32 v11, v76
	v_pk_mul_f32 v[10:11], v[10:11], v[88:89]
	v_sub_f32_e32 v8, v8, v51
	v_mov_b32_e32 v91, v79
	v_pk_fma_f32 v[78:79], v[64:65], v[52:53], v[10:11] op_sel:[0,0,1] op_sel_hi:[1,1,0] neg_lo:[1,0,0] neg_hi:[1,0,0]
	v_pk_fma_f32 v[10:11], v[64:65], v[52:53], v[10:11] op_sel:[0,0,1] op_sel_hi:[1,1,0]
	v_pk_add_f32 v[8:9], v[8:9], v[90:91] neg_lo:[0,1] neg_hi:[0,1]
	v_mov_b32_e32 v79, v11
	v_mul_f32_e32 v10, v64, v54
	v_fmac_f32_e32 v10, v76, v55
	v_pk_add_f32 v[8:9], v[8:9], v[78:79] neg_lo:[0,1] neg_hi:[0,1]
	v_mul_f32_e32 v11, v74, v67
	v_sub_f32_e32 v9, v9, v10
	v_mul_f32_e32 v10, v75, v67
	v_fma_f32 v10, v74, v66, -v10
	v_fmac_f32_e32 v11, v75, v66
	ds_read_b128 v[52:55], v50 offset:576
	ds_read_b128 v[64:67], v50 offset:592
	v_sub_f32_e32 v9, v9, v11
	v_sub_f32_e32 v8, v8, v10
	ds_read_b128 v[74:77], v50 offset:544
	ds_read_b128 v[78:81], v50 offset:560
	s_waitcnt lgkmcnt(2)
	v_mul_f32_e32 v11, v66, v73
	v_mul_f32_e32 v10, v67, v73
	v_fmac_f32_e32 v11, v67, v72
	v_mul_f32_e32 v67, v65, v85
	v_fma_f32 v10, v66, v72, -v10
	v_fma_f32 v67, v64, v84, -v67
	v_mul_f32_e32 v64, v64, v85
	v_sub_f32_e32 v51, v8, v10
	v_fmac_f32_e32 v64, v65, v84
	v_mul_f32_e32 v65, v55, v47
	v_sub_f32_e32 v51, v51, v67
	v_fma_f32 v65, v54, v46, -v65
	v_mul_f32_e32 v47, v54, v47
	v_sub_f32_e32 v66, v9, v11
	v_fmac_f32_e32 v47, v55, v46
	v_sub_f32_e32 v46, v51, v65
	v_mul_f32_e32 v51, v53, v23
	v_sub_f32_e32 v64, v66, v64
	v_fma_f32 v51, v52, v22, -v51
	v_mul_f32_e32 v52, v52, v23
	v_sub_f32_e32 v47, v64, v47
	v_fmac_f32_e32 v52, v53, v22
	v_sub_f32_e32 v47, v47, v52
	s_waitcnt lgkmcnt(0)
	v_mul_f32_e32 v52, v80, v43
	v_sub_f32_e32 v46, v46, v51
	v_mul_f32_e32 v51, v81, v43
	v_fmac_f32_e32 v52, v81, v42
	v_fma_f32 v51, v80, v42, -v51
	v_sub_f32_e32 v47, v47, v52
	v_mul_f32_e32 v52, v78, v41
	v_sub_f32_e32 v46, v46, v51
	v_mul_f32_e32 v51, v79, v41
	v_fmac_f32_e32 v52, v79, v40
	v_fma_f32 v51, v78, v40, -v51
	v_sub_f32_e32 v47, v47, v52
	;; [unrolled: 6-line block ×3, first 2 shown]
	v_sub_f32_e32 v51, v46, v51
	v_mul_f32_e32 v46, v75, v47
	v_mul_f32_e32 v47, v74, v47
	v_fma_f32 v46, v74, v51, -v46
	v_fmac_f32_e32 v47, v75, v51
	ds_write2_b64 v71, v[46:47], v[44:45] offset0:64 offset1:80
	ds_read2_b64 v[8:11], v70 offset0:5 offset1:6
	ds_read_b96 v[64:66], v50 offset:480
	ds_read_b64 v[72:73], v50 offset:472
	ds_read2_b32 v[74:75], v50 offset0:123 offset1:124
	ds_read_b128 v[52:55], v70 offset:16
	ds_read2_b32 v[78:79], v50 offset0:125 offset1:126
	ds_read2_b32 v[80:81], v50 offset0:126 offset1:127
	v_mov_b32_e32 v84, v60
	v_mov_b32_e32 v85, v62
	;; [unrolled: 1-line block ×4, first 2 shown]
	s_waitcnt lgkmcnt(0)
	v_pk_mul_f32 v[60:61], v[80:81], v[60:61]
	v_mov_b32_e32 v83, v75
	v_sub_f32_e32 v51, v60, v61
	v_pk_mul_f32 v[60:61], v[82:83], v[84:85]
	v_mov_b32_e32 v80, v59
	v_mov_b32_e32 v81, v57
	v_pk_fma_f32 v[82:83], v[78:79], v[62:63], v[60:61] op_sel:[0,0,1] op_sel_hi:[1,1,0] neg_lo:[1,0,0] neg_hi:[1,0,0]
	v_pk_fma_f32 v[60:61], v[78:79], v[62:63], v[60:61] op_sel:[0,0,1] op_sel_hi:[1,1,0]
	v_sub_f32_e32 v6, v6, v51
	v_mov_b32_e32 v83, v61
	v_mov_b32_e32 v67, v78
	;; [unrolled: 1-line block ×3, first 2 shown]
	v_pk_mul_f32 v[56:57], v[74:75], v[80:81]
	v_pk_add_f32 v[6:7], v[6:7], v[82:83] neg_lo:[0,1] neg_hi:[0,1]
	v_mov_b32_e32 v82, v52
	v_mov_b32_e32 v83, v54
	v_pk_fma_f32 v[78:79], v[66:67], v[58:59], v[56:57] neg_lo:[0,0,1] neg_hi:[0,0,1]
	v_pk_fma_f32 v[56:57], v[66:67], v[58:59], v[56:57]
	v_mov_b32_e32 v75, v64
	v_mov_b32_e32 v76, v65
	;; [unrolled: 1-line block ×5, first 2 shown]
	v_pk_mul_f32 v[56:57], v[74:75], v[82:83]
	v_mul_f32_e32 v51, v65, v54
	v_pk_fma_f32 v[58:59], v[76:77], v[52:53], v[56:57] op_sel:[0,0,1] op_sel_hi:[1,1,0] neg_lo:[1,0,0] neg_hi:[1,0,0]
	v_pk_fma_f32 v[52:53], v[76:77], v[52:53], v[56:57] op_sel:[0,0,1] op_sel_hi:[1,1,0]
	v_fmac_f32_e32 v51, v64, v55
	v_mov_b32_e32 v59, v53
	ds_read2_b64 v[52:55], v50 offset0:57 offset1:58
	v_pk_add_f32 v[6:7], v[6:7], v[78:79] neg_lo:[0,1] neg_hi:[0,1]
	ds_read_b128 v[60:63], v70 offset:16
	v_pk_add_f32 v[6:7], v[6:7], v[58:59] neg_lo:[0,1] neg_hi:[0,1]
	s_nop 0
	v_sub_f32_e32 v7, v7, v51
	v_mul_f32_e32 v51, v73, v37
	v_mul_f32_e32 v37, v72, v37
	v_fma_f32 v51, v72, v36, -v51
	v_fmac_f32_e32 v37, v73, v36
	s_waitcnt lgkmcnt(1)
	v_mul_f32_e32 v36, v55, v39
	v_sub_f32_e32 v6, v6, v51
	v_sub_f32_e32 v7, v7, v37
	v_fma_f32 v36, v54, v38, -v36
	v_mul_f32_e32 v37, v54, v39
	v_fmac_f32_e32 v37, v55, v38
	v_sub_f32_e32 v6, v6, v36
	v_mul_f32_e32 v36, v53, v69
	v_sub_f32_e32 v7, v7, v37
	v_fma_f32 v51, v52, v68, -v36
	ds_read2_b64 v[36:39], v50 offset0:55 offset1:56
	v_mul_f32_e32 v52, v52, v69
	v_fmac_f32_e32 v52, v53, v68
	v_sub_f32_e32 v6, v6, v51
	v_sub_f32_e32 v7, v7, v52
	ds_read2_b64 v[52:55], v50 offset0:53 offset1:54
	s_waitcnt lgkmcnt(1)
	v_mul_f32_e32 v51, v39, v23
	v_fma_f32 v51, v38, v22, -v51
	v_mul_f32_e32 v38, v38, v23
	v_fmac_f32_e32 v38, v39, v22
	v_sub_f32_e32 v7, v7, v38
	v_mul_f32_e32 v38, v37, v43
	v_fma_f32 v38, v36, v42, -v38
	v_mul_f32_e32 v36, v36, v43
	v_fmac_f32_e32 v36, v37, v42
	v_sub_f32_e32 v6, v6, v51
	v_sub_f32_e32 v7, v7, v36
	s_waitcnt lgkmcnt(0)
	v_mul_f32_e32 v36, v55, v41
	v_sub_f32_e32 v6, v6, v38
	v_fma_f32 v36, v54, v40, -v36
	v_mul_f32_e32 v37, v54, v41
	v_fmac_f32_e32 v37, v55, v40
	v_sub_f32_e32 v6, v6, v36
	v_mul_f32_e32 v36, v53, v45
	v_sub_f32_e32 v7, v7, v37
	v_fma_f32 v51, v52, v44, -v36
	ds_read2_b64 v[36:39], v50 offset0:51 offset1:52
	ds_read2_b32 v[68:69], v50 offset0:94 offset1:95
	v_mul_f32_e32 v52, v52, v45
	v_sub_f32_e32 v6, v6, v51
	v_fmac_f32_e32 v52, v53, v44
	s_waitcnt lgkmcnt(1)
	v_mul_f32_e32 v51, v39, v47
	v_fma_f32 v51, v38, v46, -v51
	v_mul_f32_e32 v38, v38, v47
	v_sub_f32_e32 v7, v7, v52
	v_fmac_f32_e32 v38, v39, v46
	v_sub_f32_e32 v7, v7, v38
	v_sub_f32_e32 v39, v6, v51
	v_mul_f32_e32 v6, v37, v7
	v_mul_f32_e32 v7, v36, v7
	v_fma_f32 v6, v36, v39, -v6
	v_fmac_f32_e32 v7, v37, v39
	ds_read_b128 v[36:39], v70
	ds_read2_b32 v[72:73], v50 offset0:63 offset1:95
	ds_read_b96 v[64:66], v50 offset:336
	ds_read2_b64 v[52:55], v70 offset0:1 offset1:2
	ds_read_b128 v[56:59], v70
	s_waitcnt lgkmcnt(4)
	v_mov_b32_e32 v74, v36
	v_mov_b32_e32 v77, v37
	v_pk_mul_f32 v[36:37], v[68:69], v[36:37]
	ds_read2_b32 v[68:69], v50 offset0:91 offset1:92
	ds_read2_b32 v[78:79], v50 offset0:93 offset1:94
	;; [unrolled: 1-line block ×3, first 2 shown]
	v_sub_f32_e32 v36, v36, v37
	v_mov_b32_e32 v75, v38
	v_sub_f32_e32 v4, v4, v36
	s_waitcnt lgkmcnt(6)
	v_mov_b32_e32 v36, v73
	s_waitcnt lgkmcnt(2)
	v_mov_b32_e32 v37, v69
	v_mov_b32_e32 v76, v39
	v_pk_mul_f32 v[74:75], v[36:37], v[74:75]
	v_mov_b32_e32 v82, v55
	s_waitcnt lgkmcnt(1)
	v_pk_fma_f32 v[84:85], v[78:79], v[76:77], v[74:75] op_sel:[0,0,1] op_sel_hi:[1,1,0] neg_lo:[1,0,0] neg_hi:[1,0,0]
	v_pk_fma_f32 v[74:75], v[78:79], v[76:77], v[74:75] op_sel:[0,0,1] op_sel_hi:[1,1,0]
	v_mov_b32_e32 v83, v53
	v_mov_b32_e32 v85, v75
	ds_read2_b32 v[74:75], v50 offset0:87 offset1:88
	s_waitcnt lgkmcnt(1)
	v_mov_b32_e32 v76, v81
	v_mov_b32_e32 v77, v78
	;; [unrolled: 1-line block ×3, first 2 shown]
	v_pk_mul_f32 v[78:79], v[68:69], v[82:83]
	v_mov_b32_e32 v52, v63
	v_mov_b32_e32 v53, v61
	v_pk_fma_f32 v[82:83], v[76:77], v[54:55], v[78:79] neg_lo:[0,0,1] neg_hi:[0,0,1]
	v_pk_fma_f32 v[54:55], v[76:77], v[54:55], v[78:79]
	v_mov_b32_e32 v63, v60
	v_mov_b32_e32 v83, v55
	s_waitcnt lgkmcnt(0)
	v_mov_b32_e32 v54, v75
	v_mov_b32_e32 v55, v68
	v_pk_mul_f32 v[52:53], v[80:81], v[52:53]
	v_pk_add_f32 v[4:5], v[4:5], v[84:85] neg_lo:[0,1] neg_hi:[0,1]
	v_pk_fma_f32 v[60:61], v[54:55], v[62:63], v[52:53] neg_lo:[0,0,1] neg_hi:[0,0,1]
	v_pk_fma_f32 v[52:53], v[54:55], v[62:63], v[52:53]
	v_pk_add_f32 v[4:5], v[4:5], v[82:83] neg_lo:[0,1] neg_hi:[0,1]
	v_mov_b32_e32 v76, v32
	v_mov_b32_e32 v77, v34
	v_mov_b32_e32 v61, v53
	v_mov_b32_e32 v81, v66
	v_mov_b32_e32 v32, v35
	v_pk_add_f32 v[4:5], v[4:5], v[60:61] neg_lo:[0,1] neg_hi:[0,1]
	v_pk_mul_f32 v[60:61], v[80:81], v[76:77]
	ds_read_b128 v[52:55], v50 offset:320
	v_pk_fma_f32 v[62:63], v[74:75], v[32:33], v[60:61] op_sel:[0,0,1] op_sel_hi:[1,1,0] neg_lo:[1,0,0] neg_hi:[1,0,0]
	v_pk_fma_f32 v[32:33], v[74:75], v[32:33], v[60:61] op_sel:[0,0,1] op_sel_hi:[1,1,0]
	ds_read2_b64 v[36:39], v70 offset0:1 offset1:2
	v_mov_b32_e32 v63, v33
	v_mul_f32_e32 v32, v74, v34
	v_fmac_f32_e32 v32, v66, v35
	v_pk_add_f32 v[4:5], v[4:5], v[62:63] neg_lo:[0,1] neg_hi:[0,1]
	v_mov_b32_e32 v68, v56
	v_sub_f32_e32 v5, v5, v32
	v_mul_f32_e32 v32, v65, v13
	v_fma_f32 v32, v64, v12, -v32
	v_mul_f32_e32 v13, v64, v13
	v_fmac_f32_e32 v13, v65, v12
	v_sub_f32_e32 v4, v4, v32
	ds_read_b128 v[32:35], v50 offset:272
	ds_read_b128 v[60:63], v50 offset:288
	ds_read_b128 v[64:67], v50 offset:304
	v_sub_f32_e32 v5, v5, v13
	s_waitcnt lgkmcnt(4)
	v_mul_f32_e32 v13, v54, v49
	v_mul_f32_e32 v12, v55, v49
	v_fmac_f32_e32 v13, v55, v48
	v_fma_f32 v12, v54, v48, -v12
	v_sub_f32_e32 v5, v5, v13
	v_mul_f32_e32 v13, v52, v23
	v_sub_f32_e32 v4, v4, v12
	v_mul_f32_e32 v12, v53, v23
	v_fmac_f32_e32 v13, v53, v22
	v_fma_f32 v12, v52, v22, -v12
	v_sub_f32_e32 v5, v5, v13
	s_waitcnt lgkmcnt(0)
	v_mul_f32_e32 v13, v66, v43
	v_sub_f32_e32 v4, v4, v12
	v_mul_f32_e32 v12, v67, v43
	v_fmac_f32_e32 v13, v67, v42
	v_fma_f32 v12, v66, v42, -v12
	v_sub_f32_e32 v5, v5, v13
	v_mul_f32_e32 v13, v64, v41
	v_sub_f32_e32 v4, v4, v12
	v_mul_f32_e32 v12, v65, v41
	v_fmac_f32_e32 v13, v65, v40
	v_fma_f32 v12, v64, v40, -v12
	v_sub_f32_e32 v5, v5, v13
	;; [unrolled: 6-line block ×3, first 2 shown]
	v_mul_f32_e32 v13, v60, v47
	v_mul_f32_e32 v48, v35, v7
	v_sub_f32_e32 v4, v4, v12
	v_mul_f32_e32 v12, v61, v47
	v_fmac_f32_e32 v13, v61, v46
	v_fma_f32 v48, v34, v6, -v48
	v_mul_f32_e32 v34, v34, v7
	v_fma_f32 v12, v60, v46, -v12
	v_sub_f32_e32 v5, v5, v13
	v_fmac_f32_e32 v34, v35, v6
	v_sub_f32_e32 v4, v4, v12
	ds_read2_b32 v[12:13], v50 offset0:62 offset1:63
	v_sub_f32_e32 v5, v5, v34
	v_sub_f32_e32 v35, v4, v48
	v_mul_f32_e32 v4, v33, v5
	v_mul_f32_e32 v5, v32, v5
	v_fma_f32 v4, v32, v35, -v4
	v_fmac_f32_e32 v5, v33, v35
	ds_read_b64 v[48:49], v50 offset:200
	ds_read_b96 v[60:62], v50 offset:208
	ds_write2_b64 v71, v[4:5], v[6:7] offset0:32 offset1:48
	ds_read_b128 v[32:35], v70 offset:16
	ds_read_b64 v[66:67], v70 offset:48
	ds_read2_b32 v[74:75], v50 offset0:59 offset1:60
	s_waitcnt lgkmcnt(6)
	v_pk_mul_f32 v[12:13], v[12:13], v[56:57]
	ds_read2_b64 v[52:55], v70 offset0:3 offset1:4
	v_sub_f32_e32 v12, v12, v13
	v_sub_f32_e32 v2, v2, v12
	ds_read2_b32 v[12:13], v50 offset0:61 offset1:62
	ds_read2_b32 v[76:77], v50 offset0:57 offset1:58
	v_mov_b32_e32 v69, v58
	s_waitcnt lgkmcnt(3)
	v_mov_b32_e32 v73, v75
	v_mov_b32_e32 v58, v59
	;; [unrolled: 1-line block ×3, first 2 shown]
	v_pk_mul_f32 v[56:57], v[72:73], v[68:69]
	v_mov_b32_e32 v68, v39
	s_waitcnt lgkmcnt(1)
	v_pk_fma_f32 v[72:73], v[12:13], v[58:59], v[56:57] op_sel:[0,0,1] op_sel_hi:[1,1,0] neg_lo:[1,0,0] neg_hi:[1,0,0]
	v_pk_fma_f32 v[56:57], v[12:13], v[58:59], v[56:57] op_sel:[0,0,1] op_sel_hi:[1,1,0]
	v_mov_b32_e32 v69, v37
	v_mov_b32_e32 v73, v57
	v_pk_add_f32 v[2:3], v[2:3], v[72:73] neg_lo:[0,1] neg_hi:[0,1]
	ds_read2_b32 v[72:73], v50 offset0:55 offset1:56
	s_waitcnt lgkmcnt(1)
	v_mov_b32_e32 v78, v77
	v_mov_b32_e32 v79, v12
	;; [unrolled: 1-line block ×3, first 2 shown]
	v_pk_mul_f32 v[36:37], v[74:75], v[68:69]
	v_mov_b32_e32 v12, v35
	v_pk_fma_f32 v[68:69], v[78:79], v[38:39], v[36:37] neg_lo:[0,0,1] neg_hi:[0,0,1]
	v_pk_fma_f32 v[36:37], v[78:79], v[38:39], v[36:37]
	v_mov_b32_e32 v13, v33
	v_mov_b32_e32 v69, v37
	v_pk_add_f32 v[2:3], v[2:3], v[68:69] neg_lo:[0,1] neg_hi:[0,1]
	s_waitcnt lgkmcnt(0)
	v_mov_b32_e32 v68, v73
	v_mov_b32_e32 v69, v74
	;; [unrolled: 1-line block ×3, first 2 shown]
	v_pk_mul_f32 v[12:13], v[76:77], v[12:13]
	v_mov_b32_e32 v32, v55
	v_mov_b32_e32 v33, v53
	v_pk_fma_f32 v[74:75], v[68:69], v[34:35], v[12:13] neg_lo:[0,0,1] neg_hi:[0,0,1]
	v_pk_fma_f32 v[12:13], v[68:69], v[34:35], v[12:13]
	v_mov_b32_e32 v34, v62
	v_mov_b32_e32 v75, v13
	v_mov_b32_e32 v12, v14
	v_mov_b32_e32 v13, v16
	v_mov_b32_e32 v35, v76
	v_mov_b32_e32 v55, v52
	v_pk_mul_f32 v[32:33], v[72:73], v[32:33]
	v_mov_b32_e32 v73, v60
	v_mov_b32_e32 v64, v61
	;; [unrolled: 1-line block ×4, first 2 shown]
	v_pk_fma_f32 v[52:53], v[34:35], v[54:55], v[32:33] neg_lo:[0,0,1] neg_hi:[0,0,1]
	v_pk_fma_f32 v[32:33], v[34:35], v[54:55], v[32:33]
	v_pk_mul_f32 v[12:13], v[72:73], v[12:13]
	v_pk_add_f32 v[2:3], v[2:3], v[74:75] neg_lo:[0,1] neg_hi:[0,1]
	v_mov_b32_e32 v53, v33
	v_pk_fma_f32 v[32:33], v[64:65], v[14:15], v[12:13] op_sel:[0,0,1] op_sel_hi:[1,1,0] neg_lo:[1,0,0] neg_hi:[1,0,0]
	v_pk_fma_f32 v[12:13], v[64:65], v[14:15], v[12:13] op_sel:[0,0,1] op_sel_hi:[1,1,0]
	v_pk_add_f32 v[2:3], v[2:3], v[52:53] neg_lo:[0,1] neg_hi:[0,1]
	v_mov_b32_e32 v33, v13
	v_mul_f32_e32 v12, v61, v16
	v_fmac_f32_e32 v12, v60, v17
	v_pk_add_f32 v[2:3], v[2:3], v[32:33] neg_lo:[0,1] neg_hi:[0,1]
	v_mul_f32_e32 v17, v48, v67
	v_sub_f32_e32 v3, v3, v12
	v_mul_f32_e32 v12, v49, v67
	v_fma_f32 v16, v48, v66, -v12
	ds_read2_b64 v[12:15], v50 offset0:23 offset1:24
	ds_read2_b64 v[32:35], v50 offset0:21 offset1:22
	v_sub_f32_e32 v2, v2, v16
	v_fmac_f32_e32 v17, v49, v66
	v_sub_f32_e32 v3, v3, v17
	s_waitcnt lgkmcnt(1)
	v_mul_f32_e32 v16, v15, v23
	v_fma_f32 v16, v14, v22, -v16
	v_mul_f32_e32 v14, v14, v23
	v_fmac_f32_e32 v14, v15, v22
	v_sub_f32_e32 v3, v3, v14
	v_mul_f32_e32 v14, v13, v43
	v_fma_f32 v14, v12, v42, -v14
	v_mul_f32_e32 v12, v12, v43
	v_fmac_f32_e32 v12, v13, v42
	v_sub_f32_e32 v2, v2, v16
	v_sub_f32_e32 v3, v3, v12
	s_waitcnt lgkmcnt(0)
	v_mul_f32_e32 v12, v35, v41
	v_sub_f32_e32 v2, v2, v14
	v_fma_f32 v12, v34, v40, -v12
	v_mul_f32_e32 v13, v34, v41
	v_fmac_f32_e32 v13, v35, v40
	v_sub_f32_e32 v2, v2, v12
	v_mul_f32_e32 v12, v33, v45
	v_sub_f32_e32 v3, v3, v13
	v_fma_f32 v16, v32, v44, -v12
	ds_read2_b64 v[12:15], v50 offset0:19 offset1:20
	v_mul_f32_e32 v17, v32, v45
	v_fmac_f32_e32 v17, v33, v44
	v_sub_f32_e32 v2, v2, v16
	ds_read2_b64 v[32:35], v50 offset0:17 offset1:18
	s_waitcnt lgkmcnt(1)
	v_mul_f32_e32 v16, v15, v47
	v_fma_f32 v16, v14, v46, -v16
	v_mul_f32_e32 v14, v14, v47
	v_sub_f32_e32 v3, v3, v17
	v_fmac_f32_e32 v14, v15, v46
	v_sub_f32_e32 v3, v3, v14
	v_mul_f32_e32 v14, v13, v7
	v_fma_f32 v14, v12, v6, -v14
	v_mul_f32_e32 v12, v12, v7
	v_fmac_f32_e32 v12, v13, v6
	s_waitcnt lgkmcnt(0)
	v_mul_f32_e32 v13, v34, v5
	v_sub_f32_e32 v2, v2, v16
	v_sub_f32_e32 v3, v3, v12
	v_mul_f32_e32 v12, v35, v5
	v_fmac_f32_e32 v13, v35, v4
	v_sub_f32_e32 v2, v2, v14
	v_fma_f32 v12, v34, v4, -v12
	v_sub_f32_e32 v3, v3, v13
	v_sub_f32_e32 v2, v2, v12
	v_mul_f32_e32 v12, v33, v3
	ds_read_b128 v[56:59], v70 offset:16
	ds_read2_b64 v[36:39], v70 offset0:3 offset1:4
	v_fma_f32 v34, v32, v2, -v12
	ds_read_b32 v12, v50 offset:124
	ds_read2_b32 v[14:15], v50 offset0:29 offset1:30
	ds_read2_b32 v[16:17], v50 offset0:30 offset1:31
	v_mul_f32_e32 v35, v32, v3
	v_fmac_f32_e32 v35, v33, v2
	ds_read2_b32 v[32:33], v50 offset0:27 offset1:28
	v_mov_b32_e32 v2, v28
	s_waitcnt lgkmcnt(1)
	v_pk_mul_f32 v[16:17], v[16:17], v[28:29]
	v_mov_b32_e32 v3, v30
	v_sub_f32_e32 v13, v16, v17
	v_sub_f32_e32 v0, v0, v13
	ds_read2_b32 v[16:17], v50 offset0:25 offset1:26
	s_waitcnt lgkmcnt(1)
	v_mov_b32_e32 v13, v33
	v_mov_b32_e32 v30, v31
	;; [unrolled: 1-line block ×3, first 2 shown]
	v_pk_mul_f32 v[2:3], v[12:13], v[2:3]
	v_mov_b32_e32 v12, v21
	v_pk_fma_f32 v[28:29], v[14:15], v[30:31], v[2:3] op_sel:[0,0,1] op_sel_hi:[1,1,0] neg_lo:[1,0,0] neg_hi:[1,0,0]
	v_pk_fma_f32 v[2:3], v[14:15], v[30:31], v[2:3] op_sel:[0,0,1] op_sel_hi:[1,1,0]
	v_mov_b32_e32 v13, v19
	v_mov_b32_e32 v29, v3
	v_pk_add_f32 v[0:1], v[0:1], v[28:29] neg_lo:[0,1] neg_hi:[0,1]
	ds_read2_b32 v[28:29], v50 offset0:23 offset1:24
	s_waitcnt lgkmcnt(1)
	v_mov_b32_e32 v2, v17
	v_mov_b32_e32 v3, v14
	;; [unrolled: 1-line block ×3, first 2 shown]
	v_pk_mul_f32 v[12:13], v[32:33], v[12:13]
	v_mov_b32_e32 v14, v59
	v_mov_b32_e32 v15, v57
	v_pk_fma_f32 v[18:19], v[2:3], v[20:21], v[12:13] neg_lo:[0,0,1] neg_hi:[0,0,1]
	v_pk_fma_f32 v[2:3], v[2:3], v[20:21], v[12:13]
	ds_read2_b32 v[12:13], v50 offset0:21 offset1:22
	v_mov_b32_e32 v19, v3
	s_waitcnt lgkmcnt(1)
	v_mov_b32_e32 v2, v29
	v_mov_b32_e32 v3, v32
	;; [unrolled: 1-line block ×3, first 2 shown]
	v_pk_mul_f32 v[14:15], v[16:17], v[14:15]
	v_pk_add_f32 v[0:1], v[0:1], v[18:19] neg_lo:[0,1] neg_hi:[0,1]
	v_pk_fma_f32 v[20:21], v[2:3], v[58:59], v[14:15] neg_lo:[0,0,1] neg_hi:[0,0,1]
	v_pk_fma_f32 v[2:3], v[2:3], v[58:59], v[14:15]
	v_mov_b32_e32 v18, v39
	v_mov_b32_e32 v21, v3
	;; [unrolled: 1-line block ×3, first 2 shown]
	v_pk_add_f32 v[0:1], v[0:1], v[20:21] neg_lo:[0,1] neg_hi:[0,1]
	ds_read2_b32 v[20:21], v50 offset0:19 offset1:20
	s_waitcnt lgkmcnt(1)
	v_mov_b32_e32 v2, v13
	v_mov_b32_e32 v3, v16
	;; [unrolled: 1-line block ×3, first 2 shown]
	v_pk_mul_f32 v[16:17], v[28:29], v[18:19]
	v_mov_b32_e32 v14, v27
	v_pk_fma_f32 v[18:19], v[2:3], v[38:39], v[16:17] neg_lo:[0,0,1] neg_hi:[0,0,1]
	v_pk_fma_f32 v[2:3], v[2:3], v[38:39], v[16:17]
	v_mov_b32_e32 v15, v25
	v_mov_b32_e32 v19, v3
	v_pk_add_f32 v[16:17], v[0:1], v[18:19] neg_lo:[0,1] neg_hi:[0,1]
	ds_read_b96 v[0:2], v50 offset:64
	s_waitcnt lgkmcnt(1)
	v_mov_b32_e32 v18, v21
	v_mov_b32_e32 v19, v28
	;; [unrolled: 1-line block ×3, first 2 shown]
	v_pk_mul_f32 v[14:15], v[12:13], v[14:15]
	v_mov_b32_e32 v24, v9
	v_pk_fma_f32 v[28:29], v[18:19], v[26:27], v[14:15] neg_lo:[0,0,1] neg_hi:[0,0,1]
	v_pk_fma_f32 v[14:15], v[18:19], v[26:27], v[14:15]
	v_mov_b32_e32 v25, v11
	v_mov_b32_e32 v29, v15
	v_pk_add_f32 v[14:15], v[16:17], v[28:29] neg_lo:[0,1] neg_hi:[0,1]
	v_pk_mul_f32 v[16:17], v[20:21], v[24:25] op_sel:[0,1] op_sel_hi:[1,0]
	v_mov_b32_e32 v3, v12
	v_mov_b32_e32 v12, v10
	;; [unrolled: 1-line block ×3, first 2 shown]
	s_waitcnt lgkmcnt(0)
	v_mov_b32_e32 v19, v2
	v_pk_fma_f32 v[8:9], v[2:3], v[12:13], v[16:17] neg_lo:[0,0,1] neg_hi:[0,0,1]
	v_pk_fma_f32 v[2:3], v[2:3], v[12:13], v[16:17]
	v_mov_b32_e32 v18, v1
	v_mov_b32_e32 v9, v3
	v_pk_add_f32 v[12:13], v[14:15], v[8:9] neg_lo:[0,1] neg_hi:[0,1]
	v_mov_b32_e32 v2, v0
	v_mov_b32_e32 v3, v20
	;; [unrolled: 1-line block ×4, first 2 shown]
	v_mul_f32_e32 v1, v1, v23
	v_pk_mul_f32 v[2:3], v[2:3], v[8:9]
	v_mov_b32_e32 v10, v22
	v_fma_f32 v0, v0, v22, -v1
	v_pk_fma_f32 v[14:15], v[18:19], v[10:11], v[2:3]
	v_sub_f32_e32 v20, v12, v0
	ds_read_b128 v[0:3], v50 offset:32
	ds_read_b128 v[8:11], v50 offset:48
	v_sub_f32_e32 v12, v13, v15
	v_sub_f32_e32 v21, v12, v14
	ds_read_b128 v[12:15], v50
	ds_read_b128 v[16:19], v50 offset:16
	s_waitcnt lgkmcnt(2)
	v_mul_f32_e32 v22, v11, v43
	v_fma_f32 v22, v10, v42, -v22
	v_mul_f32_e32 v10, v10, v43
	v_fmac_f32_e32 v10, v11, v42
	v_sub_f32_e32 v11, v20, v22
	v_mul_f32_e32 v20, v9, v41
	v_fma_f32 v20, v8, v40, -v20
	v_mul_f32_e32 v8, v8, v41
	v_sub_f32_e32 v10, v21, v10
	v_fmac_f32_e32 v8, v9, v40
	v_sub_f32_e32 v8, v10, v8
	v_mul_f32_e32 v10, v3, v45
	v_fma_f32 v10, v2, v44, -v10
	v_mul_f32_e32 v2, v2, v45
	v_fmac_f32_e32 v2, v3, v44
	v_sub_f32_e32 v2, v8, v2
	v_mul_f32_e32 v8, v1, v47
	v_sub_f32_e32 v9, v11, v20
	v_fma_f32 v8, v0, v46, -v8
	v_mul_f32_e32 v0, v0, v47
	v_sub_f32_e32 v3, v9, v10
	v_fmac_f32_e32 v0, v1, v46
	v_sub_f32_e32 v1, v3, v8
	v_sub_f32_e32 v0, v2, v0
	s_waitcnt lgkmcnt(0)
	v_mul_f32_e32 v2, v19, v7
	v_mul_f32_e32 v3, v18, v7
	v_fma_f32 v2, v18, v6, -v2
	v_fmac_f32_e32 v3, v19, v6
	v_sub_f32_e32 v1, v1, v2
	v_sub_f32_e32 v0, v0, v3
	v_mul_f32_e32 v2, v17, v5
	v_mul_f32_e32 v3, v16, v5
	v_fma_f32 v2, v16, v4, -v2
	v_fmac_f32_e32 v3, v17, v4
	v_sub_f32_e32 v1, v1, v2
	v_sub_f32_e32 v2, v0, v3
	v_mul_f32_e32 v3, v14, v35
	v_mul_f32_e32 v0, v15, v35
	v_fmac_f32_e32 v3, v15, v34
	v_fma_f32 v0, v14, v34, -v0
	v_sub_f32_e32 v2, v2, v3
	v_sub_f32_e32 v0, v1, v0
	v_pk_mul_f32 v[2:3], v[12:13], v[2:3] op_sel:[1,0] op_sel_hi:[0,0]
	v_pk_fma_f32 v[4:5], v[12:13], v[0:1], v[2:3] neg_lo:[0,0,1] neg_hi:[0,0,1]
	v_pk_fma_f32 v[0:1], v[12:13], v[0:1], v[2:3] op_sel_hi:[1,0,1]
	s_nop 0
	v_mov_b32_e32 v5, v1
	ds_write2_b64 v71, v[4:5], v[34:35] offset1:16
.LBB150_26:
	s_cmp_gt_i32 s1, -1
	s_cbranch_scc0 .LBB150_51
; %bb.27:
	s_cmp_lt_u32 s1, 11
	s_cbranch_scc1 .LBB150_33
; %bb.28:
	s_lshl_b32 s8, s1, 7
	v_add_u32_e32 v18, s8, v71
	v_add_u32_e32 v0, 0xffffff80, v18
	ds_read_b64 v[4:5], v18
	ds_read_b64 v[6:7], v0
	v_add_u32_e32 v0, 0xffffff00, v18
	v_add_u32_e32 v2, 0xfffffe80, v18
	ds_read_b64 v[0:1], v0
	ds_read_b64 v[2:3], v2
	v_add_u32_e32 v8, 0xfffffe00, v18
	s_waitcnt lgkmcnt(2)
	ds_write_b128 v70, v[4:7]
	v_add_u32_e32 v10, 0xfffffd80, v18
	v_add_u32_e32 v12, 0xfffffd00, v18
	;; [unrolled: 1-line block ×4, first 2 shown]
	ds_read_b64 v[8:9], v8
	ds_read_b64 v[10:11], v10
	ds_read_b64 v[14:15], v12
	ds_read_b64 v[12:13], v13
	v_add_u32_e32 v19, 0xfffffb80, v18
	v_add_u32_e32 v20, 0xfffffb00, v18
	;; [unrolled: 1-line block ×3, first 2 shown]
	ds_read_b64 v[16:17], v16
	ds_read_b64 v[38:39], v19
	;; [unrolled: 1-line block ×4, first 2 shown]
	s_cmp_le_i32 s0, s1
	s_waitcnt lgkmcnt(9)
	ds_write_b128 v70, v[0:3] offset:16
	s_waitcnt lgkmcnt(7)
	ds_write_b128 v70, v[8:11] offset:32
	s_waitcnt lgkmcnt(7)
	ds_write_b64 v70, v[14:15] offset:48
	s_cbranch_scc1 .LBB150_32
; %bb.29:
	v_lshlrev_b32_e32 v19, 3, v86
	s_lshl_b32 s11, s30, 3
	v_lshl_add_u32 v19, s30, 7, v19
	s_add_i32 s8, s8, s11
	v_add_u32_e32 v19, 0x780, v19
	s_addk_i32 s8, 0xfa78
	s_mov_b32 s11, s0
.LBB150_30:                             ; =>This Inner Loop Header: Depth=1
	v_mov_b32_e32 v48, s8
	ds_read_b64 v[32:33], v19
	ds_read2_b64 v[20:23], v48 offset0:160 offset1:176
	ds_read2_b64 v[24:27], v48 offset0:128 offset1:144
	;; [unrolled: 1-line block ×5, first 2 shown]
	ds_read2_b64 v[48:51], v48 offset1:16
	s_add_i32 s11, s11, -1
	s_add_i32 s8, s8, -8
	v_add_u32_e32 v19, 0xffffff80, v19
	s_waitcnt lgkmcnt(5)
	v_pk_mul_f32 v[52:53], v[22:23], v[32:33] op_sel:[0,1]
	v_pk_mul_f32 v[54:55], v[20:21], v[32:33] op_sel:[0,1]
	s_waitcnt lgkmcnt(4)
	v_pk_mul_f32 v[56:57], v[26:27], v[32:33] op_sel:[0,1]
	v_pk_mul_f32 v[58:59], v[24:25], v[32:33] op_sel:[0,1]
	;; [unrolled: 3-line block ×6, first 2 shown]
	v_pk_fma_f32 v[78:79], v[22:23], v[32:33], v[52:53] op_sel:[0,0,1] op_sel_hi:[1,1,0] neg_lo:[0,0,1] neg_hi:[0,0,1]
	v_pk_fma_f32 v[22:23], v[22:23], v[32:33], v[52:53] op_sel:[0,0,1] op_sel_hi:[1,0,0]
	v_pk_fma_f32 v[52:53], v[20:21], v[32:33], v[54:55] op_sel:[0,0,1] op_sel_hi:[1,1,0] neg_lo:[0,0,1] neg_hi:[0,0,1]
	v_pk_fma_f32 v[20:21], v[20:21], v[32:33], v[54:55] op_sel:[0,0,1] op_sel_hi:[1,0,0]
	;; [unrolled: 2-line block ×12, first 2 shown]
	v_mov_b32_e32 v79, v23
	v_mov_b32_e32 v53, v21
	;; [unrolled: 1-line block ×12, first 2 shown]
	s_cmp_gt_i32 s11, s1
	v_pk_add_f32 v[4:5], v[4:5], v[78:79] neg_lo:[0,1] neg_hi:[0,1]
	v_pk_add_f32 v[6:7], v[6:7], v[52:53] neg_lo:[0,1] neg_hi:[0,1]
	;; [unrolled: 1-line block ×12, first 2 shown]
	s_cbranch_scc1 .LBB150_30
; %bb.31:
	ds_write_b128 v70, v[4:7]
	ds_write_b128 v70, v[0:3] offset:16
	ds_write_b128 v70, v[8:11] offset:32
	ds_write_b64 v70, v[14:15] offset:48
.LBB150_32:
	s_mul_i32 s8, s1, 0x88
	v_mov_b32_e32 v2, s8
	s_add_i32 s8, s1, -1
	s_lshl_b32 s11, s8, 7
	s_lshl_b32 s8, s8, 3
	ds_read_b64 v[2:3], v2
	s_add_i32 s8, s11, s8
	v_mov_b32_e32 v8, s8
	ds_read2_b64 v[20:23], v8 offset1:1
	s_lshl_b32 s8, s1, 3
	s_waitcnt lgkmcnt(1)
	v_mul_f32_e32 v9, v2, v5
	v_mul_f32_e32 v8, v3, v5
	v_fmac_f32_e32 v9, v3, v4
	v_fma_f32 v8, v2, v4, -v8
	s_waitcnt lgkmcnt(0)
	v_mul_f32_e32 v3, v22, v9
	v_mul_f32_e32 v2, v23, v9
	v_fmac_f32_e32 v3, v23, v8
	v_fma_f32 v2, v22, v8, -v2
	v_sub_f32_e32 v3, v7, v3
	v_sub_f32_e32 v2, v6, v2
	v_mul_f32_e32 v4, v21, v3
	v_mul_f32_e32 v11, v20, v3
	v_fma_f32 v10, v20, v2, -v4
	v_fmac_f32_e32 v11, v21, v2
	v_add_u32_e32 v2, s11, v71
	s_add_i32 s11, s1, -2
	s_lshl_b32 s12, s11, 7
	s_add_i32 s13, s12, s8
	ds_write_b64 v2, v[10:11]
	v_mov_b32_e32 v2, s13
	ds_read_b64 v[6:7], v2
	s_lshl_b32 s11, s11, 3
	s_add_i32 s11, s12, s11
	v_mov_b32_e32 v2, s11
	ds_read2_b64 v[2:5], v2 offset1:1
	s_waitcnt lgkmcnt(1)
	v_mul_f32_e32 v14, v7, v9
	v_fma_f32 v14, v6, v8, -v14
	v_mul_f32_e32 v6, v6, v9
	v_fmac_f32_e32 v6, v7, v8
	v_sub_f32_e32 v1, v1, v6
	s_waitcnt lgkmcnt(0)
	v_mul_f32_e32 v6, v5, v11
	v_fma_f32 v6, v4, v10, -v6
	v_mul_f32_e32 v4, v4, v11
	v_fmac_f32_e32 v4, v5, v10
	v_sub_f32_e32 v0, v0, v14
	v_sub_f32_e32 v1, v1, v4
	;; [unrolled: 1-line block ×3, first 2 shown]
	v_mul_f32_e32 v4, v3, v1
	v_mul_f32_e32 v15, v2, v1
	s_add_i32 s11, s1, -3
	v_fma_f32 v14, v2, v0, -v4
	v_fmac_f32_e32 v15, v3, v0
	v_add_u32_e32 v0, s12, v71
	s_lshl_b32 s12, s11, 7
	s_add_i32 s13, s12, s8
	s_add_i32 s13, s13, -8
	v_mov_b32_e32 v4, s13
	ds_read2_b64 v[4:7], v4 offset1:1
	s_lshl_b32 s11, s11, 3
	ds_write_b64 v0, v[14:15]
	ds_read2_b64 v[0:3], v70 offset0:3 offset1:4
	ds_read2_b64 v[24:27], v70 offset0:5 offset1:6
	s_add_i32 s11, s12, s11
	ds_write_b64 v18, v[8:9]
	v_mov_b32_e32 v18, s11
	ds_read2_b64 v[20:23], v18 offset1:1
	s_waitcnt lgkmcnt(5)
	v_mul_f32_e32 v18, v7, v9
	v_fma_f32 v18, v6, v8, -v18
	v_mul_f32_e32 v6, v6, v9
	v_fmac_f32_e32 v6, v7, v8
	s_waitcnt lgkmcnt(3)
	v_sub_f32_e32 v1, v1, v6
	v_mul_f32_e32 v6, v5, v11
	v_fma_f32 v6, v4, v10, -v6
	v_mul_f32_e32 v4, v4, v11
	v_fmac_f32_e32 v4, v5, v10
	s_waitcnt lgkmcnt(0)
	v_mul_f32_e32 v5, v22, v15
	v_sub_f32_e32 v0, v0, v18
	v_sub_f32_e32 v1, v1, v4
	v_mul_f32_e32 v4, v23, v15
	v_fmac_f32_e32 v5, v23, v14
	v_sub_f32_e32 v0, v0, v6
	v_fma_f32 v4, v22, v14, -v4
	v_sub_f32_e32 v1, v1, v5
	v_sub_f32_e32 v0, v0, v4
	v_mul_f32_e32 v4, v21, v1
	s_add_i32 s11, s1, -4
	v_fma_f32 v18, v20, v0, -v4
	v_add_u32_e32 v4, s12, v71
	s_lshl_b32 s12, s11, 7
	v_mul_f32_e32 v19, v20, v1
	s_add_i32 s13, s12, s8
	v_fmac_f32_e32 v19, v21, v0
	v_mov_b32_e32 v0, s13
	ds_read_b64 v[0:1], v0
	s_add_i32 s13, s13, -16
	ds_write_b64 v4, v[18:19]
	v_mov_b32_e32 v4, s13
	ds_read2_b64 v[4:7], v4 offset1:1
	s_waitcnt lgkmcnt(2)
	v_mul_f32_e32 v20, v1, v9
	v_fma_f32 v20, v0, v8, -v20
	v_mul_f32_e32 v0, v0, v9
	v_fmac_f32_e32 v0, v1, v8
	v_sub_f32_e32 v0, v3, v0
	s_waitcnt lgkmcnt(0)
	v_mul_f32_e32 v3, v6, v11
	v_sub_f32_e32 v1, v2, v20
	v_mul_f32_e32 v2, v7, v11
	v_fmac_f32_e32 v3, v7, v10
	v_fma_f32 v2, v6, v10, -v2
	v_sub_f32_e32 v0, v0, v3
	v_mul_f32_e32 v3, v4, v15
	s_lshl_b32 s11, s11, 3
	v_sub_f32_e32 v1, v1, v2
	v_mul_f32_e32 v2, v5, v15
	v_fmac_f32_e32 v3, v5, v14
	s_add_i32 s11, s12, s11
	v_fma_f32 v2, v4, v14, -v2
	v_sub_f32_e32 v21, v0, v3
	v_mov_b32_e32 v0, s11
	v_sub_f32_e32 v20, v1, v2
	ds_read2_b64 v[0:3], v0 offset1:1
	s_add_i32 s11, s1, -5
	s_lshl_b32 s13, s11, 7
	s_add_i32 s14, s13, s8
	s_add_i32 s15, s14, -8
	v_mov_b32_e32 v4, s15
	ds_read2_b64 v[4:7], v4 offset1:1
	s_waitcnt lgkmcnt(1)
	v_mul_f32_e32 v22, v3, v19
	v_fma_f32 v22, v2, v18, -v22
	v_mul_f32_e32 v2, v2, v19
	v_fmac_f32_e32 v2, v3, v18
	v_sub_f32_e32 v2, v21, v2
	v_sub_f32_e32 v3, v20, v22
	v_mul_f32_e32 v20, v1, v2
	v_mul_f32_e32 v21, v0, v2
	v_fma_f32 v20, v0, v3, -v20
	v_fmac_f32_e32 v21, v1, v3
	v_add_u32_e32 v0, s12, v71
	ds_write_b64 v0, v[20:21]
	s_waitcnt lgkmcnt(1)
	v_mul_f32_e32 v0, v7, v9
	v_fma_f32 v0, v6, v8, -v0
	v_mul_f32_e32 v1, v6, v9
	v_mul_f32_e32 v2, v5, v11
	v_fmac_f32_e32 v1, v7, v8
	v_sub_f32_e32 v0, v24, v0
	v_fma_f32 v2, v4, v10, -v2
	v_mul_f32_e32 v3, v4, v11
	s_sub_i32 s12, s14, 24
	v_sub_f32_e32 v1, v25, v1
	v_fmac_f32_e32 v3, v5, v10
	v_sub_f32_e32 v22, v0, v2
	v_mov_b32_e32 v0, s12
	v_sub_f32_e32 v23, v1, v3
	ds_read2_b64 v[0:3], v0 offset1:1
	s_lshl_b32 s11, s11, 3
	s_add_i32 s11, s13, s11
	v_mov_b32_e32 v4, s11
	ds_read2_b64 v[4:7], v4 offset1:1
	s_waitcnt lgkmcnt(1)
	v_mul_f32_e32 v24, v3, v15
	v_fma_f32 v24, v2, v14, -v24
	v_mul_f32_e32 v2, v2, v15
	v_fmac_f32_e32 v2, v3, v14
	v_sub_f32_e32 v3, v22, v24
	v_mul_f32_e32 v22, v1, v19
	v_fma_f32 v22, v0, v18, -v22
	v_mul_f32_e32 v0, v0, v19
	v_sub_f32_e32 v2, v23, v2
	v_fmac_f32_e32 v0, v1, v18
	v_sub_f32_e32 v1, v3, v22
	s_waitcnt lgkmcnt(0)
	v_mul_f32_e32 v3, v6, v21
	v_sub_f32_e32 v0, v2, v0
	v_mul_f32_e32 v2, v7, v21
	v_fmac_f32_e32 v3, v7, v20
	s_add_i32 s11, s1, -6
	v_fma_f32 v2, v6, v20, -v2
	v_sub_f32_e32 v0, v0, v3
	s_lshl_b32 s12, s11, 7
	v_sub_f32_e32 v1, v1, v2
	v_mul_f32_e32 v2, v5, v0
	v_mul_f32_e32 v23, v4, v0
	v_add_u32_e32 v0, s13, v71
	s_add_i32 s13, s12, s8
	v_fma_f32 v22, v4, v1, -v2
	v_fmac_f32_e32 v23, v5, v1
	v_mov_b32_e32 v1, s13
	ds_read_b64 v[4:5], v1
	s_add_i32 s14, s13, -16
	ds_write_b64 v0, v[22:23]
	v_mov_b32_e32 v0, s14
	ds_read2_b64 v[0:3], v0 offset1:1
	s_waitcnt lgkmcnt(2)
	v_mul_f32_e32 v6, v5, v9
	v_fma_f32 v6, v4, v8, -v6
	v_mul_f32_e32 v4, v4, v9
	v_fmac_f32_e32 v4, v5, v8
	v_sub_f32_e32 v5, v26, v6
	s_waitcnt lgkmcnt(0)
	v_mul_f32_e32 v6, v3, v11
	v_fma_f32 v6, v2, v10, -v6
	v_mul_f32_e32 v2, v2, v11
	v_sub_f32_e32 v4, v27, v4
	v_fmac_f32_e32 v2, v3, v10
	v_sub_f32_e32 v2, v4, v2
	v_mul_f32_e32 v4, v1, v15
	v_fma_f32 v4, v0, v14, -v4
	v_mul_f32_e32 v0, v0, v15
	v_fmac_f32_e32 v0, v1, v14
	s_sub_i32 s13, s13, 32
	v_sub_f32_e32 v3, v5, v6
	v_sub_f32_e32 v25, v2, v0
	v_mov_b32_e32 v0, s13
	v_sub_f32_e32 v24, v3, v4
	ds_read2_b64 v[0:3], v0 offset1:1
	s_lshl_b32 s11, s11, 3
	s_add_i32 s11, s12, s11
	v_mov_b32_e32 v4, s11
	ds_read2_b64 v[4:7], v4 offset1:1
	s_waitcnt lgkmcnt(1)
	v_mul_f32_e32 v26, v3, v19
	v_fma_f32 v26, v2, v18, -v26
	v_mul_f32_e32 v2, v2, v19
	v_fmac_f32_e32 v2, v3, v18
	v_sub_f32_e32 v3, v24, v26
	v_mul_f32_e32 v24, v1, v21
	v_fma_f32 v24, v0, v20, -v24
	v_mul_f32_e32 v0, v0, v21
	v_sub_f32_e32 v2, v25, v2
	v_fmac_f32_e32 v0, v1, v20
	v_sub_f32_e32 v1, v3, v24
	s_waitcnt lgkmcnt(0)
	v_mul_f32_e32 v3, v6, v23
	v_sub_f32_e32 v0, v2, v0
	v_mul_f32_e32 v2, v7, v23
	v_fmac_f32_e32 v3, v7, v22
	v_fma_f32 v2, v6, v22, -v2
	v_sub_f32_e32 v0, v0, v3
	v_sub_f32_e32 v1, v1, v2
	v_mul_f32_e32 v2, v5, v0
	v_mul_f32_e32 v41, v4, v0
	v_fma_f32 v40, v4, v1, -v2
	v_fmac_f32_e32 v41, v5, v1
	ds_write2_b64 v70, v[20:21], v[22:23] offset0:4 offset1:5
	ds_write_b64 v70, v[40:41] offset:48
	v_add_u32_e32 v28, s12, v71
	s_add_i32 s12, s1, -7
	ds_read2_b64 v[0:3], v70 offset0:5 offset1:6
	s_lshl_b32 s11, s12, 7
	s_add_i32 s13, s11, s8
	s_add_i32 s14, s13, -8
	ds_write2_b64 v70, v[8:9], v[10:11] offset1:1
	ds_write2_b64 v70, v[14:15], v[18:19] offset0:2 offset1:3
	v_mov_b32_e32 v4, s14
	ds_read2_b64 v[24:27], v4 offset1:1
	ds_read2_b64 v[4:7], v70 offset0:4 offset1:5
	s_sub_i32 s14, s13, 24
	s_waitcnt lgkmcnt(4)
	ds_write_b64 v28, v[2:3]
	v_mov_b32_e32 v28, s14
	ds_read2_b64 v[28:31], v28 offset1:1
	s_waitcnt lgkmcnt(3)
	v_mul_f32_e32 v32, v27, v9
	v_fma_f32 v32, v26, v8, -v32
	v_mul_f32_e32 v9, v26, v9
	v_fmac_f32_e32 v9, v27, v8
	v_sub_f32_e32 v8, v12, v32
	v_mul_f32_e32 v12, v25, v11
	v_mul_f32_e32 v11, v24, v11
	v_sub_f32_e32 v9, v13, v9
	v_fma_f32 v12, v24, v10, -v12
	v_fmac_f32_e32 v11, v25, v10
	s_waitcnt lgkmcnt(0)
	v_mul_f32_e32 v10, v31, v15
	v_sub_f32_e32 v8, v8, v12
	v_sub_f32_e32 v9, v9, v11
	v_fma_f32 v10, v30, v14, -v10
	v_mul_f32_e32 v11, v30, v15
	v_fmac_f32_e32 v11, v31, v14
	v_sub_f32_e32 v8, v8, v10
	v_mul_f32_e32 v10, v29, v19
	v_sub_f32_e32 v9, v9, v11
	v_fma_f32 v10, v28, v18, -v10
	v_mul_f32_e32 v11, v28, v19
	s_sub_i32 s13, s13, 40
	v_fmac_f32_e32 v11, v29, v18
	v_sub_f32_e32 v18, v8, v10
	v_mov_b32_e32 v8, s13
	v_sub_f32_e32 v19, v9, v11
	ds_read2_b64 v[8:11], v8 offset1:1
	s_lshl_b32 s12, s12, 3
	s_add_i32 s12, s11, s12
	v_mov_b32_e32 v12, s12
	ds_read2_b64 v[12:15], v12 offset1:1
	s_waitcnt lgkmcnt(1)
	v_mul_f32_e32 v24, v11, v21
	v_fma_f32 v24, v10, v20, -v24
	v_mul_f32_e32 v10, v10, v21
	v_fmac_f32_e32 v10, v11, v20
	v_sub_f32_e32 v11, v18, v24
	v_mul_f32_e32 v18, v9, v23
	v_fma_f32 v18, v8, v22, -v18
	v_mul_f32_e32 v8, v8, v23
	v_sub_f32_e32 v10, v19, v10
	v_fmac_f32_e32 v8, v9, v22
	v_sub_f32_e32 v8, v10, v8
	s_waitcnt lgkmcnt(0)
	v_mul_f32_e32 v10, v15, v3
	v_mul_f32_e32 v3, v14, v3
	v_fmac_f32_e32 v3, v15, v2
	v_sub_f32_e32 v9, v11, v18
	v_fma_f32 v10, v14, v2, -v10
	v_sub_f32_e32 v3, v8, v3
	s_add_i32 s12, s1, -8
	v_sub_f32_e32 v9, v9, v10
	v_mul_f32_e32 v2, v13, v3
	v_mul_f32_e32 v3, v12, v3
	v_add_u32_e32 v8, s11, v71
	s_lshl_b32 s11, s12, 7
	v_fma_f32 v2, v12, v9, -v2
	v_fmac_f32_e32 v3, v13, v9
	s_add_i32 s13, s11, s8
	ds_write_b64 v8, v[2:3]
	ds_read2_b64 v[12:15], v70 offset1:2
	v_mov_b32_e32 v8, s13
	s_add_i32 s14, s13, -16
	ds_read_b64 v[22:23], v8
	ds_read_b128 v[8:11], v70 offset:16
	v_mov_b32_e32 v18, s14
	ds_read2_b64 v[18:21], v18 offset1:1
	ds_read_b128 v[28:31], v70
	ds_read2_b64 v[42:45], v70 offset0:1 offset1:2
	s_waitcnt lgkmcnt(4)
	v_mul_f32_e32 v24, v23, v13
	v_fma_f32 v24, v22, v12, -v24
	v_mul_f32_e32 v13, v22, v13
	v_fmac_f32_e32 v13, v23, v12
	v_sub_f32_e32 v12, v16, v24
	ds_read_b128 v[24:27], v70
	s_waitcnt lgkmcnt(2)
	v_mul_f32_e32 v16, v21, v31
	v_sub_f32_e32 v13, v17, v13
	v_fma_f32 v16, v20, v30, -v16
	v_mul_f32_e32 v17, v20, v31
	v_fmac_f32_e32 v17, v21, v30
	v_sub_f32_e32 v12, v12, v16
	ds_read_b128 v[30:33], v70
	s_waitcnt lgkmcnt(2)
	v_mul_f32_e32 v16, v19, v45
	v_fma_f32 v16, v18, v44, -v16
	s_sub_i32 s14, s13, 32
	v_sub_f32_e32 v13, v13, v17
	v_mul_f32_e32 v17, v18, v45
	v_sub_f32_e32 v12, v12, v16
	v_mov_b32_e32 v16, s14
	v_fmac_f32_e32 v17, v19, v44
	ds_read2_b64 v[44:47], v16 offset1:1
	s_sub_i32 s13, s13, 48
	v_mov_b32_e32 v16, s13
	v_sub_f32_e32 v13, v13, v17
	ds_read2_b64 v[48:51], v16 offset1:1
	ds_read2_b64 v[16:19], v70 offset0:1 offset1:2
	s_waitcnt lgkmcnt(2)
	v_mul_f32_e32 v20, v47, v11
	v_fma_f32 v52, v46, v10, -v20
	ds_read2_b64 v[20:23], v70 offset0:3 offset1:4
	ds_read_b64 v[56:57], v70 offset:24
	v_mul_f32_e32 v11, v46, v11
	v_fmac_f32_e32 v11, v47, v10
	v_sub_f32_e32 v46, v12, v52
	s_waitcnt lgkmcnt(1)
	v_mul_f32_e32 v10, v45, v23
	v_sub_f32_e32 v47, v13, v11
	v_fma_f32 v52, v44, v22, -v10
	ds_read_b128 v[10:13], v70 offset:32
	v_mul_f32_e32 v23, v44, v23
	v_fmac_f32_e32 v23, v45, v22
	v_sub_f32_e32 v22, v46, v52
	v_sub_f32_e32 v23, v47, v23
	ds_read2_b64 v[44:47], v70 offset0:3 offset1:4
	s_waitcnt lgkmcnt(1)
	v_mul_f32_e32 v52, v51, v13
	v_fma_f32 v52, v50, v12, -v52
	v_mul_f32_e32 v13, v50, v13
	v_fmac_f32_e32 v13, v51, v12
	v_sub_f32_e32 v12, v22, v52
	v_mul_f32_e32 v22, v49, v41
	s_lshl_b32 s12, s12, 3
	v_fma_f32 v22, v48, v40, -v22
	s_add_i32 s12, s11, s12
	v_sub_f32_e32 v13, v23, v13
	v_mul_f32_e32 v23, v48, v41
	v_sub_f32_e32 v12, v12, v22
	v_mov_b32_e32 v22, s12
	v_fmac_f32_e32 v23, v49, v40
	ds_read2_b64 v[48:51], v22 offset1:1
	s_add_i32 s12, s1, -9
	s_lshl_b32 s13, s12, 7
	s_add_i32 s14, s13, s8
	s_add_i32 s15, s14, -8
	v_mov_b32_e32 v22, s15
	v_sub_f32_e32 v13, v13, v23
	ds_read2_b64 v[52:55], v22 offset1:1
	s_waitcnt lgkmcnt(1)
	v_mul_f32_e32 v23, v50, v3
	v_mul_f32_e32 v22, v51, v3
	v_fmac_f32_e32 v23, v51, v2
	v_fma_f32 v22, v50, v2, -v22
	v_sub_f32_e32 v13, v13, v23
	v_sub_f32_e32 v22, v12, v22
	v_mul_f32_e32 v12, v49, v13
	v_mul_f32_e32 v13, v48, v13
	v_fma_f32 v12, v48, v22, -v12
	v_fmac_f32_e32 v13, v49, v22
	v_add_u32_e32 v22, s11, v71
	ds_write_b64 v22, v[12:13]
	s_waitcnt lgkmcnt(1)
	v_mul_f32_e32 v22, v55, v29
	v_mul_f32_e32 v23, v54, v29
	v_fma_f32 v22, v54, v28, -v22
	v_fmac_f32_e32 v23, v55, v28
	v_mul_f32_e32 v28, v53, v43
	v_sub_f32_e32 v22, v38, v22
	v_fma_f32 v28, v52, v42, -v28
	s_sub_i32 s11, s14, 24
	v_sub_f32_e32 v22, v22, v28
	v_mov_b32_e32 v28, s11
	v_sub_f32_e32 v23, v39, v23
	ds_read2_b64 v[38:41], v28 offset1:1
	ds_read2_b64 v[48:51], v70 offset0:5 offset1:6
	s_sub_i32 s11, s14, 40
	v_mul_f32_e32 v29, v52, v43
	v_mov_b32_e32 v28, s11
	v_fmac_f32_e32 v29, v53, v42
	ds_read2_b64 v[52:55], v28 offset1:1
	s_waitcnt lgkmcnt(2)
	v_mul_f32_e32 v28, v41, v15
	v_fma_f32 v28, v40, v14, -v28
	v_mul_f32_e32 v15, v40, v15
	v_fmac_f32_e32 v15, v41, v14
	v_sub_f32_e32 v14, v22, v28
	v_mul_f32_e32 v22, v39, v57
	v_fma_f32 v22, v38, v56, -v22
	v_sub_f32_e32 v14, v14, v22
	s_waitcnt lgkmcnt(0)
	v_mul_f32_e32 v22, v55, v47
	v_fma_f32 v22, v54, v46, -v22
	v_sub_f32_e32 v14, v14, v22
	v_mul_f32_e32 v22, v53, v7
	v_sub_f32_e32 v23, v23, v29
	v_fma_f32 v22, v52, v6, -v22
	v_mul_f32_e32 v7, v52, v7
	s_sub_i32 s11, s14, 56
	v_sub_f32_e32 v15, v23, v15
	v_mul_f32_e32 v23, v38, v57
	v_fmac_f32_e32 v7, v53, v6
	v_sub_f32_e32 v6, v14, v22
	v_mov_b32_e32 v14, s11
	v_fmac_f32_e32 v23, v39, v56
	ds_read2_b64 v[38:41], v14 offset1:1
	v_sub_f32_e32 v15, v15, v23
	v_mul_f32_e32 v23, v54, v47
	s_lshl_b32 s11, s12, 3
	v_fmac_f32_e32 v23, v55, v46
	s_add_i32 s11, s13, s11
	v_sub_f32_e32 v15, v15, v23
	v_mov_b32_e32 v14, s11
	v_sub_f32_e32 v7, v15, v7
	ds_read2_b64 v[52:55], v14 offset1:1
	ds_read_b64 v[14:15], v70 offset:48
	s_waitcnt lgkmcnt(2)
	v_mul_f32_e32 v23, v40, v51
	v_mul_f32_e32 v22, v41, v51
	v_fmac_f32_e32 v23, v41, v50
	v_fma_f32 v22, v40, v50, -v22
	v_sub_f32_e32 v7, v7, v23
	v_mul_f32_e32 v23, v38, v3
	v_sub_f32_e32 v6, v6, v22
	v_mul_f32_e32 v22, v39, v3
	v_fmac_f32_e32 v23, v39, v2
	v_fma_f32 v22, v38, v2, -v22
	v_sub_f32_e32 v7, v7, v23
	s_waitcnt lgkmcnt(1)
	v_mul_f32_e32 v23, v54, v13
	v_sub_f32_e32 v6, v6, v22
	v_mul_f32_e32 v22, v55, v13
	v_fmac_f32_e32 v23, v55, v12
	v_fma_f32 v22, v54, v12, -v22
	v_sub_f32_e32 v7, v7, v23
	s_add_i32 s11, s1, -10
	v_sub_f32_e32 v6, v6, v22
	v_mul_f32_e32 v22, v53, v7
	v_mul_f32_e32 v29, v52, v7
	s_lshl_b32 s12, s11, 7
	v_fma_f32 v28, v52, v6, -v22
	v_fmac_f32_e32 v29, v53, v6
	v_add_u32_e32 v6, s13, v71
	s_add_i32 s13, s12, s8
	s_add_i32 s14, s13, -8
	v_mov_b32_e32 v7, s14
	ds_read2_b64 v[38:41], v7 offset1:1
	s_add_i32 s14, s13, -16
	v_mov_b32_e32 v42, v24
	v_mov_b32_e32 v47, v25
	ds_write_b64 v6, v[28:29]
	s_waitcnt lgkmcnt(1)
	v_pk_mul_f32 v[24:25], v[40:41], v[24:25]
	v_mov_b32_e32 v6, s14
	v_sub_f32_e32 v24, v24, v25
	ds_read_b64 v[6:7], v6
	v_mov_b32_e32 v43, v26
	v_sub_f32_e32 v36, v36, v24
	v_mov_b32_e32 v24, v41
	v_mov_b32_e32 v25, v38
	;; [unrolled: 1-line block ×5, first 2 shown]
	v_pk_mul_f32 v[24:25], v[24:25], v[42:43]
	s_sub_i32 s14, s13, 32
	v_pk_fma_f32 v[40:41], v[22:23], v[46:47], v[24:25] op_sel:[0,0,1] op_sel_hi:[1,1,0] neg_lo:[1,0,0] neg_hi:[1,0,0]
	v_pk_fma_f32 v[22:23], v[22:23], v[46:47], v[24:25] op_sel:[0,0,1] op_sel_hi:[1,1,0]
	v_mul_f32_e32 v24, v39, v26
	v_mov_b32_e32 v41, v23
	v_fmac_f32_e32 v24, v38, v27
	v_pk_add_f32 v[22:23], v[36:37], v[40:41] neg_lo:[0,1] neg_hi:[0,1]
	s_waitcnt lgkmcnt(0)
	v_mul_f32_e32 v25, v6, v9
	v_sub_f32_e32 v23, v23, v24
	v_mul_f32_e32 v24, v7, v9
	v_fma_f32 v24, v6, v8, -v24
	v_mov_b32_e32 v6, s14
	v_fmac_f32_e32 v25, v7, v8
	ds_read2_b64 v[6:9], v6 offset1:1
	s_sub_i32 s14, s13, 48
	v_sub_f32_e32 v26, v22, v24
	v_mov_b32_e32 v22, s14
	v_sub_f32_e32 v27, v23, v25
	ds_read2_b64 v[22:25], v22 offset1:1
	s_waitcnt lgkmcnt(1)
	v_mul_f32_e32 v36, v9, v45
	v_fma_f32 v36, v8, v44, -v36
	v_mul_f32_e32 v8, v8, v45
	v_fmac_f32_e32 v8, v9, v44
	v_sub_f32_e32 v9, v26, v36
	v_mul_f32_e32 v26, v7, v5
	v_fma_f32 v26, v6, v4, -v26
	v_mul_f32_e32 v5, v6, v5
	s_waitcnt lgkmcnt(0)
	v_mul_f32_e32 v6, v25, v49
	v_sub_f32_e32 v8, v27, v8
	v_fmac_f32_e32 v5, v7, v4
	v_sub_f32_e32 v4, v9, v26
	v_fma_f32 v6, v24, v48, -v6
	v_mul_f32_e32 v7, v24, v49
	v_sub_f32_e32 v5, v8, v5
	v_fmac_f32_e32 v7, v25, v48
	v_sub_f32_e32 v4, v4, v6
	v_mul_f32_e32 v6, v23, v15
	v_sub_f32_e32 v5, v5, v7
	v_fma_f32 v6, v22, v14, -v6
	v_mul_f32_e32 v7, v22, v15
	s_sub_i32 s13, s13, 64
	v_fmac_f32_e32 v7, v23, v14
	v_sub_f32_e32 v8, v4, v6
	v_mov_b32_e32 v4, s13
	v_sub_f32_e32 v9, v5, v7
	ds_read2_b64 v[4:7], v4 offset1:1
	s_lshl_b32 s11, s11, 3
	s_add_i32 s11, s12, s11
	v_mov_b32_e32 v14, s11
	ds_read2_b64 v[22:25], v14 offset1:1
	s_waitcnt lgkmcnt(1)
	v_mul_f32_e32 v14, v7, v3
	v_fma_f32 v14, v6, v2, -v14
	v_mul_f32_e32 v6, v6, v3
	v_fmac_f32_e32 v6, v7, v2
	v_sub_f32_e32 v7, v8, v14
	v_mul_f32_e32 v8, v5, v13
	v_fma_f32 v8, v4, v12, -v8
	v_mul_f32_e32 v4, v4, v13
	v_sub_f32_e32 v6, v9, v6
	v_fmac_f32_e32 v4, v5, v12
	v_sub_f32_e32 v5, v7, v8
	s_waitcnt lgkmcnt(0)
	v_mul_f32_e32 v7, v24, v29
	v_sub_f32_e32 v4, v6, v4
	v_mul_f32_e32 v6, v25, v29
	v_fmac_f32_e32 v7, v25, v28
	v_fma_f32 v6, v24, v28, -v6
	v_sub_f32_e32 v4, v4, v7
	s_add_i32 s11, s1, -11
	v_sub_f32_e32 v5, v5, v6
	v_mul_f32_e32 v6, v23, v4
	v_mul_f32_e32 v9, v22, v4
	v_add_u32_e32 v4, s12, v71
	s_lshl_b32 s12, s11, 7
	s_add_i32 s8, s12, s8
	v_fma_f32 v8, v22, v5, -v6
	v_fmac_f32_e32 v9, v23, v5
	s_add_i32 s13, s8, -4
	s_add_i32 s14, s8, -12
	ds_write_b64 v4, v[8:9]
	v_mov_b32_e32 v5, s8
	v_mov_b32_e32 v6, s13
	;; [unrolled: 1-line block ×3, first 2 shown]
	ds_read_b64 v[22:23], v70 offset:48
	ds_read_b32 v4, v5 offset:4
	ds_read2_b32 v[6:7], v6 offset1:1
	ds_read2_b32 v[14:15], v14 offset1:1
	ds_read2_b32 v[24:25], v5 offset1:1
	s_sub_i32 s13, s8, 24
	v_mov_b32_e32 v26, v30
	v_mov_b32_e32 v27, v32
	;; [unrolled: 1-line block ×3, first 2 shown]
	s_waitcnt lgkmcnt(0)
	v_pk_mul_f32 v[24:25], v[24:25], v[30:31]
	v_mov_b32_e32 v33, v31
	v_sub_f32_e32 v5, v24, v25
	v_mov_b32_e32 v24, v17
	v_mov_b32_e32 v17, s13
	ds_read_b32 v30, v17
	ds_read2_b32 v[36:37], v17 offset0:1 offset1:2
	v_sub_f32_e32 v34, v34, v5
	v_mov_b32_e32 v5, v15
	v_pk_mul_f32 v[4:5], v[4:5], v[26:27]
	v_mov_b32_e32 v25, v19
	v_pk_fma_f32 v[26:27], v[6:7], v[32:33], v[4:5] op_sel:[0,0,1] op_sel_hi:[1,1,0] neg_lo:[1,0,0] neg_hi:[1,0,0]
	v_pk_fma_f32 v[4:5], v[6:7], v[32:33], v[4:5] op_sel:[0,0,1] op_sel_hi:[1,1,0]
	v_pk_mul_f32 v[24:25], v[14:15], v[24:25] op_sel:[0,1] op_sel_hi:[1,0]
	v_mov_b32_e32 v27, v5
	v_pk_add_f32 v[4:5], v[34:35], v[26:27] neg_lo:[0,1] neg_hi:[0,1]
	s_waitcnt lgkmcnt(0)
	v_mov_b32_e32 v26, v37
	v_mov_b32_e32 v27, v6
	;; [unrolled: 1-line block ×4, first 2 shown]
	v_pk_fma_f32 v[16:17], v[26:27], v[6:7], v[24:25] neg_lo:[0,0,1] neg_hi:[0,0,1]
	v_pk_fma_f32 v[6:7], v[26:27], v[6:7], v[24:25]
	v_mov_b32_e32 v31, v14
	v_mov_b32_e32 v17, v7
	;; [unrolled: 1-line block ×4, first 2 shown]
	v_pk_mul_f32 v[6:7], v[30:31], v[6:7]
	v_mov_b32_e32 v18, v20
	v_pk_fma_f32 v[14:15], v[36:37], v[18:19], v[6:7]
	v_mul_f32_e32 v6, v36, v21
	v_pk_add_f32 v[4:5], v[4:5], v[16:17] neg_lo:[0,1] neg_hi:[0,1]
	v_fma_f32 v6, v30, v20, -v6
	s_sub_i32 s13, s8, 40
	v_sub_f32_e32 v18, v4, v6
	v_mov_b32_e32 v4, s13
	v_sub_f32_e32 v15, v5, v15
	ds_read2_b64 v[4:7], v4 offset1:1
	s_sub_i32 s13, s8, 56
	v_sub_f32_e32 v19, v15, v14
	v_mov_b32_e32 v14, s13
	ds_read2_b64 v[14:17], v14 offset1:1
	s_waitcnt lgkmcnt(1)
	v_mul_f32_e32 v20, v7, v11
	v_fma_f32 v20, v6, v10, -v20
	v_mul_f32_e32 v6, v6, v11
	v_fmac_f32_e32 v6, v7, v10
	v_mul_f32_e32 v10, v5, v1
	v_sub_f32_e32 v7, v18, v20
	v_fma_f32 v10, v4, v0, -v10
	v_mul_f32_e32 v1, v4, v1
	s_waitcnt lgkmcnt(0)
	v_mul_f32_e32 v4, v17, v23
	v_fmac_f32_e32 v1, v5, v0
	v_sub_f32_e32 v0, v7, v10
	v_fma_f32 v4, v16, v22, -v4
	v_sub_f32_e32 v6, v19, v6
	v_mul_f32_e32 v5, v16, v23
	v_sub_f32_e32 v0, v0, v4
	v_mul_f32_e32 v4, v15, v3
	v_sub_f32_e32 v1, v6, v1
	v_fmac_f32_e32 v5, v17, v22
	v_fma_f32 v4, v14, v2, -v4
	v_mul_f32_e32 v3, v14, v3
	s_addk_i32 s8, 0xffb8
	v_sub_f32_e32 v1, v1, v5
	v_fmac_f32_e32 v3, v15, v2
	v_sub_f32_e32 v10, v0, v4
	v_mov_b32_e32 v0, s8
	v_sub_f32_e32 v11, v1, v3
	ds_read2_b64 v[0:3], v0 offset1:1
	s_lshl_b32 s8, s11, 3
	s_add_i32 s8, s12, s8
	v_mov_b32_e32 v4, s8
	ds_read2_b64 v[4:7], v4 offset1:1
	s_waitcnt lgkmcnt(1)
	v_mul_f32_e32 v14, v3, v13
	v_fma_f32 v14, v2, v12, -v14
	v_mul_f32_e32 v2, v2, v13
	v_fmac_f32_e32 v2, v3, v12
	v_sub_f32_e32 v3, v10, v14
	v_mul_f32_e32 v10, v1, v29
	v_fma_f32 v10, v0, v28, -v10
	v_mul_f32_e32 v0, v0, v29
	v_sub_f32_e32 v2, v11, v2
	v_fmac_f32_e32 v0, v1, v28
	v_sub_f32_e32 v1, v3, v10
	s_waitcnt lgkmcnt(0)
	v_mul_f32_e32 v3, v6, v9
	v_sub_f32_e32 v2, v2, v0
	v_mul_f32_e32 v0, v7, v9
	v_fmac_f32_e32 v3, v7, v8
	v_fma_f32 v0, v6, v8, -v0
	v_sub_f32_e32 v2, v2, v3
	v_sub_f32_e32 v0, v1, v0
	v_pk_mul_f32 v[2:3], v[4:5], v[2:3] op_sel:[1,0] op_sel_hi:[0,0]
	v_pk_fma_f32 v[6:7], v[4:5], v[0:1], v[2:3] neg_lo:[0,0,1] neg_hi:[0,0,1]
	v_pk_fma_f32 v[0:1], v[4:5], v[0:1], v[2:3] op_sel_hi:[1,0,1]
	s_add_i32 s1, s1, -12
	v_mov_b32_e32 v7, v1
	v_add_u32_e32 v0, s12, v71
	ds_write_b64 v0, v[6:7]
.LBB150_33:
	s_cmp_lt_i32 s1, 0
	s_cbranch_scc1 .LBB150_51
; %bb.34:
	s_bitcmp1_b32 s1, 0
	s_cselect_b64 s[12:13], -1, 0
	s_and_b64 vcc, exec, s[12:13]
	s_mov_b32 s8, s1
	s_cbranch_vccnz .LBB150_40
; %bb.35:
	s_lshl_b32 s8, s1, 7
	v_add_u32_e32 v2, s8, v71
	ds_read_b64 v[0:1], v2
	s_cmp_le_i32 s0, s1
	s_waitcnt lgkmcnt(0)
	ds_write_b64 v70, v[0:1]
	s_cbranch_scc1 .LBB150_39
; %bb.36:
	s_lshl_b32 s11, s30, 3
	v_lshlrev_b32_e32 v3, 3, v86
	s_add_i32 s8, s8, s11
	v_lshl_add_u32 v3, s30, 7, v3
	s_add_i32 s8, s8, -8
	v_add_u32_e32 v3, 0x780, v3
	s_mov_b32 s11, s0
.LBB150_37:                             ; =>This Inner Loop Header: Depth=1
	v_mov_b32_e32 v6, s8
	ds_read_b64 v[4:5], v3
	ds_read_b64 v[6:7], v6
	s_add_i32 s11, s11, -1
	s_add_i32 s8, s8, -8
	v_add_u32_e32 v3, 0xffffff80, v3
	s_cmp_gt_i32 s11, s1
	s_waitcnt lgkmcnt(0)
	v_pk_mul_f32 v[8:9], v[6:7], v[4:5] op_sel:[1,1] op_sel_hi:[0,1]
	v_pk_fma_f32 v[10:11], v[6:7], v[4:5], v[8:9] neg_lo:[0,0,1] neg_hi:[0,0,1]
	v_pk_fma_f32 v[4:5], v[6:7], v[4:5], v[8:9] op_sel_hi:[1,0,1]
	s_nop 0
	v_mov_b32_e32 v11, v5
	v_pk_add_f32 v[0:1], v[0:1], v[10:11] neg_lo:[0,1] neg_hi:[0,1]
	s_cbranch_scc1 .LBB150_37
; %bb.38:
	ds_write_b64 v70, v[0:1]
.LBB150_39:
	s_mul_i32 s8, s1, 0x88
	v_mov_b32_e32 v3, s8
	ds_read_b64 v[4:5], v3
	v_mov_b32_e32 v6, v1
	s_add_i32 s8, s1, -1
	s_waitcnt lgkmcnt(0)
	v_pk_mul_f32 v[6:7], v[4:5], v[6:7] op_sel:[1,0] op_sel_hi:[0,0]
	v_pk_fma_f32 v[8:9], v[4:5], v[0:1], v[6:7] op_sel_hi:[1,0,1] neg_lo:[0,0,1] neg_hi:[0,0,1]
	v_pk_fma_f32 v[0:1], v[4:5], v[0:1], v[6:7] op_sel_hi:[1,0,1]
	s_nop 0
	v_mov_b32_e32 v9, v1
	ds_write_b64 v70, v[8:9]
	ds_write_b64 v2, v[8:9]
.LBB150_40:
	s_cmp_eq_u32 s1, 0
	s_cbranch_scc1 .LBB150_51
; %bb.41:
	s_lshl_b32 s1, s8, 7
	s_lshl_b32 s11, s30, 3
	v_lshlrev_b32_e32 v0, 3, v86
	s_add_i32 s11, s1, s11
	v_lshl_add_u32 v0, s30, 7, v0
	s_add_i32 s1, s11, -8
	v_add_u32_e32 v5, 0x780, v0
	s_addk_i32 s11, 0xff78
	s_branch .LBB150_43
.LBB150_42:                             ;   in Loop: Header=BB150_43 Depth=1
	s_addk_i32 s12, 0xff78
	v_mov_b32_e32 v2, v1
	v_mov_b32_e32 v1, s12
	ds_read_b64 v[6:7], v1
	s_add_i32 s12, s8, -2
	s_addk_i32 s1, 0xff00
	s_addk_i32 s11, 0xff00
	s_cmp_lt_i32 s8, 2
	s_waitcnt lgkmcnt(0)
	v_pk_mul_f32 v[8:9], v[6:7], v[2:3] op_sel:[1,0] op_sel_hi:[0,0]
	v_pk_fma_f32 v[10:11], v[6:7], v[0:1], v[8:9] op_sel_hi:[1,0,1] neg_lo:[0,0,1] neg_hi:[0,0,1]
	v_pk_fma_f32 v[0:1], v[6:7], v[0:1], v[8:9] op_sel_hi:[1,0,1]
	s_mov_b32 s8, s12
	v_mov_b32_e32 v11, v1
	ds_write_b64 v70, v[10:11]
	ds_write_b64 v3, v[10:11]
	s_cbranch_scc1 .LBB150_51
.LBB150_43:                             ; =>This Loop Header: Depth=1
                                        ;     Child Loop BB150_45 Depth 2
                                        ;     Child Loop BB150_49 Depth 2
	s_lshl_b32 s13, s8, 7
	v_add_u32_e32 v6, s13, v71
	ds_read_b64 v[2:3], v6
	s_cmp_le_i32 s0, s8
	s_waitcnt lgkmcnt(0)
	ds_write_b64 v70, v[2:3]
	s_cbranch_scc1 .LBB150_47
; %bb.44:                               ;   in Loop: Header=BB150_43 Depth=1
	v_mov_b32_e32 v0, v5
	s_mov_b32 s12, s1
	s_mov_b32 s14, s0
.LBB150_45:                             ;   Parent Loop BB150_43 Depth=1
                                        ; =>  This Inner Loop Header: Depth=2
	v_mov_b32_e32 v1, s12
	ds_read_b64 v[8:9], v0
	ds_read_b64 v[10:11], v1
	s_add_i32 s14, s14, -1
	s_add_i32 s12, s12, -8
	v_add_u32_e32 v0, 0xffffff80, v0
	s_cmp_gt_i32 s14, s8
	s_waitcnt lgkmcnt(0)
	v_pk_mul_f32 v[12:13], v[10:11], v[8:9] op_sel:[1,1] op_sel_hi:[0,1]
	v_pk_fma_f32 v[14:15], v[10:11], v[8:9], v[12:13] neg_lo:[0,0,1] neg_hi:[0,0,1]
	v_pk_fma_f32 v[8:9], v[10:11], v[8:9], v[12:13] op_sel_hi:[1,0,1]
	s_nop 0
	v_mov_b32_e32 v15, v9
	v_pk_add_f32 v[2:3], v[2:3], v[14:15] neg_lo:[0,1] neg_hi:[0,1]
	s_cbranch_scc1 .LBB150_45
; %bb.46:                               ;   in Loop: Header=BB150_43 Depth=1
	ds_write_b64 v70, v[2:3]
.LBB150_47:                             ;   in Loop: Header=BB150_43 Depth=1
	s_mul_i32 s12, s8, 0x88
	v_mov_b32_e32 v0, s12
	ds_read_b64 v[8:9], v0
	s_addk_i32 s13, 0xff80
	v_mov_b32_e32 v4, v3
	v_add_u32_e32 v3, s13, v71
	ds_read_b64 v[0:1], v3
	s_waitcnt lgkmcnt(1)
	v_pk_mul_f32 v[10:11], v[8:9], v[4:5] op_sel:[1,0] op_sel_hi:[0,0]
	v_pk_fma_f32 v[12:13], v[8:9], v[2:3], v[10:11] op_sel_hi:[1,0,1] neg_lo:[0,0,1] neg_hi:[0,0,1]
	v_pk_fma_f32 v[8:9], v[8:9], v[2:3], v[10:11] op_sel_hi:[1,0,1]
	s_cmp_le_i32 s30, s8
	v_mov_b32_e32 v13, v9
	ds_write_b64 v6, v[12:13]
	s_waitcnt lgkmcnt(1)
	ds_write_b64 v70, v[0:1]
	s_cbranch_scc1 .LBB150_42
; %bb.48:                               ;   in Loop: Header=BB150_43 Depth=1
	v_mov_b32_e32 v2, v5
	s_mov_b32 s13, s11
	s_mov_b32 s14, s30
.LBB150_49:                             ;   Parent Loop BB150_43 Depth=1
                                        ; =>  This Inner Loop Header: Depth=2
	v_mov_b32_e32 v4, s13
	ds_read_b64 v[6:7], v2
	ds_read_b64 v[8:9], v4
	s_add_i32 s14, s14, -1
	s_add_i32 s13, s13, -8
	v_add_u32_e32 v2, 0xffffff80, v2
	s_cmp_gt_i32 s14, s8
	s_waitcnt lgkmcnt(0)
	v_pk_mul_f32 v[10:11], v[8:9], v[6:7] op_sel:[1,1] op_sel_hi:[0,1]
	v_pk_fma_f32 v[12:13], v[8:9], v[6:7], v[10:11] neg_lo:[0,0,1] neg_hi:[0,0,1]
	v_pk_fma_f32 v[6:7], v[8:9], v[6:7], v[10:11] op_sel_hi:[1,0,1]
	s_nop 0
	v_mov_b32_e32 v13, v7
	v_pk_add_f32 v[0:1], v[0:1], v[12:13] neg_lo:[0,1] neg_hi:[0,1]
	s_cbranch_scc1 .LBB150_49
; %bb.50:                               ;   in Loop: Header=BB150_43 Depth=1
	ds_write_b64 v70, v[0:1]
	s_branch .LBB150_42
.LBB150_51:
	s_mov_b64 s[0:1], 0
.LBB150_52:
	s_and_b64 vcc, exec, s[0:1]
	s_cbranch_vccz .LBB150_69
; %bb.53:
	s_cmp_gt_i32 s10, 15
	s_cselect_b64 s[0:1], -1, 0
	s_mov_b32 s8, 0
	s_and_b64 vcc, exec, s[0:1]
	s_cbranch_vccz .LBB150_55
; %bb.54:
	ds_read2_b64 v[8:11], v71 offset1:16
	ds_read2_b64 v[26:29], v71 offset0:32 offset1:48
	ds_read2_b64 v[0:3], v71 offset0:64 offset1:80
	;; [unrolled: 1-line block ×3, first 2 shown]
	v_mov_b32_e32 v87, 0
	s_mov_b32 s8, 16
	s_waitcnt lgkmcnt(3)
	ds_write_b128 v70, v[8:11]
	s_waitcnt lgkmcnt(3)
	ds_write_b128 v70, v[26:29] offset:16
	s_waitcnt lgkmcnt(3)
	ds_write_b128 v70, v[0:3] offset:32
	ds_read_b128 v[12:15], v87
	s_waitcnt lgkmcnt(4)
	ds_write_b64 v70, v[22:23] offset:48
	ds_read2_b64 v[4:7], v71 offset0:128 offset1:144
	ds_read2_b64 v[0:3], v71 offset0:160 offset1:176
	ds_read_b128 v[16:19], v87 offset:16
	ds_read2_b64 v[34:37], v87 offset0:17 offset1:18
	s_waitcnt lgkmcnt(5)
	v_mul_f32_e32 v31, v12, v9
	v_mul_f32_e32 v20, v13, v9
	v_fmac_f32_e32 v31, v13, v8
	v_fma_f32 v30, v12, v8, -v20
	v_mul_f32_e32 v9, v14, v31
	v_mul_f32_e32 v8, v15, v31
	v_fmac_f32_e32 v9, v15, v30
	v_fma_f32 v8, v14, v30, -v8
	v_sub_f32_e32 v9, v11, v9
	v_sub_f32_e32 v8, v10, v8
	ds_read2_b64 v[20:23], v87 offset0:19 offset1:20
	s_waitcnt lgkmcnt(1)
	v_mul_f32_e32 v10, v35, v9
	v_mul_f32_e32 v33, v34, v9
	v_fma_f32 v32, v34, v8, -v10
	v_fmac_f32_e32 v33, v35, v8
	v_mul_f32_e32 v8, v17, v31
	v_mul_f32_e32 v9, v16, v31
	ds_write2_b64 v70, v[30:31], v[32:33] offset1:1
	ds_write2_b64 v71, v[30:31], v[32:33] offset1:16
	v_fma_f32 v8, v16, v30, -v8
	v_fmac_f32_e32 v9, v17, v30
	v_sub_f32_e32 v8, v26, v8
	v_sub_f32_e32 v9, v27, v9
	ds_read_b128 v[26:29], v87 offset:272
	ds_read2_b64 v[38:41], v87 offset0:51 offset1:52
	v_mul_f32_e32 v11, v36, v33
	v_mul_f32_e32 v10, v37, v33
	v_fmac_f32_e32 v11, v37, v32
	v_fma_f32 v10, v36, v32, -v10
	v_sub_f32_e32 v17, v9, v11
	v_sub_f32_e32 v16, v8, v10
	s_waitcnt lgkmcnt(1)
	v_mul_f32_e32 v34, v27, v17
	v_fma_f32 v60, v26, v16, -v34
	ds_read2_b64 v[34:37], v70 offset0:3 offset1:4
	v_mul_f32_e32 v61, v26, v17
	v_fmac_f32_e32 v61, v27, v16
	v_mul_f32_e32 v16, v19, v31
	v_fma_f32 v26, v18, v30, -v16
	v_mul_f32_e32 v27, v18, v31
	v_fmac_f32_e32 v27, v19, v30
	ds_read2_b64 v[16:19], v70 offset0:5 offset1:6
	s_waitcnt lgkmcnt(1)
	v_sub_f32_e32 v26, v34, v26
	v_mul_f32_e32 v34, v21, v33
	v_fma_f32 v34, v20, v32, -v34
	v_mul_f32_e32 v20, v20, v33
	v_sub_f32_e32 v27, v35, v27
	v_fmac_f32_e32 v20, v21, v32
	v_sub_f32_e32 v20, v27, v20
	v_mul_f32_e32 v27, v28, v61
	v_sub_f32_e32 v21, v26, v34
	v_mul_f32_e32 v26, v29, v61
	v_fmac_f32_e32 v27, v29, v60
	ds_read_b128 v[12:15], v87 offset:32
	ds_read2_b64 v[8:11], v87 offset0:29 offset1:30
	v_fma_f32 v26, v28, v60, -v26
	v_sub_f32_e32 v20, v20, v27
	v_sub_f32_e32 v21, v21, v26
	v_mul_f32_e32 v34, v39, v20
	v_mul_f32_e32 v35, v38, v20
	v_fma_f32 v34, v38, v21, -v34
	v_fmac_f32_e32 v35, v39, v21
	ds_read2_b64 v[26:29], v87 offset0:53 offset1:54
	ds_write2_b64 v70, v[60:61], v[34:35] offset0:2 offset1:3
	ds_write2_b64 v71, v[60:61], v[34:35] offset0:32 offset1:48
	ds_read_b128 v[52:55], v87 offset:288
	ds_read_b128 v[44:47], v87 offset:560
	s_waitcnt lgkmcnt(6)
	v_mul_f32_e32 v20, v13, v31
	v_fma_f32 v20, v12, v30, -v20
	v_mul_f32_e32 v12, v12, v31
	v_fmac_f32_e32 v12, v13, v30
	v_sub_f32_e32 v13, v36, v20
	v_mul_f32_e32 v20, v23, v33
	v_fma_f32 v20, v22, v32, -v20
	v_mul_f32_e32 v21, v22, v33
	v_sub_f32_e32 v12, v37, v12
	v_fmac_f32_e32 v21, v23, v32
	v_sub_f32_e32 v13, v13, v20
	s_waitcnt lgkmcnt(1)
	v_mul_f32_e32 v20, v53, v61
	v_sub_f32_e32 v12, v12, v21
	v_fma_f32 v20, v52, v60, -v20
	v_mul_f32_e32 v21, v52, v61
	v_fmac_f32_e32 v21, v53, v60
	v_sub_f32_e32 v13, v13, v20
	v_mul_f32_e32 v20, v41, v35
	v_sub_f32_e32 v12, v12, v21
	v_fma_f32 v42, v40, v34, -v20
	ds_read_b128 v[20:23], v87 offset:544
	ds_read_b128 v[48:51], v87 offset:48
	ds_read2_b64 v[56:59], v87 offset0:21 offset1:22
	v_mul_f32_e32 v40, v40, v35
	v_fmac_f32_e32 v40, v41, v34
	v_sub_f32_e32 v12, v12, v40
	v_sub_f32_e32 v13, v13, v42
	s_waitcnt lgkmcnt(2)
	v_mul_f32_e32 v40, v21, v12
	v_mul_f32_e32 v53, v20, v12
	;; [unrolled: 1-line block ×3, first 2 shown]
	v_fma_f32 v52, v20, v13, -v40
	v_fmac_f32_e32 v53, v21, v13
	v_fma_f32 v12, v14, v30, -v12
	v_mul_f32_e32 v13, v14, v31
	s_waitcnt lgkmcnt(0)
	v_mul_f32_e32 v14, v57, v33
	v_fmac_f32_e32 v13, v15, v30
	v_sub_f32_e32 v12, v16, v12
	v_fma_f32 v14, v56, v32, -v14
	v_mul_f32_e32 v15, v56, v33
	v_sub_f32_e32 v13, v17, v13
	v_fmac_f32_e32 v15, v57, v32
	v_sub_f32_e32 v12, v12, v14
	v_mul_f32_e32 v14, v55, v61
	v_sub_f32_e32 v13, v13, v15
	v_fma_f32 v14, v54, v60, -v14
	v_mul_f32_e32 v15, v54, v61
	v_fmac_f32_e32 v15, v55, v60
	v_sub_f32_e32 v12, v12, v14
	v_mul_f32_e32 v14, v27, v35
	v_sub_f32_e32 v13, v13, v15
	v_fma_f32 v14, v26, v34, -v14
	v_mul_f32_e32 v15, v26, v35
	v_fmac_f32_e32 v15, v27, v34
	v_sub_f32_e32 v16, v12, v14
	v_mul_f32_e32 v12, v23, v53
	v_sub_f32_e32 v17, v13, v15
	v_fma_f32 v20, v22, v52, -v12
	ds_read2_b64 v[12:15], v87 offset0:85 offset1:86
	v_mul_f32_e32 v21, v22, v53
	v_fmac_f32_e32 v21, v23, v52
	v_sub_f32_e32 v17, v17, v21
	ds_read_b128 v[36:39], v87 offset:304
	ds_read2_b64 v[40:43], v87 offset0:23 offset1:24
	v_sub_f32_e32 v26, v16, v20
	ds_read2_b64 v[20:23], v87 offset0:87 offset1:88
	s_waitcnt lgkmcnt(3)
	v_mul_f32_e32 v16, v13, v17
	v_fma_f32 v16, v12, v26, -v16
	v_mul_f32_e32 v17, v12, v17
	v_mul_f32_e32 v12, v49, v31
	v_fma_f32 v12, v48, v30, -v12
	v_fmac_f32_e32 v17, v13, v26
	v_mul_f32_e32 v13, v48, v31
	v_sub_f32_e32 v12, v18, v12
	v_mul_f32_e32 v18, v59, v33
	v_fmac_f32_e32 v13, v49, v30
	v_fma_f32 v18, v58, v32, -v18
	v_sub_f32_e32 v13, v19, v13
	v_mul_f32_e32 v19, v58, v33
	v_sub_f32_e32 v12, v12, v18
	s_waitcnt lgkmcnt(2)
	v_mul_f32_e32 v18, v37, v61
	v_fmac_f32_e32 v19, v59, v32
	v_fma_f32 v18, v36, v60, -v18
	v_sub_f32_e32 v13, v13, v19
	v_mul_f32_e32 v19, v36, v61
	v_sub_f32_e32 v12, v12, v18
	v_mul_f32_e32 v18, v29, v35
	v_fmac_f32_e32 v19, v37, v60
	v_fma_f32 v18, v28, v34, -v18
	ds_write2_b64 v70, v[52:53], v[16:17] offset0:4 offset1:5
	ds_write2_b64 v71, v[52:53], v[16:17] offset0:64 offset1:80
	v_sub_f32_e32 v13, v13, v19
	v_mul_f32_e32 v19, v28, v35
	v_sub_f32_e32 v12, v12, v18
	v_mul_f32_e32 v18, v45, v53
	v_fmac_f32_e32 v19, v29, v34
	v_fma_f32 v18, v44, v52, -v18
	ds_read_b128 v[26:29], v87 offset:816
	v_sub_f32_e32 v13, v13, v19
	v_mul_f32_e32 v19, v44, v53
	v_sub_f32_e32 v12, v12, v18
	v_mul_f32_e32 v18, v15, v17
	v_fmac_f32_e32 v19, v45, v52
	v_fma_f32 v18, v14, v16, -v18
	v_mul_f32_e32 v14, v14, v17
	v_sub_f32_e32 v13, v13, v19
	v_fmac_f32_e32 v14, v15, v16
	v_sub_f32_e32 v17, v13, v14
	v_sub_f32_e32 v16, v12, v18
	ds_read2_b64 v[12:15], v87 offset0:93 offset1:94
	s_waitcnt lgkmcnt(1)
	v_mul_f32_e32 v18, v27, v17
	v_mul_f32_e32 v73, v26, v17
	v_fma_f32 v72, v26, v16, -v18
	v_fmac_f32_e32 v73, v27, v16
	ds_write_b64 v70, v[72:73] offset:48
	v_mul_f32_e32 v26, v51, v31
	v_mul_f32_e32 v27, v50, v31
	ds_read2_b64 v[16:19], v70 offset0:5 offset1:6
	v_fma_f32 v26, v50, v30, -v26
	v_fmac_f32_e32 v27, v51, v30
	ds_read_b128 v[48:51], v70
	v_sub_f32_e32 v34, v24, v26
	v_sub_f32_e32 v35, v25, v27
	ds_read_b128 v[24:27], v70 offset:16
	ds_read2_b64 v[64:67], v70 offset1:1
	ds_read2_b64 v[52:55], v87 offset0:55 offset1:56
	s_waitcnt lgkmcnt(3)
	v_mul_f32_e32 v30, v41, v51
	v_fma_f32 v36, v40, v50, -v30
	ds_read2_b64 v[30:33], v70 offset0:1 offset1:2
	v_mul_f32_e32 v37, v40, v51
	v_fmac_f32_e32 v37, v41, v50
	v_sub_f32_e32 v40, v34, v36
	v_sub_f32_e32 v41, v35, v37
	ds_read2_b64 v[34:37], v70 offset0:1 offset1:2
	ds_read2_b64 v[88:91], v70 offset0:2 offset1:3
	;; [unrolled: 1-line block ×3, first 2 shown]
	ds_read_b128 v[74:77], v87 offset:64
	s_waitcnt lgkmcnt(4)
	v_mul_f32_e32 v44, v39, v33
	v_mul_f32_e32 v33, v38, v33
	v_fmac_f32_e32 v33, v39, v32
	v_fma_f32 v44, v38, v32, -v44
	v_sub_f32_e32 v68, v41, v33
	v_mul_f32_e32 v33, v53, v27
	v_sub_f32_e32 v32, v40, v44
	v_fma_f32 v33, v52, v26, -v33
	v_mul_f32_e32 v69, v52, v27
	v_fmac_f32_e32 v69, v53, v26
	v_sub_f32_e32 v92, v32, v33
	v_mul_f32_e32 v26, v43, v67
	v_mul_f32_e32 v27, v42, v67
	s_waitcnt lgkmcnt(0)
	v_mul_f32_e32 v32, v75, v65
	v_mul_f32_e32 v79, v74, v65
	v_fma_f32 v26, v42, v66, -v26
	v_fmac_f32_e32 v27, v43, v66
	ds_read2_b64 v[38:41], v70 offset0:3 offset1:4
	ds_read2_b64 v[60:63], v70 offset0:3 offset1:4
	ds_read_b128 v[50:53], v87 offset:80
	v_fma_f32 v78, v74, v64, -v32
	v_fmac_f32_e32 v79, v75, v64
	ds_read_b128 v[64:67], v87 offset:320
	s_waitcnt lgkmcnt(3)
	v_mul_f32_e32 v42, v47, v41
	v_mul_f32_e32 v75, v46, v41
	v_fma_f32 v74, v46, v40, -v42
	v_fmac_f32_e32 v75, v47, v40
	s_waitcnt lgkmcnt(0)
	v_mul_f32_e32 v40, v65, v89
	v_fma_f32 v81, v64, v88, -v40
	v_mul_f32_e32 v40, v55, v91
	v_mul_f32_e32 v82, v64, v89
	v_fma_f32 v83, v54, v90, -v40
	v_mul_f32_e32 v40, v67, v89
	v_mul_f32_e32 v41, v66, v89
	v_fmac_f32_e32 v82, v65, v88
	v_fma_f32 v40, v66, v88, -v40
	v_fmac_f32_e32 v41, v67, v88
	ds_read_b128 v[64:67], v87 offset:576
	v_mul_f32_e32 v33, v76, v49
	ds_read_b128 v[42:45], v70 offset:32
	v_mul_f32_e32 v32, v77, v49
	v_fmac_f32_e32 v33, v77, v48
	v_mul_f32_e32 v80, v54, v91
	v_mul_f32_e32 v54, v57, v91
	;; [unrolled: 1-line block ×3, first 2 shown]
	v_fma_f32 v32, v76, v48, -v32
	v_fmac_f32_e32 v80, v55, v90
	v_fma_f32 v76, v56, v90, -v54
	v_fmac_f32_e32 v77, v57, v90
	ds_read_b128 v[54:57], v87 offset:592
	s_waitcnt lgkmcnt(2)
	v_mul_f32_e32 v84, v65, v63
	v_fma_f32 v88, v64, v62, -v84
	v_mul_f32_e32 v89, v64, v63
	v_mul_f32_e32 v64, v67, v63
	;; [unrolled: 1-line block ×3, first 2 shown]
	v_fmac_f32_e32 v89, v65, v62
	v_fma_f32 v84, v66, v62, -v64
	v_fmac_f32_e32 v85, v67, v62
	v_sub_f32_e32 v62, v68, v69
	v_sub_f32_e32 v67, v62, v75
	ds_read2_b64 v[62:65], v70 offset0:3 offset1:4
	s_waitcnt lgkmcnt(2)
	v_mul_f32_e32 v68, v21, v45
	v_fma_f32 v68, v20, v44, -v68
	v_mul_f32_e32 v20, v20, v45
	v_mul_f32_e32 v45, v59, v61
	;; [unrolled: 1-line block ×3, first 2 shown]
	v_fma_f32 v110, v58, v60, -v45
	v_fmac_f32_e32 v111, v59, v60
	ds_read2_b64 v[58:61], v87 offset0:119 offset1:120
	ds_read2_b64 v[94:97], v70 offset0:4 offset1:5
	v_fmac_f32_e32 v20, v21, v44
	v_mul_f32_e32 v44, v29, v19
	v_fma_f32 v44, v28, v18, -v44
	v_mul_f32_e32 v28, v28, v19
	v_sub_f32_e32 v66, v92, v74
	v_sub_f32_e32 v20, v67, v20
	v_fmac_f32_e32 v28, v29, v18
	v_sub_f32_e32 v21, v66, v68
	v_sub_f32_e32 v20, v20, v28
	;; [unrolled: 1-line block ×3, first 2 shown]
	ds_read2_b64 v[90:93], v87 offset0:121 offset1:122
	s_waitcnt lgkmcnt(2)
	v_mul_f32_e32 v28, v59, v20
	v_mul_f32_e32 v75, v58, v20
	v_sub_f32_e32 v4, v4, v78
	v_sub_f32_e32 v5, v5, v79
	ds_read_b64 v[78:79], v70 offset:32
	s_waitcnt lgkmcnt(2)
	v_mul_f32_e32 v20, v23, v97
	v_mul_f32_e32 v44, v22, v97
	v_fma_f32 v74, v58, v21, -v28
	v_fmac_f32_e32 v75, v59, v21
	v_sub_f32_e32 v4, v4, v26
	v_fma_f32 v26, v22, v96, -v20
	v_fmac_f32_e32 v44, v23, v96
	ds_read_b128 v[20:23], v87 offset:832
	v_sub_f32_e32 v4, v4, v81
	v_sub_f32_e32 v5, v5, v27
	;; [unrolled: 1-line block ×7, first 2 shown]
	ds_read_b128 v[26:29], v87 offset:848
	s_waitcnt lgkmcnt(1)
	v_mul_f32_e32 v45, v21, v73
	v_sub_f32_e32 v5, v5, v89
	v_fma_f32 v45, v20, v72, -v45
	v_mul_f32_e32 v20, v20, v73
	v_fmac_f32_e32 v20, v21, v72
	v_sub_f32_e32 v5, v5, v44
	v_sub_f32_e32 v5, v5, v20
	v_mul_f32_e32 v20, v61, v75
	v_mul_f32_e32 v21, v60, v75
	ds_read_b128 v[46:49], v87 offset:336
	v_fma_f32 v20, v60, v74, -v20
	v_fmac_f32_e32 v21, v61, v74
	ds_read2_b64 v[58:61], v87 offset0:25 offset1:26
	v_sub_f32_e32 v4, v4, v45
	ds_read2_b64 v[66:69], v70 offset0:5 offset1:6
	v_sub_f32_e32 v20, v4, v20
	v_sub_f32_e32 v21, v5, v21
	;; [unrolled: 1-line block ×4, first 2 shown]
	ds_read_b128 v[4:7], v87 offset:1088
	ds_read2_b64 v[80:83], v87 offset0:27 offset1:28
	ds_read2_b64 v[102:105], v87 offset0:89 offset1:90
	s_waitcnt lgkmcnt(4)
	v_mul_f32_e32 v44, v59, v31
	v_mul_f32_e32 v31, v58, v31
	v_fma_f32 v44, v58, v30, -v44
	v_fmac_f32_e32 v31, v59, v30
	s_waitcnt lgkmcnt(2)
	v_mul_f32_e32 v30, v5, v21
	v_fma_f32 v72, v4, v20, -v30
	v_mul_f32_e32 v73, v4, v21
	v_sub_f32_e32 v4, v32, v44
	v_fmac_f32_e32 v73, v5, v20
	v_sub_f32_e32 v5, v33, v31
	v_sub_f32_e32 v4, v4, v40
	;; [unrolled: 1-line block ×4, first 2 shown]
	ds_read2_b64 v[30:33], v87 offset0:91 offset1:92
	s_waitcnt lgkmcnt(1)
	v_mul_f32_e32 v20, v103, v97
	v_sub_f32_e32 v5, v5, v77
	v_sub_f32_e32 v4, v4, v84
	v_fma_f32 v20, v102, v96, -v20
	v_mul_f32_e32 v21, v102, v97
	v_sub_f32_e32 v5, v5, v85
	v_fmac_f32_e32 v21, v103, v96
	v_sub_f32_e32 v44, v4, v20
	v_mul_f32_e32 v4, v23, v69
	v_mul_f32_e32 v59, v22, v69
	v_sub_f32_e32 v45, v5, v21
	v_fma_f32 v58, v22, v68, -v4
	v_fmac_f32_e32 v59, v23, v68
	ds_read_b128 v[20:23], v70
	ds_read_b128 v[106:109], v70
	v_mul_f32_e32 v4, v7, v73
	v_mul_f32_e32 v69, v6, v73
	v_fma_f32 v68, v6, v72, -v4
	v_fmac_f32_e32 v69, v7, v72
	s_waitcnt lgkmcnt(1)
	v_mov_b32_e32 v4, v20
	v_mov_b32_e32 v6, v21
	;; [unrolled: 1-line block ×3, first 2 shown]
	v_pk_mul_f32 v[40:41], v[50:51], v[20:21]
	v_mov_b32_e32 v20, v51
	v_mov_b32_e32 v51, v61
	;; [unrolled: 1-line block ×4, first 2 shown]
	v_pk_mul_f32 v[6:7], v[50:51], v[6:7]
	v_mul_f32_e32 v84, v61, v22
	v_pk_fma_f32 v[50:51], v[20:21], v[4:5], v[6:7] neg_lo:[0,0,1] neg_hi:[0,0,1]
	v_pk_fma_f32 v[4:5], v[20:21], v[4:5], v[6:7]
	v_mul_f32_e32 v6, v91, v75
	v_sub_f32_e32 v22, v44, v58
	v_fma_f32 v6, v90, v74, -v6
	v_sub_f32_e32 v21, v22, v6
	ds_read_b64 v[6:7], v70 offset:40
	v_mul_f32_e32 v20, v90, v75
	v_fmac_f32_e32 v84, v60, v23
	v_sub_f32_e32 v23, v45, v59
	v_fmac_f32_e32 v20, v91, v74
	v_sub_f32_e32 v20, v23, v20
	v_sub_f32_e32 v58, v21, v68
	;; [unrolled: 1-line block ×3, first 2 shown]
	ds_read_b64 v[68:69], v70 offset:40
	s_waitcnt lgkmcnt(1)
	v_mul_f32_e32 v20, v105, v7
	ds_read_b128 v[98:101], v87 offset:1104
	v_fma_f32 v60, v104, v6, -v20
	ds_read2_b64 v[20:23], v87 offset0:153 offset1:154
	v_mul_f32_e32 v7, v104, v7
	v_fmac_f32_e32 v7, v105, v6
	v_mul_f32_e32 v6, v47, v25
	v_mul_f32_e32 v25, v46, v25
	v_fma_f32 v6, v46, v24, -v6
	v_fmac_f32_e32 v25, v47, v24
	s_waitcnt lgkmcnt(0)
	v_mul_f32_e32 v24, v21, v59
	v_fma_f32 v76, v20, v58, -v24
	v_mul_f32_e32 v77, v20, v59
	v_sub_f32_e32 v20, v40, v41
	v_sub_f32_e32 v0, v0, v20
	v_pk_mov_b32 v[4:5], v[50:51], v[4:5] op_sel:[1,0]
	v_mul_f32_e32 v20, v54, v79
	v_pk_add_f32 v[0:1], v[0:1], v[4:5] neg_lo:[0,1] neg_hi:[0,1]
	v_fmac_f32_e32 v20, v55, v78
	v_sub_f32_e32 v4, v1, v84
	v_sub_f32_e32 v5, v0, v6
	ds_read_b64 v[0:1], v70 offset:48
	v_sub_f32_e32 v4, v4, v25
	v_mul_f32_e32 v6, v55, v79
	v_sub_f32_e32 v5, v5, v110
	v_sub_f32_e32 v4, v4, v111
	v_fma_f32 v6, v54, v78, -v6
	v_sub_f32_e32 v5, v5, v6
	v_sub_f32_e32 v4, v4, v20
	v_fmac_f32_e32 v77, v21, v58
	v_sub_f32_e32 v20, v5, v60
	v_sub_f32_e32 v40, v4, v7
	ds_read2_b64 v[4:7], v70 offset0:5 offset1:6
	s_waitcnt lgkmcnt(1)
	v_mul_f32_e32 v21, v27, v1
	v_fma_f32 v21, v26, v0, -v21
	v_mul_f32_e32 v26, v26, v1
	v_fmac_f32_e32 v26, v27, v0
	v_mul_f32_e32 v0, v93, v75
	v_fma_f32 v41, v92, v74, -v0
	v_mul_f32_e32 v0, v23, v77
	v_sub_f32_e32 v27, v20, v21
	v_fma_f32 v54, v22, v76, -v0
	v_mul_f32_e32 v55, v22, v77
	v_mov_b32_e32 v1, v108
	v_mov_b32_e32 v108, v107
	v_pk_mul_f32 v[20:21], v[52:53], v[106:107]
	v_mov_b32_e32 v22, v53
	v_mov_b32_e32 v53, v81
	v_fmac_f32_e32 v55, v23, v76
	v_pk_mul_f32 v[24:25], v[52:53], v[108:109]
	v_mov_b32_e32 v0, v106
	v_mov_b32_e32 v23, v80
	v_sub_f32_e32 v40, v40, v26
	v_sub_f32_e32 v41, v27, v41
	v_pk_fma_f32 v[26:27], v[22:23], v[0:1], v[24:25] neg_lo:[0,0,1] neg_hi:[0,0,1]
	v_pk_fma_f32 v[0:1], v[22:23], v[0:1], v[24:25]
	v_mul_f32_e32 v22, v99, v73
	v_sub_f32_e32 v20, v20, v21
	v_fma_f32 v22, v98, v72, -v22
	v_sub_f32_e32 v2, v2, v20
	v_pk_mov_b32 v[0:1], v[26:27], v[0:1] op_sel:[1,0]
	v_mul_f32_e32 v50, v92, v75
	v_sub_f32_e32 v25, v41, v22
	v_mov_b32_e32 v20, v34
	v_mov_b32_e32 v22, v35
	;; [unrolled: 1-line block ×3, first 2 shown]
	v_pk_add_f32 v[34:35], v[2:3], v[0:1] neg_lo:[0,1] neg_hi:[0,1]
	v_mov_b32_e32 v0, v81
	v_mov_b32_e32 v81, v49
	v_fmac_f32_e32 v50, v93, v74
	v_mov_b32_e32 v21, v36
	v_mov_b32_e32 v1, v48
	v_pk_mul_f32 v[2:3], v[80:81], v[22:23]
	v_sub_f32_e32 v24, v40, v50
	v_pk_fma_f32 v[40:41], v[0:1], v[20:21], v[2:3] neg_lo:[0,0,1] neg_hi:[0,0,1]
	v_pk_fma_f32 v[50:51], v[0:1], v[20:21], v[2:3]
	ds_read_b128 v[0:3], v87 offset:1360
	v_mul_f32_e32 v52, v98, v73
	v_fmac_f32_e32 v52, v99, v72
	v_sub_f32_e32 v20, v24, v52
	v_sub_f32_e32 v20, v20, v55
	;; [unrolled: 1-line block ×3, first 2 shown]
	s_waitcnt lgkmcnt(0)
	v_mul_f32_e32 v22, v1, v20
	v_mul_f32_e32 v79, v0, v20
	ds_read2_b64 v[44:47], v87 offset0:155 offset1:156
	ds_read2_b64 v[24:27], v87 offset0:157 offset1:158
	v_fma_f32 v78, v0, v21, -v22
	v_fmac_f32_e32 v79, v1, v21
	ds_read2_b64 v[20:23], v87 offset0:59 offset1:60
	ds_read_b64 v[0:1], v70 offset:48
	v_mul_f32_e32 v49, v49, v36
	v_fmac_f32_e32 v49, v48, v37
	v_pk_mov_b32 v[36:37], v[40:41], v[50:51] op_sel:[1,0]
	ds_read2_b64 v[58:61], v87 offset0:61 offset1:62
	v_pk_add_f32 v[34:35], v[34:35], v[36:37] neg_lo:[0,1] neg_hi:[0,1]
	s_waitcnt lgkmcnt(2)
	v_mul_f32_e32 v36, v21, v39
	v_fma_f32 v36, v20, v38, -v36
	v_mul_f32_e32 v20, v20, v39
	v_fmac_f32_e32 v20, v21, v38
	v_sub_f32_e32 v21, v34, v36
	v_mul_f32_e32 v34, v57, v95
	v_sub_f32_e32 v35, v35, v49
	v_fma_f32 v34, v56, v94, -v34
	v_sub_f32_e32 v20, v35, v20
	v_mul_f32_e32 v35, v56, v95
	v_sub_f32_e32 v21, v21, v34
	v_mul_f32_e32 v34, v31, v69
	v_fmac_f32_e32 v35, v57, v94
	v_fma_f32 v34, v30, v68, -v34
	v_mul_f32_e32 v30, v30, v69
	v_sub_f32_e32 v20, v20, v35
	v_fmac_f32_e32 v30, v31, v68
	v_sub_f32_e32 v107, v20, v30
	s_waitcnt lgkmcnt(1)
	v_mul_f32_e32 v20, v29, v1
	v_mul_f32_e32 v110, v28, v1
	v_sub_f32_e32 v21, v21, v34
	ds_read_b64 v[68:69], v70 offset:48
	ds_read_b64 v[84:85], v70 offset:48
	;; [unrolled: 1-line block ×3, first 2 shown]
	v_fma_f32 v20, v28, v0, -v20
	ds_read2_b64 v[34:37], v87 offset0:123 offset1:124
	v_fmac_f32_e32 v110, v29, v0
	ds_read_b128 v[38:41], v87 offset:96
	ds_read_b128 v[52:55], v70
	ds_read2_b64 v[48:51], v70 offset0:1 offset1:2
	ds_read_b128 v[88:91], v70
	ds_read_b128 v[28:31], v87 offset:112
	ds_read_b128 v[96:99], v87 offset:352
	v_mul_f32_e32 v0, v101, v73
	v_fma_f32 v112, v100, v72, -v0
	v_mul_f32_e32 v0, v3, v79
	v_mul_f32_e32 v115, v2, v79
	v_sub_f32_e32 v111, v21, v20
	v_fma_f32 v114, v2, v78, -v0
	v_fmac_f32_e32 v115, v3, v78
	s_waitcnt lgkmcnt(4)
	v_pk_mul_f32 v[20:21], v[38:39], v[52:53]
	s_waitcnt lgkmcnt(3)
	v_mov_b32_e32 v57, v50
	v_mov_b32_e32 v104, v39
	;; [unrolled: 1-line block ×5, first 2 shown]
	ds_read_b128 v[0:3], v87 offset:368
	s_waitcnt lgkmcnt(1)
	v_mov_b32_e32 v83, v97
	v_pk_mul_f32 v[108:109], v[82:83], v[50:51]
	v_mul_f32_e32 v83, v35, v75
	v_fma_f32 v83, v34, v74, -v83
	v_mul_f32_e32 v34, v34, v75
	v_mul_f32_e32 v113, v100, v73
	v_mov_b32_e32 v105, v82
	v_sub_f32_e32 v82, v107, v110
	v_fmac_f32_e32 v34, v35, v74
	v_mov_b32_e32 v35, v54
	v_mov_b32_e32 v54, v53
	v_fmac_f32_e32 v113, v101, v72
	ds_read2_b64 v[100:103], v71 offset0:192 offset1:208
	v_sub_f32_e32 v83, v111, v83
	v_sub_f32_e32 v107, v82, v34
	v_mov_b32_e32 v34, v52
	v_pk_mul_f32 v[38:39], v[38:39], v[54:55]
	v_sub_f32_e32 v110, v83, v112
	v_pk_fma_f32 v[82:83], v[104:105], v[34:35], v[38:39] neg_lo:[0,0,1] neg_hi:[0,0,1]
	v_pk_fma_f32 v[34:35], v[104:105], v[34:35], v[38:39]
	v_mul_f32_e32 v39, v45, v77
	ds_read2_b64 v[92:95], v70 offset0:1 offset1:2
	ds_read_b128 v[52:55], v70 offset:16
	v_fma_f32 v39, v44, v76, -v39
	v_mul_f32_e32 v44, v44, v77
	v_sub_f32_e32 v38, v107, v113
	v_fmac_f32_e32 v44, v45, v76
	v_mov_b32_e32 v56, v48
	v_sub_f32_e32 v39, v110, v39
	v_sub_f32_e32 v38, v38, v44
	;; [unrolled: 1-line block ×3, first 2 shown]
	v_mov_b32_e32 v107, v96
	v_sub_f32_e32 v116, v39, v114
	v_sub_f32_e32 v117, v38, v115
	v_pk_mov_b32 v[20:21], v[82:83], v[34:35] op_sel:[1,0]
	v_pk_fma_f32 v[34:35], v[106:107], v[56:57], v[108:109] neg_lo:[0,0,1] neg_hi:[0,0,1]
	v_pk_fma_f32 v[38:39], v[106:107], v[56:57], v[108:109]
	s_waitcnt lgkmcnt(2)
	v_sub_f32_e32 v100, v100, v44
	ds_read_b128 v[108:111], v87 offset:608
	v_pk_add_f32 v[20:21], v[100:101], v[20:21] neg_lo:[0,1] neg_hi:[0,1]
	v_pk_mov_b32 v[34:35], v[34:35], v[38:39] op_sel:[1,0]
	ds_read2_b64 v[112:115], v87 offset0:187 offset1:188
	v_pk_add_f32 v[34:35], v[20:21], v[34:35] neg_lo:[0,1] neg_hi:[0,1]
	s_waitcnt lgkmcnt(2)
	v_mov_b32_e32 v20, v53
	v_mov_b32_e32 v21, v55
	v_mov_b32_e32 v44, v97
	v_mov_b32_e32 v97, v23
	v_mov_b32_e32 v38, v52
	v_mov_b32_e32 v39, v54
	v_mul_f32_e32 v82, v23, v54
	v_mov_b32_e32 v45, v22
	v_pk_mul_f32 v[20:21], v[96:97], v[20:21]
	v_fmac_f32_e32 v82, v22, v55
	v_pk_fma_f32 v[22:23], v[44:45], v[38:39], v[20:21] neg_lo:[0,0,1] neg_hi:[0,0,1]
	v_pk_fma_f32 v[20:21], v[44:45], v[38:39], v[20:21]
	s_waitcnt lgkmcnt(0)
	v_mul_f32_e32 v57, v112, v117
	v_pk_mov_b32 v[38:39], v[22:23], v[20:21] op_sel:[1,0]
	ds_read_b128 v[20:23], v87 offset:624
	v_mul_f32_e32 v44, v109, v43
	v_mul_f32_e32 v43, v108, v43
	v_fma_f32 v44, v108, v42, -v44
	v_fmac_f32_e32 v43, v109, v42
	v_mul_f32_e32 v42, v113, v117
	v_fma_f32 v56, v112, v116, -v42
	v_fmac_f32_e32 v57, v113, v116
	ds_read_b128 v[116:119], v87 offset:864
	ds_read2_b64 v[48:51], v87 offset0:125 offset1:126
	ds_read_b128 v[120:123], v87 offset:1120
	v_pk_add_f32 v[34:35], v[34:35], v[38:39] neg_lo:[0,1] neg_hi:[0,1]
	v_mul_f32_e32 v38, v33, v67
	v_sub_f32_e32 v35, v35, v82
	v_fma_f32 v38, v32, v66, -v38
	v_mul_f32_e32 v32, v32, v67
	v_sub_f32_e32 v34, v34, v44
	v_fmac_f32_e32 v32, v33, v66
	v_sub_f32_e32 v33, v35, v43
	v_sub_f32_e32 v38, v34, v38
	v_sub_f32_e32 v39, v33, v32
	ds_read_b128 v[32:35], v87 offset:880
	s_waitcnt lgkmcnt(3)
	v_mul_f32_e32 v42, v117, v69
	v_mul_f32_e32 v43, v116, v69
	;; [unrolled: 1-line block ×3, first 2 shown]
	v_fma_f32 v42, v116, v68, -v42
	v_fmac_f32_e32 v43, v117, v68
	v_fma_f32 v44, v36, v74, -v44
	v_mul_f32_e32 v36, v36, v75
	v_fmac_f32_e32 v36, v37, v74
	v_sub_f32_e32 v37, v38, v42
	v_sub_f32_e32 v38, v39, v43
	s_waitcnt lgkmcnt(1)
	v_mul_f32_e32 v45, v120, v73
	v_sub_f32_e32 v42, v37, v44
	v_sub_f32_e32 v43, v38, v36
	v_mul_f32_e32 v44, v121, v73
	v_fmac_f32_e32 v45, v121, v72
	v_fma_f32 v44, v120, v72, -v44
	v_sub_f32_e32 v45, v43, v45
	v_mul_f32_e32 v43, v47, v77
	v_sub_f32_e32 v42, v42, v44
	v_fma_f32 v43, v46, v76, -v43
	v_sub_f32_e32 v82, v42, v43
	v_mul_f32_e32 v42, v115, v57
	v_mul_f32_e32 v96, v114, v57
	ds_read_b128 v[36:39], v87 offset:1136
	v_fma_f32 v83, v114, v56, -v42
	v_fmac_f32_e32 v96, v115, v56
	ds_read_b128 v[112:115], v87 offset:1376
	v_mul_f32_e32 v46, v46, v77
	v_fmac_f32_e32 v46, v47, v76
	v_mov_b32_e32 v43, v90
	v_mov_b32_e32 v90, v89
	v_pk_mul_f32 v[66:67], v[40:41], v[88:89]
	v_mov_b32_e32 v44, v41
	v_mov_b32_e32 v41, v9
	v_pk_mul_f32 v[40:41], v[40:41], v[90:91]
	v_sub_f32_e32 v89, v45, v46
	v_mov_b32_e32 v42, v88
	v_mov_b32_e32 v45, v8
	v_pk_fma_f32 v[68:69], v[44:45], v[42:43], v[40:41] neg_lo:[0,0,1] neg_hi:[0,0,1]
	v_pk_fma_f32 v[40:41], v[44:45], v[42:43], v[40:41]
	s_waitcnt lgkmcnt(0)
	v_mul_f32_e32 v43, v112, v79
	v_fmac_f32_e32 v43, v113, v78
	v_sub_f32_e32 v43, v89, v43
	ds_read_b128 v[88:91], v87 offset:1632
	v_mul_f32_e32 v42, v113, v79
	v_fma_f32 v42, v112, v78, -v42
	v_sub_f32_e32 v42, v82, v42
	v_sub_f32_e32 v108, v42, v83
	;; [unrolled: 1-line block ×4, first 2 shown]
	v_pk_mov_b32 v[66:67], v[68:69], v[40:41] op_sel:[1,0]
	ds_read_b128 v[40:43], v87 offset:1648
	s_waitcnt lgkmcnt(1)
	v_mul_f32_e32 v68, v89, v83
	v_sub_f32_e32 v102, v102, v82
	ds_read_b128 v[104:107], v70 offset:16
	v_fma_f32 v82, v88, v108, -v68
	v_pk_add_f32 v[96:97], v[102:103], v[66:67] neg_lo:[0,1] neg_hi:[0,1]
	v_mov_b32_e32 v67, v94
	v_mov_b32_e32 v94, v93
	;; [unrolled: 1-line block ×6, first 2 shown]
	v_pk_mul_f32 v[8:9], v[8:9], v[94:95]
	v_mov_b32_e32 v100, v99
	v_pk_fma_f32 v[92:93], v[68:69], v[66:67], v[8:9] neg_lo:[0,0,1] neg_hi:[0,0,1]
	v_pk_fma_f32 v[8:9], v[68:69], v[66:67], v[8:9]
	ds_read2_b64 v[66:69], v70 offset0:3 offset1:4
	s_waitcnt lgkmcnt(1)
	v_mov_b32_e32 v95, v106
	v_mov_b32_e32 v106, v105
	;; [unrolled: 1-line block ×3, first 2 shown]
	v_pk_mul_f32 v[98:99], v[98:99], v[106:107]
	v_mov_b32_e32 v94, v104
	v_mov_b32_e32 v101, v58
	v_mul_f32_e32 v83, v88, v83
	v_pk_fma_f32 v[102:103], v[100:101], v[94:95], v[98:99] neg_lo:[0,0,1] neg_hi:[0,0,1]
	v_pk_fma_f32 v[94:95], v[100:101], v[94:95], v[98:99]
	s_waitcnt lgkmcnt(0)
	v_mov_b32_e32 v100, v67
	v_mov_b32_e32 v101, v69
	v_mov_b32_e32 v88, v59
	v_mov_b32_e32 v59, v111
	v_mov_b32_e32 v98, v66
	v_mov_b32_e32 v99, v68
	v_fmac_f32_e32 v83, v89, v108
	v_pk_mov_b32 v[8:9], v[92:93], v[8:9] op_sel:[1,0]
	v_mov_b32_e32 v89, v110
	v_pk_mul_f32 v[58:59], v[58:59], v[100:101]
	v_pk_add_f32 v[8:9], v[96:97], v[8:9] neg_lo:[0,1] neg_hi:[0,1]
	v_pk_mov_b32 v[92:93], v[102:103], v[94:95] op_sel:[1,0]
	v_pk_fma_f32 v[94:95], v[88:89], v[98:99], v[58:59] neg_lo:[0,0,1] neg_hi:[0,0,1]
	v_pk_fma_f32 v[58:59], v[88:89], v[98:99], v[58:59]
	v_mul_f32_e32 v104, v111, v68
	v_pk_add_f32 v[8:9], v[8:9], v[92:93] neg_lo:[0,1] neg_hi:[0,1]
	v_pk_mov_b32 v[58:59], v[94:95], v[58:59] op_sel:[1,0]
	ds_write2_b64 v71, v[18:19], v[74:75] offset0:96 offset1:112
	v_mul_f32_e32 v18, v13, v17
	v_fmac_f32_e32 v104, v110, v69
	v_pk_add_f32 v[8:9], v[8:9], v[58:59] neg_lo:[0,1] neg_hi:[0,1]
	v_fma_f32 v18, v12, v16, -v18
	v_mul_f32_e32 v12, v12, v17
	v_fmac_f32_e32 v12, v13, v16
	v_sub_f32_e32 v9, v9, v104
	v_sub_f32_e32 v9, v9, v12
	v_mul_f32_e32 v12, v119, v85
	v_mul_f32_e32 v13, v118, v85
	v_sub_f32_e32 v8, v8, v18
	v_fma_f32 v12, v118, v84, -v12
	v_fmac_f32_e32 v13, v119, v84
	v_sub_f32_e32 v8, v8, v12
	v_sub_f32_e32 v9, v9, v13
	v_mul_f32_e32 v12, v49, v75
	v_mul_f32_e32 v13, v48, v75
	v_fma_f32 v12, v48, v74, -v12
	v_fmac_f32_e32 v13, v49, v74
	v_sub_f32_e32 v8, v8, v12
	v_sub_f32_e32 v9, v9, v13
	v_mul_f32_e32 v12, v123, v73
	v_mul_f32_e32 v13, v122, v73
	ds_read2_b64 v[52:55], v87 offset0:189 offset1:190
	ds_read_b128 v[44:47], v87 offset:1392
	v_fma_f32 v12, v122, v72, -v12
	v_fmac_f32_e32 v13, v123, v72
	v_sub_f32_e32 v8, v8, v12
	v_sub_f32_e32 v9, v9, v13
	v_mul_f32_e32 v12, v25, v77
	v_mul_f32_e32 v13, v24, v77
	v_fma_f32 v12, v24, v76, -v12
	v_fmac_f32_e32 v13, v25, v76
	v_sub_f32_e32 v8, v8, v12
	v_sub_f32_e32 v9, v9, v13
	v_mul_f32_e32 v12, v115, v79
	v_mul_f32_e32 v13, v114, v79
	v_fma_f32 v12, v114, v78, -v12
	v_fmac_f32_e32 v13, v115, v78
	v_sub_f32_e32 v8, v8, v12
	v_sub_f32_e32 v9, v9, v13
	s_waitcnt lgkmcnt(1)
	v_mul_f32_e32 v12, v53, v57
	v_mul_f32_e32 v13, v52, v57
	v_fma_f32 v12, v52, v56, -v12
	v_fmac_f32_e32 v13, v53, v56
	v_sub_f32_e32 v8, v8, v12
	v_sub_f32_e32 v9, v9, v13
	v_mul_f32_e32 v12, v91, v83
	v_mul_f32_e32 v13, v90, v83
	ds_read2_b64 v[66:69], v70 offset0:3 offset1:4
	v_fma_f32 v12, v90, v82, -v12
	ds_read2_b64 v[92:95], v87 offset0:221 offset1:222
	v_fmac_f32_e32 v13, v91, v82
	ds_read_b128 v[88:91], v70
	ds_read_b128 v[16:19], v87 offset:1904
	ds_read2_b64 v[96:99], v70 offset0:1 offset1:2
	ds_read_b128 v[100:103], v70
	v_sub_f32_e32 v9, v9, v13
	v_mov_b32_e32 v48, v29
	s_waitcnt lgkmcnt(3)
	v_mov_b32_e32 v13, v90
	v_mov_b32_e32 v90, v89
	v_pk_mul_f32 v[24:25], v[28:29], v[88:89]
	v_mov_b32_e32 v29, v11
	v_sub_f32_e32 v59, v8, v12
	v_mov_b32_e32 v12, v88
	v_mov_b32_e32 v49, v10
	v_pk_mul_f32 v[28:29], v[28:29], v[90:91]
	v_mul_f32_e32 v8, v93, v9
	v_mul_f32_e32 v9, v92, v9
	v_pk_fma_f32 v[52:53], v[48:49], v[12:13], v[28:29] neg_lo:[0,0,1] neg_hi:[0,0,1]
	v_pk_fma_f32 v[28:29], v[48:49], v[12:13], v[28:29]
	s_waitcnt lgkmcnt(1)
	v_mov_b32_e32 v49, v98
	v_mov_b32_e32 v98, v97
	;; [unrolled: 1-line block ×4, first 2 shown]
	v_fma_f32 v8, v92, v59, -v8
	v_pk_mul_f32 v[84:85], v[10:11], v[98:99]
	v_mov_b32_e32 v48, v96
	v_fmac_f32_e32 v9, v93, v59
	v_mov_b32_e32 v59, v0
	v_sub_f32_e32 v96, v24, v25
	v_pk_mov_b32 v[24:25], v[52:53], v[28:29] op_sel:[1,0]
	v_pk_fma_f32 v[28:29], v[58:59], v[48:49], v[84:85] neg_lo:[0,0,1] neg_hi:[0,0,1]
	v_pk_fma_f32 v[48:49], v[58:59], v[48:49], v[84:85]
	ds_read2_b64 v[10:13], v71 offset0:224 offset1:240
	v_pk_mov_b32 v[28:29], v[28:29], v[48:49] op_sel:[1,0]
	v_mov_b32_e32 v49, v64
	v_mov_b32_e32 v52, v1
	;; [unrolled: 1-line block ×6, first 2 shown]
	ds_read2_b64 v[88:91], v70 offset0:1 offset1:2
	v_mov_b32_e32 v48, v62
	v_pk_mul_f32 v[92:93], v[60:61], v[64:65]
	ds_read_b128 v[62:65], v70 offset:16
	s_waitcnt lgkmcnt(2)
	v_sub_f32_e32 v10, v10, v96
	v_pk_add_f32 v[10:11], v[10:11], v[24:25] neg_lo:[0,1] neg_hi:[0,1]
	v_mov_b32_e32 v53, v60
	ds_read_b128 v[58:61], v70 offset:16
	s_waitcnt lgkmcnt(1)
	v_mov_b32_e32 v25, v64
	v_mov_b32_e32 v64, v63
	v_mov_b32_e32 v24, v62
	v_pk_mul_f32 v[0:1], v[0:1], v[64:65]
	ds_read_b128 v[62:65], v70 offset:32
	v_pk_add_f32 v[10:11], v[10:11], v[28:29] neg_lo:[0,1] neg_hi:[0,1]
	v_pk_fma_f32 v[28:29], v[52:53], v[24:25], v[0:1] neg_lo:[0,0,1] neg_hi:[0,0,1]
	v_pk_fma_f32 v[0:1], v[52:53], v[24:25], v[0:1]
	v_mov_b32_e32 v85, v20
	v_pk_mov_b32 v[0:1], v[28:29], v[0:1] op_sel:[1,0]
	s_waitcnt lgkmcnt(0)
	v_mov_b32_e32 v52, v63
	v_mov_b32_e32 v53, v65
	v_pk_add_f32 v[0:1], v[10:11], v[0:1] neg_lo:[0,1] neg_hi:[0,1]
	v_mov_b32_e32 v10, v21
	v_mov_b32_e32 v21, v15
	v_pk_fma_f32 v[24:25], v[84:85], v[48:49], v[92:93] neg_lo:[0,0,1] neg_hi:[0,0,1]
	v_pk_fma_f32 v[28:29], v[84:85], v[48:49], v[92:93]
	v_mov_b32_e32 v48, v62
	v_mov_b32_e32 v49, v64
	v_mul_f32_e32 v62, v15, v64
	v_mov_b32_e32 v11, v14
	v_pk_mul_f32 v[20:21], v[20:21], v[52:53]
	v_fmac_f32_e32 v62, v14, v65
	v_pk_mov_b32 v[14:15], v[24:25], v[28:29] op_sel:[1,0]
	v_pk_fma_f32 v[24:25], v[10:11], v[48:49], v[20:21] neg_lo:[0,0,1] neg_hi:[0,0,1]
	v_pk_fma_f32 v[10:11], v[10:11], v[48:49], v[20:21]
	v_pk_add_f32 v[0:1], v[0:1], v[14:15] neg_lo:[0,1] neg_hi:[0,1]
	v_pk_mov_b32 v[10:11], v[24:25], v[10:11] op_sel:[1,0]
	v_mul_f32_e32 v14, v51, v75
	v_pk_add_f32 v[0:1], v[0:1], v[10:11] neg_lo:[0,1] neg_hi:[0,1]
	v_mul_f32_e32 v10, v33, v81
	v_mul_f32_e32 v11, v32, v81
	v_fma_f32 v10, v32, v80, -v10
	v_fmac_f32_e32 v11, v33, v80
	v_sub_f32_e32 v1, v1, v62
	v_fma_f32 v14, v50, v74, -v14
	v_mul_f32_e32 v15, v50, v75
	v_sub_f32_e32 v0, v0, v10
	v_sub_f32_e32 v1, v1, v11
	v_mul_f32_e32 v11, v37, v73
	v_fmac_f32_e32 v15, v51, v74
	v_mul_f32_e32 v10, v27, v77
	v_sub_f32_e32 v0, v0, v14
	v_fma_f32 v11, v36, v72, -v11
	v_mul_f32_e32 v14, v36, v73
	v_fma_f32 v10, v26, v76, -v10
	v_mul_f32_e32 v20, v26, v77
	v_sub_f32_e32 v1, v1, v15
	v_fmac_f32_e32 v14, v37, v72
	v_sub_f32_e32 v0, v0, v11
	v_fmac_f32_e32 v20, v27, v76
	v_sub_f32_e32 v1, v1, v14
	v_sub_f32_e32 v0, v0, v10
	v_mul_f32_e32 v10, v45, v79
	v_mul_f32_e32 v11, v44, v79
	v_sub_f32_e32 v1, v1, v20
	v_fma_f32 v10, v44, v78, -v10
	v_fmac_f32_e32 v11, v45, v78
	v_sub_f32_e32 v0, v0, v10
	v_sub_f32_e32 v1, v1, v11
	v_mul_f32_e32 v10, v55, v57
	v_mul_f32_e32 v11, v54, v57
	v_fma_f32 v10, v54, v56, -v10
	v_fmac_f32_e32 v11, v55, v56
	ds_read_b128 v[96:99], v70 offset:32
	ds_write2_b64 v71, v[72:73], v[76:77] offset0:128 offset1:144
	ds_write2_b64 v71, v[78:79], v[56:57] offset0:160 offset1:176
	v_sub_f32_e32 v0, v0, v10
	v_sub_f32_e32 v1, v1, v11
	v_mul_f32_e32 v10, v41, v83
	v_mul_f32_e32 v11, v40, v83
	v_fma_f32 v10, v40, v82, -v10
	v_fmac_f32_e32 v11, v41, v82
	ds_read2_b64 v[24:27], v87 offset0:31 offset1:63
	v_sub_f32_e32 v0, v0, v10
	v_sub_f32_e32 v1, v1, v11
	v_mul_f32_e32 v10, v95, v9
	v_mul_f32_e32 v11, v94, v9
	v_fma_f32 v10, v94, v8, -v10
	v_fmac_f32_e32 v11, v95, v8
	v_sub_f32_e32 v28, v0, v10
	v_sub_f32_e32 v0, v1, v11
	v_mul_f32_e32 v1, v17, v0
	v_fma_f32 v10, v16, v28, -v1
	v_mul_f32_e32 v11, v16, v0
	v_mov_b32_e32 v1, v102
	v_mov_b32_e32 v102, v101
	v_pk_mul_f32 v[14:15], v[30:31], v[100:101]
	v_mov_b32_e32 v16, v31
	s_waitcnt lgkmcnt(0)
	v_mov_b32_e32 v31, v25
	v_pk_mul_f32 v[20:21], v[30:31], v[102:103]
	v_mov_b32_e32 v0, v100
	v_fmac_f32_e32 v11, v17, v28
	v_sub_f32_e32 v14, v14, v15
	v_mov_b32_e32 v17, v24
	v_sub_f32_e32 v12, v12, v14
	v_pk_fma_f32 v[14:15], v[16:17], v[0:1], v[20:21] neg_lo:[0,0,1] neg_hi:[0,0,1]
	v_pk_fma_f32 v[0:1], v[16:17], v[0:1], v[20:21]
	v_mov_b32_e32 v17, v90
	v_mov_b32_e32 v90, v89
	v_pk_mov_b32 v[0:1], v[14:15], v[0:1] op_sel:[1,0]
	v_mov_b32_e32 v14, v25
	v_mov_b32_e32 v25, v3
	;; [unrolled: 1-line block ×4, first 2 shown]
	v_pk_mul_f32 v[20:21], v[24:25], v[90:91]
	v_pk_add_f32 v[0:1], v[12:13], v[0:1] neg_lo:[0,1] neg_hi:[0,1]
	v_mov_b32_e32 v13, v60
	v_mov_b32_e32 v60, v59
	v_pk_fma_f32 v[24:25], v[14:15], v[16:17], v[20:21] neg_lo:[0,0,1] neg_hi:[0,0,1]
	v_pk_fma_f32 v[14:15], v[14:15], v[16:17], v[20:21]
	v_mov_b32_e32 v16, v3
	v_mov_b32_e32 v3, v27
	;; [unrolled: 1-line block ×4, first 2 shown]
	v_pk_mul_f32 v[2:3], v[2:3], v[60:61]
	v_pk_mov_b32 v[14:15], v[24:25], v[14:15] op_sel:[1,0]
	v_pk_fma_f32 v[20:21], v[16:17], v[12:13], v[2:3] neg_lo:[0,0,1] neg_hi:[0,0,1]
	v_pk_fma_f32 v[2:3], v[16:17], v[12:13], v[2:3]
	v_pk_add_f32 v[0:1], v[0:1], v[14:15] neg_lo:[0,1] neg_hi:[0,1]
	v_pk_mov_b32 v[2:3], v[20:21], v[2:3] op_sel:[1,0]
	v_mov_b32_e32 v15, v68
	v_mov_b32_e32 v68, v67
	v_pk_add_f32 v[12:13], v[0:1], v[2:3] neg_lo:[0,1] neg_hi:[0,1]
	v_mov_b32_e32 v0, v27
	v_mov_b32_e32 v27, v23
	;; [unrolled: 1-line block ×4, first 2 shown]
	v_pk_mul_f32 v[2:3], v[26:27], v[68:69]
	v_mov_b32_e32 v17, v98
	v_pk_fma_f32 v[20:21], v[0:1], v[14:15], v[2:3] neg_lo:[0,0,1] neg_hi:[0,0,1]
	v_pk_fma_f32 v[0:1], v[0:1], v[14:15], v[2:3]
	v_mov_b32_e32 v98, v97
	v_pk_mov_b32 v[14:15], v[20:21], v[0:1] op_sel:[1,0]
	ds_read2_b64 v[0:3], v87 offset0:95 offset1:127
	v_mov_b32_e32 v20, v23
	v_mov_b32_e32 v16, v96
	v_pk_add_f32 v[12:13], v[12:13], v[14:15] neg_lo:[0,1] neg_hi:[0,1]
	v_mov_b32_e32 v14, v4
	s_waitcnt lgkmcnt(0)
	v_mov_b32_e32 v23, v1
	v_mov_b32_e32 v21, v0
	v_pk_mul_f32 v[22:23], v[22:23], v[98:99]
	v_mov_b32_e32 v4, v5
	v_pk_fma_f32 v[24:25], v[20:21], v[16:17], v[22:23] neg_lo:[0,0,1] neg_hi:[0,0,1]
	v_pk_fma_f32 v[16:17], v[20:21], v[16:17], v[22:23]
	v_mov_b32_e32 v5, v7
	v_pk_mov_b32 v[16:17], v[24:25], v[16:17] op_sel:[1,0]
	v_mov_b32_e32 v15, v6
	v_pk_add_f32 v[12:13], v[12:13], v[16:17] neg_lo:[0,1] neg_hi:[0,1]
	v_mov_b32_e32 v16, v1
	v_mov_b32_e32 v1, v35
	;; [unrolled: 1-line block ×3, first 2 shown]
	v_pk_mul_f32 v[0:1], v[0:1], v[4:5]
	ds_write2_b64 v71, v[82:83], v[8:9] offset0:192 offset1:208
	v_pk_fma_f32 v[4:5], v[16:17], v[14:15], v[0:1] neg_lo:[0,0,1] neg_hi:[0,0,1]
	v_pk_fma_f32 v[0:1], v[16:17], v[14:15], v[0:1]
	s_nop 0
	v_pk_mov_b32 v[0:1], v[4:5], v[0:1] op_sel:[1,0]
	v_mov_b32_e32 v4, v34
	v_pk_add_f32 v[0:1], v[12:13], v[0:1] neg_lo:[0,1] neg_hi:[0,1]
	v_mov_b32_e32 v5, v2
	v_mov_b32_e32 v12, v7
	;; [unrolled: 1-line block ×3, first 2 shown]
	v_pk_mul_f32 v[4:5], v[4:5], v[12:13]
	v_mov_b32_e32 v12, v35
	v_mov_b32_e32 v13, v3
	;; [unrolled: 1-line block ×3, first 2 shown]
	v_mul_f32_e32 v3, v3, v75
	v_pk_fma_f32 v[4:5], v[12:13], v[6:7], v[4:5]
	v_fma_f32 v2, v2, v74, -v3
	v_sub_f32_e32 v6, v0, v2
	v_sub_f32_e32 v0, v1, v4
	;; [unrolled: 1-line block ×3, first 2 shown]
	v_mul_f32_e32 v0, v39, v73
	v_fma_f32 v5, v38, v72, -v0
	ds_read2_b64 v[0:3], v87 offset0:159 offset1:191
	v_mul_f32_e32 v7, v38, v73
	v_sub_f32_e32 v5, v6, v5
	v_fmac_f32_e32 v7, v39, v72
	v_sub_f32_e32 v4, v4, v7
	s_waitcnt lgkmcnt(0)
	v_mul_f32_e32 v6, v1, v77
	v_fma_f32 v6, v0, v76, -v6
	v_mul_f32_e32 v0, v0, v77
	v_fmac_f32_e32 v0, v1, v76
	v_sub_f32_e32 v0, v4, v0
	v_mul_f32_e32 v4, v47, v79
	v_sub_f32_e32 v1, v5, v6
	v_fma_f32 v4, v46, v78, -v4
	v_mul_f32_e32 v5, v46, v79
	v_sub_f32_e32 v1, v1, v4
	v_mul_f32_e32 v4, v3, v57
	v_fmac_f32_e32 v5, v47, v78
	v_fma_f32 v4, v2, v56, -v4
	v_mul_f32_e32 v2, v2, v57
	v_sub_f32_e32 v0, v0, v5
	v_fmac_f32_e32 v2, v3, v56
	v_sub_f32_e32 v5, v0, v2
	v_mul_f32_e32 v0, v43, v83
	v_sub_f32_e32 v4, v1, v4
	v_fma_f32 v6, v42, v82, -v0
	ds_read2_b64 v[0:3], v87 offset0:223 offset1:255
	v_mul_f32_e32 v7, v42, v83
	v_sub_f32_e32 v4, v4, v6
	v_fmac_f32_e32 v7, v43, v82
	v_sub_f32_e32 v5, v5, v7
	s_waitcnt lgkmcnt(0)
	v_mul_f32_e32 v6, v1, v9
	v_fma_f32 v6, v0, v8, -v6
	v_mul_f32_e32 v0, v0, v9
	v_fmac_f32_e32 v0, v1, v8
	v_sub_f32_e32 v1, v4, v6
	v_sub_f32_e32 v4, v5, v0
	v_mul_f32_e32 v5, v18, v11
	v_mul_f32_e32 v0, v19, v11
	v_fmac_f32_e32 v5, v19, v10
	v_fma_f32 v0, v18, v10, -v0
	v_sub_f32_e32 v4, v4, v5
	v_sub_f32_e32 v0, v1, v0
	v_pk_mul_f32 v[4:5], v[2:3], v[4:5] op_sel:[1,0] op_sel_hi:[0,0]
	v_pk_fma_f32 v[6:7], v[2:3], v[0:1], v[4:5] neg_lo:[0,0,1] neg_hi:[0,0,1]
	v_pk_fma_f32 v[0:1], v[2:3], v[0:1], v[4:5] op_sel_hi:[1,0,1]
	s_nop 0
	v_mov_b32_e32 v7, v1
	ds_write2_b64 v71, v[10:11], v[6:7] offset0:224 offset1:240
.LBB150_55:
	s_cmp_lt_i32 s8, s30
	s_cbranch_scc0 .LBB150_69
; %bb.56:
	s_or_b32 s10, s8, 11
	s_cmp_ge_u32 s10, s30
	s_cbranch_scc1 .LBB150_62
; %bb.57:
	s_lshl_b32 s11, s8, 7
	v_add_u32_e32 v65, s11, v71
	ds_read2_b64 v[18:21], v65 offset1:16
	ds_read2_b64 v[8:11], v65 offset0:32 offset1:48
	ds_read2_b64 v[12:15], v65 offset0:64 offset1:80
	;; [unrolled: 1-line block ×3, first 2 shown]
	s_lshl_b32 s12, s10, 7
	v_add_u32_e32 v64, s12, v71
	s_andn2_b64 vcc, exec, s[0:1]
	s_lshl_b32 s0, s8, 3
	s_waitcnt lgkmcnt(3)
	ds_write_b128 v70, v[18:21]
	s_waitcnt lgkmcnt(3)
	ds_write_b128 v70, v[8:11] offset:16
	s_waitcnt lgkmcnt(3)
	ds_write_b128 v70, v[12:15] offset:32
	s_waitcnt lgkmcnt(3)
	ds_write_b64 v70, v[4:5] offset:48
	ds_read2_b64 v[0:3], v65 offset0:128 offset1:144
	ds_read_b64 v[48:49], v65 offset:1280
	ds_read_b64 v[46:47], v64
	s_cbranch_vccnz .LBB150_61
; %bb.58:
	v_mov_b32_e32 v16, 0x800
	v_lshl_add_u32 v16, v86, 3, v16
	s_mov_b32 s1, s0
	s_mov_b32 s12, s8
.LBB150_59:                             ; =>This Inner Loop Header: Depth=1
	v_mov_b32_e32 v17, s1
	ds_read_b64 v[50:51], v16
	ds_read_b128 v[22:25], v17
	ds_read_b128 v[26:29], v17 offset:16
	ds_read_b128 v[30:33], v17 offset:32
	;; [unrolled: 1-line block ×5, first 2 shown]
	s_add_i32 s12, s12, -1
	s_addk_i32 s1, 0x80
	v_add_u32_e32 v16, 0x80, v16
	s_waitcnt lgkmcnt(5)
	v_pk_mul_f32 v[52:53], v[22:23], v[50:51] op_sel:[0,1]
	v_pk_mul_f32 v[54:55], v[24:25], v[50:51] op_sel:[0,1]
	s_waitcnt lgkmcnt(4)
	v_pk_mul_f32 v[56:57], v[26:27], v[50:51] op_sel:[0,1]
	v_pk_mul_f32 v[58:59], v[28:29], v[50:51] op_sel:[0,1]
	;; [unrolled: 3-line block ×6, first 2 shown]
	v_pk_fma_f32 v[80:81], v[22:23], v[50:51], v[52:53] op_sel:[0,0,1] op_sel_hi:[1,1,0] neg_lo:[0,0,1] neg_hi:[0,0,1]
	v_pk_fma_f32 v[22:23], v[22:23], v[50:51], v[52:53] op_sel:[0,0,1] op_sel_hi:[1,0,0]
	v_pk_fma_f32 v[52:53], v[24:25], v[50:51], v[54:55] op_sel:[0,0,1] op_sel_hi:[1,1,0] neg_lo:[0,0,1] neg_hi:[0,0,1]
	v_pk_fma_f32 v[24:25], v[24:25], v[50:51], v[54:55] op_sel:[0,0,1] op_sel_hi:[1,0,0]
	;; [unrolled: 2-line block ×12, first 2 shown]
	v_mov_b32_e32 v81, v23
	v_mov_b32_e32 v53, v25
	v_mov_b32_e32 v55, v27
	v_mov_b32_e32 v57, v29
	v_mov_b32_e32 v59, v31
	v_mov_b32_e32 v61, v33
	v_mov_b32_e32 v63, v35
	v_mov_b32_e32 v67, v37
	v_mov_b32_e32 v69, v39
	v_mov_b32_e32 v73, v41
	v_mov_b32_e32 v75, v43
	v_mov_b32_e32 v77, v45
	s_cmp_lg_u32 s12, 0
	v_pk_add_f32 v[18:19], v[18:19], v[80:81] neg_lo:[0,1] neg_hi:[0,1]
	v_pk_add_f32 v[20:21], v[20:21], v[52:53] neg_lo:[0,1] neg_hi:[0,1]
	;; [unrolled: 1-line block ×12, first 2 shown]
	s_cbranch_scc1 .LBB150_59
; %bb.60:
	ds_write_b128 v70, v[18:21]
	ds_write_b128 v70, v[8:11] offset:16
	ds_write_b128 v70, v[12:15] offset:32
	ds_write_b64 v70, v[4:5] offset:48
.LBB150_61:
	s_add_i32 s1, s0, s11
	v_mov_b32_e32 v4, s1
	ds_read_b128 v[22:25], v4
	ds_read2_b64 v[10:13], v4 offset0:17 offset1:18
	ds_read_b128 v[14:17], v4 offset:16
	s_or_b32 s1, s11, 0x80
	s_add_i32 s12, s0, s1
	s_waitcnt lgkmcnt(2)
	v_mul_f32_e32 v51, v22, v19
	v_mul_f32_e32 v5, v23, v19
	v_fmac_f32_e32 v51, v23, v18
	v_fma_f32 v50, v22, v18, -v5
	v_mul_f32_e32 v18, v24, v51
	v_mul_f32_e32 v5, v25, v51
	v_fmac_f32_e32 v18, v25, v50
	v_fma_f32 v5, v24, v50, -v5
	v_sub_f32_e32 v22, v21, v18
	v_sub_f32_e32 v5, v20, v5
	s_waitcnt lgkmcnt(1)
	v_mul_f32_e32 v23, v11, v22
	v_mul_f32_e32 v53, v10, v22
	v_fma_f32 v52, v10, v5, -v23
	v_fmac_f32_e32 v53, v11, v5
	ds_write2_b64 v70, v[50:51], v[52:53] offset1:1
	v_mov_b32_e32 v5, s12
	ds_read_b128 v[18:21], v4 offset:272
	ds_read2_b64 v[26:29], v5 offset0:7 offset1:8
	ds_read_b128 v[22:25], v70
	ds_read2_b64 v[30:33], v70 offset1:1
	ds_read2_b64 v[34:37], v5 offset0:9 offset1:10
	ds_read_b128 v[38:41], v4 offset:64
	s_waitcnt lgkmcnt(7)
	v_mul_f32_e32 v11, v14, v51
	s_waitcnt lgkmcnt(3)
	v_mul_f32_e32 v10, v27, v25
	v_fma_f32 v84, v26, v24, -v10
	v_mul_f32_e32 v85, v26, v25
	s_waitcnt lgkmcnt(2)
	v_mul_f32_e32 v10, v29, v33
	v_fmac_f32_e32 v85, v27, v24
	v_fma_f32 v87, v28, v32, -v10
	ds_read_b128 v[24:27], v4 offset:80
	s_waitcnt lgkmcnt(1)
	v_mul_f32_e32 v10, v39, v31
	v_fma_f32 v101, v38, v30, -v10
	v_mul_f32_e32 v10, v41, v23
	v_fma_f32 v103, v40, v22, -v10
	v_mul_f32_e32 v10, v15, v51
	v_fmac_f32_e32 v11, v15, v50
	v_fma_f32 v10, v14, v50, -v10
	v_sub_f32_e32 v9, v9, v11
	v_mul_f32_e32 v11, v12, v53
	v_sub_f32_e32 v8, v8, v10
	v_mul_f32_e32 v10, v13, v53
	v_fmac_f32_e32 v11, v13, v52
	v_fma_f32 v10, v12, v52, -v10
	v_sub_f32_e32 v9, v9, v11
	v_mul_f32_e32 v100, v28, v33
	v_sub_f32_e32 v8, v8, v10
	v_mul_f32_e32 v10, v19, v9
	v_mul_f32_e32 v33, v18, v9
	v_fmac_f32_e32 v100, v29, v32
	v_fma_f32 v32, v18, v8, -v10
	v_fmac_f32_e32 v33, v19, v8
	ds_read2_b64 v[8:11], v70 offset0:3 offset1:4
	v_mul_f32_e32 v12, v17, v51
	v_mul_f32_e32 v102, v38, v31
	;; [unrolled: 1-line block ×3, first 2 shown]
	v_fma_f32 v18, v16, v50, -v12
	v_mul_f32_e32 v16, v16, v51
	v_mul_f32_e32 v12, v21, v33
	v_fmac_f32_e32 v102, v39, v30
	v_fmac_f32_e32 v104, v41, v22
	;; [unrolled: 1-line block ×3, first 2 shown]
	v_fma_f32 v22, v20, v32, -v12
	v_mul_f32_e32 v20, v20, v33
	ds_read_b128 v[12:15], v4 offset:32
	ds_read2_b64 v[28:31], v70 offset0:5 offset1:6
	v_fmac_f32_e32 v20, v21, v32
	s_waitcnt lgkmcnt(2)
	v_sub_f32_e32 v8, v8, v18
	v_sub_f32_e32 v21, v9, v16
	ds_read2_b64 v[16:19], v5 offset0:3 offset1:4
	ds_read_b64 v[56:57], v5 offset:88
	s_waitcnt lgkmcnt(3)
	v_mul_f32_e32 v9, v13, v51
	v_fma_f32 v9, v12, v50, -v9
	v_mul_f32_e32 v12, v12, v51
	v_fmac_f32_e32 v12, v13, v50
	v_sub_f32_e32 v13, v10, v9
	s_waitcnt lgkmcnt(1)
	v_mul_f32_e32 v9, v17, v53
	v_fma_f32 v9, v16, v52, -v9
	v_mul_f32_e32 v16, v16, v53
	v_mul_f32_e32 v10, v19, v53
	ds_read_b128 v[38:41], v4 offset:48
	v_sub_f32_e32 v12, v11, v12
	v_fmac_f32_e32 v16, v17, v52
	v_fma_f32 v23, v18, v52, -v10
	v_sub_f32_e32 v17, v8, v9
	ds_read2_b64 v[8:11], v4 offset0:51 offset1:52
	v_sub_f32_e32 v16, v21, v16
	v_sub_f32_e32 v20, v16, v20
	;; [unrolled: 1-line block ×3, first 2 shown]
	s_or_b32 s12, s11, 0x100
	s_waitcnt lgkmcnt(0)
	v_mul_f32_e32 v55, v8, v20
	v_mul_f32_e32 v22, v9, v20
	v_fmac_f32_e32 v55, v9, v21
	s_add_i32 s13, s0, s12
	v_fma_f32 v54, v8, v21, -v22
	v_mul_f32_e32 v8, v11, v55
	v_mul_f32_e32 v21, v10, v55
	v_mov_b32_e32 v60, s13
	v_fma_f32 v20, v10, v54, -v8
	v_fmac_f32_e32 v21, v11, v54
	ds_read_b128 v[8:11], v60 offset:32
	v_mul_f32_e32 v42, v18, v53
	ds_read2_b64 v[66:69], v5 offset0:5 offset1:6
	v_fmac_f32_e32 v42, v19, v52
	ds_read_b128 v[16:19], v4 offset:544
	s_waitcnt lgkmcnt(2)
	v_mul_f32_e32 v5, v9, v33
	v_mul_f32_e32 v22, v15, v51
	v_fma_f32 v5, v8, v32, -v5
	v_mul_f32_e32 v8, v8, v33
	v_fma_f32 v43, v14, v50, -v22
	v_mul_f32_e32 v14, v14, v51
	v_fmac_f32_e32 v8, v9, v32
	v_mul_f32_e32 v9, v11, v33
	v_fmac_f32_e32 v14, v15, v50
	v_fma_f32 v15, v10, v32, -v9
	v_mul_f32_e32 v44, v10, v33
	v_sub_f32_e32 v10, v12, v42
	v_sub_f32_e32 v9, v13, v23
	;; [unrolled: 1-line block ×5, first 2 shown]
	s_or_b32 s13, s11, 0x180
	v_sub_f32_e32 v5, v5, v20
	s_waitcnt lgkmcnt(0)
	v_mul_f32_e32 v9, v17, v8
	ds_write2_b64 v70, v[32:33], v[54:55] offset0:2 offset1:3
	s_add_i32 s14, s0, s13
	v_fmac_f32_e32 v44, v11, v32
	v_fma_f32 v58, v16, v5, -v9
	v_mul_f32_e32 v59, v16, v8
	v_mov_b32_e32 v61, s14
	ds_read_b64 v[8:9], v70 offset:24
	ds_read2_b64 v[10:13], v61 offset0:9 offset1:10
	ds_read2_b64 v[72:75], v61 offset0:7 offset1:8
	ds_read_b128 v[20:23], v70 offset:16
	ds_read2_b64 v[76:79], v61 offset0:5 offset1:6
	v_fmac_f32_e32 v59, v17, v5
	ds_read2_b64 v[80:83], v4 offset0:85 offset1:86
	ds_read_b128 v[88:91], v4 offset:816
	s_waitcnt lgkmcnt(5)
	v_mul_f32_e32 v17, v11, v9
	v_mul_f32_e32 v106, v10, v9
	;; [unrolled: 1-line block ×3, first 2 shown]
	v_fma_f32 v105, v10, v8, -v17
	v_fmac_f32_e32 v106, v11, v8
	v_sub_f32_e32 v8, v28, v43
	v_fma_f32 v9, v66, v52, -v9
	v_mul_f32_e32 v10, v66, v53
	v_sub_f32_e32 v8, v8, v9
	v_sub_f32_e32 v9, v29, v14
	v_fmac_f32_e32 v10, v67, v52
	v_sub_f32_e32 v9, v9, v10
	v_sub_f32_e32 v14, v8, v15
	v_sub_f32_e32 v15, v9, v44
	ds_read_b128 v[8:11], v60 offset:80
	s_waitcnt lgkmcnt(3)
	v_mul_f32_e32 v17, v77, v55
	v_fma_f32 v17, v76, v54, -v17
	v_sub_f32_e32 v14, v14, v17
	v_mul_f32_e32 v17, v76, v55
	v_mul_f32_e32 v5, v19, v59
	;; [unrolled: 1-line block ×3, first 2 shown]
	v_fmac_f32_e32 v17, v77, v54
	v_fma_f32 v5, v18, v58, -v5
	v_fmac_f32_e32 v16, v19, v58
	v_sub_f32_e32 v15, v15, v17
	v_sub_f32_e32 v5, v14, v5
	v_sub_f32_e32 v14, v15, v16
	s_waitcnt lgkmcnt(2)
	v_mul_f32_e32 v4, v81, v14
	v_mul_f32_e32 v63, v80, v14
	v_fma_f32 v62, v80, v5, -v4
	v_fmac_f32_e32 v63, v81, v5
	ds_write2_b64 v70, v[58:59], v[62:63] offset0:4 offset1:5
	ds_read2_b64 v[14:17], v70 offset0:3 offset1:4
	ds_read2_b64 v[92:95], v70 offset0:3 offset1:4
	s_or_b32 s14, s11, 0x200
	s_add_i32 s15, s0, s14
	v_mov_b32_e32 v76, s15
	s_waitcnt lgkmcnt(1)
	v_mul_f32_e32 v4, v13, v15
	v_mul_f32_e32 v108, v12, v15
	v_fma_f32 v107, v12, v14, -v4
	v_fmac_f32_e32 v108, v13, v14
	ds_read_b128 v[42:45], v76 offset:64
	ds_read_b128 v[12:15], v76 offset:80
	v_mul_f32_e32 v81, v82, v63
	v_fmac_f32_e32 v81, v83, v62
	s_or_b32 s15, s11, 0x300
	s_waitcnt lgkmcnt(1)
	v_mul_f32_e32 v4, v43, v17
	v_mul_f32_e32 v110, v42, v17
	v_fma_f32 v109, v42, v16, -v4
	v_fmac_f32_e32 v110, v43, v16
	ds_read_b64 v[4:5], v70 offset:32
	ds_read2_b64 v[16:19], v70 offset0:3 offset1:4
	s_add_i32 s16, s0, s15
	s_or_b32 s11, s11, 0x280
	v_sub_f32_e32 v0, v0, v101
	s_waitcnt lgkmcnt(1)
	v_mul_f32_e32 v28, v45, v5
	v_mul_f32_e32 v112, v44, v5
	v_fma_f32 v111, v44, v4, -v28
	v_fmac_f32_e32 v112, v45, v4
	ds_read_b64 v[4:5], v70
	ds_read_b128 v[42:45], v70
	v_sub_f32_e32 v1, v1, v102
	v_sub_f32_e32 v0, v0, v87
	;; [unrolled: 1-line block ×3, first 2 shown]
	s_waitcnt lgkmcnt(1)
	v_mul_f32_e32 v28, v41, v5
	v_mul_f32_e32 v114, v40, v5
	v_fma_f32 v113, v40, v4, -v28
	v_fmac_f32_e32 v114, v41, v4
	v_mul_f32_e32 v4, v39, v51
	v_mul_f32_e32 v5, v38, v51
	v_fma_f32 v4, v38, v50, -v4
	v_fmac_f32_e32 v5, v39, v50
	v_sub_f32_e32 v4, v30, v4
	v_sub_f32_e32 v5, v31, v5
	ds_read2_b64 v[28:31], v70 offset0:1 offset1:2
	ds_read_b128 v[38:41], v70
	v_sub_f32_e32 v113, v6, v113
	v_sub_f32_e32 v114, v7, v114
	s_waitcnt lgkmcnt(1)
	v_mul_f32_e32 v66, v69, v29
	v_mul_f32_e32 v29, v68, v29
	v_fma_f32 v80, v68, v28, -v66
	v_fmac_f32_e32 v29, v69, v28
	ds_read_b128 v[66:69], v60 offset:48
	ds_read_b128 v[96:99], v60 offset:64
	v_sub_f32_e32 v5, v5, v29
	v_sub_f32_e32 v4, v4, v80
	s_waitcnt lgkmcnt(1)
	v_mul_f32_e32 v28, v67, v31
	v_mul_f32_e32 v31, v66, v31
	v_fma_f32 v28, v66, v30, -v28
	v_fmac_f32_e32 v31, v67, v30
	v_mul_f32_e32 v30, v79, v93
	v_mul_f32_e32 v66, v78, v93
	v_fma_f32 v30, v78, v92, -v30
	v_fmac_f32_e32 v66, v79, v92
	ds_read_b64 v[60:61], v61 offset:88
	ds_read_b128 v[76:79], v76 offset:48
	v_sub_f32_e32 v5, v5, v31
	v_sub_f32_e32 v4, v4, v28
	;; [unrolled: 1-line block ×4, first 2 shown]
	s_waitcnt lgkmcnt(0)
	v_mul_f32_e32 v67, v77, v95
	v_fma_f32 v67, v76, v94, -v67
	v_mul_f32_e32 v76, v76, v95
	v_fmac_f32_e32 v76, v77, v94
	v_mul_f32_e32 v77, v83, v63
	v_sub_f32_e32 v5, v5, v76
	v_fma_f32 v77, v82, v62, -v77
	v_sub_f32_e32 v4, v4, v67
	v_sub_f32_e32 v5, v5, v81
	;; [unrolled: 1-line block ×3, first 2 shown]
	v_mul_f32_e32 v4, v89, v5
	v_mul_f32_e32 v5, v88, v5
	v_fmac_f32_e32 v5, v89, v28
	v_fma_f32 v4, v88, v28, -v4
	v_mul_f32_e32 v28, v91, v5
	v_fma_f32 v76, v90, v4, -v28
	ds_write_b64 v70, v[4:5] offset:48
	v_mov_b32_e32 v28, s16
	ds_read_b128 v[80:83], v28 offset:64
	ds_read_b128 v[28:31], v28 offset:80
	v_mul_f32_e32 v77, v90, v5
	v_fmac_f32_e32 v77, v91, v4
	s_add_i32 s16, s0, s11
	s_waitcnt lgkmcnt(1)
	v_mul_f32_e32 v66, v81, v5
	v_mul_f32_e32 v95, v80, v5
	v_fma_f32 v94, v80, v4, -v66
	v_fmac_f32_e32 v95, v81, v4
	ds_read_b64 v[4:5], v70 offset:40
	ds_read2_b64 v[88:91], v70 offset0:5 offset1:6
	v_mov_b32_e32 v117, s16
	s_or_b32 s16, s8, 7
	s_mul_i32 s17, s16, 0x88
	s_lshl_b32 s16, s16, 7
	s_waitcnt lgkmcnt(0)
	v_mul_f32_e32 v66, v83, v91
	v_mul_f32_e32 v116, v82, v91
	v_fma_f32 v115, v82, v90, -v66
	v_fmac_f32_e32 v116, v83, v90
	ds_read2_b64 v[80:83], v117 offset0:9 offset1:10
	ds_read2_b64 v[90:93], v117 offset0:7 offset1:8
	s_add_i32 s19, s0, s16
	s_waitcnt lgkmcnt(1)
	v_mul_f32_e32 v66, v83, v89
	v_fma_f32 v118, v82, v88, -v66
	v_mul_f32_e32 v89, v82, v89
	v_mul_f32_e32 v66, v81, v5
	;; [unrolled: 1-line block ×3, first 2 shown]
	v_fmac_f32_e32 v89, v83, v88
	v_fma_f32 v88, v80, v4, -v66
	v_fmac_f32_e32 v119, v81, v4
	ds_read2_b64 v[80:83], v70 offset0:1 offset1:2
	ds_read2_b64 v[4:7], v70 offset0:1 offset1:2
	s_waitcnt lgkmcnt(1)
	v_mul_f32_e32 v66, v69, v83
	v_fma_f32 v120, v68, v82, -v66
	ds_read_b64 v[66:67], v70 offset:16
	v_mul_f32_e32 v83, v68, v83
	v_fmac_f32_e32 v83, v69, v82
	s_waitcnt lgkmcnt(0)
	v_mul_f32_e32 v68, v97, v67
	v_fma_f32 v82, v96, v66, -v68
	v_mul_f32_e32 v96, v96, v67
	v_fmac_f32_e32 v96, v97, v66
	ds_read2_b64 v[66:69], v70 offset0:2 offset1:3
	v_sub_f32_e32 v0, v0, v82
	v_sub_f32_e32 v1, v1, v96
	v_mul_f32_e32 v82, v8, v21
	v_fmac_f32_e32 v82, v9, v20
	s_waitcnt lgkmcnt(0)
	v_mul_f32_e32 v97, v99, v67
	v_fma_f32 v97, v98, v66, -v97
	v_mul_f32_e32 v98, v98, v67
	v_fmac_f32_e32 v98, v99, v66
	v_mul_f32_e32 v66, v75, v69
	v_fma_f32 v99, v74, v68, -v66
	v_mul_f32_e32 v121, v74, v69
	v_mul_f32_e32 v66, v73, v23
	;; [unrolled: 1-line block ×3, first 2 shown]
	v_fmac_f32_e32 v121, v75, v68
	v_fma_f32 v122, v72, v22, -v66
	v_fmac_f32_e32 v23, v73, v22
	ds_read_b128 v[66:69], v70 offset:32
	ds_read2_b64 v[72:75], v70 offset0:4 offset1:5
	v_mul_f32_e32 v22, v79, v19
	v_mul_f32_e32 v19, v78, v19
	v_fma_f32 v22, v78, v18, -v22
	v_fmac_f32_e32 v19, v79, v18
	s_waitcnt lgkmcnt(1)
	v_mul_f32_e32 v18, v91, v69
	v_mul_f32_e32 v69, v90, v69
	v_fma_f32 v18, v90, v68, -v18
	v_fmac_f32_e32 v69, v91, v68
	s_waitcnt lgkmcnt(0)
	v_mul_f32_e32 v68, v93, v75
	v_mul_f32_e32 v79, v92, v75
	v_fma_f32 v78, v92, v74, -v68
	v_fmac_f32_e32 v79, v93, v74
	v_sub_f32_e32 v68, v113, v84
	v_sub_f32_e32 v74, v114, v85
	;; [unrolled: 1-line block ×12, first 2 shown]
	v_mov_b32_e32 v68, s17
	ds_read_b64 v[22:23], v117 offset:88
	ds_read2_b64 v[74:77], v68 offset1:1
	v_sub_f32_e32 v0, v0, v99
	v_sub_f32_e32 v1, v1, v121
	;; [unrolled: 1-line block ×4, first 2 shown]
	s_waitcnt lgkmcnt(0)
	v_mul_f32_e32 v69, v74, v19
	v_mul_f32_e32 v68, v75, v19
	v_fmac_f32_e32 v69, v75, v18
	v_fma_f32 v68, v74, v18, -v68
	v_mul_f32_e32 v18, v77, v69
	v_sub_f32_e32 v0, v0, v78
	s_or_b32 s17, s8, 8
	v_fma_f32 v18, v76, v68, -v18
	v_mul_f32_e32 v19, v76, v69
	v_sub_f32_e32 v1, v1, v79
	v_sub_f32_e32 v0, v0, v94
	s_mul_i32 s18, s17, 0x88
	v_fmac_f32_e32 v19, v77, v68
	v_sub_f32_e32 v83, v2, v103
	v_mul_f32_e32 v2, v35, v81
	v_sub_f32_e32 v1, v1, v95
	v_sub_f32_e32 v18, v0, v18
	v_mov_b32_e32 v0, s18
	v_sub_f32_e32 v84, v3, v104
	v_fma_f32 v85, v34, v80, -v2
	v_sub_f32_e32 v19, v1, v19
	v_mov_b32_e32 v78, s19
	ds_read_b128 v[0:3], v0
	ds_read2_b64 v[74:77], v78 offset0:9 offset1:10
	v_mul_f32_e32 v81, v34, v81
	v_fmac_f32_e32 v81, v35, v80
	s_or_b32 s18, s8, 9
	s_waitcnt lgkmcnt(1)
	v_mul_f32_e32 v35, v0, v19
	v_mul_f32_e32 v34, v1, v19
	v_fmac_f32_e32 v35, v1, v18
	v_fma_f32 v34, v0, v18, -v34
	v_mul_f32_e32 v0, v3, v35
	v_mul_f32_e32 v80, v2, v35
	v_fma_f32 v79, v2, v34, -v0
	v_fmac_f32_e32 v80, v3, v34
	v_mov_b32_e32 v0, v42
	v_mov_b32_e32 v2, v43
	;; [unrolled: 1-line block ×3, first 2 shown]
	v_pk_mul_f32 v[18:19], v[24:25], v[42:43]
	v_mov_b32_e32 v42, v25
	v_mov_b32_e32 v25, v37
	;; [unrolled: 1-line block ×3, first 2 shown]
	v_mul_f32_e32 v44, v37, v44
	v_mov_b32_e32 v43, v36
	v_pk_mul_f32 v[2:3], v[24:25], v[2:3]
	v_fmac_f32_e32 v44, v36, v45
	v_pk_fma_f32 v[24:25], v[42:43], v[0:1], v[2:3] neg_lo:[0,0,1] neg_hi:[0,0,1]
	v_pk_fma_f32 v[36:37], v[42:43], v[0:1], v[2:3]
	v_mul_f32_e32 v0, v9, v21
	v_fma_f32 v45, v8, v20, -v0
	v_mul_f32_e32 v0, v13, v73
	v_fma_f32 v87, v12, v72, -v0
	s_waitcnt lgkmcnt(0)
	v_mul_f32_e32 v0, v75, v69
	v_mul_f32_e32 v73, v12, v73
	v_fma_f32 v8, v74, v68, -v0
	v_mul_f32_e32 v0, v77, v69
	v_fmac_f32_e32 v73, v13, v72
	v_fma_f32 v72, v76, v68, -v0
	v_sub_f32_e32 v0, v83, v85
	v_sub_f32_e32 v1, v84, v81
	;; [unrolled: 1-line block ×9, first 2 shown]
	s_mul_i32 s19, s18, 0x88
	v_sub_f32_e32 v1, v1, v119
	v_sub_f32_e32 v12, v0, v115
	v_mov_b32_e32 v0, s19
	v_sub_f32_e32 v13, v1, v116
	ds_read2_b64 v[0:3], v0 offset1:1
	v_mul_f32_e32 v9, v74, v69
	v_fmac_f32_e32 v9, v75, v68
	v_sub_f32_e32 v9, v13, v9
	v_sub_f32_e32 v8, v12, v8
	;; [unrolled: 1-line block ×4, first 2 shown]
	ds_read_b64 v[8:9], v78 offset:88
	s_waitcnt lgkmcnt(1)
	v_mul_f32_e32 v12, v1, v13
	v_mul_f32_e32 v13, v0, v13
	v_fmac_f32_e32 v13, v1, v20
	v_fma_f32 v12, v0, v20, -v12
	v_mul_f32_e32 v0, v3, v13
	v_mul_f32_e32 v74, v76, v69
	v_fma_f32 v75, v2, v12, -v0
	v_mul_f32_e32 v76, v2, v13
	v_mov_b32_e32 v1, v40
	v_mov_b32_e32 v40, v39
	v_pk_mul_f32 v[20:21], v[26:27], v[38:39]
	v_mov_b32_e32 v2, v27
	v_mov_b32_e32 v27, v57
	v_fmac_f32_e32 v76, v3, v12
	v_pk_mul_f32 v[26:27], v[26:27], v[40:41]
	v_mov_b32_e32 v0, v38
	v_mov_b32_e32 v3, v56
	v_pk_fma_f32 v[38:39], v[2:3], v[0:1], v[26:27] neg_lo:[0,0,1] neg_hi:[0,0,1]
	v_pk_fma_f32 v[26:27], v[2:3], v[0:1], v[26:27]
	v_mov_b32_e32 v0, v5
	v_mov_b32_e32 v1, v7
	;; [unrolled: 1-line block ×4, first 2 shown]
	v_pk_mul_f32 v[0:1], v[56:57], v[0:1]
	v_mov_b32_e32 v5, v6
	v_mov_b32_e32 v3, v10
	v_pk_fma_f32 v[40:41], v[2:3], v[4:5], v[0:1] neg_lo:[0,0,1] neg_hi:[0,0,1]
	v_pk_fma_f32 v[42:43], v[2:3], v[4:5], v[0:1]
	v_add_u32_e32 v0, s1, v71
	ds_write_b64 v0, v[52:53]
	v_add_u32_e32 v0, s12, v71
	ds_write_b64 v0, v[32:33]
	;; [unrolled: 2-line block ×4, first 2 shown]
	v_add_u32_e32 v0, s11, v71
	v_sub_f32_e32 v2, v18, v19
	ds_read_b64 v[4:5], v70 offset:48
	ds_write_b64 v0, v[62:63]
	v_pk_mov_b32 v[0:1], v[24:25], v[36:37] op_sel:[1,0]
	v_sub_f32_e32 v48, v48, v2
	v_pk_add_f32 v[0:1], v[48:49], v[0:1] neg_lo:[0,1] neg_hi:[0,1]
	s_lshl_b32 s1, s17, 7
	v_sub_f32_e32 v18, v1, v44
	v_sub_f32_e32 v19, v0, v45
	ds_read2_b64 v[0:3], v70 offset0:5 offset1:6
	s_waitcnt lgkmcnt(2)
	v_mul_f32_e32 v24, v29, v5
	v_mul_f32_e32 v5, v28, v5
	v_fma_f32 v24, v28, v4, -v24
	v_fmac_f32_e32 v5, v29, v4
	v_add_u32_e32 v4, s15, v71
	s_waitcnt lgkmcnt(0)
	ds_write_b64 v4, v[2:3]
	v_add_u32_e32 v2, s16, v71
	ds_write_b64 v2, v[68:69]
	v_add_u32_e32 v2, s1, v71
	s_lshl_b32 s11, s18, 7
	ds_write_b64 v2, v[34:35]
	v_add_u32_e32 v2, s11, v71
	ds_write_b64 v2, v[12:13]
	v_sub_f32_e32 v2, v18, v82
	v_sub_f32_e32 v3, v19, v107
	;; [unrolled: 1-line block ×7, first 2 shown]
	v_fmac_f32_e32 v74, v77, v68
	v_sub_f32_e32 v3, v3, v24
	v_sub_f32_e32 v2, v2, v5
	s_add_i32 s1, s0, s1
	v_sub_f32_e32 v28, v3, v72
	v_sub_f32_e32 v29, v2, v74
	;; [unrolled: 1-line block ×3, first 2 shown]
	v_mov_b32_e32 v3, s1
	v_sub_f32_e32 v46, v46, v2
	ds_read_b128 v[2:5], v3 offset:80
	s_or_b32 s1, s8, 10
	v_pk_mov_b32 v[18:19], v[38:39], v[26:27] op_sel:[1,0]
	s_mul_i32 s12, s1, 0x88
	v_pk_add_f32 v[24:25], v[46:47], v[18:19] neg_lo:[0,1] neg_hi:[0,1]
	v_mov_b32_e32 v18, s12
	ds_read_b128 v[18:21], v18
	s_waitcnt lgkmcnt(1)
	v_mul_f32_e32 v26, v3, v35
	v_fma_f32 v26, v2, v34, -v26
	v_mul_f32_e32 v2, v2, v35
	v_fmac_f32_e32 v2, v3, v34
	v_sub_f32_e32 v2, v29, v2
	v_sub_f32_e32 v26, v28, v26
	v_sub_f32_e32 v3, v2, v76
	v_sub_f32_e32 v26, v26, v75
	s_waitcnt lgkmcnt(0)
	v_mul_f32_e32 v2, v19, v3
	v_mul_f32_e32 v3, v18, v3
	v_fma_f32 v2, v18, v26, -v2
	v_fmac_f32_e32 v3, v19, v26
	v_lshl_add_u32 v18, s1, 7, v71
	ds_write_b64 v18, v[2:3]
	v_pk_mov_b32 v[18:19], v[40:41], v[42:43] op_sel:[1,0]
	v_mov_b32_e32 v26, v7
	v_pk_add_f32 v[18:19], v[24:25], v[18:19] neg_lo:[0,1] neg_hi:[0,1]
	v_mov_b32_e32 v24, v10
	v_mov_b32_e32 v25, v60
	;; [unrolled: 1-line block ×3, first 2 shown]
	v_pk_mul_f32 v[24:25], v[24:25], v[26:27]
	v_mov_b32_e32 v10, v11
	v_mov_b32_e32 v11, v61
	;; [unrolled: 1-line block ×3, first 2 shown]
	v_pk_fma_f32 v[6:7], v[10:11], v[6:7], v[24:25]
	ds_read_b64 v[26:27], v70 offset:48
	v_mul_f32_e32 v10, v61, v17
	v_sub_f32_e32 v6, v19, v6
	v_fma_f32 v10, v60, v16, -v10
	v_sub_f32_e32 v6, v6, v7
	v_mul_f32_e32 v7, v15, v67
	v_sub_f32_e32 v10, v18, v10
	v_fma_f32 v7, v14, v66, -v7
	v_mul_f32_e32 v11, v14, v67
	v_fmac_f32_e32 v11, v15, v66
	v_sub_f32_e32 v7, v10, v7
	v_mul_f32_e32 v10, v23, v1
	v_mul_f32_e32 v1, v22, v1
	v_sub_f32_e32 v6, v6, v11
	v_fma_f32 v10, v22, v0, -v10
	v_fmac_f32_e32 v1, v23, v0
	v_sub_f32_e32 v0, v7, v10
	v_sub_f32_e32 v1, v6, v1
	s_waitcnt lgkmcnt(0)
	v_mul_f32_e32 v6, v31, v27
	v_mul_f32_e32 v7, v30, v27
	v_fma_f32 v6, v30, v26, -v6
	v_fmac_f32_e32 v7, v31, v26
	v_sub_f32_e32 v0, v0, v6
	v_sub_f32_e32 v1, v1, v7
	v_mul_f32_e32 v6, v9, v69
	v_mul_f32_e32 v7, v8, v69
	v_fma_f32 v6, v8, v68, -v6
	v_fmac_f32_e32 v7, v9, v68
	v_sub_f32_e32 v0, v0, v6
	v_sub_f32_e32 v6, v1, v7
	v_mul_f32_e32 v1, v5, v35
	s_add_i32 s0, s0, s11
	v_fma_f32 v1, v4, v34, -v1
	v_sub_f32_e32 v7, v0, v1
	v_mov_b32_e32 v0, s0
	ds_read_b64 v[0:1], v0 offset:88
	v_mul_f32_e32 v4, v4, v35
	v_fmac_f32_e32 v4, v5, v34
	s_mul_i32 s0, s10, 0x88
	v_sub_f32_e32 v6, v6, v4
	v_mov_b32_e32 v4, s0
	ds_read_b64 v[4:5], v4
	s_waitcnt lgkmcnt(1)
	v_mul_f32_e32 v8, v1, v13
	v_fma_f32 v8, v0, v12, -v8
	v_mul_f32_e32 v0, v0, v13
	v_fmac_f32_e32 v0, v1, v12
	v_sub_f32_e32 v6, v6, v0
	v_mul_f32_e32 v0, v21, v3
	v_mul_f32_e32 v3, v20, v3
	v_fmac_f32_e32 v3, v21, v2
	v_sub_f32_e32 v1, v7, v8
	v_fma_f32 v0, v20, v2, -v0
	v_sub_f32_e32 v2, v6, v3
	v_sub_f32_e32 v0, v1, v0
	s_waitcnt lgkmcnt(0)
	v_pk_mul_f32 v[2:3], v[4:5], v[2:3] op_sel:[1,0] op_sel_hi:[0,0]
	v_pk_fma_f32 v[6:7], v[4:5], v[0:1], v[2:3] neg_lo:[0,0,1] neg_hi:[0,0,1]
	v_pk_fma_f32 v[0:1], v[4:5], v[0:1], v[2:3] op_sel_hi:[1,0,1]
	s_or_b32 s8, s8, 12
	v_mov_b32_e32 v7, v1
	ds_write_b64 v65, v[50:51]
	ds_write_b64 v64, v[6:7]
.LBB150_62:
	s_cmp_ge_i32 s8, s30
	s_cbranch_scc1 .LBB150_69
; %bb.63:
	v_mov_b32_e32 v0, 0x800
	s_lshl_b32 s0, s8, 3
	v_lshl_add_u32 v3, v86, 3, v0
	s_branch .LBB150_65
.LBB150_64:                             ;   in Loop: Header=BB150_65 Depth=1
	s_lshl_b32 s10, s8, 3
	s_add_i32 s1, s10, s1
	v_mov_b32_e32 v2, v1
	v_mov_b32_e32 v1, s1
	ds_read_b64 v[6:7], v1
	s_add_i32 s8, s8, 1
	s_add_i32 s0, s0, 8
	s_cmp_ge_i32 s8, s30
	s_waitcnt lgkmcnt(0)
	v_pk_mul_f32 v[8:9], v[6:7], v[2:3] op_sel:[1,0] op_sel_hi:[0,0]
	v_pk_fma_f32 v[10:11], v[6:7], v[0:1], v[8:9] op_sel_hi:[1,0,1] neg_lo:[0,0,1] neg_hi:[0,0,1]
	v_pk_fma_f32 v[0:1], v[6:7], v[0:1], v[8:9] op_sel_hi:[1,0,1]
	s_nop 0
	v_mov_b32_e32 v11, v1
	ds_write_b64 v70, v[10:11]
	ds_write_b64 v4, v[10:11]
	s_cbranch_scc1 .LBB150_69
.LBB150_65:                             ; =>This Loop Header: Depth=1
                                        ;     Child Loop BB150_67 Depth 2
	s_lshl_b32 s1, s8, 7
	v_add_u32_e32 v4, s1, v71
	ds_read_b64 v[0:1], v4
	s_cmp_eq_u32 s8, 0
	s_waitcnt lgkmcnt(0)
	ds_write_b64 v70, v[0:1]
	s_cbranch_scc1 .LBB150_64
; %bb.66:                               ;   in Loop: Header=BB150_65 Depth=1
	v_mov_b32_e32 v2, v3
	s_mov_b32 s10, s0
	s_mov_b32 s11, s8
.LBB150_67:                             ;   Parent Loop BB150_65 Depth=1
                                        ; =>  This Inner Loop Header: Depth=2
	v_mov_b32_e32 v5, s10
	ds_read_b64 v[6:7], v2
	ds_read_b64 v[8:9], v5
	s_add_i32 s11, s11, -1
	s_addk_i32 s10, 0x80
	v_add_u32_e32 v2, 0x80, v2
	s_cmp_lg_u32 s11, 0
	s_waitcnt lgkmcnt(0)
	v_pk_mul_f32 v[10:11], v[8:9], v[6:7] op_sel:[1,1] op_sel_hi:[0,1]
	v_pk_fma_f32 v[12:13], v[8:9], v[6:7], v[10:11] neg_lo:[0,0,1] neg_hi:[0,0,1]
	v_pk_fma_f32 v[6:7], v[8:9], v[6:7], v[10:11] op_sel_hi:[1,0,1]
	s_nop 0
	v_mov_b32_e32 v13, v7
	v_pk_add_f32 v[0:1], v[0:1], v[12:13] neg_lo:[0,1] neg_hi:[0,1]
	s_cbranch_scc1 .LBB150_67
; %bb.68:                               ;   in Loop: Header=BB150_65 Depth=1
	ds_write_b64 v70, v[0:1]
	s_branch .LBB150_64
.LBB150_69:
	s_waitcnt lgkmcnt(0)
	; wave barrier
	s_and_saveexec_b64 s[0:1], s[2:3]
	s_cbranch_execz .LBB150_73
; %bb.70:
	s_andn2_b64 vcc, exec, s[6:7]
	s_cbranch_vccnz .LBB150_73
; %bb.71:
	v_mad_i64_i32 v[0:1], s[0:1], s9, v86, 0
	v_mov_b32_e32 v2, 0x800
	v_lshl_add_u64 v[0:1], v[0:1], 3, s[4:5]
	v_lshl_add_u32 v2, v86, 3, v2
.LBB150_72:                             ; =>This Inner Loop Header: Depth=1
	ds_read_b64 v[4:5], v2
	s_add_i32 s30, s30, -1
	v_add_u32_e32 v2, 0x80, v2
	s_cmp_lg_u32 s30, 0
	s_waitcnt lgkmcnt(0)
	flat_store_dwordx2 v[0:1], v[4:5]
	v_lshl_add_u64 v[0:1], v[0:1], 0, 8
	s_cbranch_scc1 .LBB150_72
.LBB150_73:
	s_endpgm
	.section	.rodata,"a",@progbits
	.p2align	6, 0x0
	.amdhsa_kernel _ZL38rocblas_trsm_small_left_device_sharedBILi16ELi16ELb1E19rocblas_complex_numIfES1_PKPKS1_PKPS1_Ev13rocblas_fill_18rocblas_operation_17rocblas_diagonal_iiT3_T4_lilT5_lili
		.amdhsa_group_segment_fixed_size 4992
		.amdhsa_private_segment_fixed_size 0
		.amdhsa_kernarg_size 360
		.amdhsa_user_sgpr_count 4
		.amdhsa_user_sgpr_dispatch_ptr 1
		.amdhsa_user_sgpr_queue_ptr 0
		.amdhsa_user_sgpr_kernarg_segment_ptr 1
		.amdhsa_user_sgpr_dispatch_id 0
		.amdhsa_user_sgpr_kernarg_preload_length 0
		.amdhsa_user_sgpr_kernarg_preload_offset 0
		.amdhsa_user_sgpr_private_segment_size 0
		.amdhsa_uses_dynamic_stack 0
		.amdhsa_enable_private_segment 0
		.amdhsa_system_sgpr_workgroup_id_x 1
		.amdhsa_system_sgpr_workgroup_id_y 0
		.amdhsa_system_sgpr_workgroup_id_z 1
		.amdhsa_system_sgpr_workgroup_info 0
		.amdhsa_system_vgpr_workitem_id 2
		.amdhsa_next_free_vgpr 124
		.amdhsa_next_free_sgpr 32
		.amdhsa_accum_offset 124
		.amdhsa_reserve_vcc 1
		.amdhsa_float_round_mode_32 0
		.amdhsa_float_round_mode_16_64 0
		.amdhsa_float_denorm_mode_32 3
		.amdhsa_float_denorm_mode_16_64 3
		.amdhsa_dx10_clamp 1
		.amdhsa_ieee_mode 1
		.amdhsa_fp16_overflow 0
		.amdhsa_tg_split 0
		.amdhsa_exception_fp_ieee_invalid_op 0
		.amdhsa_exception_fp_denorm_src 0
		.amdhsa_exception_fp_ieee_div_zero 0
		.amdhsa_exception_fp_ieee_overflow 0
		.amdhsa_exception_fp_ieee_underflow 0
		.amdhsa_exception_fp_ieee_inexact 0
		.amdhsa_exception_int_div_zero 0
	.end_amdhsa_kernel
	.section	.text._ZL38rocblas_trsm_small_left_device_sharedBILi16ELi16ELb1E19rocblas_complex_numIfES1_PKPKS1_PKPS1_Ev13rocblas_fill_18rocblas_operation_17rocblas_diagonal_iiT3_T4_lilT5_lili,"axG",@progbits,_ZL38rocblas_trsm_small_left_device_sharedBILi16ELi16ELb1E19rocblas_complex_numIfES1_PKPKS1_PKPS1_Ev13rocblas_fill_18rocblas_operation_17rocblas_diagonal_iiT3_T4_lilT5_lili,comdat
.Lfunc_end150:
	.size	_ZL38rocblas_trsm_small_left_device_sharedBILi16ELi16ELb1E19rocblas_complex_numIfES1_PKPKS1_PKPS1_Ev13rocblas_fill_18rocblas_operation_17rocblas_diagonal_iiT3_T4_lilT5_lili, .Lfunc_end150-_ZL38rocblas_trsm_small_left_device_sharedBILi16ELi16ELb1E19rocblas_complex_numIfES1_PKPKS1_PKPS1_Ev13rocblas_fill_18rocblas_operation_17rocblas_diagonal_iiT3_T4_lilT5_lili
                                        ; -- End function
	.set _ZL38rocblas_trsm_small_left_device_sharedBILi16ELi16ELb1E19rocblas_complex_numIfES1_PKPKS1_PKPS1_Ev13rocblas_fill_18rocblas_operation_17rocblas_diagonal_iiT3_T4_lilT5_lili.num_vgpr, 124
	.set _ZL38rocblas_trsm_small_left_device_sharedBILi16ELi16ELb1E19rocblas_complex_numIfES1_PKPKS1_PKPS1_Ev13rocblas_fill_18rocblas_operation_17rocblas_diagonal_iiT3_T4_lilT5_lili.num_agpr, 0
	.set _ZL38rocblas_trsm_small_left_device_sharedBILi16ELi16ELb1E19rocblas_complex_numIfES1_PKPKS1_PKPS1_Ev13rocblas_fill_18rocblas_operation_17rocblas_diagonal_iiT3_T4_lilT5_lili.numbered_sgpr, 32
	.set _ZL38rocblas_trsm_small_left_device_sharedBILi16ELi16ELb1E19rocblas_complex_numIfES1_PKPKS1_PKPS1_Ev13rocblas_fill_18rocblas_operation_17rocblas_diagonal_iiT3_T4_lilT5_lili.num_named_barrier, 0
	.set _ZL38rocblas_trsm_small_left_device_sharedBILi16ELi16ELb1E19rocblas_complex_numIfES1_PKPKS1_PKPS1_Ev13rocblas_fill_18rocblas_operation_17rocblas_diagonal_iiT3_T4_lilT5_lili.private_seg_size, 0
	.set _ZL38rocblas_trsm_small_left_device_sharedBILi16ELi16ELb1E19rocblas_complex_numIfES1_PKPKS1_PKPS1_Ev13rocblas_fill_18rocblas_operation_17rocblas_diagonal_iiT3_T4_lilT5_lili.uses_vcc, 1
	.set _ZL38rocblas_trsm_small_left_device_sharedBILi16ELi16ELb1E19rocblas_complex_numIfES1_PKPKS1_PKPS1_Ev13rocblas_fill_18rocblas_operation_17rocblas_diagonal_iiT3_T4_lilT5_lili.uses_flat_scratch, 0
	.set _ZL38rocblas_trsm_small_left_device_sharedBILi16ELi16ELb1E19rocblas_complex_numIfES1_PKPKS1_PKPS1_Ev13rocblas_fill_18rocblas_operation_17rocblas_diagonal_iiT3_T4_lilT5_lili.has_dyn_sized_stack, 0
	.set _ZL38rocblas_trsm_small_left_device_sharedBILi16ELi16ELb1E19rocblas_complex_numIfES1_PKPKS1_PKPS1_Ev13rocblas_fill_18rocblas_operation_17rocblas_diagonal_iiT3_T4_lilT5_lili.has_recursion, 0
	.set _ZL38rocblas_trsm_small_left_device_sharedBILi16ELi16ELb1E19rocblas_complex_numIfES1_PKPKS1_PKPS1_Ev13rocblas_fill_18rocblas_operation_17rocblas_diagonal_iiT3_T4_lilT5_lili.has_indirect_call, 0
	.section	.AMDGPU.csdata,"",@progbits
; Kernel info:
; codeLenInByte = 22820
; TotalNumSgprs: 38
; NumVgprs: 124
; NumAgprs: 0
; TotalNumVgprs: 124
; ScratchSize: 0
; MemoryBound: 0
; FloatMode: 240
; IeeeMode: 1
; LDSByteSize: 4992 bytes/workgroup (compile time only)
; SGPRBlocks: 4
; VGPRBlocks: 15
; NumSGPRsForWavesPerEU: 38
; NumVGPRsForWavesPerEU: 124
; AccumOffset: 124
; Occupancy: 4
; WaveLimiterHint : 1
; COMPUTE_PGM_RSRC2:SCRATCH_EN: 0
; COMPUTE_PGM_RSRC2:USER_SGPR: 4
; COMPUTE_PGM_RSRC2:TRAP_HANDLER: 0
; COMPUTE_PGM_RSRC2:TGID_X_EN: 1
; COMPUTE_PGM_RSRC2:TGID_Y_EN: 0
; COMPUTE_PGM_RSRC2:TGID_Z_EN: 1
; COMPUTE_PGM_RSRC2:TIDIG_COMP_CNT: 2
; COMPUTE_PGM_RSRC3_GFX90A:ACCUM_OFFSET: 30
; COMPUTE_PGM_RSRC3_GFX90A:TG_SPLIT: 0
	.section	.text._ZL30rocblas_trsm_small_left_deviceILi16ELi16ELb1E19rocblas_complex_numIfES1_PKPKS1_PKPS1_Ev13rocblas_fill_18rocblas_operation_17rocblas_diagonal_iiT3_T4_lilT5_lili,"axG",@progbits,_ZL30rocblas_trsm_small_left_deviceILi16ELi16ELb1E19rocblas_complex_numIfES1_PKPKS1_PKPS1_Ev13rocblas_fill_18rocblas_operation_17rocblas_diagonal_iiT3_T4_lilT5_lili,comdat
	.globl	_ZL30rocblas_trsm_small_left_deviceILi16ELi16ELb1E19rocblas_complex_numIfES1_PKPKS1_PKPS1_Ev13rocblas_fill_18rocblas_operation_17rocblas_diagonal_iiT3_T4_lilT5_lili ; -- Begin function _ZL30rocblas_trsm_small_left_deviceILi16ELi16ELb1E19rocblas_complex_numIfES1_PKPKS1_PKPS1_Ev13rocblas_fill_18rocblas_operation_17rocblas_diagonal_iiT3_T4_lilT5_lili
	.p2align	8
	.type	_ZL30rocblas_trsm_small_left_deviceILi16ELi16ELb1E19rocblas_complex_numIfES1_PKPKS1_PKPS1_Ev13rocblas_fill_18rocblas_operation_17rocblas_diagonal_iiT3_T4_lilT5_lili,@function
_ZL30rocblas_trsm_small_left_deviceILi16ELi16ELb1E19rocblas_complex_numIfES1_PKPKS1_PKPS1_Ev13rocblas_fill_18rocblas_operation_17rocblas_diagonal_iiT3_T4_lilT5_lili: ; @_ZL30rocblas_trsm_small_left_deviceILi16ELi16ELb1E19rocblas_complex_numIfES1_PKPKS1_PKPS1_Ev13rocblas_fill_18rocblas_operation_17rocblas_diagonal_iiT3_T4_lilT5_lili
; %bb.0:
	s_load_dwordx4 s[12:15], s[2:3], 0x40
	s_load_dwordx4 s[8:11], s[2:3], 0x4
	s_load_dwordx2 s[6:7], s[2:3], 0x14
	s_mov_b32 s16, s5
	s_mov_b32 s17, 0
	s_lshl_b64 s[20:21], s[16:17], 3
	s_waitcnt lgkmcnt(0)
	s_add_u32 s12, s12, s20
	s_addc_u32 s13, s13, s21
	s_load_dword s5, s[2:3], 0x68
	v_and_b32_e32 v1, 0x3ff, v0
	s_load_dwordx2 s[12:13], s[12:13], 0x0
	s_min_i32 s30, s10, 16
	v_cmp_gt_i32_e32 vcc, s30, v1
	s_and_saveexec_b64 s[16:17], vcc
	s_cbranch_execz .LBB151_15
; %bb.1:
	s_load_dword s22, s[2:3], 0x30
	s_load_dwordx4 s[24:27], s[2:3], 0x20
	v_lshlrev_b32_e32 v2, 3, v1
	v_mov_b32_e32 v3, 0
	v_mov_b32_e32 v8, v2
	s_waitcnt lgkmcnt(0)
	s_ashr_i32 s23, s22, 31
	s_cmpk_lg_i32 s8, 0x71
	s_cselect_b64 s[18:19], -1, 0
	s_add_u32 s20, s24, s20
	s_addc_u32 s21, s25, s21
	s_load_dwordx2 s[20:21], s[20:21], 0x0
	s_lshl_b64 s[24:25], s[26:27], 3
	s_mov_b32 s10, s30
	s_waitcnt lgkmcnt(0)
	s_add_u32 s24, s20, s24
	s_addc_u32 s25, s21, s25
	s_lshl_b64 s[20:21], s[22:23], 3
	v_lshl_add_u64 v[4:5], s[24:25], 0, v[2:3]
	s_branch .LBB151_3
.LBB151_2:                              ;   in Loop: Header=BB151_3 Depth=1
	flat_load_dword v6, v[4:5]
	s_add_i32 s10, s10, -1
	v_lshl_add_u64 v[4:5], v[4:5], 0, s[20:21]
	s_cmp_eq_u32 s10, 0
	s_waitcnt vmcnt(0) lgkmcnt(0)
	ds_write_b64 v8, v[6:7]
	v_add_u32_e32 v8, 0x80, v8
	s_cbranch_scc1 .LBB151_7
.LBB151_3:                              ; =>This Inner Loop Header: Depth=1
	s_mov_b64 s[22:23], -1
	s_and_b64 vcc, exec, s[18:19]
                                        ; implicit-def: $vgpr7
	s_cbranch_vccz .LBB151_5
; %bb.4:                                ;   in Loop: Header=BB151_3 Depth=1
	flat_load_dword v7, v[4:5] offset:4
	s_mov_b64 s[22:23], 0
.LBB151_5:                              ;   in Loop: Header=BB151_3 Depth=1
	s_andn2_b64 vcc, exec, s[22:23]
	s_cbranch_vccnz .LBB151_2
; %bb.6:                                ;   in Loop: Header=BB151_3 Depth=1
	flat_load_dword v3, v[4:5] offset:4
	s_waitcnt vmcnt(0) lgkmcnt(0)
	v_xor_b32_e32 v7, 0x80000000, v3
	s_branch .LBB151_2
.LBB151_7:
	s_cmpk_lg_i32 s9, 0x84
	v_lshlrev_b32_e32 v3, 7, v1
	s_mov_b64 s[18:19], -1
	s_cbranch_scc0 .LBB151_13
; %bb.8:
	v_add_u32_e32 v8, v2, v3
	ds_read_b64 v[4:5], v8
                                        ; implicit-def: $vgpr6_vgpr7
	s_waitcnt lgkmcnt(0)
	v_cmp_ngt_f32_e64 s[18:19], |v4|, |v5|
	s_and_saveexec_b64 s[20:21], s[18:19]
	s_xor_b64 s[18:19], exec, s[20:21]
	s_cbranch_execz .LBB151_10
; %bb.9:
	v_div_scale_f32 v6, s[20:21], v5, v5, v4
	v_rcp_f32_e32 v7, v6
	v_div_scale_f32 v9, vcc, v4, v5, v4
	v_fma_f32 v10, -v6, v7, 1.0
	v_fmac_f32_e32 v7, v10, v7
	v_mul_f32_e32 v10, v9, v7
	v_fma_f32 v11, -v6, v10, v9
	v_fmac_f32_e32 v10, v11, v7
	v_fma_f32 v6, -v6, v10, v9
	v_div_fmas_f32 v6, v6, v7, v10
	v_div_fixup_f32 v6, v6, v5, v4
	v_fmac_f32_e32 v5, v4, v6
	v_div_scale_f32 v4, s[20:21], v5, v5, 1.0
	v_rcp_f32_e32 v7, v4
	s_mov_b32 s20, 0
	s_mov_b32 s21, -1.0
	v_fma_f32 v9, -v4, v7, 1.0
	v_fmac_f32_e32 v7, v9, v7
	v_div_scale_f32 v9, vcc, 1.0, v5, 1.0
	v_mul_f32_e32 v10, v9, v7
	v_fma_f32 v11, -v4, v10, v9
	v_fmac_f32_e32 v10, v11, v7
	v_fma_f32 v4, -v4, v10, v9
	v_div_fmas_f32 v4, v4, v7, v10
	v_mul_f32_e32 v7, 0, v6
	v_div_fixup_f32 v4, v4, v5, 1.0
	v_pk_add_f32 v[6:7], v[6:7], s[20:21]
	s_nop 0
	v_pk_mul_f32 v[6:7], v[6:7], v[4:5] op_sel_hi:[1,0]
                                        ; implicit-def: $vgpr4_vgpr5
.LBB151_10:
	s_andn2_saveexec_b64 s[18:19], s[18:19]
	s_cbranch_execz .LBB151_12
; %bb.11:
	v_div_scale_f32 v6, s[20:21], v4, v4, v5
	v_rcp_f32_e32 v7, v6
	v_div_scale_f32 v9, vcc, v5, v4, v5
	v_fma_f32 v10, -v6, v7, 1.0
	v_fmac_f32_e32 v7, v10, v7
	v_mul_f32_e32 v10, v9, v7
	v_fma_f32 v11, -v6, v10, v9
	v_fmac_f32_e32 v10, v11, v7
	v_fma_f32 v6, -v6, v10, v9
	v_div_fmas_f32 v6, v6, v7, v10
	v_div_fixup_f32 v7, v6, v4, v5
	v_fmac_f32_e32 v4, v5, v7
	v_div_scale_f32 v5, s[20:21], v4, v4, 1.0
	v_rcp_f32_e32 v6, v5
	s_nop 0
	v_fma_f32 v9, -v5, v6, 1.0
	v_fmac_f32_e32 v6, v9, v6
	v_div_scale_f32 v9, vcc, 1.0, v4, 1.0
	v_mul_f32_e32 v10, v9, v6
	v_fma_f32 v11, -v5, v10, v9
	v_fmac_f32_e32 v10, v11, v6
	v_fma_f32 v5, -v5, v10, v9
	v_div_fmas_f32 v5, v5, v6, v10
	v_div_fixup_f32 v4, v5, v4, 1.0
	v_mul_f32_e32 v5, 0, v7
	v_add_f32_e32 v6, 1.0, v5
	v_sub_f32_e32 v7, 0, v7
	v_pk_mul_f32 v[6:7], v[6:7], v[4:5] op_sel_hi:[1,0]
.LBB151_12:
	s_or_b64 exec, exec, s[18:19]
	s_mov_b64 s[18:19], 0
	ds_write_b64 v8, v[6:7]
.LBB151_13:
	s_and_b64 vcc, exec, s[18:19]
	s_cbranch_vccz .LBB151_15
; %bb.14:
	v_add_u32_e32 v2, v2, v3
	v_mov_b32_e32 v4, 1.0
	v_mov_b32_e32 v5, 0
	ds_write_b64 v2, v[4:5]
.LBB151_15:
	s_or_b64 exec, exec, s[16:17]
	s_waitcnt lgkmcnt(0)
	s_add_i32 s9, s5, -1
	s_lshl_b32 s5, s4, 4
	s_sub_i32 s10, s11, s5
	s_cmp_ge_u32 s4, s9
	s_cselect_b32 s4, s10, 16
	v_cmp_gt_i32_e32 vcc, s4, v1
	; wave barrier
	s_and_saveexec_b64 s[10:11], vcc
	s_cbranch_execz .LBB151_83
; %bb.16:
	s_load_dwordx2 s[10:11], s[0:1], 0x4
	s_load_dword s4, s[2:3], 0x50
	v_bfe_u32 v2, v0, 10, 10
	v_bfe_u32 v0, v0, 20, 10
	s_lshl_b64 s[2:3], s[14:15], 3
	s_waitcnt lgkmcnt(0)
	s_lshr_b32 s0, s10, 16
	s_mul_i32 s0, s0, s11
	v_mul_u32_u24_e32 v2, s11, v2
	v_mul_u32_u24_e32 v3, s0, v1
	v_add3_u32 v15, v3, v2, v0
	s_add_u32 s0, s12, s2
	v_add_u32_e32 v0, s5, v1
	v_mov_b32_e32 v6, 0x800
	s_addc_u32 s1, s13, s3
	v_mad_i64_i32 v[2:3], s[4:5], s4, v0, 0
	v_lshl_add_u32 v14, v15, 7, v6
	v_lshl_add_u64 v[0:1], v[2:3], 3, s[0:1]
	s_cmpk_eq_i32 s8, 0x6f
	s_mov_b64 s[0:1], -1
	s_cbranch_scc1 .LBB151_50
; %bb.17:
	s_add_i32 s31, s30, -1
	s_add_u32 s0, s12, s2
	s_addc_u32 s1, s13, s3
	s_lshl_b32 s33, s30, 3
	s_mov_b32 s15, 0
	s_mov_b32 s4, s6
	;; [unrolled: 1-line block ×7, first 2 shown]
	v_lshl_add_u64 v[4:5], v[2:3], 3, s[0:1]
	v_lshl_add_u32 v16, v15, 7, v6
	s_add_i32 s33, s33, -8
	s_mov_b32 s16, s15
	s_mov_b32 s18, s31
	s_branch .LBB151_19
.LBB151_18:                             ;   in Loop: Header=BB151_19 Depth=1
	s_cmp_lt_i32 s18, 0
	s_cselect_b64 s[0:1], -1, 0
	s_add_i32 s16, s16, 1
	s_cmp_eq_u32 s16, 3
	s_cselect_b64 s[20:21], -1, 0
	s_or_b64 s[0:1], s[0:1], s[20:21]
	s_andn2_b64 vcc, exec, s[0:1]
	s_cbranch_vccz .LBB151_49
.LBB151_19:                             ; =>This Loop Header: Depth=1
                                        ;     Child Loop BB151_22 Depth 2
                                        ;       Child Loop BB151_24 Depth 3
                                        ;       Child Loop BB151_28 Depth 3
                                        ;       Child Loop BB151_32 Depth 3
                                        ;         Child Loop BB151_34 Depth 4
                                        ;         Child Loop BB151_40 Depth 4
                                        ;       Child Loop BB151_43 Depth 3
                                        ;         Child Loop BB151_45 Depth 4
	s_mov_b32 s17, s15
	s_lshl_b64 s[0:1], s[16:17], 2
	s_getpc_b64 s[20:21]
	s_add_u32 s20, s20, __const._ZL30rocblas_trsm_small_left_deviceILi16ELi16ELb1E19rocblas_complex_numIfES1_PKPKS1_PKPS1_Ev13rocblas_fill_18rocblas_operation_17rocblas_diagonal_iiT3_T4_lilT5_lili.step_sizes@rel32@lo+4
	s_addc_u32 s21, s21, __const._ZL30rocblas_trsm_small_left_deviceILi16ELi16ELb1E19rocblas_complex_numIfES1_PKPKS1_PKPS1_Ev13rocblas_fill_18rocblas_operation_17rocblas_diagonal_iiT3_T4_lilT5_lili.step_sizes@rel32@hi+12
	s_add_u32 s0, s20, s0
	s_addc_u32 s1, s21, s1
	s_load_dword s17, s[0:1], 0x0
	s_waitcnt lgkmcnt(0)
	s_add_i32 s34, s17, -1
	s_cmp_lt_i32 s18, s34
	s_cbranch_scc1 .LBB151_18
; %bb.20:                               ;   in Loop: Header=BB151_19 Depth=1
	s_max_i32 s35, s17, 1
	s_cmp_lg_u32 s16, 2
	s_cselect_b64 s[20:21], -1, 0
	s_and_b32 s36, s35, 0x7ffffffe
	s_cmp_lg_u32 s35, s36
	s_cselect_b64 s[22:23], -1, 0
	s_lshl_b32 s0, s18, 7
	s_add_i32 s37, s33, s0
	s_lshl_b32 s0, s17, 7
	v_cndmask_b32_e64 v6, 0, 1, s[20:21]
	s_sub_i32 s38, 0, s0
	s_mul_i32 s39, s18, 0x88
	s_mul_i32 s40, s17, 0xffffff78
	v_cmp_ne_u32_e64 s[0:1], 1, v6
	s_branch .LBB151_22
.LBB151_21:                             ;   in Loop: Header=BB151_22 Depth=2
	s_sub_i32 s18, s18, s17
	s_add_i32 s37, s37, s38
	s_add_i32 s39, s39, s40
	s_cmp_lt_i32 s18, s34
	s_cbranch_scc1 .LBB151_18
.LBB151_22:                             ;   Parent Loop BB151_19 Depth=1
                                        ; =>  This Loop Header: Depth=2
                                        ;       Child Loop BB151_24 Depth 3
                                        ;       Child Loop BB151_28 Depth 3
                                        ;       Child Loop BB151_32 Depth 3
                                        ;         Child Loop BB151_34 Depth 4
                                        ;         Child Loop BB151_40 Depth 4
                                        ;       Child Loop BB151_43 Depth 3
                                        ;         Child Loop BB151_45 Depth 4
	s_and_b64 vcc, exec, s[0:1]
	s_cbranch_vccnz .LBB151_26
; %bb.23:                               ;   in Loop: Header=BB151_22 Depth=2
	s_mov_b32 s19, s18
	s_mov_b32 s26, 1
	;; [unrolled: 1-line block ×4, first 2 shown]
	v_mov_b32_e32 v6, v14
.LBB151_24:                             ;   Parent Loop BB151_19 Depth=1
                                        ;     Parent Loop BB151_22 Depth=2
                                        ; =>    This Inner Loop Header: Depth=3
	s_sub_i32 s24, s18, s27
	s_sub_i32 s42, s19, s26
	s_ashr_i32 s25, s24, 31
	s_ashr_i32 s43, s42, 31
	v_lshl_add_u64 v[8:9], s[24:25], 3, v[0:1]
	v_lshl_add_u64 v[10:11], s[42:43], 3, v[0:1]
	flat_load_dwordx2 v[18:19], v[8:9]
	flat_load_dwordx2 v[12:13], v[10:11]
	s_add_i32 s27, s27, 2
	s_add_i32 s26, s26, 2
	s_add_i32 s28, s28, -2
	s_mov_b32 s14, s36
	s_mov_b64 s[24:25], s[22:23]
	s_cmp_lg_u32 s28, 0
	s_waitcnt vmcnt(0) lgkmcnt(0)
	v_mov_b32_e32 v8, v18
	v_mov_b32_e32 v9, v12
	v_mov_b32_e32 v12, v19
	v_pk_mul_f32 v[10:11], v[12:13], s[8:9]
	v_pk_mul_f32 v[12:13], v[12:13], s[4:5]
	v_pk_fma_f32 v[18:19], v[8:9], s[4:5], v[10:11] neg_lo:[0,0,1] neg_hi:[0,0,1]
	v_pk_fma_f32 v[10:11], v[8:9], s[8:9], v[12:13]
	v_mov_b32_e32 v8, v18
	v_mov_b32_e32 v9, v10
	;; [unrolled: 1-line block ×3, first 2 shown]
	ds_write_b128 v6, v[8:11]
	v_add_u32_e32 v6, 16, v6
	s_cbranch_scc1 .LBB151_24
; %bb.25:                               ;   in Loop: Header=BB151_22 Depth=2
	s_ashr_i32 s19, s18, 31
	s_and_b64 vcc, exec, s[24:25]
	s_cbranch_vccnz .LBB151_27
	s_branch .LBB151_29
.LBB151_26:                             ;   in Loop: Header=BB151_22 Depth=2
	s_mov_b32 s14, 0
	s_ashr_i32 s19, s18, 31
	s_cbranch_execz .LBB151_29
.LBB151_27:                             ;   in Loop: Header=BB151_22 Depth=2
	s_lshl_b64 s[26:27], s[18:19], 3
	s_sub_i32 s24, s35, s14
	s_lshl_b64 s[28:29], s[14:15], 3
	s_sub_u32 s26, s26, s28
	s_subb_u32 s27, s27, s29
	v_lshl_add_u64 v[6:7], v[4:5], 0, s[26:27]
	v_lshl_add_u32 v8, s14, 3, v16
.LBB151_28:                             ;   Parent Loop BB151_19 Depth=1
                                        ;     Parent Loop BB151_22 Depth=2
                                        ; =>    This Inner Loop Header: Depth=3
	flat_load_dwordx2 v[10:11], v[6:7]
	s_add_i32 s24, s24, -1
	v_lshl_add_u64 v[6:7], v[6:7], 0, -8
	s_cmp_eq_u32 s24, 0
	s_waitcnt vmcnt(0) lgkmcnt(0)
	v_pk_mul_f32 v[12:13], v[10:11], s[10:11] op_sel:[1,0]
	s_nop 0
	v_pk_fma_f32 v[18:19], v[10:11], s[6:7], v[12:13] neg_lo:[0,0,1] neg_hi:[0,0,1]
	v_pk_fma_f32 v[10:11], v[10:11], s[6:7], v[12:13] op_sel_hi:[0,1,1]
	v_mov_b32_e32 v19, v11
	ds_write_b64 v8, v[18:19]
	v_add_u32_e32 v8, 8, v8
	s_cbranch_scc0 .LBB151_28
.LBB151_29:                             ;   in Loop: Header=BB151_22 Depth=2
	s_cmp_le_i32 s31, s18
	s_cbranch_scc1 .LBB151_41
; %bb.30:                               ;   in Loop: Header=BB151_22 Depth=2
	s_mov_b32 s14, s18
	s_mov_b32 s41, s18
	;; [unrolled: 1-line block ×4, first 2 shown]
	s_branch .LBB151_32
.LBB151_31:                             ;   in Loop: Header=BB151_32 Depth=3
	s_add_i32 s24, s24, -1
	s_add_i32 s42, s42, -8
	s_cmp_le_i32 s24, s18
	s_cbranch_scc1 .LBB151_41
.LBB151_32:                             ;   Parent Loop BB151_19 Depth=1
                                        ;     Parent Loop BB151_22 Depth=2
                                        ; =>    This Loop Header: Depth=3
                                        ;         Child Loop BB151_34 Depth 4
                                        ;         Child Loop BB151_40 Depth 4
	s_ashr_i32 s25, s24, 31
	v_lshl_add_u64 v[6:7], s[24:25], 3, v[0:1]
	flat_load_dwordx2 v[6:7], v[6:7]
	s_and_b64 vcc, exec, s[20:21]
	s_cbranch_vccz .LBB151_36
; %bb.33:                               ;   in Loop: Header=BB151_32 Depth=3
	s_lshl_b32 s25, s24, 3
	s_waitcnt vmcnt(0) lgkmcnt(0)
	v_mov_b32_e32 v10, v6
	v_mov_b32_e32 v11, v6
	;; [unrolled: 1-line block ×5, first 2 shown]
	s_mov_b32 s26, 1
	s_mov_b32 s27, 0
	;; [unrolled: 1-line block ×3, first 2 shown]
	v_mov_b32_e32 v9, v14
.LBB151_34:                             ;   Parent Loop BB151_19 Depth=1
                                        ;     Parent Loop BB151_22 Depth=2
                                        ;       Parent Loop BB151_32 Depth=3
                                        ; =>      This Inner Loop Header: Depth=4
	s_sub_i32 s29, s14, s27
	s_sub_i32 s43, s41, s26
	s_lshl_b32 s43, s43, 7
	s_lshl_b32 s29, s29, 7
	s_add_i32 s29, s25, s29
	s_add_i32 s43, s25, s43
	v_mov_b32_e32 v17, s29
	v_mov_b32_e32 v22, s43
	ds_read_b128 v[18:21], v9
	ds_read_b64 v[26:27], v17
	ds_read_b64 v[22:23], v22
	s_add_i32 s27, s27, 2
	s_add_i32 s26, s26, 2
	s_add_i32 s28, s28, -2
	s_waitcnt lgkmcnt(2)
	v_mov_b32_e32 v25, v20
	v_mov_b32_e32 v20, v19
	s_waitcnt lgkmcnt(0)
	v_mov_b32_e32 v19, v22
	v_mov_b32_e32 v22, v27
	;; [unrolled: 1-line block ×4, first 2 shown]
	v_pk_mul_f32 v[26:27], v[22:23], v[12:13]
	v_pk_mul_f32 v[22:23], v[22:23], v[10:11]
	v_pk_fma_f32 v[26:27], v[18:19], v[10:11], v[26:27] neg_lo:[0,0,1] neg_hi:[0,0,1]
	v_pk_fma_f32 v[18:19], v[18:19], v[12:13], v[22:23]
	v_pk_add_f32 v[22:23], v[24:25], v[26:27] neg_lo:[0,1] neg_hi:[0,1]
	v_pk_add_f32 v[20:21], v[20:21], v[18:19] neg_lo:[0,1] neg_hi:[0,1]
	v_mov_b32_e32 v18, v22
	v_mov_b32_e32 v19, v20
	;; [unrolled: 1-line block ×3, first 2 shown]
	s_cmp_lg_u32 s28, 0
	ds_write_b128 v9, v[18:21]
	v_add_u32_e32 v9, 16, v9
	s_cbranch_scc1 .LBB151_34
; %bb.35:                               ;   in Loop: Header=BB151_32 Depth=3
	s_mov_b64 s[26:27], s[22:23]
	s_mov_b32 s28, s36
	s_branch .LBB151_38
.LBB151_36:                             ;   in Loop: Header=BB151_32 Depth=3
	s_waitcnt vmcnt(0) lgkmcnt(0)
	v_mov_b32_e32 v8, v7
	s_mov_b64 s[26:27], 0
	s_mov_b32 s28, s36
	s_cbranch_execz .LBB151_38
; %bb.37:                               ;   in Loop: Header=BB151_32 Depth=3
	s_mov_b64 s[26:27], -1
	s_mov_b32 s28, 0
.LBB151_38:                             ;   in Loop: Header=BB151_32 Depth=3
	s_andn2_b64 vcc, exec, s[26:27]
	s_cbranch_vccnz .LBB151_31
; %bb.39:                               ;   in Loop: Header=BB151_32 Depth=3
	s_lshl_b32 s26, s28, 7
	v_mov_b32_e32 v9, v7
	v_mov_b32_e32 v7, v6
	s_sub_i32 s25, s35, s28
	s_sub_i32 s26, s42, s26
	v_lshl_add_u32 v10, s28, 3, v16
.LBB151_40:                             ;   Parent Loop BB151_19 Depth=1
                                        ;     Parent Loop BB151_22 Depth=2
                                        ;       Parent Loop BB151_32 Depth=3
                                        ; =>      This Inner Loop Header: Depth=4
	v_mov_b32_e32 v11, s26
	ds_read_b64 v[18:19], v11
	ds_read_b64 v[12:13], v10
	s_add_i32 s25, s25, -1
	s_addk_i32 s26, 0xff80
	s_cmp_eq_u32 s25, 0
	s_waitcnt lgkmcnt(1)
	v_pk_mul_f32 v[20:21], v[18:19], v[8:9] op_sel:[1,0] op_sel_hi:[0,1]
	v_pk_fma_f32 v[22:23], v[18:19], v[6:7], v[20:21] neg_lo:[0,0,1] neg_hi:[0,0,1]
	v_pk_fma_f32 v[18:19], v[18:19], v[6:7], v[20:21]
	s_nop 0
	v_mov_b32_e32 v23, v19
	s_waitcnt lgkmcnt(0)
	v_pk_add_f32 v[12:13], v[12:13], v[22:23] neg_lo:[0,1] neg_hi:[0,1]
	ds_write_b64 v10, v[12:13]
	v_add_u32_e32 v10, 8, v10
	s_cbranch_scc0 .LBB151_40
	s_branch .LBB151_31
.LBB151_41:                             ;   in Loop: Header=BB151_22 Depth=2
	s_mov_b32 s14, 0
	s_mov_b32 s41, s39
	s_branch .LBB151_43
.LBB151_42:                             ;   in Loop: Header=BB151_43 Depth=3
	s_mulk_i32 s26, 0x88
	v_mov_b32_e32 v7, s26
	ds_read_b64 v[10:11], v7
	s_add_i32 s14, s14, 1
	s_addk_i32 s41, 0xff80
	v_lshl_add_u64 v[12:13], s[24:25], 3, v[0:1]
	s_cmp_eq_u32 s14, s35
	s_waitcnt lgkmcnt(0)
	v_pk_mul_f32 v[18:19], v[10:11], v[8:9] op_sel:[1,0] op_sel_hi:[0,0]
	v_pk_fma_f32 v[20:21], v[10:11], v[6:7], v[18:19] neg_lo:[0,0,1] neg_hi:[0,0,1]
	v_pk_fma_f32 v[6:7], v[10:11], v[6:7], v[18:19] op_sel_hi:[1,0,1]
	s_nop 0
	v_mov_b32_e32 v21, v7
	ds_write_b64 v9, v[20:21]
	flat_store_dwordx2 v[12:13], v[20:21]
	s_cbranch_scc1 .LBB151_21
.LBB151_43:                             ;   Parent Loop BB151_19 Depth=1
                                        ;     Parent Loop BB151_22 Depth=2
                                        ; =>    This Loop Header: Depth=3
                                        ;         Child Loop BB151_45 Depth 4
	s_cmp_lg_u32 s14, 0
	v_lshl_add_u32 v9, s14, 3, v14
	s_cbranch_scc0 .LBB151_47
; %bb.44:                               ;   in Loop: Header=BB151_43 Depth=3
	ds_read_b64 v[6:7], v9
	v_mov_b32_e32 v8, v14
	s_mov_b32 s24, s41
	s_mov_b32 s25, s14
.LBB151_45:                             ;   Parent Loop BB151_19 Depth=1
                                        ;     Parent Loop BB151_22 Depth=2
                                        ;       Parent Loop BB151_43 Depth=3
                                        ; =>      This Inner Loop Header: Depth=4
	v_mov_b32_e32 v12, s24
	ds_read_b64 v[10:11], v8
	ds_read_b64 v[12:13], v12
	s_add_i32 s25, s25, -1
	s_add_i32 s24, s24, -8
	v_add_u32_e32 v8, 8, v8
	s_cmp_eq_u32 s25, 0
	s_waitcnt lgkmcnt(0)
	v_pk_mul_f32 v[18:19], v[12:13], v[10:11] op_sel:[1,1] op_sel_hi:[0,1]
	v_pk_fma_f32 v[20:21], v[12:13], v[10:11], v[18:19] neg_lo:[0,0,1] neg_hi:[0,0,1]
	v_pk_fma_f32 v[10:11], v[12:13], v[10:11], v[18:19] op_sel_hi:[1,0,1]
	s_nop 0
	v_mov_b32_e32 v21, v11
	v_pk_add_f32 v[6:7], v[6:7], v[20:21] neg_lo:[0,1] neg_hi:[0,1]
	ds_write_b64 v9, v[6:7]
	s_cbranch_scc0 .LBB151_45
; %bb.46:                               ;   in Loop: Header=BB151_43 Depth=3
	s_sub_i32 s26, s18, s14
	s_ashr_i32 s27, s26, 31
	v_mov_b32_e32 v8, v7
	s_mov_b64 s[24:25], s[26:27]
	s_branch .LBB151_42
.LBB151_47:                             ;   in Loop: Header=BB151_43 Depth=3
                                        ; implicit-def: $vgpr6
                                        ; implicit-def: $vgpr8
                                        ; implicit-def: $sgpr26
                                        ; implicit-def: $sgpr24_sgpr25
	s_cbranch_execz .LBB151_42
; %bb.48:                               ;   in Loop: Header=BB151_43 Depth=3
	ds_read_b64 v[6:7], v14
	s_mov_b64 s[24:25], s[18:19]
	s_mov_b32 s26, s18
	s_waitcnt lgkmcnt(0)
	v_mov_b32_e32 v8, v7
	s_branch .LBB151_42
.LBB151_49:
	s_mov_b64 s[0:1], 0
.LBB151_50:
	s_and_b64 vcc, exec, s[0:1]
	s_cbranch_vccz .LBB151_83
; %bb.51:
	s_add_u32 s0, s12, s2
	s_addc_u32 s1, s13, s3
	v_mov_b32_e32 v4, 0x800
	s_mov_b32 s3, 0
	s_mov_b32 s4, s6
	;; [unrolled: 1-line block ×7, first 2 shown]
	v_lshl_add_u64 v[2:3], v[2:3], 3, s[0:1]
	v_lshl_add_u32 v12, v15, 7, v4
	s_mov_b32 s22, s3
	s_mov_b32 s12, s3
	s_branch .LBB151_53
.LBB151_52:                             ;   in Loop: Header=BB151_53 Depth=1
	s_cmp_ge_i32 s22, s30
	s_cselect_b64 s[0:1], -1, 0
	s_add_i32 s12, s12, 1
	s_cmp_eq_u32 s12, 3
	s_cselect_b64 s[14:15], -1, 0
	s_or_b64 s[0:1], s[0:1], s[14:15]
	s_and_b64 vcc, exec, s[0:1]
	s_cbranch_vccnz .LBB151_83
.LBB151_53:                             ; =>This Loop Header: Depth=1
                                        ;     Child Loop BB151_56 Depth 2
                                        ;       Child Loop BB151_58 Depth 3
                                        ;       Child Loop BB151_62 Depth 3
	;; [unrolled: 1-line block ×3, first 2 shown]
                                        ;         Child Loop BB151_68 Depth 4
                                        ;         Child Loop BB151_74 Depth 4
                                        ;       Child Loop BB151_77 Depth 3
                                        ;         Child Loop BB151_79 Depth 4
	s_mov_b32 s13, s3
	s_lshl_b64 s[0:1], s[12:13], 2
	s_getpc_b64 s[14:15]
	s_add_u32 s14, s14, __const._ZL30rocblas_trsm_small_left_deviceILi16ELi16ELb1E19rocblas_complex_numIfES1_PKPKS1_PKPS1_Ev13rocblas_fill_18rocblas_operation_17rocblas_diagonal_iiT3_T4_lilT5_lili.step_sizes@rel32@lo+4
	s_addc_u32 s15, s15, __const._ZL30rocblas_trsm_small_left_deviceILi16ELi16ELb1E19rocblas_complex_numIfES1_PKPKS1_PKPS1_Ev13rocblas_fill_18rocblas_operation_17rocblas_diagonal_iiT3_T4_lilT5_lili.step_sizes@rel32@hi+12
	s_add_u32 s0, s14, s0
	s_addc_u32 s1, s15, s1
	s_load_dword s13, s[0:1], 0x0
	s_waitcnt lgkmcnt(0)
	s_add_i32 s23, s13, -1
	s_add_i32 s0, s23, s22
	s_cmp_ge_i32 s0, s30
	s_cbranch_scc1 .LBB151_52
; %bb.54:                               ;   in Loop: Header=BB151_53 Depth=1
	s_max_i32 s24, s13, 1
	s_cmp_lg_u32 s12, 2
	s_cselect_b64 s[14:15], -1, 0
	s_and_b32 s25, s24, 0x7ffffffe
	s_cmp_lg_u32 s24, s25
	v_cndmask_b32_e64 v4, 0, 1, s[14:15]
	s_cselect_b64 s[16:17], -1, 0
	s_ashr_i32 s26, s22, 31
	s_ashr_i32 s27, s13, 31
	s_lshl_b32 s28, s22, 3
	s_lshl_b32 s29, s13, 3
	s_mul_i32 s31, s22, 0x88
	s_mul_i32 s33, s13, 0x88
	v_cmp_ne_u32_e64 s[0:1], 1, v4
	s_branch .LBB151_56
.LBB151_55:                             ;   in Loop: Header=BB151_56 Depth=2
	s_add_u32 s22, s22, s13
	s_addc_u32 s26, s26, s27
	s_add_i32 s2, s23, s22
	s_add_i32 s28, s28, s29
	;; [unrolled: 1-line block ×3, first 2 shown]
	s_cmp_ge_i32 s2, s30
	s_cbranch_scc1 .LBB151_52
.LBB151_56:                             ;   Parent Loop BB151_53 Depth=1
                                        ; =>  This Loop Header: Depth=2
                                        ;       Child Loop BB151_58 Depth 3
                                        ;       Child Loop BB151_62 Depth 3
	;; [unrolled: 1-line block ×3, first 2 shown]
                                        ;         Child Loop BB151_68 Depth 4
                                        ;         Child Loop BB151_74 Depth 4
                                        ;       Child Loop BB151_77 Depth 3
                                        ;         Child Loop BB151_79 Depth 4
	s_and_b64 vcc, exec, s[0:1]
	s_cbranch_vccnz .LBB151_60
; %bb.57:                               ;   in Loop: Header=BB151_56 Depth=2
	s_mov_b32 s2, s22
	s_mov_b32 s20, s22
	;; [unrolled: 1-line block ×5, first 2 shown]
	v_mov_b32_e32 v4, v14
.LBB151_58:                             ;   Parent Loop BB151_53 Depth=1
                                        ;     Parent Loop BB151_56 Depth=2
                                        ; =>    This Inner Loop Header: Depth=3
	s_add_i32 s18, s34, s2
	s_add_i32 s36, s21, s20
	s_ashr_i32 s19, s18, 31
	s_ashr_i32 s37, s36, 31
	v_lshl_add_u64 v[6:7], s[18:19], 3, v[0:1]
	v_lshl_add_u64 v[8:9], s[36:37], 3, v[0:1]
	flat_load_dwordx2 v[16:17], v[6:7]
	flat_load_dwordx2 v[10:11], v[8:9]
	s_add_i32 s34, s34, 2
	s_add_i32 s21, s21, 2
	s_add_i32 s35, s35, -2
	s_mov_b32 s36, s25
	s_mov_b64 s[18:19], s[16:17]
	s_cmp_lg_u32 s35, 0
	s_waitcnt vmcnt(0) lgkmcnt(0)
	v_mov_b32_e32 v6, v16
	v_mov_b32_e32 v7, v10
	;; [unrolled: 1-line block ×3, first 2 shown]
	v_pk_mul_f32 v[8:9], v[10:11], s[8:9]
	v_pk_mul_f32 v[10:11], v[10:11], s[4:5]
	v_pk_fma_f32 v[16:17], v[6:7], s[4:5], v[8:9] neg_lo:[0,0,1] neg_hi:[0,0,1]
	v_pk_fma_f32 v[8:9], v[6:7], s[8:9], v[10:11]
	v_mov_b32_e32 v6, v16
	v_mov_b32_e32 v7, v8
	;; [unrolled: 1-line block ×3, first 2 shown]
	ds_write_b128 v4, v[6:9]
	v_add_u32_e32 v4, 16, v4
	s_cbranch_scc1 .LBB151_58
; %bb.59:                               ;   in Loop: Header=BB151_56 Depth=2
	s_and_b64 vcc, exec, s[18:19]
	s_cbranch_vccnz .LBB151_61
	s_branch .LBB151_63
.LBB151_60:                             ;   in Loop: Header=BB151_56 Depth=2
	s_mov_b32 s36, 0
	s_cbranch_execz .LBB151_63
.LBB151_61:                             ;   in Loop: Header=BB151_56 Depth=2
	s_sub_i32 s2, s24, s36
	s_add_u32 s18, s22, s36
	s_addc_u32 s19, s26, 0
	v_lshl_add_u64 v[4:5], s[18:19], 3, v[2:3]
	v_lshl_add_u32 v6, s36, 3, v12
.LBB151_62:                             ;   Parent Loop BB151_53 Depth=1
                                        ;     Parent Loop BB151_56 Depth=2
                                        ; =>    This Inner Loop Header: Depth=3
	flat_load_dwordx2 v[8:9], v[4:5]
	s_add_i32 s2, s2, -1
	v_lshl_add_u64 v[4:5], v[4:5], 0, 8
	s_cmp_eq_u32 s2, 0
	s_waitcnt vmcnt(0) lgkmcnt(0)
	v_pk_mul_f32 v[10:11], v[8:9], s[10:11] op_sel:[1,0]
	s_nop 0
	v_pk_fma_f32 v[16:17], v[8:9], s[6:7], v[10:11] neg_lo:[0,0,1] neg_hi:[0,0,1]
	v_pk_fma_f32 v[8:9], v[8:9], s[6:7], v[10:11] op_sel_hi:[0,1,1]
	v_mov_b32_e32 v17, v9
	ds_write_b64 v6, v[16:17]
	v_add_u32_e32 v6, 8, v6
	s_cbranch_scc0 .LBB151_62
.LBB151_63:                             ;   in Loop: Header=BB151_56 Depth=2
	s_cmp_lt_i32 s22, 1
	s_cbranch_scc1 .LBB151_75
; %bb.64:                               ;   in Loop: Header=BB151_56 Depth=2
	s_mov_b32 s2, 0
	s_mov_b32 s34, s28
	s_branch .LBB151_66
.LBB151_65:                             ;   in Loop: Header=BB151_66 Depth=3
	s_add_i32 s2, s2, 1
	s_addk_i32 s34, 0x80
	s_cmp_eq_u32 s2, s22
	s_cbranch_scc1 .LBB151_75
.LBB151_66:                             ;   Parent Loop BB151_53 Depth=1
                                        ;     Parent Loop BB151_56 Depth=2
                                        ; =>    This Loop Header: Depth=3
                                        ;         Child Loop BB151_68 Depth 4
                                        ;         Child Loop BB151_74 Depth 4
	v_lshl_add_u64 v[4:5], s[2:3], 3, v[0:1]
	flat_load_dwordx2 v[4:5], v[4:5]
	s_and_b64 vcc, exec, s[14:15]
	s_cbranch_vccz .LBB151_70
; %bb.67:                               ;   in Loop: Header=BB151_66 Depth=3
	s_waitcnt vmcnt(0) lgkmcnt(0)
	v_mov_b32_e32 v8, v4
	v_mov_b32_e32 v9, v4
	;; [unrolled: 1-line block ×5, first 2 shown]
	s_mov_b32 s18, s25
	v_mov_b32_e32 v7, v14
	s_mov_b32 s19, s34
.LBB151_68:                             ;   Parent Loop BB151_53 Depth=1
                                        ;     Parent Loop BB151_56 Depth=2
                                        ;       Parent Loop BB151_66 Depth=3
                                        ; =>      This Inner Loop Header: Depth=4
	v_mov_b32_e32 v13, s19
	ds_read_b128 v[16:19], v7
	ds_read2_b64 v[20:23], v13 offset1:1
	s_add_i32 s19, s19, 16
	s_add_i32 s18, s18, -2
	s_cmp_lg_u32 s18, 0
	s_waitcnt lgkmcnt(1)
	v_mov_b32_e32 v25, v18
	v_mov_b32_e32 v18, v17
	s_waitcnt lgkmcnt(0)
	v_mov_b32_e32 v17, v22
	v_mov_b32_e32 v22, v21
	;; [unrolled: 1-line block ×4, first 2 shown]
	v_pk_mul_f32 v[20:21], v[22:23], v[10:11]
	v_pk_mul_f32 v[22:23], v[22:23], v[8:9]
	v_pk_fma_f32 v[20:21], v[16:17], v[8:9], v[20:21] neg_lo:[0,0,1] neg_hi:[0,0,1]
	v_pk_fma_f32 v[16:17], v[16:17], v[10:11], v[22:23]
	v_pk_add_f32 v[20:21], v[24:25], v[20:21] neg_lo:[0,1] neg_hi:[0,1]
	v_pk_add_f32 v[18:19], v[18:19], v[16:17] neg_lo:[0,1] neg_hi:[0,1]
	v_mov_b32_e32 v16, v20
	v_mov_b32_e32 v17, v18
	;; [unrolled: 1-line block ×3, first 2 shown]
	ds_write_b128 v7, v[16:19]
	v_add_u32_e32 v7, 16, v7
	s_cbranch_scc1 .LBB151_68
; %bb.69:                               ;   in Loop: Header=BB151_66 Depth=3
	s_mov_b64 s[18:19], s[16:17]
	s_mov_b32 s20, s25
	s_branch .LBB151_72
.LBB151_70:                             ;   in Loop: Header=BB151_66 Depth=3
	s_waitcnt vmcnt(0) lgkmcnt(0)
	v_mov_b32_e32 v6, v5
	s_mov_b64 s[18:19], 0
	s_mov_b32 s20, s25
	s_cbranch_execz .LBB151_72
; %bb.71:                               ;   in Loop: Header=BB151_66 Depth=3
	s_mov_b64 s[18:19], -1
	s_mov_b32 s20, 0
.LBB151_72:                             ;   in Loop: Header=BB151_66 Depth=3
	s_andn2_b64 vcc, exec, s[18:19]
	s_cbranch_vccnz .LBB151_65
; %bb.73:                               ;   in Loop: Header=BB151_66 Depth=3
	v_mov_b32_e32 v7, v5
	v_mov_b32_e32 v5, v4
	s_sub_i32 s18, s24, s20
	s_lshl_b32 s19, s20, 3
.LBB151_74:                             ;   Parent Loop BB151_53 Depth=1
                                        ;     Parent Loop BB151_56 Depth=2
                                        ;       Parent Loop BB151_66 Depth=3
                                        ; =>      This Inner Loop Header: Depth=4
	s_add_i32 s20, s34, s19
	v_mov_b32_e32 v8, s20
	ds_read_b64 v[8:9], v8
	v_add_u32_e32 v13, s19, v14
	ds_read_b64 v[10:11], v13
	s_add_i32 s18, s18, -1
	s_add_i32 s19, s19, 8
	s_waitcnt lgkmcnt(1)
	v_pk_mul_f32 v[16:17], v[8:9], v[6:7] op_sel:[1,0] op_sel_hi:[0,1]
	v_pk_fma_f32 v[18:19], v[8:9], v[4:5], v[16:17] neg_lo:[0,0,1] neg_hi:[0,0,1]
	v_pk_fma_f32 v[8:9], v[8:9], v[4:5], v[16:17]
	s_cmp_eq_u32 s18, 0
	v_mov_b32_e32 v19, v9
	s_waitcnt lgkmcnt(0)
	v_pk_add_f32 v[8:9], v[10:11], v[18:19] neg_lo:[0,1] neg_hi:[0,1]
	ds_write_b64 v13, v[8:9]
	s_cbranch_scc0 .LBB151_74
	s_branch .LBB151_65
.LBB151_75:                             ;   in Loop: Header=BB151_56 Depth=2
	s_mov_b32 s2, 0
	s_mov_b32 s20, s31
	s_branch .LBB151_77
.LBB151_76:                             ;   in Loop: Header=BB151_77 Depth=3
	s_add_i32 s18, s2, s22
	s_mul_i32 s19, s18, 0x88
	v_mov_b32_e32 v5, s19
	ds_read_b64 v[8:9], v5
	s_add_i32 s2, s2, 1
	s_ashr_i32 s19, s18, 31
	s_add_i32 s20, s20, 8
	v_lshl_add_u64 v[10:11], s[18:19], 3, v[0:1]
	s_waitcnt lgkmcnt(0)
	v_pk_mul_f32 v[16:17], v[8:9], v[6:7] op_sel:[1,0] op_sel_hi:[0,0]
	v_pk_fma_f32 v[18:19], v[8:9], v[4:5], v[16:17] neg_lo:[0,0,1] neg_hi:[0,0,1]
	v_pk_fma_f32 v[4:5], v[8:9], v[4:5], v[16:17] op_sel_hi:[1,0,1]
	s_cmp_eq_u32 s2, s24
	v_mov_b32_e32 v19, v5
	ds_write_b64 v7, v[18:19]
	flat_store_dwordx2 v[10:11], v[18:19]
	s_cbranch_scc1 .LBB151_55
.LBB151_77:                             ;   Parent Loop BB151_53 Depth=1
                                        ;     Parent Loop BB151_56 Depth=2
                                        ; =>    This Loop Header: Depth=3
                                        ;         Child Loop BB151_79 Depth 4
	s_cmp_lg_u32 s2, 0
	v_lshl_add_u32 v7, s2, 3, v14
	s_cbranch_scc0 .LBB151_81
; %bb.78:                               ;   in Loop: Header=BB151_77 Depth=3
	ds_read_b64 v[4:5], v7
	v_mov_b32_e32 v6, v14
	s_mov_b32 s18, s20
	s_mov_b32 s19, s2
.LBB151_79:                             ;   Parent Loop BB151_53 Depth=1
                                        ;     Parent Loop BB151_56 Depth=2
                                        ;       Parent Loop BB151_77 Depth=3
                                        ; =>      This Inner Loop Header: Depth=4
	v_mov_b32_e32 v10, s18
	ds_read_b64 v[8:9], v6
	ds_read_b64 v[10:11], v10
	s_add_i32 s19, s19, -1
	s_addk_i32 s18, 0x80
	v_add_u32_e32 v6, 8, v6
	s_cmp_eq_u32 s19, 0
	s_waitcnt lgkmcnt(0)
	v_pk_mul_f32 v[16:17], v[10:11], v[8:9] op_sel:[1,1] op_sel_hi:[0,1]
	v_pk_fma_f32 v[18:19], v[10:11], v[8:9], v[16:17] neg_lo:[0,0,1] neg_hi:[0,0,1]
	v_pk_fma_f32 v[8:9], v[10:11], v[8:9], v[16:17] op_sel_hi:[1,0,1]
	s_nop 0
	v_mov_b32_e32 v19, v9
	v_pk_add_f32 v[4:5], v[4:5], v[18:19] neg_lo:[0,1] neg_hi:[0,1]
	ds_write_b64 v7, v[4:5]
	s_cbranch_scc0 .LBB151_79
; %bb.80:                               ;   in Loop: Header=BB151_77 Depth=3
	v_mov_b32_e32 v6, v5
	s_branch .LBB151_76
.LBB151_81:                             ;   in Loop: Header=BB151_77 Depth=3
                                        ; implicit-def: $vgpr4
                                        ; implicit-def: $vgpr6
	s_cbranch_execz .LBB151_76
; %bb.82:                               ;   in Loop: Header=BB151_77 Depth=3
	ds_read_b64 v[4:5], v14
	s_waitcnt lgkmcnt(0)
	v_mov_b32_e32 v6, v5
	s_branch .LBB151_76
.LBB151_83:
	s_endpgm
	.section	.rodata,"a",@progbits
	.p2align	6, 0x0
	.amdhsa_kernel _ZL30rocblas_trsm_small_left_deviceILi16ELi16ELb1E19rocblas_complex_numIfES1_PKPKS1_PKPS1_Ev13rocblas_fill_18rocblas_operation_17rocblas_diagonal_iiT3_T4_lilT5_lili
		.amdhsa_group_segment_fixed_size 4096
		.amdhsa_private_segment_fixed_size 0
		.amdhsa_kernarg_size 360
		.amdhsa_user_sgpr_count 4
		.amdhsa_user_sgpr_dispatch_ptr 1
		.amdhsa_user_sgpr_queue_ptr 0
		.amdhsa_user_sgpr_kernarg_segment_ptr 1
		.amdhsa_user_sgpr_dispatch_id 0
		.amdhsa_user_sgpr_kernarg_preload_length 0
		.amdhsa_user_sgpr_kernarg_preload_offset 0
		.amdhsa_user_sgpr_private_segment_size 0
		.amdhsa_uses_dynamic_stack 0
		.amdhsa_enable_private_segment 0
		.amdhsa_system_sgpr_workgroup_id_x 1
		.amdhsa_system_sgpr_workgroup_id_y 0
		.amdhsa_system_sgpr_workgroup_id_z 1
		.amdhsa_system_sgpr_workgroup_info 0
		.amdhsa_system_vgpr_workitem_id 2
		.amdhsa_next_free_vgpr 28
		.amdhsa_next_free_sgpr 44
		.amdhsa_accum_offset 28
		.amdhsa_reserve_vcc 1
		.amdhsa_float_round_mode_32 0
		.amdhsa_float_round_mode_16_64 0
		.amdhsa_float_denorm_mode_32 3
		.amdhsa_float_denorm_mode_16_64 3
		.amdhsa_dx10_clamp 1
		.amdhsa_ieee_mode 1
		.amdhsa_fp16_overflow 0
		.amdhsa_tg_split 0
		.amdhsa_exception_fp_ieee_invalid_op 0
		.amdhsa_exception_fp_denorm_src 0
		.amdhsa_exception_fp_ieee_div_zero 0
		.amdhsa_exception_fp_ieee_overflow 0
		.amdhsa_exception_fp_ieee_underflow 0
		.amdhsa_exception_fp_ieee_inexact 0
		.amdhsa_exception_int_div_zero 0
	.end_amdhsa_kernel
	.section	.text._ZL30rocblas_trsm_small_left_deviceILi16ELi16ELb1E19rocblas_complex_numIfES1_PKPKS1_PKPS1_Ev13rocblas_fill_18rocblas_operation_17rocblas_diagonal_iiT3_T4_lilT5_lili,"axG",@progbits,_ZL30rocblas_trsm_small_left_deviceILi16ELi16ELb1E19rocblas_complex_numIfES1_PKPKS1_PKPS1_Ev13rocblas_fill_18rocblas_operation_17rocblas_diagonal_iiT3_T4_lilT5_lili,comdat
.Lfunc_end151:
	.size	_ZL30rocblas_trsm_small_left_deviceILi16ELi16ELb1E19rocblas_complex_numIfES1_PKPKS1_PKPS1_Ev13rocblas_fill_18rocblas_operation_17rocblas_diagonal_iiT3_T4_lilT5_lili, .Lfunc_end151-_ZL30rocblas_trsm_small_left_deviceILi16ELi16ELb1E19rocblas_complex_numIfES1_PKPKS1_PKPS1_Ev13rocblas_fill_18rocblas_operation_17rocblas_diagonal_iiT3_T4_lilT5_lili
                                        ; -- End function
	.set _ZL30rocblas_trsm_small_left_deviceILi16ELi16ELb1E19rocblas_complex_numIfES1_PKPKS1_PKPS1_Ev13rocblas_fill_18rocblas_operation_17rocblas_diagonal_iiT3_T4_lilT5_lili.num_vgpr, 28
	.set _ZL30rocblas_trsm_small_left_deviceILi16ELi16ELb1E19rocblas_complex_numIfES1_PKPKS1_PKPS1_Ev13rocblas_fill_18rocblas_operation_17rocblas_diagonal_iiT3_T4_lilT5_lili.num_agpr, 0
	.set _ZL30rocblas_trsm_small_left_deviceILi16ELi16ELb1E19rocblas_complex_numIfES1_PKPKS1_PKPS1_Ev13rocblas_fill_18rocblas_operation_17rocblas_diagonal_iiT3_T4_lilT5_lili.numbered_sgpr, 44
	.set _ZL30rocblas_trsm_small_left_deviceILi16ELi16ELb1E19rocblas_complex_numIfES1_PKPKS1_PKPS1_Ev13rocblas_fill_18rocblas_operation_17rocblas_diagonal_iiT3_T4_lilT5_lili.num_named_barrier, 0
	.set _ZL30rocblas_trsm_small_left_deviceILi16ELi16ELb1E19rocblas_complex_numIfES1_PKPKS1_PKPS1_Ev13rocblas_fill_18rocblas_operation_17rocblas_diagonal_iiT3_T4_lilT5_lili.private_seg_size, 0
	.set _ZL30rocblas_trsm_small_left_deviceILi16ELi16ELb1E19rocblas_complex_numIfES1_PKPKS1_PKPS1_Ev13rocblas_fill_18rocblas_operation_17rocblas_diagonal_iiT3_T4_lilT5_lili.uses_vcc, 1
	.set _ZL30rocblas_trsm_small_left_deviceILi16ELi16ELb1E19rocblas_complex_numIfES1_PKPKS1_PKPS1_Ev13rocblas_fill_18rocblas_operation_17rocblas_diagonal_iiT3_T4_lilT5_lili.uses_flat_scratch, 0
	.set _ZL30rocblas_trsm_small_left_deviceILi16ELi16ELb1E19rocblas_complex_numIfES1_PKPKS1_PKPS1_Ev13rocblas_fill_18rocblas_operation_17rocblas_diagonal_iiT3_T4_lilT5_lili.has_dyn_sized_stack, 0
	.set _ZL30rocblas_trsm_small_left_deviceILi16ELi16ELb1E19rocblas_complex_numIfES1_PKPKS1_PKPS1_Ev13rocblas_fill_18rocblas_operation_17rocblas_diagonal_iiT3_T4_lilT5_lili.has_recursion, 0
	.set _ZL30rocblas_trsm_small_left_deviceILi16ELi16ELb1E19rocblas_complex_numIfES1_PKPKS1_PKPS1_Ev13rocblas_fill_18rocblas_operation_17rocblas_diagonal_iiT3_T4_lilT5_lili.has_indirect_call, 0
	.section	.AMDGPU.csdata,"",@progbits
; Kernel info:
; codeLenInByte = 3512
; TotalNumSgprs: 50
; NumVgprs: 28
; NumAgprs: 0
; TotalNumVgprs: 28
; ScratchSize: 0
; MemoryBound: 0
; FloatMode: 240
; IeeeMode: 1
; LDSByteSize: 4096 bytes/workgroup (compile time only)
; SGPRBlocks: 6
; VGPRBlocks: 3
; NumSGPRsForWavesPerEU: 50
; NumVGPRsForWavesPerEU: 28
; AccumOffset: 28
; Occupancy: 8
; WaveLimiterHint : 1
; COMPUTE_PGM_RSRC2:SCRATCH_EN: 0
; COMPUTE_PGM_RSRC2:USER_SGPR: 4
; COMPUTE_PGM_RSRC2:TRAP_HANDLER: 0
; COMPUTE_PGM_RSRC2:TGID_X_EN: 1
; COMPUTE_PGM_RSRC2:TGID_Y_EN: 0
; COMPUTE_PGM_RSRC2:TGID_Z_EN: 1
; COMPUTE_PGM_RSRC2:TIDIG_COMP_CNT: 2
; COMPUTE_PGM_RSRC3_GFX90A:ACCUM_OFFSET: 6
; COMPUTE_PGM_RSRC3_GFX90A:TG_SPLIT: 0
	.section	.text._ZL31rocblas_trsm_small_right_deviceI19rocblas_complex_numIfES1_PKPKS1_PKPS1_Li16EEv13rocblas_fill_18rocblas_operation_17rocblas_diagonal_iiT0_T1_lilT2_lili,"axG",@progbits,_ZL31rocblas_trsm_small_right_deviceI19rocblas_complex_numIfES1_PKPKS1_PKPS1_Li16EEv13rocblas_fill_18rocblas_operation_17rocblas_diagonal_iiT0_T1_lilT2_lili,comdat
	.globl	_ZL31rocblas_trsm_small_right_deviceI19rocblas_complex_numIfES1_PKPKS1_PKPS1_Li16EEv13rocblas_fill_18rocblas_operation_17rocblas_diagonal_iiT0_T1_lilT2_lili ; -- Begin function _ZL31rocblas_trsm_small_right_deviceI19rocblas_complex_numIfES1_PKPKS1_PKPS1_Li16EEv13rocblas_fill_18rocblas_operation_17rocblas_diagonal_iiT0_T1_lilT2_lili
	.p2align	8
	.type	_ZL31rocblas_trsm_small_right_deviceI19rocblas_complex_numIfES1_PKPKS1_PKPS1_Li16EEv13rocblas_fill_18rocblas_operation_17rocblas_diagonal_iiT0_T1_lilT2_lili,@function
_ZL31rocblas_trsm_small_right_deviceI19rocblas_complex_numIfES1_PKPKS1_PKPS1_Li16EEv13rocblas_fill_18rocblas_operation_17rocblas_diagonal_iiT0_T1_lilT2_lili: ; @_ZL31rocblas_trsm_small_right_deviceI19rocblas_complex_numIfES1_PKPKS1_PKPS1_Li16EEv13rocblas_fill_18rocblas_operation_17rocblas_diagonal_iiT0_T1_lilT2_lili
; %bb.0:
	s_load_dwordx4 s[12:15], s[0:1], 0x40
	s_load_dwordx8 s[4:11], s[0:1], 0x0
	s_mov_b32 s16, s3
	s_mov_b32 s17, 0
	s_lshl_b64 s[20:21], s[16:17], 3
	s_waitcnt lgkmcnt(0)
	s_add_u32 s12, s12, s20
	s_addc_u32 s13, s13, s21
	s_load_dwordx2 s[12:13], s[12:13], 0x0
	s_min_i32 s28, s8, 16
	v_cmp_gt_i32_e32 vcc, s28, v0
	s_and_saveexec_b64 s[16:17], vcc
	s_cbranch_execz .LBB152_9
; %bb.1:
	s_load_dword s22, s[0:1], 0x30
	s_load_dwordx4 s[24:27], s[0:1], 0x20
	v_lshlrev_b32_e32 v2, 3, v0
	v_mov_b32_e32 v3, 0
	v_mov_b32_e32 v1, v2
	s_waitcnt lgkmcnt(0)
	s_ashr_i32 s23, s22, 31
	s_cmpk_lg_i32 s5, 0x71
	s_cselect_b64 s[18:19], -1, 0
	s_add_u32 s20, s24, s20
	s_addc_u32 s21, s25, s21
	s_load_dwordx2 s[20:21], s[20:21], 0x0
	s_lshl_b64 s[24:25], s[26:27], 3
	s_mov_b32 s3, s28
	s_waitcnt lgkmcnt(0)
	s_add_u32 s24, s20, s24
	s_addc_u32 s25, s21, s25
	s_lshl_b64 s[20:21], s[22:23], 3
	v_lshl_add_u64 v[4:5], s[24:25], 0, v[2:3]
	s_branch .LBB152_3
.LBB152_2:                              ;   in Loop: Header=BB152_3 Depth=1
	flat_load_dword v6, v[4:5]
	s_add_i32 s3, s3, -1
	v_lshl_add_u64 v[4:5], v[4:5], 0, s[20:21]
	s_cmp_eq_u32 s3, 0
	s_waitcnt vmcnt(0) lgkmcnt(0)
	ds_write_b64 v1, v[6:7]
	v_add_u32_e32 v1, 0x80, v1
	s_cbranch_scc1 .LBB152_7
.LBB152_3:                              ; =>This Inner Loop Header: Depth=1
	s_mov_b64 s[22:23], -1
	s_and_b64 vcc, exec, s[18:19]
                                        ; implicit-def: $vgpr7
	s_cbranch_vccz .LBB152_5
; %bb.4:                                ;   in Loop: Header=BB152_3 Depth=1
	flat_load_dword v7, v[4:5] offset:4
	s_mov_b64 s[22:23], 0
.LBB152_5:                              ;   in Loop: Header=BB152_3 Depth=1
	s_andn2_b64 vcc, exec, s[22:23]
	s_cbranch_vccnz .LBB152_2
; %bb.6:                                ;   in Loop: Header=BB152_3 Depth=1
	flat_load_dword v3, v[4:5] offset:4
	s_waitcnt vmcnt(0) lgkmcnt(0)
	v_xor_b32_e32 v7, 0x80000000, v3
	s_branch .LBB152_2
.LBB152_7:
	s_cmpk_eq_i32 s6, 0x84
	s_cbranch_scc0 .LBB152_9
; %bb.8:
	v_lshl_or_b32 v1, v0, 7, v2
	v_mov_b32_e32 v2, 1.0
	v_mov_b32_e32 v3, 0
	ds_write_b64 v1, v[2:3]
.LBB152_9:
	s_or_b64 exec, exec, s[16:17]
	s_load_dword s3, s[0:1], 0x68
	s_load_dword s6, s[0:1], 0x50
	s_lshl_b64 s[18:19], s[14:15], 3
	s_waitcnt lgkmcnt(0)
	s_add_u32 s0, s12, s18
	s_addc_u32 s1, s13, s19
	s_lshl_b32 s11, s2, 4
	s_add_i32 s3, s3, -1
	s_sub_i32 s7, s7, s11
	s_cmp_ge_u32 s2, s3
	s_cselect_b32 s7, s7, 16
	s_ashr_i32 s3, s2, 31
	s_lshl_b64 s[20:21], s[2:3], 7
	s_add_u32 s2, s0, s20
	s_addc_u32 s3, s1, s21
	v_cmp_gt_i32_e64 s[0:1], s7, v0
	s_and_saveexec_b64 s[14:15], s[0:1]
	s_cbranch_execz .LBB152_18
; %bb.10:
	s_cmp_lt_i32 s8, 1
	s_cbranch_scc1 .LBB152_18
; %bb.11:
	s_cmp_eq_u32 s8, 1
	s_cselect_b64 s[22:23], -1, 0
	s_cmp_lg_u32 s6, 1
	s_cselect_b64 s[24:25], -1, 0
	s_or_b64 s[22:23], s[22:23], s[24:25]
	s_mov_b32 s16, s9
	s_mov_b32 s17, s10
	v_mov_b32_e32 v3, 0
	s_and_b64 vcc, exec, s[22:23]
	s_cbranch_vccnz .LBB152_15
; %bb.12:
	v_lshlrev_b32_e32 v2, 3, v0
	v_mov_b32_e32 v1, 0x800
	s_and_b32 s29, s8, 0x7ffffffe
	s_mov_b32 s27, 0
	v_lshl_add_u64 v[2:3], s[2:3], 0, v[2:3]
	v_lshl_or_b32 v1, v0, 3, v1
	s_mov_b32 s22, s16
	s_mov_b32 s23, s9
	;; [unrolled: 1-line block ×6, first 2 shown]
.LBB152_13:                             ; =>This Inner Loop Header: Depth=1
	v_lshl_add_u64 v[4:5], s[26:27], 3, v[2:3]
	s_mov_b32 s25, s27
	v_lshl_add_u64 v[6:7], s[24:25], 3, v[2:3]
	flat_load_dwordx2 v[12:13], v[4:5]
	flat_load_dwordx2 v[8:9], v[6:7]
	v_lshl_add_u32 v10, s26, 7, v1
	v_lshl_add_u32 v11, s24, 7, v1
	s_add_i32 s26, s26, 2
	s_add_i32 s7, s7, -2
	s_add_i32 s24, s24, 2
	s_cmp_lg_u32 s7, 0
	s_waitcnt vmcnt(0) lgkmcnt(0)
	v_mov_b32_e32 v4, v12
	v_mov_b32_e32 v5, v8
	;; [unrolled: 1-line block ×3, first 2 shown]
	v_pk_mul_f32 v[6:7], s[10:11], v[8:9]
	v_pk_mul_f32 v[8:9], s[22:23], v[8:9]
	v_pk_fma_f32 v[6:7], s[22:23], v[4:5], v[6:7] neg_lo:[0,0,1] neg_hi:[0,0,1]
	v_pk_fma_f32 v[4:5], s[10:11], v[4:5], v[8:9]
	ds_write_b32 v10, v6
	ds_write_b32 v11, v7
	ds_write_b32 v10, v4 offset:4
	ds_write_b32 v11, v5 offset:4
	s_cbranch_scc1 .LBB152_13
; %bb.14:
	s_cmp_lg_u32 s8, s29
	s_cselect_b64 s[22:23], -1, 0
	s_and_b64 vcc, exec, s[22:23]
	s_cbranch_vccnz .LBB152_16
	s_branch .LBB152_18
.LBB152_15:
	s_mov_b32 s29, 0
	s_cbranch_execz .LBB152_18
.LBB152_16:
	s_mul_hi_i32 s23, s6, s29
	s_mul_i32 s22, s6, s29
	s_ashr_i32 s7, s6, 31
	s_mov_b32 s11, s9
	s_sub_i32 s9, s8, s29
	s_lshl_b64 s[22:23], s[22:23], 3
	s_add_u32 s20, s22, s20
	s_addc_u32 s21, s23, s21
	s_add_u32 s18, s20, s18
	s_addc_u32 s19, s21, s19
	v_lshlrev_b32_e32 v4, 3, v0
	s_add_u32 s12, s12, s18
	v_mov_b32_e32 v5, 0
	s_addc_u32 s13, s13, s19
	v_lshl_or_b32 v1, s29, 7, v4
	v_lshl_add_u64 v[2:3], s[12:13], 0, v[4:5]
	s_lshl_b64 s[12:13], s[6:7], 3
	v_add_u32_e32 v1, 0x800, v1
.LBB152_17:                             ; =>This Inner Loop Header: Depth=1
	flat_load_dwordx2 v[4:5], v[2:3]
	s_add_i32 s9, s9, -1
	v_lshl_add_u64 v[2:3], v[2:3], 0, s[12:13]
	s_cmp_lg_u32 s9, 0
	s_waitcnt vmcnt(0) lgkmcnt(0)
	v_pk_mul_f32 v[6:7], s[10:11], v[4:5] op_sel:[0,1]
	s_nop 0
	v_pk_fma_f32 v[8:9], s[16:17], v[4:5], v[6:7] neg_lo:[0,0,1] neg_hi:[0,0,1]
	v_pk_fma_f32 v[4:5], s[16:17], v[4:5], v[6:7] op_sel_hi:[1,0,1]
	s_nop 0
	v_mov_b32_e32 v9, v5
	ds_write_b64 v1, v[8:9]
	v_add_u32_e32 v1, 0x80, v1
	s_cbranch_scc1 .LBB152_17
.LBB152_18:
	s_or_b64 exec, exec, s[14:15]
	s_cmpk_eq_i32 s5, 0x6f
	s_cselect_b64 s[12:13], -1, 0
	s_cmpk_lg_i32 s4, 0x79
	s_cselect_b64 s[10:11], -1, 0
	s_cmpk_eq_i32 s4, 0x79
	s_cselect_b64 s[14:15], -1, 0
	s_and_b64 s[14:15], s[14:15], s[12:13]
	s_andn2_b64 vcc, exec, s[14:15]
	s_mov_b64 s[14:15], -1
	s_waitcnt lgkmcnt(0)
	; wave barrier
	s_cbranch_vccz .LBB152_119
; %bb.19:
	s_cmpk_lg_i32 s4, 0x7a
	s_cselect_b64 s[4:5], -1, 0
	s_xor_b64 s[12:13], s[12:13], -1
	s_add_i32 s7, s28, -1
	s_or_b64 s[12:13], s[4:5], s[12:13]
	v_mov_b32_e32 v1, 0x800
	s_cmp_gt_i32 s8, 3
	v_lshl_or_b32 v1, v0, 3, v1
	s_cselect_b64 s[4:5], -1, 0
	s_and_b64 vcc, exec, s[12:13]
	s_cbranch_vccz .LBB152_86
; %bb.20:
	s_andn2_b64 vcc, exec, s[10:11]
	s_mov_b64 s[10:11], -1
	s_cbranch_vccnz .LBB152_53
; %bb.21:
	s_andn2_b64 vcc, exec, s[4:5]
	s_mov_b32 s13, 0
	s_cbranch_vccnz .LBB152_43
; %bb.22:
	v_mov_b32_e32 v2, 0x800
	v_lshl_or_b32 v14, v0, 3, v2
	s_mov_b32 s9, 0
	s_mov_b32 s12, 0
.LBB152_23:                             ; =>This Loop Header: Depth=1
                                        ;     Child Loop BB152_24 Depth 2
	s_lshl_b32 s10, s12, 7
	v_add_u32_e32 v18, s10, v1
	s_or_b32 s16, s12, 1
	s_or_b32 s13, s12, 2
	;; [unrolled: 1-line block ×3, first 2 shown]
	v_lshl_add_u32 v17, s16, 7, v1
	v_lshl_add_u32 v16, s13, 7, v1
	v_add_u32_e32 v15, s11, v1
	ds_read_b64 v[2:3], v18
	ds_read_b64 v[12:13], v17
	;; [unrolled: 1-line block ×4, first 2 shown]
	s_cmp_eq_u32 s12, 0
	v_mov_b32_e32 v4, v14
	s_mov_b32 s11, s9
	s_mov_b32 s14, s12
	s_cbranch_scc1 .LBB152_25
.LBB152_24:                             ;   Parent Loop BB152_23 Depth=1
                                        ; =>  This Inner Loop Header: Depth=2
	v_mov_b32_e32 v5, s11
	ds_read_b64 v[10:11], v4
	ds_read_b128 v[20:23], v5
	ds_read_b128 v[24:27], v5 offset:16
	s_add_i32 s14, s14, -1
	s_addk_i32 s11, 0x80
	v_add_u32_e32 v4, 0x80, v4
	s_waitcnt lgkmcnt(1)
	v_mul_f32_e32 v5, v21, v11
	v_mul_f32_e32 v19, v20, v11
	v_mul_f32_e32 v32, v23, v11
	v_mul_f32_e32 v33, v23, v10
	s_waitcnt lgkmcnt(0)
	v_pk_mul_f32 v[28:29], v[24:25], v[10:11] op_sel:[0,1]
	v_pk_mul_f32 v[30:31], v[26:27], v[10:11] op_sel:[0,1]
	v_fma_f32 v5, v20, v10, -v5
	v_fmac_f32_e32 v19, v21, v10
	v_fma_f32 v32, v22, v10, -v32
	v_fmac_f32_e32 v33, v22, v11
	v_pk_fma_f32 v[20:21], v[24:25], v[10:11], v[28:29] op_sel:[0,0,1] op_sel_hi:[1,1,0] neg_lo:[0,0,1] neg_hi:[0,0,1]
	v_pk_fma_f32 v[22:23], v[24:25], v[10:11], v[28:29] op_sel:[0,0,1] op_sel_hi:[1,0,0]
	v_pk_fma_f32 v[24:25], v[26:27], v[10:11], v[30:31] op_sel:[0,0,1] op_sel_hi:[1,1,0] neg_lo:[0,0,1] neg_hi:[0,0,1]
	v_pk_fma_f32 v[10:11], v[26:27], v[10:11], v[30:31] op_sel:[0,0,1] op_sel_hi:[1,0,0]
	v_mov_b32_e32 v21, v23
	v_mov_b32_e32 v25, v11
	s_cmp_eq_u32 s14, 0
	v_sub_f32_e32 v2, v2, v5
	v_sub_f32_e32 v3, v3, v19
	v_sub_f32_e32 v12, v12, v32
	v_sub_f32_e32 v13, v13, v33
	v_pk_add_f32 v[8:9], v[8:9], v[20:21] neg_lo:[0,1] neg_hi:[0,1]
	v_pk_add_f32 v[6:7], v[6:7], v[24:25] neg_lo:[0,1] neg_hi:[0,1]
	s_cbranch_scc0 .LBB152_24
.LBB152_25:                             ;   in Loop: Header=BB152_23 Depth=1
	s_lshl_b32 s14, s12, 3
	s_add_i32 s15, s14, s10
	v_mov_b32_e32 v4, s15
	ds_read_b64 v[4:5], v4
	s_mov_b64 s[10:11], -1
                                        ; implicit-def: $vgpr11
	s_waitcnt lgkmcnt(0)
	v_cmp_ngt_f32_e64 s[18:19], |v4|, |v5|
	s_and_b64 vcc, exec, s[18:19]
	s_cbranch_vccz .LBB152_27
; %bb.26:                               ;   in Loop: Header=BB152_23 Depth=1
	v_div_scale_f32 v10, s[10:11], v5, v5, v4
	v_rcp_f32_e32 v11, v10
	v_div_scale_f32 v19, vcc, v4, v5, v4
	v_fma_f32 v20, -v10, v11, 1.0
	v_fmac_f32_e32 v11, v20, v11
	v_mul_f32_e32 v20, v19, v11
	v_fma_f32 v21, -v10, v20, v19
	v_fmac_f32_e32 v20, v21, v11
	v_fma_f32 v10, -v10, v20, v19
	v_div_fmas_f32 v10, v10, v11, v20
	v_div_fixup_f32 v11, v10, v5, v4
	v_fma_f32 v10, v4, v11, v5
	v_div_scale_f32 v19, s[10:11], v10, v10, 1.0
	v_rcp_f32_e32 v20, v19
	s_mov_b64 s[10:11], 0
	v_fma_f32 v21, -v19, v20, 1.0
	v_fmac_f32_e32 v20, v21, v20
	v_div_scale_f32 v21, vcc, 1.0, v10, 1.0
	v_mul_f32_e32 v22, v21, v20
	v_fma_f32 v23, -v19, v22, v21
	v_fmac_f32_e32 v22, v23, v20
	v_fma_f32 v19, -v19, v22, v21
	v_div_fmas_f32 v19, v19, v20, v22
	v_div_fixup_f32 v19, v19, v10, 1.0
	v_fma_f32 v10, v2, v11, v3
	v_fma_f32 v11, v3, v11, -v2
	v_mul_f32_e32 v10, v10, v19
	v_mul_f32_e32 v11, v11, v19
.LBB152_27:                             ;   in Loop: Header=BB152_23 Depth=1
	s_andn2_b64 vcc, exec, s[10:11]
	s_cbranch_vccnz .LBB152_29
; %bb.28:                               ;   in Loop: Header=BB152_23 Depth=1
	v_div_scale_f32 v10, s[10:11], v4, v4, v5
	v_rcp_f32_e32 v11, v10
	v_div_scale_f32 v19, vcc, v5, v4, v5
	v_fma_f32 v20, -v10, v11, 1.0
	v_fmac_f32_e32 v11, v20, v11
	v_mul_f32_e32 v20, v19, v11
	v_fma_f32 v21, -v10, v20, v19
	v_fmac_f32_e32 v20, v21, v11
	v_fma_f32 v10, -v10, v20, v19
	v_div_fmas_f32 v10, v10, v11, v20
	v_div_fixup_f32 v11, v10, v4, v5
	v_fmac_f32_e32 v4, v5, v11
	v_div_scale_f32 v5, s[10:11], v4, v4, 1.0
	v_rcp_f32_e32 v10, v5
	s_nop 0
	v_fma_f32 v19, -v5, v10, 1.0
	v_fmac_f32_e32 v10, v19, v10
	v_div_scale_f32 v19, vcc, 1.0, v4, 1.0
	v_mul_f32_e32 v20, v19, v10
	v_fma_f32 v21, -v5, v20, v19
	v_fmac_f32_e32 v20, v21, v10
	v_fma_f32 v5, -v5, v20, v19
	v_div_fmas_f32 v5, v5, v10, v20
	v_div_fixup_f32 v4, v5, v4, 1.0
	v_fma_f32 v5, v3, v11, v2
	v_fma_f32 v2, -v2, v11, v3
	v_mul_f32_e32 v10, v5, v4
	v_mul_f32_e32 v11, v2, v4
.LBB152_29:                             ;   in Loop: Header=BB152_23 Depth=1
	v_mov_b32_e32 v2, s15
	ds_read2_b64 v[2:5], v2 offset0:1 offset1:17
	ds_write_b64 v18, v[10:11]
	s_mov_b64 s[10:11], -1
	s_waitcnt lgkmcnt(1)
	v_mul_f32_e32 v18, v11, v3
	v_mul_f32_e32 v3, v10, v3
	v_fma_f32 v18, v10, v2, -v18
	v_fmac_f32_e32 v3, v11, v2
	v_cmp_ngt_f32_e64 s[18:19], |v4|, |v5|
	v_sub_f32_e32 v2, v12, v18
	v_sub_f32_e32 v3, v13, v3
	s_and_b64 vcc, exec, s[18:19]
                                        ; implicit-def: $vgpr13
	s_cbranch_vccz .LBB152_31
; %bb.30:                               ;   in Loop: Header=BB152_23 Depth=1
	v_div_scale_f32 v12, s[10:11], v5, v5, v4
	v_rcp_f32_e32 v13, v12
	v_div_scale_f32 v18, vcc, v4, v5, v4
	v_fma_f32 v19, -v12, v13, 1.0
	v_fmac_f32_e32 v13, v19, v13
	v_mul_f32_e32 v19, v18, v13
	v_fma_f32 v20, -v12, v19, v18
	v_fmac_f32_e32 v19, v20, v13
	v_fma_f32 v12, -v12, v19, v18
	v_div_fmas_f32 v12, v12, v13, v19
	v_div_fixup_f32 v13, v12, v5, v4
	v_fma_f32 v12, v4, v13, v5
	v_div_scale_f32 v18, s[10:11], v12, v12, 1.0
	v_rcp_f32_e32 v19, v18
	s_mov_b64 s[10:11], 0
	v_fma_f32 v20, -v18, v19, 1.0
	v_fmac_f32_e32 v19, v20, v19
	v_div_scale_f32 v20, vcc, 1.0, v12, 1.0
	v_mul_f32_e32 v21, v20, v19
	v_fma_f32 v22, -v18, v21, v20
	v_fmac_f32_e32 v21, v22, v19
	v_fma_f32 v18, -v18, v21, v20
	v_div_fmas_f32 v18, v18, v19, v21
	v_div_fixup_f32 v18, v18, v12, 1.0
	v_fma_f32 v12, v13, v2, v3
	v_fma_f32 v13, v13, v3, -v2
	v_mul_f32_e32 v12, v12, v18
	v_mul_f32_e32 v13, v13, v18
.LBB152_31:                             ;   in Loop: Header=BB152_23 Depth=1
	s_andn2_b64 vcc, exec, s[10:11]
	s_cbranch_vccnz .LBB152_33
; %bb.32:                               ;   in Loop: Header=BB152_23 Depth=1
	v_div_scale_f32 v12, s[10:11], v4, v4, v5
	v_rcp_f32_e32 v13, v12
	v_div_scale_f32 v18, vcc, v5, v4, v5
	v_fma_f32 v19, -v12, v13, 1.0
	v_fmac_f32_e32 v13, v19, v13
	v_mul_f32_e32 v19, v18, v13
	v_fma_f32 v20, -v12, v19, v18
	v_fmac_f32_e32 v19, v20, v13
	v_fma_f32 v12, -v12, v19, v18
	v_div_fmas_f32 v12, v12, v13, v19
	v_div_fixup_f32 v13, v12, v4, v5
	v_fmac_f32_e32 v4, v5, v13
	v_div_scale_f32 v5, s[10:11], v4, v4, 1.0
	v_rcp_f32_e32 v12, v5
	s_nop 0
	v_fma_f32 v18, -v5, v12, 1.0
	v_fmac_f32_e32 v12, v18, v12
	v_div_scale_f32 v18, vcc, 1.0, v4, 1.0
	v_mul_f32_e32 v19, v18, v12
	v_fma_f32 v20, -v5, v19, v18
	v_fmac_f32_e32 v19, v20, v12
	v_fma_f32 v5, -v5, v19, v18
	v_div_fmas_f32 v5, v5, v12, v19
	v_div_fixup_f32 v4, v5, v4, 1.0
	v_fma_f32 v5, v13, v3, v2
	v_fma_f32 v2, -v13, v2, v3
	v_mul_f32_e32 v12, v5, v4
	v_mul_f32_e32 v13, v2, v4
.LBB152_33:                             ;   in Loop: Header=BB152_23 Depth=1
	v_mov_b32_e32 v2, s15
	s_add_i32 s17, s15, 0x88
	ds_read2_b64 v[2:5], v2 offset0:2 offset1:34
	s_lshl_b32 s10, s16, 3
	s_sub_i32 s16, s17, s10
	s_add_i32 s16, s16, s14
	ds_write_b64 v17, v[12:13]
	v_mov_b32_e32 v17, s16
	v_mov_b32_e32 v18, v11
	ds_read_b64 v[22:23], v17 offset:16
	s_waitcnt lgkmcnt(2)
	v_pk_mul_f32 v[18:19], v[18:19], v[2:3] op_sel_hi:[0,1]
	v_pk_fma_f32 v[20:21], v[10:11], v[2:3], v[18:19] op_sel:[0,0,1] op_sel_hi:[1,1,0] neg_lo:[0,0,1] neg_hi:[0,0,1]
	v_pk_fma_f32 v[2:3], v[10:11], v[2:3], v[18:19] op_sel:[0,0,1] op_sel_hi:[0,1,0]
	v_mov_b32_e32 v21, v3
	v_pk_add_f32 v[2:3], v[8:9], v[20:21] neg_lo:[0,1] neg_hi:[0,1]
	v_mov_b32_e32 v8, v13
	s_waitcnt lgkmcnt(0)
	v_pk_mul_f32 v[8:9], v[8:9], v[22:23] op_sel_hi:[0,1]
	v_pk_fma_f32 v[18:19], v[12:13], v[22:23], v[8:9] op_sel:[0,0,1] op_sel_hi:[1,1,0] neg_lo:[0,0,1] neg_hi:[0,0,1]
	v_pk_fma_f32 v[8:9], v[12:13], v[22:23], v[8:9] op_sel:[0,0,1] op_sel_hi:[0,1,0]
	v_mov_b32_e32 v19, v9
	v_cmp_ngt_f32_e64 s[18:19], |v4|, |v5|
	v_pk_add_f32 v[2:3], v[2:3], v[18:19] neg_lo:[0,1] neg_hi:[0,1]
	s_mov_b64 s[10:11], -1
	s_and_b64 vcc, exec, s[18:19]
                                        ; implicit-def: $vgpr8_vgpr9
	s_cbranch_vccz .LBB152_35
; %bb.34:                               ;   in Loop: Header=BB152_23 Depth=1
	v_div_scale_f32 v8, s[10:11], v5, v5, v4
	v_rcp_f32_e32 v9, v8
	v_div_scale_f32 v17, vcc, v4, v5, v4
	v_fma_f32 v18, -v8, v9, 1.0
	v_fmac_f32_e32 v9, v18, v9
	v_mul_f32_e32 v18, v17, v9
	v_fma_f32 v19, -v8, v18, v17
	v_fmac_f32_e32 v18, v19, v9
	v_fma_f32 v8, -v8, v18, v17
	v_div_fmas_f32 v8, v8, v9, v18
	v_div_fixup_f32 v8, v8, v5, v4
	v_fma_f32 v9, v4, v8, v5
	v_div_scale_f32 v17, s[10:11], v9, v9, 1.0
	v_rcp_f32_e32 v20, v17
	v_pk_fma_f32 v[18:19], v[8:9], v[2:3], v[2:3] op_sel:[0,0,1] op_sel_hi:[1,1,0]
	s_mov_b64 s[10:11], 0
	v_fma_f32 v19, -v17, v20, 1.0
	v_fmac_f32_e32 v20, v19, v20
	v_div_scale_f32 v19, vcc, 1.0, v9, 1.0
	v_mul_f32_e32 v21, v19, v20
	v_fma_f32 v22, -v17, v21, v19
	v_fmac_f32_e32 v21, v22, v20
	v_fma_f32 v17, -v17, v21, v19
	v_div_fmas_f32 v17, v17, v20, v21
	v_div_fixup_f32 v19, v17, v9, 1.0
	v_fma_f32 v9, v8, v3, -v2
	v_mov_b32_e32 v8, v19
	v_pk_mul_f32 v[8:9], v[18:19], v[8:9]
.LBB152_35:                             ;   in Loop: Header=BB152_23 Depth=1
	s_andn2_b64 vcc, exec, s[10:11]
	s_cbranch_vccnz .LBB152_37
; %bb.36:                               ;   in Loop: Header=BB152_23 Depth=1
	v_div_scale_f32 v8, s[10:11], v4, v4, v5
	v_rcp_f32_e32 v9, v8
	v_div_scale_f32 v17, vcc, v5, v4, v5
	v_fma_f32 v18, -v8, v9, 1.0
	v_fmac_f32_e32 v9, v18, v9
	v_mul_f32_e32 v18, v17, v9
	v_fma_f32 v19, -v8, v18, v17
	v_fmac_f32_e32 v18, v19, v9
	v_fma_f32 v8, -v8, v18, v17
	v_div_fmas_f32 v8, v8, v9, v18
	v_div_fixup_f32 v8, v8, v4, v5
	v_fma_f32 v4, v5, v8, v4
	v_div_scale_f32 v5, s[10:11], v4, v4, 1.0
	v_rcp_f32_e32 v9, v5
	s_nop 0
	v_fma_f32 v17, -v5, v9, 1.0
	v_fmac_f32_e32 v9, v17, v9
	v_div_scale_f32 v17, vcc, 1.0, v4, 1.0
	v_mul_f32_e32 v18, v17, v9
	v_fma_f32 v19, -v5, v18, v17
	v_fmac_f32_e32 v18, v19, v9
	v_fma_f32 v5, -v5, v18, v17
	v_div_fmas_f32 v5, v5, v9, v18
	v_pk_fma_f32 v[18:19], v[8:9], v[2:3], v[2:3] op_sel:[0,1,0] op_sel_hi:[1,0,1]
	v_pk_fma_f32 v[2:3], v[8:9], v[2:3], v[2:3] op_sel:[0,1,0] op_sel_hi:[0,0,1] neg_lo:[1,0,0] neg_hi:[1,0,0]
	v_div_fixup_f32 v4, v5, v4, 1.0
	v_mov_b32_e32 v19, v3
	v_pk_mul_f32 v[8:9], v[18:19], v[4:5] op_sel_hi:[1,0]
.LBB152_37:                             ;   in Loop: Header=BB152_23 Depth=1
	v_mov_b32_e32 v2, s15
	ds_read2_b64 v[2:5], v2 offset0:3 offset1:51
	v_mov_b32_e32 v18, v11
	v_mov_b32_e32 v19, v11
	;; [unrolled: 1-line block ×3, first 2 shown]
	ds_write_b64 v16, v[8:9]
	s_waitcnt lgkmcnt(1)
	v_pk_mul_f32 v[16:17], v[18:19], v[2:3]
	s_lshl_b32 s10, s13, 3
	v_pk_fma_f32 v[18:19], v[10:11], v[2:3], v[16:17] op_sel:[0,0,1] op_sel_hi:[1,1,0] neg_lo:[0,0,1] neg_hi:[0,0,1]
	v_pk_fma_f32 v[2:3], v[10:11], v[2:3], v[16:17] op_sel:[0,0,1] op_sel_hi:[1,1,0]
	s_sub_i32 s10, s17, s10
	v_mov_b32_e32 v2, s16
	s_add_i32 s10, s10, s14
	ds_read_b64 v[10:11], v2 offset:24
	v_mov_b32_e32 v19, v3
	v_pk_add_f32 v[2:3], v[6:7], v[18:19] neg_lo:[0,1] neg_hi:[0,1]
	v_mov_b32_e32 v6, s10
	ds_read_b64 v[6:7], v6 offset:160
	v_mov_b32_e32 v20, v13
	v_mov_b32_e32 v21, v13
	;; [unrolled: 1-line block ×3, first 2 shown]
	s_waitcnt lgkmcnt(1)
	v_pk_mul_f32 v[16:17], v[20:21], v[10:11]
	v_cmp_ngt_f32_e64 s[14:15], |v4|, |v5|
	v_pk_fma_f32 v[18:19], v[12:13], v[10:11], v[16:17] op_sel:[0,0,1] op_sel_hi:[1,1,0] neg_lo:[0,0,1] neg_hi:[0,0,1]
	v_pk_fma_f32 v[10:11], v[12:13], v[10:11], v[16:17] op_sel:[0,0,1] op_sel_hi:[1,1,0]
	s_mov_b64 s[10:11], -1
	v_mov_b32_e32 v19, v11
	s_waitcnt lgkmcnt(0)
	v_pk_mul_f32 v[10:11], v[8:9], v[6:7] op_sel:[1,1] op_sel_hi:[1,0]
	v_pk_add_f32 v[2:3], v[2:3], v[18:19] neg_lo:[0,1] neg_hi:[0,1]
	v_pk_fma_f32 v[12:13], v[8:9], v[6:7], v[10:11] neg_lo:[0,0,1] neg_hi:[0,0,1]
	v_pk_fma_f32 v[6:7], v[8:9], v[6:7], v[10:11] op_sel_hi:[0,1,1]
	v_mov_b32_e32 v13, v7
	v_pk_add_f32 v[2:3], v[2:3], v[12:13] neg_lo:[0,1] neg_hi:[0,1]
	s_and_b64 vcc, exec, s[14:15]
                                        ; implicit-def: $vgpr6_vgpr7
	s_cbranch_vccz .LBB152_39
; %bb.38:                               ;   in Loop: Header=BB152_23 Depth=1
	v_div_scale_f32 v6, s[10:11], v5, v5, v4
	v_rcp_f32_e32 v7, v6
	v_div_scale_f32 v8, vcc, v4, v5, v4
	v_fma_f32 v9, -v6, v7, 1.0
	v_fmac_f32_e32 v7, v9, v7
	v_mul_f32_e32 v9, v8, v7
	v_fma_f32 v10, -v6, v9, v8
	v_fmac_f32_e32 v9, v10, v7
	v_fma_f32 v6, -v6, v9, v8
	v_div_fmas_f32 v6, v6, v7, v9
	v_div_fixup_f32 v6, v6, v5, v4
	v_fma_f32 v7, v4, v6, v5
	v_div_scale_f32 v10, s[10:11], v7, v7, 1.0
	v_rcp_f32_e32 v11, v10
	v_pk_fma_f32 v[8:9], v[6:7], v[2:3], v[2:3] op_sel:[0,0,1] op_sel_hi:[1,1,0]
	s_mov_b64 s[10:11], 0
	v_fma_f32 v9, -v10, v11, 1.0
	v_fmac_f32_e32 v11, v9, v11
	v_div_scale_f32 v9, vcc, 1.0, v7, 1.0
	v_mul_f32_e32 v12, v9, v11
	v_fma_f32 v13, -v10, v12, v9
	v_fmac_f32_e32 v12, v13, v11
	v_fma_f32 v9, -v10, v12, v9
	v_div_fmas_f32 v9, v9, v11, v12
	v_div_fixup_f32 v9, v9, v7, 1.0
	v_fma_f32 v7, v6, v3, -v2
	v_mov_b32_e32 v6, v9
	v_pk_mul_f32 v[6:7], v[8:9], v[6:7]
.LBB152_39:                             ;   in Loop: Header=BB152_23 Depth=1
	s_andn2_b64 vcc, exec, s[10:11]
	s_cbranch_vccnz .LBB152_41
; %bb.40:                               ;   in Loop: Header=BB152_23 Depth=1
	v_div_scale_f32 v6, s[10:11], v4, v4, v5
	v_rcp_f32_e32 v7, v6
	v_div_scale_f32 v8, vcc, v5, v4, v5
	v_fma_f32 v9, -v6, v7, 1.0
	v_fmac_f32_e32 v7, v9, v7
	v_mul_f32_e32 v9, v8, v7
	v_fma_f32 v10, -v6, v9, v8
	v_fmac_f32_e32 v9, v10, v7
	v_fma_f32 v6, -v6, v9, v8
	v_div_fmas_f32 v6, v6, v7, v9
	v_div_fixup_f32 v6, v6, v4, v5
	v_fma_f32 v4, v5, v6, v4
	v_div_scale_f32 v5, s[10:11], v4, v4, 1.0
	v_rcp_f32_e32 v7, v5
	s_nop 0
	v_fma_f32 v8, -v5, v7, 1.0
	v_fmac_f32_e32 v7, v8, v7
	v_div_scale_f32 v8, vcc, 1.0, v4, 1.0
	v_mul_f32_e32 v9, v8, v7
	v_fma_f32 v10, -v5, v9, v8
	v_fmac_f32_e32 v9, v10, v7
	v_fma_f32 v5, -v5, v9, v8
	v_div_fmas_f32 v5, v5, v7, v9
	v_pk_fma_f32 v[8:9], v[6:7], v[2:3], v[2:3] op_sel:[0,1,0] op_sel_hi:[1,0,1]
	v_pk_fma_f32 v[2:3], v[6:7], v[2:3], v[2:3] op_sel:[0,1,0] op_sel_hi:[0,0,1] neg_lo:[1,0,0] neg_hi:[1,0,0]
	v_div_fixup_f32 v4, v5, v4, 1.0
	v_mov_b32_e32 v9, v3
	v_pk_mul_f32 v[6:7], v[8:9], v[4:5] op_sel_hi:[1,0]
.LBB152_41:                             ;   in Loop: Header=BB152_23 Depth=1
	s_add_i32 s13, s12, 4
	s_add_i32 s10, s12, 7
	;; [unrolled: 1-line block ×3, first 2 shown]
	s_cmp_ge_i32 s10, s28
	ds_write_b64 v15, v[6:7]
	s_cbranch_scc1 .LBB152_43
; %bb.42:                               ;   in Loop: Header=BB152_23 Depth=1
	s_mov_b32 s12, s13
	s_branch .LBB152_23
.LBB152_43:
	s_cmp_ge_i32 s13, s28
	s_cbranch_scc1 .LBB152_52
; %bb.44:
	v_mov_b32_e32 v2, 0x800
	s_lshl_b32 s9, s13, 3
	v_lshl_or_b32 v8, v0, 3, v2
	s_branch .LBB152_46
.LBB152_45:                             ;   in Loop: Header=BB152_46 Depth=1
	s_add_i32 s13, s13, 1
	s_add_i32 s9, s9, 8
	s_cmp_ge_i32 s13, s28
	ds_write_b64 v9, v[6:7]
	s_cbranch_scc1 .LBB152_52
.LBB152_46:                             ; =>This Loop Header: Depth=1
                                        ;     Child Loop BB152_47 Depth 2
	s_lshl_b32 s10, s13, 7
	v_add_u32_e32 v9, s10, v1
	ds_read_b64 v[2:3], v9
	s_cmp_eq_u32 s13, 0
	v_mov_b32_e32 v4, v8
	s_mov_b32 s11, s9
	s_mov_b32 s12, s13
	s_cbranch_scc1 .LBB152_48
.LBB152_47:                             ;   Parent Loop BB152_46 Depth=1
                                        ; =>  This Inner Loop Header: Depth=2
	v_mov_b32_e32 v5, s11
	ds_read_b64 v[6:7], v4
	ds_read_b64 v[10:11], v5
	s_add_i32 s12, s12, -1
	s_addk_i32 s11, 0x80
	v_add_u32_e32 v4, 0x80, v4
	s_cmp_eq_u32 s12, 0
	s_waitcnt lgkmcnt(0)
	v_pk_mul_f32 v[12:13], v[10:11], v[6:7] op_sel:[1,1] op_sel_hi:[0,1]
	v_pk_fma_f32 v[14:15], v[10:11], v[6:7], v[12:13] op_sel_hi:[1,0,1]
	v_pk_fma_f32 v[6:7], v[10:11], v[6:7], v[12:13] op_sel_hi:[1,0,1] neg_lo:[0,0,1] neg_hi:[0,0,1]
	s_nop 0
	v_mov_b32_e32 v7, v15
	v_pk_add_f32 v[2:3], v[2:3], v[6:7] neg_lo:[0,1] neg_hi:[0,1]
	s_cbranch_scc0 .LBB152_47
.LBB152_48:                             ;   in Loop: Header=BB152_46 Depth=1
	s_lshl_b32 s11, s13, 3
	s_add_i32 s10, s11, s10
	v_mov_b32_e32 v4, s10
	ds_read_b64 v[4:5], v4
	s_mov_b64 s[10:11], -1
                                        ; implicit-def: $vgpr6_vgpr7
	s_waitcnt lgkmcnt(0)
	v_cmp_ngt_f32_e64 s[14:15], |v4|, |v5|
	s_and_b64 vcc, exec, s[14:15]
	s_cbranch_vccz .LBB152_50
; %bb.49:                               ;   in Loop: Header=BB152_46 Depth=1
	v_div_scale_f32 v6, s[10:11], v5, v5, v4
	v_rcp_f32_e32 v7, v6
	v_div_scale_f32 v10, vcc, v4, v5, v4
	v_fma_f32 v11, -v6, v7, 1.0
	v_fmac_f32_e32 v7, v11, v7
	v_mul_f32_e32 v11, v10, v7
	v_fma_f32 v12, -v6, v11, v10
	v_fmac_f32_e32 v11, v12, v7
	v_fma_f32 v6, -v6, v11, v10
	v_div_fmas_f32 v6, v6, v7, v11
	v_div_fixup_f32 v6, v6, v5, v4
	v_fma_f32 v7, v4, v6, v5
	v_div_scale_f32 v10, s[10:11], v7, v7, 1.0
	v_rcp_f32_e32 v11, v10
	s_mov_b64 s[10:11], 0
	v_fma_f32 v12, -v10, v11, 1.0
	v_fmac_f32_e32 v11, v12, v11
	v_div_scale_f32 v12, vcc, 1.0, v7, 1.0
	v_mul_f32_e32 v13, v12, v11
	v_fma_f32 v14, -v10, v13, v12
	v_fmac_f32_e32 v13, v14, v11
	v_fma_f32 v10, -v10, v13, v12
	v_div_fmas_f32 v10, v10, v11, v13
	v_div_fixup_f32 v10, v10, v7, 1.0
	v_pk_fma_f32 v[12:13], v[2:3], v[6:7], v[2:3] op_sel:[0,0,1] op_sel_hi:[1,0,0] neg_lo:[0,0,1] neg_hi:[0,0,1]
	v_pk_fma_f32 v[6:7], v[2:3], v[6:7], v[2:3] op_sel:[0,0,1] op_sel_hi:[1,0,0]
	s_nop 0
	v_mov_b32_e32 v7, v13
	v_pk_mul_f32 v[6:7], v[6:7], v[10:11] op_sel_hi:[1,0]
.LBB152_50:                             ;   in Loop: Header=BB152_46 Depth=1
	s_andn2_b64 vcc, exec, s[10:11]
	s_cbranch_vccnz .LBB152_45
; %bb.51:                               ;   in Loop: Header=BB152_46 Depth=1
	v_div_scale_f32 v6, s[10:11], v4, v4, v5
	v_rcp_f32_e32 v7, v6
	v_div_scale_f32 v10, vcc, v5, v4, v5
	v_fma_f32 v11, -v6, v7, 1.0
	v_fmac_f32_e32 v7, v11, v7
	v_mul_f32_e32 v11, v10, v7
	v_fma_f32 v12, -v6, v11, v10
	v_fmac_f32_e32 v11, v12, v7
	v_fma_f32 v6, -v6, v11, v10
	v_div_fmas_f32 v6, v6, v7, v11
	v_div_fixup_f32 v6, v6, v4, v5
	v_fmac_f32_e32 v4, v5, v6
	v_div_scale_f32 v5, s[10:11], v4, v4, 1.0
	v_rcp_f32_e32 v7, v5
	s_nop 0
	v_fma_f32 v10, -v5, v7, 1.0
	v_fmac_f32_e32 v7, v10, v7
	v_div_scale_f32 v10, vcc, 1.0, v4, 1.0
	v_mul_f32_e32 v11, v10, v7
	v_fma_f32 v12, -v5, v11, v10
	v_fmac_f32_e32 v11, v12, v7
	v_fma_f32 v5, -v5, v11, v10
	v_div_fmas_f32 v5, v5, v7, v11
	v_pk_fma_f32 v[10:11], v[2:3], v[6:7], v[2:3] op_sel:[1,0,0] op_sel_hi:[0,0,1] neg_lo:[1,0,0] neg_hi:[1,0,0]
	v_pk_fma_f32 v[2:3], v[2:3], v[6:7], v[2:3] op_sel:[1,0,0] op_sel_hi:[0,0,1]
	v_div_fixup_f32 v4, v5, v4, 1.0
	v_mov_b32_e32 v3, v11
	v_pk_mul_f32 v[6:7], v[2:3], v[4:5] op_sel_hi:[1,0]
	s_branch .LBB152_45
.LBB152_52:
	s_mov_b64 s[10:11], 0
.LBB152_53:
	s_and_b64 vcc, exec, s[10:11]
	s_cbranch_vccz .LBB152_85
; %bb.54:
	s_andn2_b64 vcc, exec, s[4:5]
	s_mov_b32 s13, s7
	s_cbranch_vccnz .LBB152_76
; %bb.55:
	v_lshlrev_b32_e32 v2, 3, v0
	v_lshl_or_b32 v2, s28, 7, v2
	s_mul_i32 s9, s28, 0x88
	v_add_u32_e32 v14, 0x780, v2
	s_mov_b32 s12, s7
.LBB152_56:                             ; =>This Loop Header: Depth=1
                                        ;     Child Loop BB152_57 Depth 2
	s_add_i32 s13, s12, -3
	v_lshl_add_u32 v18, s12, 7, v1
	s_add_i32 s17, s12, -1
	s_add_i32 s18, s12, -2
	s_lshl_b32 s14, s13, 7
	v_lshl_add_u32 v17, s17, 7, v1
	v_lshl_add_u32 v16, s18, 7, v1
	v_add_u32_e32 v15, s14, v1
	ds_read_b64 v[10:11], v18
	ds_read_b64 v[8:9], v17
	;; [unrolled: 1-line block ×4, first 2 shown]
	s_cmp_le_i32 s7, s12
	v_mov_b32_e32 v6, v14
	s_mov_b32 s10, s9
	s_mov_b32 s11, s7
	s_cbranch_scc1 .LBB152_58
.LBB152_57:                             ;   Parent Loop BB152_56 Depth=1
                                        ; =>  This Inner Loop Header: Depth=2
	s_add_i32 s15, s10, 0xffffff70
	s_add_i32 s16, s10, 0xffffff60
	v_mov_b32_e32 v7, s15
	ds_read_b64 v[12:13], v6
	v_mov_b32_e32 v19, s16
	ds_read2_b64 v[20:23], v7 offset1:1
	ds_read2_b64 v[24:27], v19 offset1:1
	s_add_i32 s11, s11, -1
	s_addk_i32 s10, 0xff80
	v_add_u32_e32 v6, 0xffffff80, v6
	s_waitcnt lgkmcnt(1)
	v_mul_f32_e32 v7, v23, v13
	v_mul_f32_e32 v19, v22, v13
	;; [unrolled: 1-line block ×4, first 2 shown]
	s_waitcnt lgkmcnt(0)
	v_pk_mul_f32 v[28:29], v[26:27], v[12:13] op_sel:[0,1]
	v_pk_mul_f32 v[30:31], v[24:25], v[12:13] op_sel:[0,1]
	v_fma_f32 v7, v22, v12, -v7
	v_fmac_f32_e32 v19, v23, v12
	v_fma_f32 v32, v20, v12, -v32
	v_fmac_f32_e32 v33, v20, v13
	v_pk_fma_f32 v[20:21], v[26:27], v[12:13], v[28:29] op_sel:[0,0,1] op_sel_hi:[1,1,0] neg_lo:[0,0,1] neg_hi:[0,0,1]
	v_pk_fma_f32 v[22:23], v[26:27], v[12:13], v[28:29] op_sel:[0,0,1] op_sel_hi:[1,0,0]
	v_pk_fma_f32 v[26:27], v[24:25], v[12:13], v[30:31] op_sel:[0,0,1] op_sel_hi:[1,1,0] neg_lo:[0,0,1] neg_hi:[0,0,1]
	v_pk_fma_f32 v[12:13], v[24:25], v[12:13], v[30:31] op_sel:[0,0,1] op_sel_hi:[1,0,0]
	v_mov_b32_e32 v21, v23
	v_mov_b32_e32 v27, v13
	s_cmp_le_i32 s11, s12
	v_sub_f32_e32 v10, v10, v7
	v_sub_f32_e32 v11, v11, v19
	;; [unrolled: 1-line block ×4, first 2 shown]
	v_pk_add_f32 v[4:5], v[4:5], v[20:21] neg_lo:[0,1] neg_hi:[0,1]
	v_pk_add_f32 v[2:3], v[2:3], v[26:27] neg_lo:[0,1] neg_hi:[0,1]
	s_cbranch_scc0 .LBB152_57
.LBB152_58:                             ;   in Loop: Header=BB152_56 Depth=1
	s_lshl_b32 s16, s12, 3
	s_lshl_b32 s10, s12, 7
	s_add_i32 s15, s16, s10
	v_mov_b32_e32 v6, s15
	ds_read_b64 v[12:13], v6
	s_mov_b64 s[10:11], -1
                                        ; implicit-def: $vgpr7
	s_waitcnt lgkmcnt(0)
	v_cmp_ngt_f32_e64 s[20:21], |v12|, |v13|
	s_and_b64 vcc, exec, s[20:21]
	s_cbranch_vccz .LBB152_60
; %bb.59:                               ;   in Loop: Header=BB152_56 Depth=1
	v_div_scale_f32 v6, s[10:11], v13, v13, v12
	v_rcp_f32_e32 v7, v6
	v_div_scale_f32 v19, vcc, v12, v13, v12
	v_fma_f32 v20, -v6, v7, 1.0
	v_fmac_f32_e32 v7, v20, v7
	v_mul_f32_e32 v20, v19, v7
	v_fma_f32 v21, -v6, v20, v19
	v_fmac_f32_e32 v20, v21, v7
	v_fma_f32 v6, -v6, v20, v19
	v_div_fmas_f32 v6, v6, v7, v20
	v_div_fixup_f32 v7, v6, v13, v12
	v_fma_f32 v6, v12, v7, v13
	v_div_scale_f32 v19, s[10:11], v6, v6, 1.0
	v_rcp_f32_e32 v20, v19
	s_mov_b64 s[10:11], 0
	v_fma_f32 v21, -v19, v20, 1.0
	v_fmac_f32_e32 v20, v21, v20
	v_div_scale_f32 v21, vcc, 1.0, v6, 1.0
	v_mul_f32_e32 v22, v21, v20
	v_fma_f32 v23, -v19, v22, v21
	v_fmac_f32_e32 v22, v23, v20
	v_fma_f32 v19, -v19, v22, v21
	v_div_fmas_f32 v19, v19, v20, v22
	v_div_fixup_f32 v19, v19, v6, 1.0
	v_fma_f32 v6, v10, v7, v11
	v_fma_f32 v7, v11, v7, -v10
	v_mul_f32_e32 v6, v6, v19
	v_mul_f32_e32 v7, v7, v19
.LBB152_60:                             ;   in Loop: Header=BB152_56 Depth=1
	s_andn2_b64 vcc, exec, s[10:11]
	s_cbranch_vccnz .LBB152_62
; %bb.61:                               ;   in Loop: Header=BB152_56 Depth=1
	v_div_scale_f32 v6, s[10:11], v12, v12, v13
	v_rcp_f32_e32 v7, v6
	v_div_scale_f32 v19, vcc, v13, v12, v13
	v_fma_f32 v20, -v6, v7, 1.0
	v_fmac_f32_e32 v7, v20, v7
	v_mul_f32_e32 v20, v19, v7
	v_fma_f32 v21, -v6, v20, v19
	v_fmac_f32_e32 v20, v21, v7
	v_fma_f32 v6, -v6, v20, v19
	v_div_fmas_f32 v6, v6, v7, v20
	v_div_fixup_f32 v7, v6, v12, v13
	v_fmac_f32_e32 v12, v13, v7
	v_div_scale_f32 v6, s[10:11], v12, v12, 1.0
	v_rcp_f32_e32 v13, v6
	s_nop 0
	v_fma_f32 v19, -v6, v13, 1.0
	v_fmac_f32_e32 v13, v19, v13
	v_div_scale_f32 v19, vcc, 1.0, v12, 1.0
	v_mul_f32_e32 v20, v19, v13
	v_fma_f32 v21, -v6, v20, v19
	v_fmac_f32_e32 v20, v21, v13
	v_fma_f32 v6, -v6, v20, v19
	v_div_fmas_f32 v6, v6, v13, v20
	v_div_fixup_f32 v12, v6, v12, 1.0
	v_fma_f32 v6, v11, v7, v10
	v_fma_f32 v7, -v10, v7, v11
	v_mul_f32_e32 v6, v6, v12
	v_mul_f32_e32 v7, v7, v12
.LBB152_62:                             ;   in Loop: Header=BB152_56 Depth=1
	s_lshl_b32 s10, s17, 7
	s_add_i32 s19, s16, s10
	s_add_i32 s10, s15, -8
	v_mov_b32_e32 v10, s10
	s_add_i32 s19, s19, -8
	ds_read_b64 v[12:13], v10
	v_mov_b32_e32 v10, s19
	ds_read_b64 v[10:11], v10
	ds_write_b64 v18, v[6:7]
	s_mov_b64 s[10:11], -1
	s_waitcnt lgkmcnt(2)
	v_mul_f32_e32 v18, v7, v13
	v_mul_f32_e32 v13, v6, v13
	v_fma_f32 v18, v6, v12, -v18
	v_fmac_f32_e32 v13, v7, v12
	s_waitcnt lgkmcnt(1)
	v_cmp_ngt_f32_e64 s[20:21], |v10|, |v11|
	v_sub_f32_e32 v12, v8, v18
	v_sub_f32_e32 v13, v9, v13
	s_and_b64 vcc, exec, s[20:21]
                                        ; implicit-def: $vgpr9
	s_cbranch_vccz .LBB152_64
; %bb.63:                               ;   in Loop: Header=BB152_56 Depth=1
	v_div_scale_f32 v8, s[10:11], v11, v11, v10
	v_rcp_f32_e32 v9, v8
	v_div_scale_f32 v18, vcc, v10, v11, v10
	v_fma_f32 v19, -v8, v9, 1.0
	v_fmac_f32_e32 v9, v19, v9
	v_mul_f32_e32 v19, v18, v9
	v_fma_f32 v20, -v8, v19, v18
	v_fmac_f32_e32 v19, v20, v9
	v_fma_f32 v8, -v8, v19, v18
	v_div_fmas_f32 v8, v8, v9, v19
	v_div_fixup_f32 v9, v8, v11, v10
	v_fma_f32 v8, v10, v9, v11
	v_div_scale_f32 v18, s[10:11], v8, v8, 1.0
	v_rcp_f32_e32 v19, v18
	s_mov_b64 s[10:11], 0
	v_fma_f32 v20, -v18, v19, 1.0
	v_fmac_f32_e32 v19, v20, v19
	v_div_scale_f32 v20, vcc, 1.0, v8, 1.0
	v_mul_f32_e32 v21, v20, v19
	v_fma_f32 v22, -v18, v21, v20
	v_fmac_f32_e32 v21, v22, v19
	v_fma_f32 v18, -v18, v21, v20
	v_div_fmas_f32 v18, v18, v19, v21
	v_div_fixup_f32 v18, v18, v8, 1.0
	v_fma_f32 v8, v9, v12, v13
	v_fma_f32 v9, v9, v13, -v12
	v_mul_f32_e32 v8, v8, v18
	v_mul_f32_e32 v9, v9, v18
.LBB152_64:                             ;   in Loop: Header=BB152_56 Depth=1
	s_andn2_b64 vcc, exec, s[10:11]
	s_cbranch_vccnz .LBB152_66
; %bb.65:                               ;   in Loop: Header=BB152_56 Depth=1
	v_div_scale_f32 v8, s[10:11], v10, v10, v11
	v_rcp_f32_e32 v9, v8
	v_div_scale_f32 v18, vcc, v11, v10, v11
	v_fma_f32 v19, -v8, v9, 1.0
	v_fmac_f32_e32 v9, v19, v9
	v_mul_f32_e32 v19, v18, v9
	v_fma_f32 v20, -v8, v19, v18
	v_fmac_f32_e32 v19, v20, v9
	v_fma_f32 v8, -v8, v19, v18
	v_div_fmas_f32 v8, v8, v9, v19
	v_div_fixup_f32 v9, v8, v10, v11
	v_fmac_f32_e32 v10, v11, v9
	v_div_scale_f32 v8, s[10:11], v10, v10, 1.0
	v_rcp_f32_e32 v11, v8
	s_nop 0
	v_fma_f32 v18, -v8, v11, 1.0
	v_fmac_f32_e32 v11, v18, v11
	v_div_scale_f32 v18, vcc, 1.0, v10, 1.0
	v_mul_f32_e32 v19, v18, v11
	v_fma_f32 v20, -v8, v19, v18
	v_fmac_f32_e32 v19, v20, v11
	v_fma_f32 v8, -v8, v19, v18
	v_div_fmas_f32 v8, v8, v11, v19
	v_div_fixup_f32 v10, v8, v10, 1.0
	v_fma_f32 v8, v9, v13, v12
	v_fma_f32 v9, -v9, v12, v13
	v_mul_f32_e32 v8, v8, v10
	v_mul_f32_e32 v9, v9, v10
.LBB152_66:                             ;   in Loop: Header=BB152_56 Depth=1
	s_add_i32 s11, s15, -16
	s_lshl_b32 s17, s17, 3
	v_mov_b32_e32 v10, s11
	s_lshl_b32 s10, s18, 7
	s_sub_i32 s17, s19, s17
	s_lshl_b32 s18, s18, 3
	ds_read_b64 v[12:13], v10
	s_add_i32 s10, s16, s10
	s_add_i32 s19, s17, s18
	v_mov_b32_e32 v10, s19
	s_add_i32 s19, s10, -16
	ds_write_b64 v17, v[8:9]
	v_mov_b32_e32 v11, s19
	v_mov_b32_e32 v18, v7
	ds_read_b64 v[20:21], v10
	ds_read_b64 v[10:11], v11
	s_waitcnt lgkmcnt(3)
	v_pk_mul_f32 v[18:19], v[18:19], v[12:13] op_sel_hi:[0,1]
	v_pk_fma_f32 v[22:23], v[6:7], v[12:13], v[18:19] op_sel:[0,0,1] op_sel_hi:[1,1,0] neg_lo:[0,0,1] neg_hi:[0,0,1]
	v_pk_fma_f32 v[12:13], v[6:7], v[12:13], v[18:19] op_sel:[0,0,1] op_sel_hi:[0,1,0]
	v_mov_b32_e32 v12, v9
	v_mov_b32_e32 v23, v13
	s_waitcnt lgkmcnt(1)
	v_pk_mul_f32 v[12:13], v[12:13], v[20:21] op_sel_hi:[0,1]
	v_pk_fma_f32 v[18:19], v[8:9], v[20:21], v[12:13] op_sel:[0,0,1] op_sel_hi:[1,1,0] neg_lo:[0,0,1] neg_hi:[0,0,1]
	v_pk_fma_f32 v[12:13], v[8:9], v[20:21], v[12:13] op_sel:[0,0,1] op_sel_hi:[0,1,0]
	v_pk_add_f32 v[4:5], v[4:5], v[22:23] neg_lo:[0,1] neg_hi:[0,1]
	v_mov_b32_e32 v19, v13
	s_waitcnt lgkmcnt(0)
	v_cmp_ngt_f32_e64 s[20:21], |v10|, |v11|
	v_pk_add_f32 v[4:5], v[4:5], v[18:19] neg_lo:[0,1] neg_hi:[0,1]
	s_mov_b64 s[10:11], -1
	s_and_b64 vcc, exec, s[20:21]
                                        ; implicit-def: $vgpr12_vgpr13
	s_cbranch_vccz .LBB152_68
; %bb.67:                               ;   in Loop: Header=BB152_56 Depth=1
	v_div_scale_f32 v12, s[10:11], v11, v11, v10
	v_rcp_f32_e32 v13, v12
	v_div_scale_f32 v17, vcc, v10, v11, v10
	v_fma_f32 v18, -v12, v13, 1.0
	v_fmac_f32_e32 v13, v18, v13
	v_mul_f32_e32 v18, v17, v13
	v_fma_f32 v19, -v12, v18, v17
	v_fmac_f32_e32 v18, v19, v13
	v_fma_f32 v12, -v12, v18, v17
	v_div_fmas_f32 v12, v12, v13, v18
	v_div_fixup_f32 v12, v12, v11, v10
	v_fma_f32 v13, v10, v12, v11
	v_div_scale_f32 v17, s[10:11], v13, v13, 1.0
	v_rcp_f32_e32 v20, v17
	v_pk_fma_f32 v[18:19], v[12:13], v[4:5], v[4:5] op_sel:[0,0,1] op_sel_hi:[1,1,0]
	s_mov_b64 s[10:11], 0
	v_fma_f32 v19, -v17, v20, 1.0
	v_fmac_f32_e32 v20, v19, v20
	v_div_scale_f32 v19, vcc, 1.0, v13, 1.0
	v_mul_f32_e32 v21, v19, v20
	v_fma_f32 v22, -v17, v21, v19
	v_fmac_f32_e32 v21, v22, v20
	v_fma_f32 v17, -v17, v21, v19
	v_div_fmas_f32 v17, v17, v20, v21
	v_div_fixup_f32 v19, v17, v13, 1.0
	v_fma_f32 v13, v12, v5, -v4
	v_mov_b32_e32 v12, v19
	v_pk_mul_f32 v[12:13], v[18:19], v[12:13]
.LBB152_68:                             ;   in Loop: Header=BB152_56 Depth=1
	s_andn2_b64 vcc, exec, s[10:11]
	s_cbranch_vccnz .LBB152_70
; %bb.69:                               ;   in Loop: Header=BB152_56 Depth=1
	v_div_scale_f32 v12, s[10:11], v10, v10, v11
	v_rcp_f32_e32 v13, v12
	v_div_scale_f32 v17, vcc, v11, v10, v11
	v_fma_f32 v18, -v12, v13, 1.0
	v_fmac_f32_e32 v13, v18, v13
	v_mul_f32_e32 v18, v17, v13
	v_fma_f32 v19, -v12, v18, v17
	v_fmac_f32_e32 v18, v19, v13
	v_fma_f32 v12, -v12, v18, v17
	v_div_fmas_f32 v12, v12, v13, v18
	v_div_fixup_f32 v12, v12, v10, v11
	v_fmac_f32_e32 v10, v11, v12
	v_div_scale_f32 v11, s[10:11], v10, v10, 1.0
	v_rcp_f32_e32 v13, v11
	s_nop 0
	v_fma_f32 v17, -v11, v13, 1.0
	v_fmac_f32_e32 v13, v17, v13
	v_div_scale_f32 v17, vcc, 1.0, v10, 1.0
	v_mul_f32_e32 v18, v17, v13
	v_fma_f32 v19, -v11, v18, v17
	v_fmac_f32_e32 v18, v19, v13
	v_fma_f32 v11, -v11, v18, v17
	v_div_fmas_f32 v11, v11, v13, v18
	v_pk_fma_f32 v[18:19], v[12:13], v[4:5], v[4:5] op_sel:[0,1,0] op_sel_hi:[1,0,1]
	v_pk_fma_f32 v[4:5], v[12:13], v[4:5], v[4:5] op_sel:[0,1,0] op_sel_hi:[0,0,1] neg_lo:[1,0,0] neg_hi:[1,0,0]
	v_div_fixup_f32 v10, v11, v10, 1.0
	v_mov_b32_e32 v19, v5
	v_pk_mul_f32 v[12:13], v[18:19], v[10:11] op_sel_hi:[1,0]
.LBB152_70:                             ;   in Loop: Header=BB152_56 Depth=1
	s_sub_i32 s10, s15, 24
	v_mov_b32_e32 v4, s10
	ds_write_b64 v16, v[12:13]
	ds_read_b64 v[16:17], v4
	s_add_i32 s16, s16, s14
	s_lshl_b32 s11, s13, 3
	s_sub_i32 s14, s19, s18
	s_add_i32 s13, s17, s11
	s_add_i32 s11, s14, s11
	v_mov_b32_e32 v4, s13
	v_mov_b32_e32 v5, s11
	s_sub_i32 s10, s16, 24
	v_mov_b32_e32 v10, v7
	v_mov_b32_e32 v11, v7
	;; [unrolled: 1-line block ×3, first 2 shown]
	ds_read_b64 v[20:21], v4
	ds_read_b64 v[22:23], v5
	;; [unrolled: 1-line block ×3, first 2 shown]
	v_mov_b32_e32 v7, v6
	s_waitcnt lgkmcnt(3)
	v_pk_mul_f32 v[10:11], v[10:11], v[16:17]
	v_mov_b32_e32 v18, v9
	v_mov_b32_e32 v19, v9
	v_pk_fma_f32 v[24:25], v[6:7], v[16:17], v[10:11] op_sel:[0,0,1] op_sel_hi:[1,1,0] neg_lo:[0,0,1] neg_hi:[0,0,1]
	v_pk_fma_f32 v[6:7], v[6:7], v[16:17], v[10:11] op_sel:[0,0,1] op_sel_hi:[1,1,0]
	v_mov_b32_e32 v9, v8
	v_mov_b32_e32 v25, v7
	s_waitcnt lgkmcnt(2)
	v_pk_mul_f32 v[6:7], v[18:19], v[20:21]
	v_pk_add_f32 v[2:3], v[2:3], v[24:25] neg_lo:[0,1] neg_hi:[0,1]
	v_pk_fma_f32 v[10:11], v[8:9], v[20:21], v[6:7] op_sel:[0,0,1] op_sel_hi:[1,1,0] neg_lo:[0,0,1] neg_hi:[0,0,1]
	v_pk_fma_f32 v[6:7], v[8:9], v[20:21], v[6:7] op_sel:[0,0,1] op_sel_hi:[1,1,0]
	s_waitcnt lgkmcnt(0)
	v_cmp_ngt_f32_e64 s[14:15], |v4|, |v5|
	v_mov_b32_e32 v11, v7
	v_pk_mul_f32 v[6:7], v[12:13], v[22:23] op_sel:[1,1] op_sel_hi:[1,0]
	v_pk_add_f32 v[2:3], v[2:3], v[10:11] neg_lo:[0,1] neg_hi:[0,1]
	v_pk_fma_f32 v[8:9], v[12:13], v[22:23], v[6:7] neg_lo:[0,0,1] neg_hi:[0,0,1]
	v_pk_fma_f32 v[6:7], v[12:13], v[22:23], v[6:7] op_sel_hi:[0,1,1]
	v_mov_b32_e32 v9, v7
	v_pk_add_f32 v[2:3], v[2:3], v[8:9] neg_lo:[0,1] neg_hi:[0,1]
	s_mov_b64 s[10:11], -1
	s_and_b64 vcc, exec, s[14:15]
                                        ; implicit-def: $vgpr6_vgpr7
	s_cbranch_vccz .LBB152_72
; %bb.71:                               ;   in Loop: Header=BB152_56 Depth=1
	v_div_scale_f32 v6, s[10:11], v5, v5, v4
	v_rcp_f32_e32 v7, v6
	v_div_scale_f32 v8, vcc, v4, v5, v4
	v_fma_f32 v9, -v6, v7, 1.0
	v_fmac_f32_e32 v7, v9, v7
	v_mul_f32_e32 v9, v8, v7
	v_fma_f32 v10, -v6, v9, v8
	v_fmac_f32_e32 v9, v10, v7
	v_fma_f32 v6, -v6, v9, v8
	v_div_fmas_f32 v6, v6, v7, v9
	v_div_fixup_f32 v6, v6, v5, v4
	v_fma_f32 v7, v4, v6, v5
	v_div_scale_f32 v10, s[10:11], v7, v7, 1.0
	v_rcp_f32_e32 v11, v10
	v_pk_fma_f32 v[8:9], v[6:7], v[2:3], v[2:3] op_sel:[0,0,1] op_sel_hi:[1,1,0]
	s_mov_b64 s[10:11], 0
	v_fma_f32 v9, -v10, v11, 1.0
	v_fmac_f32_e32 v11, v9, v11
	v_div_scale_f32 v9, vcc, 1.0, v7, 1.0
	v_mul_f32_e32 v12, v9, v11
	v_fma_f32 v13, -v10, v12, v9
	v_fmac_f32_e32 v12, v13, v11
	v_fma_f32 v9, -v10, v12, v9
	v_div_fmas_f32 v9, v9, v11, v12
	v_div_fixup_f32 v9, v9, v7, 1.0
	v_fma_f32 v7, v6, v3, -v2
	v_mov_b32_e32 v6, v9
	v_pk_mul_f32 v[6:7], v[8:9], v[6:7]
.LBB152_72:                             ;   in Loop: Header=BB152_56 Depth=1
	s_andn2_b64 vcc, exec, s[10:11]
	s_cbranch_vccnz .LBB152_74
; %bb.73:                               ;   in Loop: Header=BB152_56 Depth=1
	v_div_scale_f32 v6, s[10:11], v4, v4, v5
	v_rcp_f32_e32 v7, v6
	v_div_scale_f32 v8, vcc, v5, v4, v5
	v_fma_f32 v9, -v6, v7, 1.0
	v_fmac_f32_e32 v7, v9, v7
	v_mul_f32_e32 v9, v8, v7
	v_fma_f32 v10, -v6, v9, v8
	v_fmac_f32_e32 v9, v10, v7
	v_fma_f32 v6, -v6, v9, v8
	v_div_fmas_f32 v6, v6, v7, v9
	v_div_fixup_f32 v6, v6, v4, v5
	v_fmac_f32_e32 v4, v5, v6
	v_div_scale_f32 v5, s[10:11], v4, v4, 1.0
	v_rcp_f32_e32 v7, v5
	s_nop 0
	v_fma_f32 v8, -v5, v7, 1.0
	v_fmac_f32_e32 v7, v8, v7
	v_div_scale_f32 v8, vcc, 1.0, v4, 1.0
	v_mul_f32_e32 v9, v8, v7
	v_fma_f32 v10, -v5, v9, v8
	v_fmac_f32_e32 v9, v10, v7
	v_fma_f32 v5, -v5, v9, v8
	v_div_fmas_f32 v5, v5, v7, v9
	v_pk_fma_f32 v[8:9], v[6:7], v[2:3], v[2:3] op_sel:[0,1,0] op_sel_hi:[1,0,1]
	v_pk_fma_f32 v[2:3], v[6:7], v[2:3], v[2:3] op_sel:[0,1,0] op_sel_hi:[0,0,1] neg_lo:[1,0,0] neg_hi:[1,0,0]
	v_div_fixup_f32 v4, v5, v4, 1.0
	v_mov_b32_e32 v9, v3
	v_pk_mul_f32 v[6:7], v[8:9], v[4:5] op_sel_hi:[1,0]
.LBB152_74:                             ;   in Loop: Header=BB152_56 Depth=1
	s_add_i32 s13, s12, -4
	s_sub_i32 s9, s9, 32
	s_cmp_lt_i32 s12, 7
	ds_write_b64 v15, v[6:7]
	s_cbranch_scc1 .LBB152_76
; %bb.75:                               ;   in Loop: Header=BB152_56 Depth=1
	s_mov_b32 s12, s13
	s_branch .LBB152_56
.LBB152_76:
	s_cmp_lt_i32 s13, 0
	s_cbranch_scc1 .LBB152_85
; %bb.77:
	s_lshl_b32 s10, s28, 7
	s_lshl_b32 s9, s13, 3
	s_add_i32 s9, s10, s9
	v_lshl_or_b32 v2, v0, 3, s10
	s_addk_i32 s9, 0xff80
	v_add_u32_e32 v8, 0x780, v2
	s_branch .LBB152_79
.LBB152_78:                             ;   in Loop: Header=BB152_79 Depth=1
	v_sub_co_u32_e64 v2, s[10:11], s13, 1
	s_nop 0
	v_readfirstlane_b32 s13, v2
	s_add_i32 s9, s9, -8
	s_and_b64 vcc, exec, s[10:11]
	ds_write_b64 v9, v[6:7]
	s_cbranch_vccnz .LBB152_85
.LBB152_79:                             ; =>This Loop Header: Depth=1
                                        ;     Child Loop BB152_80 Depth 2
	s_lshl_b32 s10, s13, 7
	v_add_u32_e32 v9, s10, v1
	ds_read_b64 v[2:3], v9
	s_cmp_le_i32 s7, s13
	v_mov_b32_e32 v4, v8
	s_mov_b32 s11, s9
	s_mov_b32 s12, s7
	s_cbranch_scc1 .LBB152_81
.LBB152_80:                             ;   Parent Loop BB152_79 Depth=1
                                        ; =>  This Inner Loop Header: Depth=2
	v_mov_b32_e32 v5, s11
	ds_read_b64 v[6:7], v4
	ds_read_b64 v[10:11], v5
	s_add_i32 s12, s12, -1
	s_addk_i32 s11, 0xff80
	v_add_u32_e32 v4, 0xffffff80, v4
	s_cmp_le_u32 s12, s13
	s_waitcnt lgkmcnt(0)
	v_pk_mul_f32 v[12:13], v[10:11], v[6:7] op_sel:[1,1] op_sel_hi:[0,1]
	v_pk_fma_f32 v[14:15], v[10:11], v[6:7], v[12:13] op_sel_hi:[1,0,1]
	v_pk_fma_f32 v[6:7], v[10:11], v[6:7], v[12:13] op_sel_hi:[1,0,1] neg_lo:[0,0,1] neg_hi:[0,0,1]
	s_nop 0
	v_mov_b32_e32 v7, v15
	v_pk_add_f32 v[2:3], v[2:3], v[6:7] neg_lo:[0,1] neg_hi:[0,1]
	s_cbranch_scc0 .LBB152_80
.LBB152_81:                             ;   in Loop: Header=BB152_79 Depth=1
	s_lshl_b32 s11, s13, 3
	s_add_i32 s10, s11, s10
	v_mov_b32_e32 v4, s10
	ds_read_b64 v[4:5], v4
	s_mov_b64 s[10:11], -1
                                        ; implicit-def: $vgpr6_vgpr7
	s_waitcnt lgkmcnt(0)
	v_cmp_ngt_f32_e64 s[14:15], |v4|, |v5|
	s_and_b64 vcc, exec, s[14:15]
	s_cbranch_vccz .LBB152_83
; %bb.82:                               ;   in Loop: Header=BB152_79 Depth=1
	v_div_scale_f32 v6, s[10:11], v5, v5, v4
	v_rcp_f32_e32 v7, v6
	v_div_scale_f32 v10, vcc, v4, v5, v4
	v_fma_f32 v11, -v6, v7, 1.0
	v_fmac_f32_e32 v7, v11, v7
	v_mul_f32_e32 v11, v10, v7
	v_fma_f32 v12, -v6, v11, v10
	v_fmac_f32_e32 v11, v12, v7
	v_fma_f32 v6, -v6, v11, v10
	v_div_fmas_f32 v6, v6, v7, v11
	v_div_fixup_f32 v6, v6, v5, v4
	v_fma_f32 v7, v4, v6, v5
	v_div_scale_f32 v10, s[10:11], v7, v7, 1.0
	v_rcp_f32_e32 v11, v10
	s_mov_b64 s[10:11], 0
	v_fma_f32 v12, -v10, v11, 1.0
	v_fmac_f32_e32 v11, v12, v11
	v_div_scale_f32 v12, vcc, 1.0, v7, 1.0
	v_mul_f32_e32 v13, v12, v11
	v_fma_f32 v14, -v10, v13, v12
	v_fmac_f32_e32 v13, v14, v11
	v_fma_f32 v10, -v10, v13, v12
	v_div_fmas_f32 v10, v10, v11, v13
	v_div_fixup_f32 v10, v10, v7, 1.0
	v_pk_fma_f32 v[12:13], v[2:3], v[6:7], v[2:3] op_sel:[0,0,1] op_sel_hi:[1,0,0] neg_lo:[0,0,1] neg_hi:[0,0,1]
	v_pk_fma_f32 v[6:7], v[2:3], v[6:7], v[2:3] op_sel:[0,0,1] op_sel_hi:[1,0,0]
	s_nop 0
	v_mov_b32_e32 v7, v13
	v_pk_mul_f32 v[6:7], v[6:7], v[10:11] op_sel_hi:[1,0]
.LBB152_83:                             ;   in Loop: Header=BB152_79 Depth=1
	s_andn2_b64 vcc, exec, s[10:11]
	s_cbranch_vccnz .LBB152_78
; %bb.84:                               ;   in Loop: Header=BB152_79 Depth=1
	v_div_scale_f32 v6, s[10:11], v4, v4, v5
	v_rcp_f32_e32 v7, v6
	v_div_scale_f32 v10, vcc, v5, v4, v5
	v_fma_f32 v11, -v6, v7, 1.0
	v_fmac_f32_e32 v7, v11, v7
	v_mul_f32_e32 v11, v10, v7
	v_fma_f32 v12, -v6, v11, v10
	v_fmac_f32_e32 v11, v12, v7
	v_fma_f32 v6, -v6, v11, v10
	v_div_fmas_f32 v6, v6, v7, v11
	v_div_fixup_f32 v6, v6, v4, v5
	v_fmac_f32_e32 v4, v5, v6
	v_div_scale_f32 v5, s[10:11], v4, v4, 1.0
	v_rcp_f32_e32 v7, v5
	s_nop 0
	v_fma_f32 v10, -v5, v7, 1.0
	v_fmac_f32_e32 v7, v10, v7
	v_div_scale_f32 v10, vcc, 1.0, v4, 1.0
	v_mul_f32_e32 v11, v10, v7
	v_fma_f32 v12, -v5, v11, v10
	v_fmac_f32_e32 v11, v12, v7
	v_fma_f32 v5, -v5, v11, v10
	v_div_fmas_f32 v5, v5, v7, v11
	v_pk_fma_f32 v[10:11], v[2:3], v[6:7], v[2:3] op_sel:[1,0,0] op_sel_hi:[0,0,1] neg_lo:[1,0,0] neg_hi:[1,0,0]
	v_pk_fma_f32 v[2:3], v[2:3], v[6:7], v[2:3] op_sel:[1,0,0] op_sel_hi:[0,0,1]
	v_div_fixup_f32 v4, v5, v4, 1.0
	v_mov_b32_e32 v3, v11
	v_pk_mul_f32 v[6:7], v[2:3], v[4:5] op_sel_hi:[1,0]
	s_branch .LBB152_78
.LBB152_85:
	s_mov_b64 s[14:15], 0
.LBB152_86:
	s_andn2_b64 vcc, exec, s[14:15]
	s_cbranch_vccnz .LBB152_118
; %bb.87:
	s_andn2_b64 vcc, exec, s[4:5]
	s_mov_b32 s11, s7
	s_cbranch_vccnz .LBB152_109
; %bb.88:
	v_lshlrev_b32_e32 v2, 3, v0
	v_lshl_or_b32 v2, s28, 7, v2
	s_mul_i32 s4, s28, 0x88
	v_add_u32_e32 v14, 0x780, v2
	s_add_i32 s9, s4, 0xfffffdf8
	s_mov_b32 s10, s7
.LBB152_89:                             ; =>This Loop Header: Depth=1
                                        ;     Child Loop BB152_90 Depth 2
	v_lshl_add_u32 v18, s10, 7, v1
	s_add_i32 s14, s10, -1
	s_add_i32 s13, s10, -2
	;; [unrolled: 1-line block ×3, first 2 shown]
	v_lshl_add_u32 v17, s14, 7, v1
	v_lshl_add_u32 v16, s13, 7, v1
	;; [unrolled: 1-line block ×3, first 2 shown]
	ds_read_b64 v[2:3], v18
	ds_read_b64 v[12:13], v17
	;; [unrolled: 1-line block ×4, first 2 shown]
	s_cmp_le_i32 s7, s10
	s_mov_b32 s4, s9
	v_mov_b32_e32 v4, v14
	s_mov_b32 s5, s7
	s_cbranch_scc1 .LBB152_91
.LBB152_90:                             ;   Parent Loop BB152_89 Depth=1
                                        ; =>  This Inner Loop Header: Depth=2
	v_mov_b32_e32 v5, s4
	ds_read_b64 v[10:11], v4
	ds_read2_b64 v[20:23], v5 offset0:32 offset1:48
	ds_read2_b64 v[24:27], v5 offset1:16
	s_add_i32 s5, s5, -1
	s_add_i32 s4, s4, -8
	v_add_u32_e32 v4, 0xffffff80, v4
	s_waitcnt lgkmcnt(1)
	v_mul_f32_e32 v5, v23, v11
	v_mul_f32_e32 v19, v22, v11
	;; [unrolled: 1-line block ×4, first 2 shown]
	s_waitcnt lgkmcnt(0)
	v_pk_mul_f32 v[28:29], v[26:27], v[10:11] op_sel:[0,1]
	v_pk_mul_f32 v[30:31], v[24:25], v[10:11] op_sel:[0,1]
	v_fma_f32 v5, v22, v10, -v5
	v_fmac_f32_e32 v19, v23, v10
	v_fma_f32 v32, v20, v10, -v32
	v_fmac_f32_e32 v33, v20, v11
	v_pk_fma_f32 v[20:21], v[26:27], v[10:11], v[28:29] op_sel:[0,0,1] op_sel_hi:[1,1,0] neg_lo:[0,0,1] neg_hi:[0,0,1]
	v_pk_fma_f32 v[22:23], v[26:27], v[10:11], v[28:29] op_sel:[0,0,1] op_sel_hi:[1,0,0]
	v_pk_fma_f32 v[26:27], v[24:25], v[10:11], v[30:31] op_sel:[0,0,1] op_sel_hi:[1,1,0] neg_lo:[0,0,1] neg_hi:[0,0,1]
	v_pk_fma_f32 v[10:11], v[24:25], v[10:11], v[30:31] op_sel:[0,0,1] op_sel_hi:[1,0,0]
	v_mov_b32_e32 v21, v23
	v_mov_b32_e32 v27, v11
	s_cmp_le_i32 s5, s10
	v_sub_f32_e32 v2, v2, v5
	v_sub_f32_e32 v3, v3, v19
	;; [unrolled: 1-line block ×4, first 2 shown]
	v_pk_add_f32 v[8:9], v[8:9], v[20:21] neg_lo:[0,1] neg_hi:[0,1]
	v_pk_add_f32 v[6:7], v[6:7], v[26:27] neg_lo:[0,1] neg_hi:[0,1]
	s_cbranch_scc0 .LBB152_90
.LBB152_91:                             ;   in Loop: Header=BB152_89 Depth=1
	s_mul_i32 s4, s10, 0x88
	v_mov_b32_e32 v4, s4
	ds_read_b64 v[4:5], v4
	s_lshl_b32 s16, s14, 4
	s_lshl_b32 s15, s13, 4
	;; [unrolled: 1-line block ×3, first 2 shown]
	s_mov_b64 s[4:5], -1
	s_waitcnt lgkmcnt(0)
	v_cmp_ngt_f32_e64 s[18:19], |v4|, |v5|
	s_and_b64 vcc, exec, s[18:19]
                                        ; implicit-def: $vgpr11
	s_cbranch_vccz .LBB152_93
; %bb.92:                               ;   in Loop: Header=BB152_89 Depth=1
	v_div_scale_f32 v10, s[4:5], v5, v5, v4
	v_rcp_f32_e32 v11, v10
	v_div_scale_f32 v19, vcc, v4, v5, v4
	v_fma_f32 v20, -v10, v11, 1.0
	v_fmac_f32_e32 v11, v20, v11
	v_mul_f32_e32 v20, v19, v11
	v_fma_f32 v21, -v10, v20, v19
	v_fmac_f32_e32 v20, v21, v11
	v_fma_f32 v10, -v10, v20, v19
	v_div_fmas_f32 v10, v10, v11, v20
	v_div_fixup_f32 v11, v10, v5, v4
	v_fma_f32 v10, v4, v11, v5
	v_div_scale_f32 v19, s[4:5], v10, v10, 1.0
	v_rcp_f32_e32 v20, v19
	s_mov_b64 s[4:5], 0
	v_fma_f32 v21, -v19, v20, 1.0
	v_fmac_f32_e32 v20, v21, v20
	v_div_scale_f32 v21, vcc, 1.0, v10, 1.0
	v_mul_f32_e32 v22, v21, v20
	v_fma_f32 v23, -v19, v22, v21
	v_fmac_f32_e32 v22, v23, v20
	v_fma_f32 v19, -v19, v22, v21
	v_div_fmas_f32 v19, v19, v20, v22
	v_div_fixup_f32 v19, v19, v10, 1.0
	v_fma_f32 v10, v2, v11, v3
	v_fma_f32 v11, v3, v11, -v2
	v_mul_f32_e32 v10, v10, v19
	v_mul_f32_e32 v11, v11, v19
.LBB152_93:                             ;   in Loop: Header=BB152_89 Depth=1
	s_andn2_b64 vcc, exec, s[4:5]
	s_cbranch_vccnz .LBB152_95
; %bb.94:                               ;   in Loop: Header=BB152_89 Depth=1
	v_div_scale_f32 v10, s[4:5], v4, v4, v5
	v_rcp_f32_e32 v11, v10
	v_div_scale_f32 v19, vcc, v5, v4, v5
	v_fma_f32 v20, -v10, v11, 1.0
	v_fmac_f32_e32 v11, v20, v11
	v_mul_f32_e32 v20, v19, v11
	v_fma_f32 v21, -v10, v20, v19
	v_fmac_f32_e32 v20, v21, v11
	v_fma_f32 v10, -v10, v20, v19
	v_div_fmas_f32 v10, v10, v11, v20
	v_div_fixup_f32 v11, v10, v4, v5
	v_fmac_f32_e32 v4, v5, v11
	v_div_scale_f32 v5, s[4:5], v4, v4, 1.0
	v_rcp_f32_e32 v10, v5
	s_nop 0
	v_fma_f32 v19, -v5, v10, 1.0
	v_fmac_f32_e32 v10, v19, v10
	v_div_scale_f32 v19, vcc, 1.0, v4, 1.0
	v_mul_f32_e32 v20, v19, v10
	v_fma_f32 v21, -v5, v20, v19
	v_fmac_f32_e32 v20, v21, v10
	v_fma_f32 v5, -v5, v20, v19
	v_div_fmas_f32 v5, v5, v10, v20
	v_div_fixup_f32 v4, v5, v4, 1.0
	v_fma_f32 v5, v3, v11, v2
	v_fma_f32 v2, -v2, v11, v3
	v_mul_f32_e32 v10, v5, v4
	v_mul_f32_e32 v11, v2, v4
.LBB152_95:                             ;   in Loop: Header=BB152_89 Depth=1
	s_lshl_b32 s4, s16, 3
	s_lshl_b32 s5, s14, 3
	s_add_i32 s4, s4, s5
	v_mov_b32_e32 v2, s4
	ds_read2_b64 v[2:5], v2 offset1:1
	ds_write_b64 v18, v[10:11]
	s_mov_b64 s[4:5], -1
	s_waitcnt lgkmcnt(1)
	v_mul_f32_e32 v18, v11, v5
	v_mul_f32_e32 v5, v10, v5
	v_fma_f32 v18, v10, v4, -v18
	v_fmac_f32_e32 v5, v11, v4
	v_cmp_ngt_f32_e64 s[16:17], |v2|, |v3|
	v_sub_f32_e32 v4, v12, v18
	v_sub_f32_e32 v5, v13, v5
	s_and_b64 vcc, exec, s[16:17]
                                        ; implicit-def: $vgpr13
	s_cbranch_vccz .LBB152_97
; %bb.96:                               ;   in Loop: Header=BB152_89 Depth=1
	v_div_scale_f32 v12, s[4:5], v3, v3, v2
	v_rcp_f32_e32 v13, v12
	v_div_scale_f32 v18, vcc, v2, v3, v2
	v_fma_f32 v19, -v12, v13, 1.0
	v_fmac_f32_e32 v13, v19, v13
	v_mul_f32_e32 v19, v18, v13
	v_fma_f32 v20, -v12, v19, v18
	v_fmac_f32_e32 v19, v20, v13
	v_fma_f32 v12, -v12, v19, v18
	v_div_fmas_f32 v12, v12, v13, v19
	v_div_fixup_f32 v13, v12, v3, v2
	v_fma_f32 v12, v2, v13, v3
	v_div_scale_f32 v18, s[4:5], v12, v12, 1.0
	v_rcp_f32_e32 v19, v18
	s_mov_b64 s[4:5], 0
	v_fma_f32 v20, -v18, v19, 1.0
	v_fmac_f32_e32 v19, v20, v19
	v_div_scale_f32 v20, vcc, 1.0, v12, 1.0
	v_mul_f32_e32 v21, v20, v19
	v_fma_f32 v22, -v18, v21, v20
	v_fmac_f32_e32 v21, v22, v19
	v_fma_f32 v18, -v18, v21, v20
	v_div_fmas_f32 v18, v18, v19, v21
	v_div_fixup_f32 v18, v18, v12, 1.0
	v_fma_f32 v12, v13, v4, v5
	v_fma_f32 v13, v13, v5, -v4
	v_mul_f32_e32 v12, v12, v18
	v_mul_f32_e32 v13, v13, v18
.LBB152_97:                             ;   in Loop: Header=BB152_89 Depth=1
	s_andn2_b64 vcc, exec, s[4:5]
	s_cbranch_vccnz .LBB152_99
; %bb.98:                               ;   in Loop: Header=BB152_89 Depth=1
	v_div_scale_f32 v12, s[4:5], v2, v2, v3
	v_rcp_f32_e32 v13, v12
	v_div_scale_f32 v18, vcc, v3, v2, v3
	v_fma_f32 v19, -v12, v13, 1.0
	v_fmac_f32_e32 v13, v19, v13
	v_mul_f32_e32 v19, v18, v13
	v_fma_f32 v20, -v12, v19, v18
	v_fmac_f32_e32 v19, v20, v13
	v_fma_f32 v12, -v12, v19, v18
	v_div_fmas_f32 v12, v12, v13, v19
	v_div_fixup_f32 v13, v12, v2, v3
	v_fmac_f32_e32 v2, v3, v13
	v_div_scale_f32 v3, s[4:5], v2, v2, 1.0
	v_rcp_f32_e32 v12, v3
	s_nop 0
	v_fma_f32 v18, -v3, v12, 1.0
	v_fmac_f32_e32 v12, v18, v12
	v_div_scale_f32 v18, vcc, 1.0, v2, 1.0
	v_mul_f32_e32 v19, v18, v12
	v_fma_f32 v20, -v3, v19, v18
	v_fmac_f32_e32 v19, v20, v12
	v_fma_f32 v3, -v3, v19, v18
	v_div_fmas_f32 v3, v3, v12, v19
	v_div_fixup_f32 v2, v3, v2, 1.0
	v_fma_f32 v3, v13, v5, v4
	v_mul_f32_e32 v12, v3, v2
	v_fma_f32 v3, -v13, v4, v5
	v_mul_f32_e32 v13, v3, v2
.LBB152_99:                             ;   in Loop: Header=BB152_89 Depth=1
	s_lshl_b32 s4, s15, 3
	s_lshl_b32 s14, s10, 3
	s_add_i32 s5, s4, s14
	v_mov_b32_e32 v2, s5
	ds_read_b64 v[18:19], v2
	s_lshl_b32 s5, s13, 3
	s_add_i32 s4, s4, s5
	v_mov_b32_e32 v2, s4
	ds_read2_b64 v[2:5], v2 offset1:1
	v_mov_b32_e32 v20, v11
	s_waitcnt lgkmcnt(1)
	v_pk_mul_f32 v[20:21], v[20:21], v[18:19] op_sel_hi:[0,1]
	v_pk_fma_f32 v[22:23], v[10:11], v[18:19], v[20:21] op_sel:[0,0,1] op_sel_hi:[1,1,0] neg_lo:[0,0,1] neg_hi:[0,0,1]
	v_pk_fma_f32 v[18:19], v[10:11], v[18:19], v[20:21] op_sel:[0,0,1] op_sel_hi:[0,1,0]
	v_mov_b32_e32 v18, v13
	v_mov_b32_e32 v23, v19
	s_waitcnt lgkmcnt(0)
	v_pk_mul_f32 v[18:19], v[18:19], v[4:5] op_sel_hi:[0,1]
	v_pk_fma_f32 v[20:21], v[12:13], v[4:5], v[18:19] op_sel:[0,0,1] op_sel_hi:[1,1,0] neg_lo:[0,0,1] neg_hi:[0,0,1]
	v_pk_fma_f32 v[4:5], v[12:13], v[4:5], v[18:19] op_sel:[0,0,1] op_sel_hi:[0,1,0]
	v_pk_add_f32 v[8:9], v[8:9], v[22:23] neg_lo:[0,1] neg_hi:[0,1]
	v_mov_b32_e32 v21, v5
	v_cmp_ngt_f32_e64 s[16:17], |v2|, |v3|
	v_pk_add_f32 v[4:5], v[8:9], v[20:21] neg_lo:[0,1] neg_hi:[0,1]
	s_mov_b64 s[4:5], -1
	s_and_b64 vcc, exec, s[16:17]
	ds_write_b64 v17, v[12:13]
                                        ; implicit-def: $vgpr8_vgpr9
	s_cbranch_vccz .LBB152_101
; %bb.100:                              ;   in Loop: Header=BB152_89 Depth=1
	v_div_scale_f32 v8, s[4:5], v3, v3, v2
	v_rcp_f32_e32 v9, v8
	v_div_scale_f32 v17, vcc, v2, v3, v2
	v_fma_f32 v18, -v8, v9, 1.0
	v_fmac_f32_e32 v9, v18, v9
	v_mul_f32_e32 v18, v17, v9
	v_fma_f32 v19, -v8, v18, v17
	v_fmac_f32_e32 v18, v19, v9
	v_fma_f32 v8, -v8, v18, v17
	v_div_fmas_f32 v8, v8, v9, v18
	v_div_fixup_f32 v8, v8, v3, v2
	v_fma_f32 v9, v2, v8, v3
	v_div_scale_f32 v17, s[4:5], v9, v9, 1.0
	v_rcp_f32_e32 v20, v17
	v_pk_fma_f32 v[18:19], v[8:9], v[4:5], v[4:5] op_sel:[0,0,1] op_sel_hi:[1,1,0]
	s_mov_b64 s[4:5], 0
	v_fma_f32 v19, -v17, v20, 1.0
	v_fmac_f32_e32 v20, v19, v20
	v_div_scale_f32 v19, vcc, 1.0, v9, 1.0
	v_mul_f32_e32 v21, v19, v20
	v_fma_f32 v22, -v17, v21, v19
	v_fmac_f32_e32 v21, v22, v20
	v_fma_f32 v17, -v17, v21, v19
	v_div_fmas_f32 v17, v17, v20, v21
	v_div_fixup_f32 v19, v17, v9, 1.0
	v_fma_f32 v9, v8, v5, -v4
	v_mov_b32_e32 v8, v19
	v_pk_mul_f32 v[8:9], v[18:19], v[8:9]
.LBB152_101:                            ;   in Loop: Header=BB152_89 Depth=1
	s_andn2_b64 vcc, exec, s[4:5]
	s_cbranch_vccnz .LBB152_103
; %bb.102:                              ;   in Loop: Header=BB152_89 Depth=1
	v_div_scale_f32 v8, s[4:5], v2, v2, v3
	v_rcp_f32_e32 v9, v8
	v_div_scale_f32 v17, vcc, v3, v2, v3
	v_fma_f32 v18, -v8, v9, 1.0
	v_fmac_f32_e32 v9, v18, v9
	v_mul_f32_e32 v18, v17, v9
	v_fma_f32 v19, -v8, v18, v17
	v_fmac_f32_e32 v18, v19, v9
	v_fma_f32 v8, -v8, v18, v17
	v_div_fmas_f32 v8, v8, v9, v18
	v_div_fixup_f32 v8, v8, v2, v3
	v_fmac_f32_e32 v2, v3, v8
	v_div_scale_f32 v3, s[4:5], v2, v2, 1.0
	v_rcp_f32_e32 v9, v3
	s_nop 0
	v_fma_f32 v17, -v3, v9, 1.0
	v_fmac_f32_e32 v9, v17, v9
	v_div_scale_f32 v17, vcc, 1.0, v2, 1.0
	v_mul_f32_e32 v18, v17, v9
	v_fma_f32 v19, -v3, v18, v17
	v_fmac_f32_e32 v18, v19, v9
	v_fma_f32 v3, -v3, v18, v17
	v_div_fmas_f32 v3, v3, v9, v18
	v_pk_fma_f32 v[18:19], v[8:9], v[4:5], v[4:5] op_sel:[0,1,0] op_sel_hi:[1,0,1]
	v_pk_fma_f32 v[4:5], v[8:9], v[4:5], v[4:5] op_sel:[0,1,0] op_sel_hi:[0,0,1] neg_lo:[1,0,0] neg_hi:[1,0,0]
	v_div_fixup_f32 v2, v3, v2, 1.0
	v_mov_b32_e32 v19, v5
	v_pk_mul_f32 v[8:9], v[18:19], v[2:3] op_sel_hi:[1,0]
.LBB152_103:                            ;   in Loop: Header=BB152_89 Depth=1
	s_lshl_b32 s4, s12, 3
	s_add_i32 s5, s4, s14
	s_add_i32 s5, s5, -8
	v_mov_b32_e32 v2, s5
	ds_write_b64 v16, v[8:9]
	ds_read2_b64 v[16:19], v2 offset1:1
	s_lshl_b32 s5, s11, 3
	s_add_i32 s4, s4, s5
	v_mov_b32_e32 v2, s4
	v_mov_b32_e32 v20, v11
	;; [unrolled: 1-line block ×3, first 2 shown]
	ds_read2_b64 v[2:5], v2 offset1:1
	v_mov_b32_e32 v11, v10
	s_waitcnt lgkmcnt(1)
	v_pk_mul_f32 v[20:21], v[20:21], v[18:19]
	v_mov_b32_e32 v22, v13
	v_mov_b32_e32 v23, v13
	v_pk_fma_f32 v[24:25], v[10:11], v[18:19], v[20:21] op_sel:[0,0,1] op_sel_hi:[1,1,0] neg_lo:[0,0,1] neg_hi:[0,0,1]
	v_pk_fma_f32 v[10:11], v[10:11], v[18:19], v[20:21] op_sel:[0,0,1] op_sel_hi:[1,1,0]
	v_mov_b32_e32 v13, v12
	v_mov_b32_e32 v25, v11
	v_pk_mul_f32 v[10:11], v[22:23], v[16:17]
	v_pk_add_f32 v[6:7], v[6:7], v[24:25] neg_lo:[0,1] neg_hi:[0,1]
	v_pk_fma_f32 v[18:19], v[12:13], v[16:17], v[10:11] op_sel:[0,0,1] op_sel_hi:[1,1,0] neg_lo:[0,0,1] neg_hi:[0,0,1]
	v_pk_fma_f32 v[10:11], v[12:13], v[16:17], v[10:11] op_sel:[0,0,1] op_sel_hi:[1,1,0]
	s_waitcnt lgkmcnt(0)
	v_cmp_ngt_f32_e64 s[12:13], |v2|, |v3|
	v_mov_b32_e32 v19, v11
	v_pk_mul_f32 v[10:11], v[8:9], v[4:5] op_sel:[1,1] op_sel_hi:[1,0]
	v_pk_add_f32 v[6:7], v[6:7], v[18:19] neg_lo:[0,1] neg_hi:[0,1]
	v_pk_fma_f32 v[12:13], v[8:9], v[4:5], v[10:11] neg_lo:[0,0,1] neg_hi:[0,0,1]
	v_pk_fma_f32 v[4:5], v[8:9], v[4:5], v[10:11] op_sel_hi:[0,1,1]
	v_mov_b32_e32 v13, v5
	v_pk_add_f32 v[4:5], v[6:7], v[12:13] neg_lo:[0,1] neg_hi:[0,1]
	s_mov_b64 s[4:5], -1
	s_and_b64 vcc, exec, s[12:13]
                                        ; implicit-def: $vgpr6_vgpr7
	s_cbranch_vccz .LBB152_105
; %bb.104:                              ;   in Loop: Header=BB152_89 Depth=1
	v_div_scale_f32 v6, s[4:5], v3, v3, v2
	v_rcp_f32_e32 v7, v6
	v_div_scale_f32 v8, vcc, v2, v3, v2
	v_fma_f32 v9, -v6, v7, 1.0
	v_fmac_f32_e32 v7, v9, v7
	v_mul_f32_e32 v9, v8, v7
	v_fma_f32 v10, -v6, v9, v8
	v_fmac_f32_e32 v9, v10, v7
	v_fma_f32 v6, -v6, v9, v8
	v_div_fmas_f32 v6, v6, v7, v9
	v_div_fixup_f32 v6, v6, v3, v2
	v_fma_f32 v7, v2, v6, v3
	v_div_scale_f32 v10, s[4:5], v7, v7, 1.0
	v_rcp_f32_e32 v11, v10
	v_pk_fma_f32 v[8:9], v[6:7], v[4:5], v[4:5] op_sel:[0,0,1] op_sel_hi:[1,1,0]
	s_mov_b64 s[4:5], 0
	v_fma_f32 v9, -v10, v11, 1.0
	v_fmac_f32_e32 v11, v9, v11
	v_div_scale_f32 v9, vcc, 1.0, v7, 1.0
	v_mul_f32_e32 v12, v9, v11
	v_fma_f32 v13, -v10, v12, v9
	v_fmac_f32_e32 v12, v13, v11
	v_fma_f32 v9, -v10, v12, v9
	v_div_fmas_f32 v9, v9, v11, v12
	v_div_fixup_f32 v9, v9, v7, 1.0
	v_fma_f32 v7, v6, v5, -v4
	v_mov_b32_e32 v6, v9
	v_pk_mul_f32 v[6:7], v[8:9], v[6:7]
.LBB152_105:                            ;   in Loop: Header=BB152_89 Depth=1
	s_andn2_b64 vcc, exec, s[4:5]
	s_cbranch_vccnz .LBB152_107
; %bb.106:                              ;   in Loop: Header=BB152_89 Depth=1
	v_div_scale_f32 v6, s[4:5], v2, v2, v3
	v_rcp_f32_e32 v7, v6
	v_div_scale_f32 v8, vcc, v3, v2, v3
	v_fma_f32 v9, -v6, v7, 1.0
	v_fmac_f32_e32 v7, v9, v7
	v_mul_f32_e32 v9, v8, v7
	v_fma_f32 v10, -v6, v9, v8
	v_fmac_f32_e32 v9, v10, v7
	v_fma_f32 v6, -v6, v9, v8
	v_div_fmas_f32 v6, v6, v7, v9
	v_div_fixup_f32 v6, v6, v2, v3
	v_fmac_f32_e32 v2, v3, v6
	v_div_scale_f32 v3, s[4:5], v2, v2, 1.0
	v_rcp_f32_e32 v7, v3
	s_nop 0
	v_fma_f32 v8, -v3, v7, 1.0
	v_fmac_f32_e32 v7, v8, v7
	v_div_scale_f32 v8, vcc, 1.0, v2, 1.0
	v_mul_f32_e32 v9, v8, v7
	v_fma_f32 v10, -v3, v9, v8
	v_fmac_f32_e32 v9, v10, v7
	v_fma_f32 v3, -v3, v9, v8
	v_div_fmas_f32 v3, v3, v7, v9
	v_pk_fma_f32 v[8:9], v[6:7], v[4:5], v[4:5] op_sel:[0,1,0] op_sel_hi:[1,0,1]
	v_pk_fma_f32 v[4:5], v[6:7], v[4:5], v[4:5] op_sel:[0,1,0] op_sel_hi:[0,0,1] neg_lo:[1,0,0] neg_hi:[1,0,0]
	v_div_fixup_f32 v2, v3, v2, 1.0
	v_mov_b32_e32 v9, v5
	v_pk_mul_f32 v[6:7], v[8:9], v[2:3] op_sel_hi:[1,0]
.LBB152_107:                            ;   in Loop: Header=BB152_89 Depth=1
	s_add_i32 s11, s10, -4
	s_addk_i32 s9, 0xfe00
	s_cmp_lt_i32 s10, 7
	ds_write_b64 v15, v[6:7]
	s_cbranch_scc1 .LBB152_109
; %bb.108:                              ;   in Loop: Header=BB152_89 Depth=1
	s_mov_b32 s10, s11
	s_branch .LBB152_89
.LBB152_109:
	s_cmp_lt_i32 s11, 0
	s_cbranch_scc1 .LBB152_118
; %bb.110:
	v_lshlrev_b32_e32 v2, 3, v0
	s_lshl_b32 s4, s11, 7
	s_lshl_b32 s5, s28, 3
	v_lshl_or_b32 v2, s28, 7, v2
	s_add_i32 s4, s4, s5
	v_add_u32_e32 v8, 0x780, v2
	s_add_i32 s9, s4, -8
	s_branch .LBB152_112
.LBB152_111:                            ;   in Loop: Header=BB152_112 Depth=1
	v_sub_co_u32_e64 v2, s[4:5], s11, 1
	s_nop 0
	v_readfirstlane_b32 s11, v2
	s_addk_i32 s9, 0xff80
	s_and_b64 vcc, exec, s[4:5]
	ds_write_b64 v9, v[6:7]
	s_cbranch_vccnz .LBB152_118
.LBB152_112:                            ; =>This Loop Header: Depth=1
                                        ;     Child Loop BB152_113 Depth 2
	v_lshl_add_u32 v9, s11, 7, v1
	ds_read_b64 v[2:3], v9
	s_cmp_le_i32 s7, s11
	s_mov_b32 s4, s9
	v_mov_b32_e32 v4, v8
	s_mov_b32 s5, s7
	s_cbranch_scc1 .LBB152_114
.LBB152_113:                            ;   Parent Loop BB152_112 Depth=1
                                        ; =>  This Inner Loop Header: Depth=2
	v_mov_b32_e32 v5, s4
	ds_read_b64 v[6:7], v4
	ds_read_b64 v[10:11], v5
	s_add_i32 s5, s5, -1
	s_add_i32 s4, s4, -8
	v_add_u32_e32 v4, 0xffffff80, v4
	s_cmp_le_u32 s5, s11
	s_waitcnt lgkmcnt(0)
	v_pk_mul_f32 v[12:13], v[10:11], v[6:7] op_sel:[1,1] op_sel_hi:[0,1]
	v_pk_fma_f32 v[14:15], v[10:11], v[6:7], v[12:13] op_sel_hi:[1,0,1]
	v_pk_fma_f32 v[6:7], v[10:11], v[6:7], v[12:13] op_sel_hi:[1,0,1] neg_lo:[0,0,1] neg_hi:[0,0,1]
	s_nop 0
	v_mov_b32_e32 v7, v15
	v_pk_add_f32 v[2:3], v[2:3], v[6:7] neg_lo:[0,1] neg_hi:[0,1]
	s_cbranch_scc0 .LBB152_113
.LBB152_114:                            ;   in Loop: Header=BB152_112 Depth=1
	s_mul_i32 s4, s11, 0x88
	v_mov_b32_e32 v4, s4
	ds_read_b64 v[4:5], v4
	s_mov_b64 s[4:5], -1
                                        ; implicit-def: $vgpr6_vgpr7
	s_waitcnt lgkmcnt(0)
	v_cmp_ngt_f32_e64 s[12:13], |v4|, |v5|
	s_and_b64 vcc, exec, s[12:13]
	s_cbranch_vccz .LBB152_116
; %bb.115:                              ;   in Loop: Header=BB152_112 Depth=1
	v_div_scale_f32 v6, s[4:5], v5, v5, v4
	v_rcp_f32_e32 v7, v6
	v_div_scale_f32 v10, vcc, v4, v5, v4
	v_fma_f32 v11, -v6, v7, 1.0
	v_fmac_f32_e32 v7, v11, v7
	v_mul_f32_e32 v11, v10, v7
	v_fma_f32 v12, -v6, v11, v10
	v_fmac_f32_e32 v11, v12, v7
	v_fma_f32 v6, -v6, v11, v10
	v_div_fmas_f32 v6, v6, v7, v11
	v_div_fixup_f32 v6, v6, v5, v4
	v_fma_f32 v7, v4, v6, v5
	v_div_scale_f32 v10, s[4:5], v7, v7, 1.0
	v_rcp_f32_e32 v11, v10
	s_mov_b64 s[4:5], 0
	v_fma_f32 v12, -v10, v11, 1.0
	v_fmac_f32_e32 v11, v12, v11
	v_div_scale_f32 v12, vcc, 1.0, v7, 1.0
	v_mul_f32_e32 v13, v12, v11
	v_fma_f32 v14, -v10, v13, v12
	v_fmac_f32_e32 v13, v14, v11
	v_fma_f32 v10, -v10, v13, v12
	v_div_fmas_f32 v10, v10, v11, v13
	v_div_fixup_f32 v10, v10, v7, 1.0
	v_pk_fma_f32 v[12:13], v[2:3], v[6:7], v[2:3] op_sel:[0,0,1] op_sel_hi:[1,0,0] neg_lo:[0,0,1] neg_hi:[0,0,1]
	v_pk_fma_f32 v[6:7], v[2:3], v[6:7], v[2:3] op_sel:[0,0,1] op_sel_hi:[1,0,0]
	s_nop 0
	v_mov_b32_e32 v7, v13
	v_pk_mul_f32 v[6:7], v[6:7], v[10:11] op_sel_hi:[1,0]
.LBB152_116:                            ;   in Loop: Header=BB152_112 Depth=1
	s_andn2_b64 vcc, exec, s[4:5]
	s_cbranch_vccnz .LBB152_111
; %bb.117:                              ;   in Loop: Header=BB152_112 Depth=1
	v_div_scale_f32 v6, s[4:5], v4, v4, v5
	v_rcp_f32_e32 v7, v6
	v_div_scale_f32 v10, vcc, v5, v4, v5
	v_fma_f32 v11, -v6, v7, 1.0
	v_fmac_f32_e32 v7, v11, v7
	v_mul_f32_e32 v11, v10, v7
	v_fma_f32 v12, -v6, v11, v10
	v_fmac_f32_e32 v11, v12, v7
	v_fma_f32 v6, -v6, v11, v10
	v_div_fmas_f32 v6, v6, v7, v11
	v_div_fixup_f32 v6, v6, v4, v5
	v_fmac_f32_e32 v4, v5, v6
	v_div_scale_f32 v5, s[4:5], v4, v4, 1.0
	v_rcp_f32_e32 v7, v5
	s_nop 0
	v_fma_f32 v10, -v5, v7, 1.0
	v_fmac_f32_e32 v7, v10, v7
	v_div_scale_f32 v10, vcc, 1.0, v4, 1.0
	v_mul_f32_e32 v11, v10, v7
	v_fma_f32 v12, -v5, v11, v10
	v_fmac_f32_e32 v11, v12, v7
	v_fma_f32 v5, -v5, v11, v10
	v_div_fmas_f32 v5, v5, v7, v11
	v_pk_fma_f32 v[10:11], v[2:3], v[6:7], v[2:3] op_sel:[1,0,0] op_sel_hi:[0,0,1] neg_lo:[1,0,0] neg_hi:[1,0,0]
	v_pk_fma_f32 v[2:3], v[2:3], v[6:7], v[2:3] op_sel:[1,0,0] op_sel_hi:[0,0,1]
	v_div_fixup_f32 v4, v5, v4, 1.0
	v_mov_b32_e32 v3, v11
	v_pk_mul_f32 v[6:7], v[2:3], v[4:5] op_sel_hi:[1,0]
	s_branch .LBB152_111
.LBB152_118:
	s_mov_b64 s[14:15], 0
.LBB152_119:
	s_andn2_b64 vcc, exec, s[14:15]
	s_cbranch_vccnz .LBB152_151
; %bb.120:
	v_mov_b32_e32 v1, 0x800
	v_lshl_or_b32 v1, v0, 3, v1
	s_cmp_lt_i32 s8, 4
	s_mov_b32 s10, 0
	s_cbranch_scc1 .LBB152_142
; %bb.121:
	s_mov_b32 s7, 0
	s_mov_b32 s9, 0
.LBB152_122:                            ; =>This Loop Header: Depth=1
                                        ;     Child Loop BB152_123 Depth 2
	s_or_b32 s4, s9, 3
	v_lshl_add_u32 v17, s9, 7, v1
	s_or_b32 s5, s9, 1
	s_or_b32 s11, s9, 2
	v_lshl_add_u32 v16, s5, 7, v1
	v_lshl_add_u32 v15, s11, 7, v1
	;; [unrolled: 1-line block ×3, first 2 shown]
	ds_read_b64 v[2:3], v17
	ds_read_b64 v[12:13], v16
	;; [unrolled: 1-line block ×4, first 2 shown]
	s_cmp_eq_u32 s9, 0
	s_mov_b32 s10, s7
	v_mov_b32_e32 v4, v1
	s_mov_b32 s12, s9
	s_cbranch_scc1 .LBB152_124
.LBB152_123:                            ;   Parent Loop BB152_122 Depth=1
                                        ; =>  This Inner Loop Header: Depth=2
	v_mov_b32_e32 v5, s10
	ds_read_b64 v[10:11], v4
	ds_read2_b64 v[18:21], v5 offset1:16
	ds_read2_b64 v[22:25], v5 offset0:32 offset1:48
	s_add_i32 s12, s12, -1
	s_add_i32 s10, s10, 8
	v_add_u32_e32 v4, 0x80, v4
	s_waitcnt lgkmcnt(1)
	v_mul_f32_e32 v5, v19, v11
	v_mul_f32_e32 v30, v18, v11
	;; [unrolled: 1-line block ×4, first 2 shown]
	s_waitcnt lgkmcnt(0)
	v_pk_mul_f32 v[26:27], v[22:23], v[10:11] op_sel:[0,1]
	v_pk_mul_f32 v[28:29], v[24:25], v[10:11] op_sel:[0,1]
	v_fma_f32 v5, v18, v10, -v5
	v_fmac_f32_e32 v30, v19, v10
	v_fma_f32 v31, v20, v10, -v31
	v_fmac_f32_e32 v32, v20, v11
	v_pk_fma_f32 v[18:19], v[22:23], v[10:11], v[26:27] op_sel:[0,0,1] op_sel_hi:[1,1,0] neg_lo:[0,0,1] neg_hi:[0,0,1]
	v_pk_fma_f32 v[20:21], v[22:23], v[10:11], v[26:27] op_sel:[0,0,1] op_sel_hi:[1,0,0]
	v_pk_fma_f32 v[22:23], v[24:25], v[10:11], v[28:29] op_sel:[0,0,1] op_sel_hi:[1,1,0] neg_lo:[0,0,1] neg_hi:[0,0,1]
	v_pk_fma_f32 v[10:11], v[24:25], v[10:11], v[28:29] op_sel:[0,0,1] op_sel_hi:[1,0,0]
	v_mov_b32_e32 v19, v21
	v_mov_b32_e32 v23, v11
	s_cmp_eq_u32 s12, 0
	v_sub_f32_e32 v2, v2, v5
	v_sub_f32_e32 v3, v3, v30
	;; [unrolled: 1-line block ×4, first 2 shown]
	v_pk_add_f32 v[8:9], v[8:9], v[18:19] neg_lo:[0,1] neg_hi:[0,1]
	v_pk_add_f32 v[6:7], v[6:7], v[22:23] neg_lo:[0,1] neg_hi:[0,1]
	s_cbranch_scc0 .LBB152_123
.LBB152_124:                            ;   in Loop: Header=BB152_122 Depth=1
	s_lshl_b32 s10, s4, 4
	s_mul_i32 s4, s9, 0x88
	v_mov_b32_e32 v4, s4
	ds_read_b64 v[4:5], v4
	s_lshl_b32 s12, s5, 4
	s_lshl_b32 s13, s11, 4
	s_mov_b64 s[4:5], -1
                                        ; implicit-def: $vgpr11
	s_waitcnt lgkmcnt(0)
	v_cmp_ngt_f32_e64 s[14:15], |v4|, |v5|
	s_and_b64 vcc, exec, s[14:15]
	s_cbranch_vccz .LBB152_126
; %bb.125:                              ;   in Loop: Header=BB152_122 Depth=1
	v_div_scale_f32 v10, s[4:5], v5, v5, v4
	v_rcp_f32_e32 v11, v10
	v_div_scale_f32 v18, vcc, v4, v5, v4
	v_fma_f32 v19, -v10, v11, 1.0
	v_fmac_f32_e32 v11, v19, v11
	v_mul_f32_e32 v19, v18, v11
	v_fma_f32 v20, -v10, v19, v18
	v_fmac_f32_e32 v19, v20, v11
	v_fma_f32 v10, -v10, v19, v18
	v_div_fmas_f32 v10, v10, v11, v19
	v_div_fixup_f32 v11, v10, v5, v4
	v_fma_f32 v10, v4, v11, v5
	v_div_scale_f32 v18, s[4:5], v10, v10, 1.0
	v_rcp_f32_e32 v19, v18
	s_mov_b64 s[4:5], 0
	v_fma_f32 v20, -v18, v19, 1.0
	v_fmac_f32_e32 v19, v20, v19
	v_div_scale_f32 v20, vcc, 1.0, v10, 1.0
	v_mul_f32_e32 v21, v20, v19
	v_fma_f32 v22, -v18, v21, v20
	v_fmac_f32_e32 v21, v22, v19
	v_fma_f32 v18, -v18, v21, v20
	v_div_fmas_f32 v18, v18, v19, v21
	v_div_fixup_f32 v18, v18, v10, 1.0
	v_fma_f32 v10, v2, v11, v3
	v_fma_f32 v11, v3, v11, -v2
	v_mul_f32_e32 v10, v10, v18
	v_mul_f32_e32 v11, v11, v18
.LBB152_126:                            ;   in Loop: Header=BB152_122 Depth=1
	s_andn2_b64 vcc, exec, s[4:5]
	s_cbranch_vccnz .LBB152_128
; %bb.127:                              ;   in Loop: Header=BB152_122 Depth=1
	v_div_scale_f32 v10, s[4:5], v4, v4, v5
	v_rcp_f32_e32 v11, v10
	v_div_scale_f32 v18, vcc, v5, v4, v5
	v_fma_f32 v19, -v10, v11, 1.0
	v_fmac_f32_e32 v11, v19, v11
	v_mul_f32_e32 v19, v18, v11
	v_fma_f32 v20, -v10, v19, v18
	v_fmac_f32_e32 v19, v20, v11
	v_fma_f32 v10, -v10, v19, v18
	v_div_fmas_f32 v10, v10, v11, v19
	v_div_fixup_f32 v11, v10, v4, v5
	v_fmac_f32_e32 v4, v5, v11
	v_div_scale_f32 v5, s[4:5], v4, v4, 1.0
	v_rcp_f32_e32 v10, v5
	s_nop 0
	v_fma_f32 v18, -v5, v10, 1.0
	v_fmac_f32_e32 v10, v18, v10
	v_div_scale_f32 v18, vcc, 1.0, v4, 1.0
	v_mul_f32_e32 v19, v18, v10
	v_fma_f32 v20, -v5, v19, v18
	v_fmac_f32_e32 v19, v20, v10
	v_fma_f32 v5, -v5, v19, v18
	v_div_fmas_f32 v5, v5, v10, v19
	v_div_fixup_f32 v4, v5, v4, 1.0
	v_fma_f32 v5, v3, v11, v2
	v_fma_f32 v2, -v2, v11, v3
	v_mul_f32_e32 v10, v5, v4
	v_mul_f32_e32 v11, v2, v4
.LBB152_128:                            ;   in Loop: Header=BB152_122 Depth=1
	s_lshl_b32 s4, s12, 3
	s_lshl_b32 s12, s9, 3
	s_add_i32 s4, s4, s12
	v_mov_b32_e32 v2, s4
	ds_read_b128 v[2:5], v2
	ds_write_b64 v17, v[10:11]
	s_mov_b64 s[4:5], -1
	s_waitcnt lgkmcnt(1)
	v_mul_f32_e32 v17, v11, v3
	v_mul_f32_e32 v3, v10, v3
	v_fma_f32 v17, v10, v2, -v17
	v_fmac_f32_e32 v3, v11, v2
	v_cmp_ngt_f32_e64 s[14:15], |v4|, |v5|
	v_sub_f32_e32 v2, v12, v17
	v_sub_f32_e32 v3, v13, v3
	s_and_b64 vcc, exec, s[14:15]
                                        ; implicit-def: $vgpr13
	s_cbranch_vccz .LBB152_130
; %bb.129:                              ;   in Loop: Header=BB152_122 Depth=1
	v_div_scale_f32 v12, s[4:5], v5, v5, v4
	v_rcp_f32_e32 v13, v12
	v_div_scale_f32 v17, vcc, v4, v5, v4
	v_fma_f32 v18, -v12, v13, 1.0
	v_fmac_f32_e32 v13, v18, v13
	v_mul_f32_e32 v18, v17, v13
	v_fma_f32 v19, -v12, v18, v17
	v_fmac_f32_e32 v18, v19, v13
	v_fma_f32 v12, -v12, v18, v17
	v_div_fmas_f32 v12, v12, v13, v18
	v_div_fixup_f32 v13, v12, v5, v4
	v_fma_f32 v12, v4, v13, v5
	v_div_scale_f32 v17, s[4:5], v12, v12, 1.0
	v_rcp_f32_e32 v18, v17
	s_mov_b64 s[4:5], 0
	v_fma_f32 v19, -v17, v18, 1.0
	v_fmac_f32_e32 v18, v19, v18
	v_div_scale_f32 v19, vcc, 1.0, v12, 1.0
	v_mul_f32_e32 v20, v19, v18
	v_fma_f32 v21, -v17, v20, v19
	v_fmac_f32_e32 v20, v21, v18
	v_fma_f32 v17, -v17, v20, v19
	v_div_fmas_f32 v17, v17, v18, v20
	v_div_fixup_f32 v17, v17, v12, 1.0
	v_fma_f32 v12, v13, v2, v3
	v_fma_f32 v13, v13, v3, -v2
	v_mul_f32_e32 v12, v12, v17
	v_mul_f32_e32 v13, v13, v17
.LBB152_130:                            ;   in Loop: Header=BB152_122 Depth=1
	s_andn2_b64 vcc, exec, s[4:5]
	s_cbranch_vccnz .LBB152_132
; %bb.131:                              ;   in Loop: Header=BB152_122 Depth=1
	v_div_scale_f32 v12, s[4:5], v4, v4, v5
	v_rcp_f32_e32 v13, v12
	v_div_scale_f32 v17, vcc, v5, v4, v5
	v_fma_f32 v18, -v12, v13, 1.0
	v_fmac_f32_e32 v13, v18, v13
	v_mul_f32_e32 v18, v17, v13
	v_fma_f32 v19, -v12, v18, v17
	v_fmac_f32_e32 v18, v19, v13
	v_fma_f32 v12, -v12, v18, v17
	v_div_fmas_f32 v12, v12, v13, v18
	v_div_fixup_f32 v13, v12, v4, v5
	v_fmac_f32_e32 v4, v5, v13
	v_div_scale_f32 v5, s[4:5], v4, v4, 1.0
	v_rcp_f32_e32 v12, v5
	s_nop 0
	v_fma_f32 v17, -v5, v12, 1.0
	v_fmac_f32_e32 v12, v17, v12
	v_div_scale_f32 v17, vcc, 1.0, v4, 1.0
	v_mul_f32_e32 v18, v17, v12
	v_fma_f32 v19, -v5, v18, v17
	v_fmac_f32_e32 v18, v19, v12
	v_fma_f32 v5, -v5, v18, v17
	v_div_fmas_f32 v5, v5, v12, v18
	v_div_fixup_f32 v4, v5, v4, 1.0
	v_fma_f32 v5, v13, v3, v2
	v_fma_f32 v2, -v13, v2, v3
	v_mul_f32_e32 v12, v5, v4
	v_mul_f32_e32 v13, v2, v4
.LBB152_132:                            ;   in Loop: Header=BB152_122 Depth=1
	s_lshl_b32 s4, s13, 3
	s_add_i32 s5, s4, s12
	v_mov_b32_e32 v2, s5
	ds_write_b64 v16, v[12:13]
	ds_read_b128 v[16:19], v2
	s_lshl_b32 s5, s11, 3
	v_mov_b32_e32 v4, v11
	s_add_i32 s4, s4, s5
	v_mov_b32_e32 v2, s4
	s_waitcnt lgkmcnt(0)
	v_pk_mul_f32 v[4:5], v[4:5], v[16:17] op_sel_hi:[0,1]
	ds_read_b64 v[2:3], v2
	v_pk_fma_f32 v[20:21], v[10:11], v[16:17], v[4:5] op_sel:[0,0,1] op_sel_hi:[1,1,0] neg_lo:[0,0,1] neg_hi:[0,0,1]
	v_pk_fma_f32 v[4:5], v[10:11], v[16:17], v[4:5] op_sel:[0,0,1] op_sel_hi:[0,1,0]
	v_mov_b32_e32 v21, v5
	v_pk_add_f32 v[4:5], v[8:9], v[20:21] neg_lo:[0,1] neg_hi:[0,1]
	v_mov_b32_e32 v8, v13
	v_pk_mul_f32 v[8:9], v[8:9], v[18:19] op_sel_hi:[0,1]
	v_pk_fma_f32 v[16:17], v[12:13], v[18:19], v[8:9] op_sel:[0,0,1] op_sel_hi:[1,1,0] neg_lo:[0,0,1] neg_hi:[0,0,1]
	v_pk_fma_f32 v[8:9], v[12:13], v[18:19], v[8:9] op_sel:[0,0,1] op_sel_hi:[0,1,0]
	v_mov_b32_e32 v17, v9
	s_waitcnt lgkmcnt(0)
	v_cmp_ngt_f32_e64 s[14:15], |v2|, |v3|
	v_pk_add_f32 v[4:5], v[4:5], v[16:17] neg_lo:[0,1] neg_hi:[0,1]
	s_mov_b64 s[4:5], -1
	s_and_b64 vcc, exec, s[14:15]
                                        ; implicit-def: $vgpr8_vgpr9
	s_cbranch_vccz .LBB152_134
; %bb.133:                              ;   in Loop: Header=BB152_122 Depth=1
	v_div_scale_f32 v8, s[4:5], v3, v3, v2
	v_rcp_f32_e32 v9, v8
	v_div_scale_f32 v16, vcc, v2, v3, v2
	v_fma_f32 v17, -v8, v9, 1.0
	v_fmac_f32_e32 v9, v17, v9
	v_mul_f32_e32 v17, v16, v9
	v_fma_f32 v18, -v8, v17, v16
	v_fmac_f32_e32 v17, v18, v9
	v_fma_f32 v8, -v8, v17, v16
	v_div_fmas_f32 v8, v8, v9, v17
	v_div_fixup_f32 v8, v8, v3, v2
	v_fma_f32 v9, v2, v8, v3
	v_div_scale_f32 v18, s[4:5], v9, v9, 1.0
	v_rcp_f32_e32 v19, v18
	v_pk_fma_f32 v[16:17], v[8:9], v[4:5], v[4:5] op_sel:[0,0,1] op_sel_hi:[1,1,0]
	s_mov_b64 s[4:5], 0
	v_fma_f32 v17, -v18, v19, 1.0
	v_fmac_f32_e32 v19, v17, v19
	v_div_scale_f32 v17, vcc, 1.0, v9, 1.0
	v_mul_f32_e32 v20, v17, v19
	v_fma_f32 v21, -v18, v20, v17
	v_fmac_f32_e32 v20, v21, v19
	v_fma_f32 v17, -v18, v20, v17
	v_div_fmas_f32 v17, v17, v19, v20
	v_div_fixup_f32 v17, v17, v9, 1.0
	v_fma_f32 v9, v8, v5, -v4
	v_mov_b32_e32 v8, v17
	v_pk_mul_f32 v[8:9], v[16:17], v[8:9]
.LBB152_134:                            ;   in Loop: Header=BB152_122 Depth=1
	s_andn2_b64 vcc, exec, s[4:5]
	s_cbranch_vccnz .LBB152_136
; %bb.135:                              ;   in Loop: Header=BB152_122 Depth=1
	v_div_scale_f32 v8, s[4:5], v2, v2, v3
	v_rcp_f32_e32 v9, v8
	v_div_scale_f32 v16, vcc, v3, v2, v3
	v_fma_f32 v17, -v8, v9, 1.0
	v_fmac_f32_e32 v9, v17, v9
	v_mul_f32_e32 v17, v16, v9
	v_fma_f32 v18, -v8, v17, v16
	v_fmac_f32_e32 v17, v18, v9
	v_fma_f32 v8, -v8, v17, v16
	v_div_fmas_f32 v8, v8, v9, v17
	v_div_fixup_f32 v8, v8, v2, v3
	v_fmac_f32_e32 v2, v3, v8
	v_div_scale_f32 v3, s[4:5], v2, v2, 1.0
	v_rcp_f32_e32 v9, v3
	s_nop 0
	v_fma_f32 v16, -v3, v9, 1.0
	v_fmac_f32_e32 v9, v16, v9
	v_div_scale_f32 v16, vcc, 1.0, v2, 1.0
	v_mul_f32_e32 v17, v16, v9
	v_fma_f32 v18, -v3, v17, v16
	v_fmac_f32_e32 v17, v18, v9
	v_fma_f32 v3, -v3, v17, v16
	v_div_fmas_f32 v3, v3, v9, v17
	v_pk_fma_f32 v[16:17], v[8:9], v[4:5], v[4:5] op_sel:[0,1,0] op_sel_hi:[1,0,1]
	v_pk_fma_f32 v[4:5], v[8:9], v[4:5], v[4:5] op_sel:[0,1,0] op_sel_hi:[0,0,1] neg_lo:[1,0,0] neg_hi:[1,0,0]
	v_div_fixup_f32 v2, v3, v2, 1.0
	v_mov_b32_e32 v17, v5
	v_pk_mul_f32 v[8:9], v[16:17], v[2:3] op_sel_hi:[1,0]
.LBB152_136:                            ;   in Loop: Header=BB152_122 Depth=1
	s_lshl_b32 s4, s10, 3
	s_add_i32 s4, s4, s12
	v_mov_b32_e32 v2, s4
	ds_read_b128 v[16:19], v2
	v_mov_b32_e32 v20, v11
	v_mov_b32_e32 v21, v11
	ds_read_b128 v[2:5], v2 offset:16
	v_mov_b32_e32 v11, v10
	s_waitcnt lgkmcnt(1)
	v_pk_mul_f32 v[20:21], v[20:21], v[16:17]
	v_mov_b32_e32 v22, v13
	v_mov_b32_e32 v23, v13
	v_pk_fma_f32 v[24:25], v[10:11], v[16:17], v[20:21] op_sel:[0,0,1] op_sel_hi:[1,1,0] neg_lo:[0,0,1] neg_hi:[0,0,1]
	v_pk_fma_f32 v[10:11], v[10:11], v[16:17], v[20:21] op_sel:[0,0,1] op_sel_hi:[1,1,0]
	v_mov_b32_e32 v13, v12
	v_mov_b32_e32 v25, v11
	v_pk_mul_f32 v[10:11], v[22:23], v[18:19]
	v_pk_add_f32 v[6:7], v[6:7], v[24:25] neg_lo:[0,1] neg_hi:[0,1]
	v_pk_fma_f32 v[16:17], v[12:13], v[18:19], v[10:11] op_sel:[0,0,1] op_sel_hi:[1,1,0] neg_lo:[0,0,1] neg_hi:[0,0,1]
	v_pk_fma_f32 v[10:11], v[12:13], v[18:19], v[10:11] op_sel:[0,0,1] op_sel_hi:[1,1,0]
	s_waitcnt lgkmcnt(0)
	v_cmp_ngt_f32_e64 s[10:11], |v4|, |v5|
	v_mov_b32_e32 v17, v11
	v_pk_mul_f32 v[10:11], v[8:9], v[2:3] op_sel:[1,1] op_sel_hi:[1,0]
	v_pk_add_f32 v[6:7], v[6:7], v[16:17] neg_lo:[0,1] neg_hi:[0,1]
	v_pk_fma_f32 v[12:13], v[8:9], v[2:3], v[10:11] neg_lo:[0,0,1] neg_hi:[0,0,1]
	v_pk_fma_f32 v[2:3], v[8:9], v[2:3], v[10:11] op_sel_hi:[0,1,1]
	v_mov_b32_e32 v13, v3
	v_pk_add_f32 v[2:3], v[6:7], v[12:13] neg_lo:[0,1] neg_hi:[0,1]
	s_mov_b64 s[4:5], -1
	s_and_b64 vcc, exec, s[10:11]
	ds_write_b64 v15, v[8:9]
                                        ; implicit-def: $vgpr6_vgpr7
	s_cbranch_vccz .LBB152_138
; %bb.137:                              ;   in Loop: Header=BB152_122 Depth=1
	v_div_scale_f32 v6, s[4:5], v5, v5, v4
	v_rcp_f32_e32 v7, v6
	v_div_scale_f32 v8, vcc, v4, v5, v4
	v_fma_f32 v9, -v6, v7, 1.0
	v_fmac_f32_e32 v7, v9, v7
	v_mul_f32_e32 v9, v8, v7
	v_fma_f32 v10, -v6, v9, v8
	v_fmac_f32_e32 v9, v10, v7
	v_fma_f32 v6, -v6, v9, v8
	v_div_fmas_f32 v6, v6, v7, v9
	v_div_fixup_f32 v6, v6, v5, v4
	v_fma_f32 v7, v4, v6, v5
	v_div_scale_f32 v10, s[4:5], v7, v7, 1.0
	v_rcp_f32_e32 v11, v10
	v_pk_fma_f32 v[8:9], v[6:7], v[2:3], v[2:3] op_sel:[0,0,1] op_sel_hi:[1,1,0]
	s_mov_b64 s[4:5], 0
	v_fma_f32 v9, -v10, v11, 1.0
	v_fmac_f32_e32 v11, v9, v11
	v_div_scale_f32 v9, vcc, 1.0, v7, 1.0
	v_mul_f32_e32 v12, v9, v11
	v_fma_f32 v13, -v10, v12, v9
	v_fmac_f32_e32 v12, v13, v11
	v_fma_f32 v9, -v10, v12, v9
	v_div_fmas_f32 v9, v9, v11, v12
	v_div_fixup_f32 v9, v9, v7, 1.0
	v_fma_f32 v7, v6, v3, -v2
	v_mov_b32_e32 v6, v9
	v_pk_mul_f32 v[6:7], v[8:9], v[6:7]
.LBB152_138:                            ;   in Loop: Header=BB152_122 Depth=1
	s_andn2_b64 vcc, exec, s[4:5]
	s_cbranch_vccnz .LBB152_140
; %bb.139:                              ;   in Loop: Header=BB152_122 Depth=1
	v_div_scale_f32 v6, s[4:5], v4, v4, v5
	v_rcp_f32_e32 v7, v6
	v_div_scale_f32 v8, vcc, v5, v4, v5
	v_fma_f32 v9, -v6, v7, 1.0
	v_fmac_f32_e32 v7, v9, v7
	v_mul_f32_e32 v9, v8, v7
	v_fma_f32 v10, -v6, v9, v8
	v_fmac_f32_e32 v9, v10, v7
	v_fma_f32 v6, -v6, v9, v8
	v_div_fmas_f32 v6, v6, v7, v9
	v_div_fixup_f32 v6, v6, v4, v5
	v_fmac_f32_e32 v4, v5, v6
	v_div_scale_f32 v5, s[4:5], v4, v4, 1.0
	v_rcp_f32_e32 v7, v5
	s_nop 0
	v_fma_f32 v8, -v5, v7, 1.0
	v_fmac_f32_e32 v7, v8, v7
	v_div_scale_f32 v8, vcc, 1.0, v4, 1.0
	v_mul_f32_e32 v9, v8, v7
	v_fma_f32 v10, -v5, v9, v8
	v_fmac_f32_e32 v9, v10, v7
	v_fma_f32 v5, -v5, v9, v8
	v_div_fmas_f32 v5, v5, v7, v9
	v_pk_fma_f32 v[8:9], v[6:7], v[2:3], v[2:3] op_sel:[0,1,0] op_sel_hi:[1,0,1]
	v_pk_fma_f32 v[2:3], v[6:7], v[2:3], v[2:3] op_sel:[0,1,0] op_sel_hi:[0,0,1] neg_lo:[1,0,0] neg_hi:[1,0,0]
	v_div_fixup_f32 v4, v5, v4, 1.0
	v_mov_b32_e32 v9, v3
	v_pk_mul_f32 v[6:7], v[8:9], v[4:5] op_sel_hi:[1,0]
.LBB152_140:                            ;   in Loop: Header=BB152_122 Depth=1
	s_add_i32 s10, s9, 4
	s_add_i32 s4, s9, 7
	s_addk_i32 s7, 0x200
	s_cmp_ge_i32 s4, s28
	ds_write_b64 v14, v[6:7]
	s_cbranch_scc1 .LBB152_142
; %bb.141:                              ;   in Loop: Header=BB152_122 Depth=1
	s_mov_b32 s9, s10
	s_branch .LBB152_122
.LBB152_142:
	s_cmp_ge_i32 s10, s28
	s_cbranch_scc1 .LBB152_151
; %bb.143:
	v_mov_b32_e32 v2, 0x800
	v_lshl_or_b32 v8, v0, 3, v2
	s_lshl_b32 s7, s10, 7
	s_branch .LBB152_145
.LBB152_144:                            ;   in Loop: Header=BB152_145 Depth=1
	s_add_i32 s10, s10, 1
	s_addk_i32 s7, 0x80
	s_cmp_ge_i32 s10, s28
	ds_write_b64 v9, v[6:7]
	s_cbranch_scc1 .LBB152_151
.LBB152_145:                            ; =>This Loop Header: Depth=1
                                        ;     Child Loop BB152_146 Depth 2
	v_lshl_add_u32 v9, s10, 7, v1
	ds_read_b64 v[2:3], v9
	s_cmp_eq_u32 s10, 0
	s_mov_b32 s4, s7
	v_mov_b32_e32 v4, v8
	s_mov_b32 s5, s10
	s_cbranch_scc1 .LBB152_147
.LBB152_146:                            ;   Parent Loop BB152_145 Depth=1
                                        ; =>  This Inner Loop Header: Depth=2
	v_mov_b32_e32 v5, s4
	ds_read_b64 v[6:7], v4
	ds_read_b64 v[10:11], v5
	s_add_i32 s5, s5, -1
	s_add_i32 s4, s4, 8
	v_add_u32_e32 v4, 0x80, v4
	s_cmp_eq_u32 s5, 0
	s_waitcnt lgkmcnt(0)
	v_pk_mul_f32 v[12:13], v[10:11], v[6:7] op_sel:[1,1] op_sel_hi:[0,1]
	v_pk_fma_f32 v[14:15], v[10:11], v[6:7], v[12:13] op_sel_hi:[1,0,1]
	v_pk_fma_f32 v[6:7], v[10:11], v[6:7], v[12:13] op_sel_hi:[1,0,1] neg_lo:[0,0,1] neg_hi:[0,0,1]
	s_nop 0
	v_mov_b32_e32 v7, v15
	v_pk_add_f32 v[2:3], v[2:3], v[6:7] neg_lo:[0,1] neg_hi:[0,1]
	s_cbranch_scc0 .LBB152_146
.LBB152_147:                            ;   in Loop: Header=BB152_145 Depth=1
	s_mul_i32 s4, s10, 0x88
	v_mov_b32_e32 v4, s4
	ds_read_b64 v[4:5], v4
	s_mov_b64 s[4:5], -1
                                        ; implicit-def: $vgpr6_vgpr7
	s_waitcnt lgkmcnt(0)
	v_cmp_ngt_f32_e64 s[12:13], |v4|, |v5|
	s_and_b64 vcc, exec, s[12:13]
	s_cbranch_vccz .LBB152_149
; %bb.148:                              ;   in Loop: Header=BB152_145 Depth=1
	v_div_scale_f32 v6, s[4:5], v5, v5, v4
	v_rcp_f32_e32 v7, v6
	v_div_scale_f32 v10, vcc, v4, v5, v4
	v_fma_f32 v11, -v6, v7, 1.0
	v_fmac_f32_e32 v7, v11, v7
	v_mul_f32_e32 v11, v10, v7
	v_fma_f32 v12, -v6, v11, v10
	v_fmac_f32_e32 v11, v12, v7
	v_fma_f32 v6, -v6, v11, v10
	v_div_fmas_f32 v6, v6, v7, v11
	v_div_fixup_f32 v6, v6, v5, v4
	v_fma_f32 v7, v4, v6, v5
	v_div_scale_f32 v10, s[4:5], v7, v7, 1.0
	v_rcp_f32_e32 v11, v10
	s_mov_b64 s[4:5], 0
	v_fma_f32 v12, -v10, v11, 1.0
	v_fmac_f32_e32 v11, v12, v11
	v_div_scale_f32 v12, vcc, 1.0, v7, 1.0
	v_mul_f32_e32 v13, v12, v11
	v_fma_f32 v14, -v10, v13, v12
	v_fmac_f32_e32 v13, v14, v11
	v_fma_f32 v10, -v10, v13, v12
	v_div_fmas_f32 v10, v10, v11, v13
	v_div_fixup_f32 v10, v10, v7, 1.0
	v_pk_fma_f32 v[12:13], v[2:3], v[6:7], v[2:3] op_sel:[0,0,1] op_sel_hi:[1,0,0] neg_lo:[0,0,1] neg_hi:[0,0,1]
	v_pk_fma_f32 v[6:7], v[2:3], v[6:7], v[2:3] op_sel:[0,0,1] op_sel_hi:[1,0,0]
	s_nop 0
	v_mov_b32_e32 v7, v13
	v_pk_mul_f32 v[6:7], v[6:7], v[10:11] op_sel_hi:[1,0]
.LBB152_149:                            ;   in Loop: Header=BB152_145 Depth=1
	s_andn2_b64 vcc, exec, s[4:5]
	s_cbranch_vccnz .LBB152_144
; %bb.150:                              ;   in Loop: Header=BB152_145 Depth=1
	v_div_scale_f32 v6, s[4:5], v4, v4, v5
	v_rcp_f32_e32 v7, v6
	v_div_scale_f32 v10, vcc, v5, v4, v5
	v_fma_f32 v11, -v6, v7, 1.0
	v_fmac_f32_e32 v7, v11, v7
	v_mul_f32_e32 v11, v10, v7
	v_fma_f32 v12, -v6, v11, v10
	v_fmac_f32_e32 v11, v12, v7
	v_fma_f32 v6, -v6, v11, v10
	v_div_fmas_f32 v6, v6, v7, v11
	v_div_fixup_f32 v6, v6, v4, v5
	v_fmac_f32_e32 v4, v5, v6
	v_div_scale_f32 v5, s[4:5], v4, v4, 1.0
	v_rcp_f32_e32 v7, v5
	s_nop 0
	v_fma_f32 v10, -v5, v7, 1.0
	v_fmac_f32_e32 v7, v10, v7
	v_div_scale_f32 v10, vcc, 1.0, v4, 1.0
	v_mul_f32_e32 v11, v10, v7
	v_fma_f32 v12, -v5, v11, v10
	v_fmac_f32_e32 v11, v12, v7
	v_fma_f32 v5, -v5, v11, v10
	v_div_fmas_f32 v5, v5, v7, v11
	v_pk_fma_f32 v[10:11], v[2:3], v[6:7], v[2:3] op_sel:[1,0,0] op_sel_hi:[0,0,1] neg_lo:[1,0,0] neg_hi:[1,0,0]
	v_pk_fma_f32 v[2:3], v[2:3], v[6:7], v[2:3] op_sel:[1,0,0] op_sel_hi:[0,0,1]
	v_div_fixup_f32 v4, v5, v4, 1.0
	v_mov_b32_e32 v3, v11
	v_pk_mul_f32 v[6:7], v[2:3], v[4:5] op_sel_hi:[1,0]
	s_branch .LBB152_144
.LBB152_151:
	s_and_saveexec_b64 s[4:5], s[0:1]
	s_cbranch_execz .LBB152_155
; %bb.152:
	s_cmp_lt_i32 s8, 1
	s_cbranch_scc1 .LBB152_155
; %bb.153:
	s_ashr_i32 s7, s6, 31
	v_lshlrev_b32_e32 v2, 3, v0
	v_mov_b32_e32 v3, 0
	v_lshl_add_u64 v[0:1], s[2:3], 0, v[2:3]
	s_lshl_b64 s[0:1], s[6:7], 3
	v_or_b32_e32 v2, 0x800, v2
.LBB152_154:                            ; =>This Inner Loop Header: Depth=1
	ds_read_b64 v[4:5], v2
	s_add_i32 s8, s8, -1
	v_add_u32_e32 v2, 0x80, v2
	s_cmp_lg_u32 s8, 0
	s_waitcnt lgkmcnt(0)
	flat_store_dwordx2 v[0:1], v[4:5]
	v_lshl_add_u64 v[0:1], v[0:1], 0, s[0:1]
	s_cbranch_scc1 .LBB152_154
.LBB152_155:
	s_endpgm
	.section	.rodata,"a",@progbits
	.p2align	6, 0x0
	.amdhsa_kernel _ZL31rocblas_trsm_small_right_deviceI19rocblas_complex_numIfES1_PKPKS1_PKPS1_Li16EEv13rocblas_fill_18rocblas_operation_17rocblas_diagonal_iiT0_T1_lilT2_lili
		.amdhsa_group_segment_fixed_size 4096
		.amdhsa_private_segment_fixed_size 0
		.amdhsa_kernarg_size 360
		.amdhsa_user_sgpr_count 2
		.amdhsa_user_sgpr_dispatch_ptr 0
		.amdhsa_user_sgpr_queue_ptr 0
		.amdhsa_user_sgpr_kernarg_segment_ptr 1
		.amdhsa_user_sgpr_dispatch_id 0
		.amdhsa_user_sgpr_kernarg_preload_length 0
		.amdhsa_user_sgpr_kernarg_preload_offset 0
		.amdhsa_user_sgpr_private_segment_size 0
		.amdhsa_uses_dynamic_stack 0
		.amdhsa_enable_private_segment 0
		.amdhsa_system_sgpr_workgroup_id_x 1
		.amdhsa_system_sgpr_workgroup_id_y 0
		.amdhsa_system_sgpr_workgroup_id_z 1
		.amdhsa_system_sgpr_workgroup_info 0
		.amdhsa_system_vgpr_workitem_id 0
		.amdhsa_next_free_vgpr 34
		.amdhsa_next_free_sgpr 30
		.amdhsa_accum_offset 36
		.amdhsa_reserve_vcc 1
		.amdhsa_float_round_mode_32 0
		.amdhsa_float_round_mode_16_64 0
		.amdhsa_float_denorm_mode_32 3
		.amdhsa_float_denorm_mode_16_64 3
		.amdhsa_dx10_clamp 1
		.amdhsa_ieee_mode 1
		.amdhsa_fp16_overflow 0
		.amdhsa_tg_split 0
		.amdhsa_exception_fp_ieee_invalid_op 0
		.amdhsa_exception_fp_denorm_src 0
		.amdhsa_exception_fp_ieee_div_zero 0
		.amdhsa_exception_fp_ieee_overflow 0
		.amdhsa_exception_fp_ieee_underflow 0
		.amdhsa_exception_fp_ieee_inexact 0
		.amdhsa_exception_int_div_zero 0
	.end_amdhsa_kernel
	.section	.text._ZL31rocblas_trsm_small_right_deviceI19rocblas_complex_numIfES1_PKPKS1_PKPS1_Li16EEv13rocblas_fill_18rocblas_operation_17rocblas_diagonal_iiT0_T1_lilT2_lili,"axG",@progbits,_ZL31rocblas_trsm_small_right_deviceI19rocblas_complex_numIfES1_PKPKS1_PKPS1_Li16EEv13rocblas_fill_18rocblas_operation_17rocblas_diagonal_iiT0_T1_lilT2_lili,comdat
.Lfunc_end152:
	.size	_ZL31rocblas_trsm_small_right_deviceI19rocblas_complex_numIfES1_PKPKS1_PKPS1_Li16EEv13rocblas_fill_18rocblas_operation_17rocblas_diagonal_iiT0_T1_lilT2_lili, .Lfunc_end152-_ZL31rocblas_trsm_small_right_deviceI19rocblas_complex_numIfES1_PKPKS1_PKPS1_Li16EEv13rocblas_fill_18rocblas_operation_17rocblas_diagonal_iiT0_T1_lilT2_lili
                                        ; -- End function
	.set _ZL31rocblas_trsm_small_right_deviceI19rocblas_complex_numIfES1_PKPKS1_PKPS1_Li16EEv13rocblas_fill_18rocblas_operation_17rocblas_diagonal_iiT0_T1_lilT2_lili.num_vgpr, 34
	.set _ZL31rocblas_trsm_small_right_deviceI19rocblas_complex_numIfES1_PKPKS1_PKPS1_Li16EEv13rocblas_fill_18rocblas_operation_17rocblas_diagonal_iiT0_T1_lilT2_lili.num_agpr, 0
	.set _ZL31rocblas_trsm_small_right_deviceI19rocblas_complex_numIfES1_PKPKS1_PKPS1_Li16EEv13rocblas_fill_18rocblas_operation_17rocblas_diagonal_iiT0_T1_lilT2_lili.numbered_sgpr, 30
	.set _ZL31rocblas_trsm_small_right_deviceI19rocblas_complex_numIfES1_PKPKS1_PKPS1_Li16EEv13rocblas_fill_18rocblas_operation_17rocblas_diagonal_iiT0_T1_lilT2_lili.num_named_barrier, 0
	.set _ZL31rocblas_trsm_small_right_deviceI19rocblas_complex_numIfES1_PKPKS1_PKPS1_Li16EEv13rocblas_fill_18rocblas_operation_17rocblas_diagonal_iiT0_T1_lilT2_lili.private_seg_size, 0
	.set _ZL31rocblas_trsm_small_right_deviceI19rocblas_complex_numIfES1_PKPKS1_PKPS1_Li16EEv13rocblas_fill_18rocblas_operation_17rocblas_diagonal_iiT0_T1_lilT2_lili.uses_vcc, 1
	.set _ZL31rocblas_trsm_small_right_deviceI19rocblas_complex_numIfES1_PKPKS1_PKPS1_Li16EEv13rocblas_fill_18rocblas_operation_17rocblas_diagonal_iiT0_T1_lilT2_lili.uses_flat_scratch, 0
	.set _ZL31rocblas_trsm_small_right_deviceI19rocblas_complex_numIfES1_PKPKS1_PKPS1_Li16EEv13rocblas_fill_18rocblas_operation_17rocblas_diagonal_iiT0_T1_lilT2_lili.has_dyn_sized_stack, 0
	.set _ZL31rocblas_trsm_small_right_deviceI19rocblas_complex_numIfES1_PKPKS1_PKPS1_Li16EEv13rocblas_fill_18rocblas_operation_17rocblas_diagonal_iiT0_T1_lilT2_lili.has_recursion, 0
	.set _ZL31rocblas_trsm_small_right_deviceI19rocblas_complex_numIfES1_PKPKS1_PKPS1_Li16EEv13rocblas_fill_18rocblas_operation_17rocblas_diagonal_iiT0_T1_lilT2_lili.has_indirect_call, 0
	.section	.AMDGPU.csdata,"",@progbits
; Kernel info:
; codeLenInByte = 13004
; TotalNumSgprs: 36
; NumVgprs: 34
; NumAgprs: 0
; TotalNumVgprs: 34
; ScratchSize: 0
; MemoryBound: 0
; FloatMode: 240
; IeeeMode: 1
; LDSByteSize: 4096 bytes/workgroup (compile time only)
; SGPRBlocks: 4
; VGPRBlocks: 4
; NumSGPRsForWavesPerEU: 36
; NumVGPRsForWavesPerEU: 34
; AccumOffset: 36
; Occupancy: 8
; WaveLimiterHint : 1
; COMPUTE_PGM_RSRC2:SCRATCH_EN: 0
; COMPUTE_PGM_RSRC2:USER_SGPR: 2
; COMPUTE_PGM_RSRC2:TRAP_HANDLER: 0
; COMPUTE_PGM_RSRC2:TGID_X_EN: 1
; COMPUTE_PGM_RSRC2:TGID_Y_EN: 0
; COMPUTE_PGM_RSRC2:TGID_Z_EN: 1
; COMPUTE_PGM_RSRC2:TIDIG_COMP_CNT: 0
; COMPUTE_PGM_RSRC3_GFX90A:ACCUM_OFFSET: 8
; COMPUTE_PGM_RSRC3_GFX90A:TG_SPLIT: 0
	.section	.text._ZL38rocblas_trsm_small_left_device_sharedBILi20ELi20ELb0E19rocblas_complex_numIfES1_PKPKS1_PKPS1_Ev13rocblas_fill_18rocblas_operation_17rocblas_diagonal_iiT3_T4_lilT5_lili,"axG",@progbits,_ZL38rocblas_trsm_small_left_device_sharedBILi20ELi20ELb0E19rocblas_complex_numIfES1_PKPKS1_PKPS1_Ev13rocblas_fill_18rocblas_operation_17rocblas_diagonal_iiT3_T4_lilT5_lili,comdat
	.globl	_ZL38rocblas_trsm_small_left_device_sharedBILi20ELi20ELb0E19rocblas_complex_numIfES1_PKPKS1_PKPS1_Ev13rocblas_fill_18rocblas_operation_17rocblas_diagonal_iiT3_T4_lilT5_lili ; -- Begin function _ZL38rocblas_trsm_small_left_device_sharedBILi20ELi20ELb0E19rocblas_complex_numIfES1_PKPKS1_PKPS1_Ev13rocblas_fill_18rocblas_operation_17rocblas_diagonal_iiT3_T4_lilT5_lili
	.p2align	8
	.type	_ZL38rocblas_trsm_small_left_device_sharedBILi20ELi20ELb0E19rocblas_complex_numIfES1_PKPKS1_PKPS1_Ev13rocblas_fill_18rocblas_operation_17rocblas_diagonal_iiT3_T4_lilT5_lili,@function
_ZL38rocblas_trsm_small_left_device_sharedBILi20ELi20ELb0E19rocblas_complex_numIfES1_PKPKS1_PKPS1_Ev13rocblas_fill_18rocblas_operation_17rocblas_diagonal_iiT3_T4_lilT5_lili: ; @_ZL38rocblas_trsm_small_left_device_sharedBILi20ELi20ELb0E19rocblas_complex_numIfES1_PKPKS1_PKPS1_Ev13rocblas_fill_18rocblas_operation_17rocblas_diagonal_iiT3_T4_lilT5_lili
; %bb.0:
	s_load_dwordx4 s[8:11], s[0:1], 0x40
	s_load_dwordx4 s[4:7], s[0:1], 0x4
	s_load_dwordx2 s[12:13], s[0:1], 0x14
	s_mov_b32 s14, s3
	s_mov_b32 s15, 0
	s_lshl_b64 s[18:19], s[14:15], 3
	s_waitcnt lgkmcnt(0)
	s_add_u32 s8, s8, s18
	s_addc_u32 s9, s9, s19
	s_load_dword s3, s[0:1], 0x68
	s_load_dwordx2 s[14:15], s[8:9], 0x0
	s_min_i32 s26, s6, 20
	v_cmp_gt_i32_e32 vcc, s26, v0
	s_and_saveexec_b64 s[8:9], vcc
	s_cbranch_execz .LBB153_15
; %bb.1:
	s_load_dword s24, s[0:1], 0x30
	s_load_dwordx4 s[20:23], s[0:1], 0x20
	v_lshlrev_b32_e32 v2, 3, v0
	v_mov_b32_e32 v3, 0
	v_mov_b32_e32 v1, v2
	s_waitcnt lgkmcnt(0)
	s_ashr_i32 s25, s24, 31
	s_cmpk_lg_i32 s4, 0x71
	s_cselect_b64 s[16:17], -1, 0
	s_add_u32 s18, s20, s18
	s_addc_u32 s19, s21, s19
	s_load_dwordx2 s[18:19], s[18:19], 0x0
	s_lshl_b64 s[20:21], s[22:23], 3
	s_mov_b32 s22, s26
	s_waitcnt lgkmcnt(0)
	s_add_u32 s20, s18, s20
	s_addc_u32 s21, s19, s21
	s_lshl_b64 s[18:19], s[24:25], 3
	v_lshl_add_u64 v[4:5], s[20:21], 0, v[2:3]
	s_branch .LBB153_3
.LBB153_2:                              ;   in Loop: Header=BB153_3 Depth=1
	flat_load_dword v6, v[4:5]
	s_add_i32 s22, s22, -1
	v_lshl_add_u64 v[4:5], v[4:5], 0, s[18:19]
	s_cmp_eq_u32 s22, 0
	s_waitcnt vmcnt(0) lgkmcnt(0)
	ds_write_b64 v1, v[6:7]
	v_add_u32_e32 v1, 0xa0, v1
	s_cbranch_scc1 .LBB153_7
.LBB153_3:                              ; =>This Inner Loop Header: Depth=1
	s_mov_b64 s[20:21], -1
	s_and_b64 vcc, exec, s[16:17]
                                        ; implicit-def: $vgpr7
	s_cbranch_vccz .LBB153_5
; %bb.4:                                ;   in Loop: Header=BB153_3 Depth=1
	flat_load_dword v7, v[4:5] offset:4
	s_mov_b64 s[20:21], 0
.LBB153_5:                              ;   in Loop: Header=BB153_3 Depth=1
	s_andn2_b64 vcc, exec, s[20:21]
	s_cbranch_vccnz .LBB153_2
; %bb.6:                                ;   in Loop: Header=BB153_3 Depth=1
	flat_load_dword v3, v[4:5] offset:4
	s_waitcnt vmcnt(0) lgkmcnt(0)
	v_xor_b32_e32 v7, 0x80000000, v3
	s_branch .LBB153_2
.LBB153_7:
	v_mul_u32_u24_e32 v1, 0xa0, v0
	s_cmpk_lg_i32 s5, 0x84
	s_mov_b64 s[16:17], -1
	v_add_u32_e32 v1, v2, v1
	s_cbranch_scc0 .LBB153_13
; %bb.8:
	ds_read_b64 v[2:3], v1
                                        ; implicit-def: $vgpr4_vgpr5
	s_waitcnt lgkmcnt(0)
	v_cmp_ngt_f32_e64 s[16:17], |v2|, |v3|
	s_and_saveexec_b64 s[18:19], s[16:17]
	s_xor_b64 s[16:17], exec, s[18:19]
	s_cbranch_execz .LBB153_10
; %bb.9:
	v_div_scale_f32 v4, s[18:19], v3, v3, v2
	v_rcp_f32_e32 v5, v4
	v_div_scale_f32 v6, vcc, v2, v3, v2
	v_fma_f32 v7, -v4, v5, 1.0
	v_fmac_f32_e32 v5, v7, v5
	v_mul_f32_e32 v7, v6, v5
	v_fma_f32 v8, -v4, v7, v6
	v_fmac_f32_e32 v7, v8, v5
	v_fma_f32 v4, -v4, v7, v6
	v_div_fmas_f32 v4, v4, v5, v7
	v_div_fixup_f32 v4, v4, v3, v2
	v_fmac_f32_e32 v3, v2, v4
	v_div_scale_f32 v2, s[18:19], v3, v3, 1.0
	v_rcp_f32_e32 v5, v2
	s_mov_b32 s18, 0
	s_mov_b32 s19, -1.0
	v_fma_f32 v6, -v2, v5, 1.0
	v_fmac_f32_e32 v5, v6, v5
	v_div_scale_f32 v6, vcc, 1.0, v3, 1.0
	v_mul_f32_e32 v7, v6, v5
	v_fma_f32 v8, -v2, v7, v6
	v_fmac_f32_e32 v7, v8, v5
	v_fma_f32 v2, -v2, v7, v6
	v_div_fmas_f32 v2, v2, v5, v7
	v_mul_f32_e32 v5, 0, v4
	v_div_fixup_f32 v2, v2, v3, 1.0
	v_pk_add_f32 v[4:5], v[4:5], s[18:19]
	s_nop 0
	v_pk_mul_f32 v[4:5], v[4:5], v[2:3] op_sel_hi:[1,0]
                                        ; implicit-def: $vgpr2_vgpr3
.LBB153_10:
	s_andn2_saveexec_b64 s[16:17], s[16:17]
	s_cbranch_execz .LBB153_12
; %bb.11:
	v_div_scale_f32 v4, s[18:19], v2, v2, v3
	v_rcp_f32_e32 v5, v4
	v_div_scale_f32 v6, vcc, v3, v2, v3
	v_fma_f32 v7, -v4, v5, 1.0
	v_fmac_f32_e32 v5, v7, v5
	v_mul_f32_e32 v7, v6, v5
	v_fma_f32 v8, -v4, v7, v6
	v_fmac_f32_e32 v7, v8, v5
	v_fma_f32 v4, -v4, v7, v6
	v_div_fmas_f32 v4, v4, v5, v7
	v_div_fixup_f32 v5, v4, v2, v3
	v_fmac_f32_e32 v2, v3, v5
	v_div_scale_f32 v3, s[18:19], v2, v2, 1.0
	v_rcp_f32_e32 v4, v3
	s_nop 0
	v_fma_f32 v6, -v3, v4, 1.0
	v_fmac_f32_e32 v4, v6, v4
	v_div_scale_f32 v6, vcc, 1.0, v2, 1.0
	v_mul_f32_e32 v7, v6, v4
	v_fma_f32 v8, -v3, v7, v6
	v_fmac_f32_e32 v7, v8, v4
	v_fma_f32 v3, -v3, v7, v6
	v_div_fmas_f32 v3, v3, v4, v7
	v_div_fixup_f32 v2, v3, v2, 1.0
	v_mul_f32_e32 v3, 0, v5
	v_add_f32_e32 v4, 1.0, v3
	v_sub_f32_e32 v5, 0, v5
	v_pk_mul_f32 v[4:5], v[4:5], v[2:3] op_sel_hi:[1,0]
.LBB153_12:
	s_or_b64 exec, exec, s[16:17]
	s_mov_b64 s[16:17], 0
	ds_write_b64 v1, v[4:5]
.LBB153_13:
	s_and_b64 vcc, exec, s[16:17]
	s_cbranch_vccz .LBB153_15
; %bb.14:
	v_mov_b32_e32 v2, 1.0
	v_mov_b32_e32 v3, 0
	ds_write_b64 v1, v[2:3]
.LBB153_15:
	s_or_b64 exec, exec, s[8:9]
	s_load_dword s27, s[0:1], 0x50
	s_lshl_b64 s[16:17], s[10:11], 3
	s_mul_i32 s0, s2, 0xffffffec
	s_mul_i32 s18, s2, 20
	s_mov_b32 s28, 0
	s_waitcnt lgkmcnt(0)
	s_ashr_i32 s5, s27, 31
	s_add_u32 s8, s14, s16
	s_addc_u32 s9, s15, s17
	s_add_i32 s3, s3, -1
	s_add_i32 s0, s7, s0
	s_cmp_ge_u32 s2, s3
	s_cselect_b32 s7, s0, 20
	s_mul_hi_i32 s1, s27, s18
	s_mul_i32 s0, s27, s18
	s_lshl_b64 s[0:1], s[0:1], 3
	s_add_u32 s2, s8, s0
	s_addc_u32 s3, s9, s1
	s_cmp_gt_i32 s6, 0
	v_cmp_gt_i32_e64 s[0:1], s7, v0
	s_cselect_b64 s[8:9], -1, 0
	s_and_b64 s[20:21], s[0:1], s[8:9]
	s_and_saveexec_b64 s[10:11], s[20:21]
	s_cbranch_execz .LBB153_23
; %bb.16:
	s_cmp_lt_i32 s6, 2
	s_mov_b64 s[6:7], -1
	s_cbranch_scc1 .LBB153_20
; %bb.17:
	v_mad_i64_i32 v[2:3], s[6:7], s27, v0, 0
	v_mov_b32_e32 v1, 0xc80
	s_and_b32 s28, s26, 30
	s_mov_b32 s25, 0
	v_lshl_add_u64 v[2:3], v[2:3], 3, s[2:3]
	v_lshl_add_u32 v1, v0, 3, v1
	s_mov_b32 s6, s12
	s_mov_b32 s7, s12
	;; [unrolled: 1-line block ×7, first 2 shown]
.LBB153_18:                             ; =>This Inner Loop Header: Depth=1
	v_lshl_add_u64 v[4:5], s[24:25], 3, v[2:3]
	s_mov_b32 s23, s25
	v_lshl_add_u64 v[6:7], s[22:23], 3, v[2:3]
	flat_load_dwordx2 v[12:13], v[4:5]
	flat_load_dwordx2 v[8:9], v[6:7]
	s_mul_i32 s23, s22, 0xa0
	s_mul_i32 s29, s24, 0xa0
	s_add_i32 s24, s24, 2
	s_add_i32 s19, s19, -2
	s_add_i32 s22, s22, 2
	v_add_u32_e32 v10, s29, v1
	s_cmp_lg_u32 s19, 0
	v_add_u32_e32 v11, s23, v1
	s_waitcnt vmcnt(0) lgkmcnt(0)
	v_mov_b32_e32 v4, v12
	v_mov_b32_e32 v5, v8
	;; [unrolled: 1-line block ×3, first 2 shown]
	v_pk_mul_f32 v[6:7], s[20:21], v[8:9]
	v_pk_mul_f32 v[8:9], s[6:7], v[8:9]
	v_pk_fma_f32 v[6:7], s[6:7], v[4:5], v[6:7] neg_lo:[0,0,1] neg_hi:[0,0,1]
	v_pk_fma_f32 v[4:5], s[20:21], v[4:5], v[8:9]
	ds_write_b32 v10, v6
	ds_write_b32 v11, v7
	ds_write_b32 v10, v4 offset:4
	ds_write_b32 v11, v5 offset:4
	s_cbranch_scc1 .LBB153_18
; %bb.19:
	s_cmp_lg_u32 s26, s28
	s_cselect_b64 s[6:7], -1, 0
.LBB153_20:
	s_and_b64 vcc, exec, s[6:7]
	s_cbranch_vccz .LBB153_23
; %bb.21:
	s_ashr_i32 s19, s18, 31
	v_lshlrev_b32_e32 v2, 3, v0
	v_mov_b32_e32 v3, 0
	s_sub_i32 s20, s26, s28
	v_lshl_add_u64 v[4:5], s[18:19], 3, v[2:3]
	s_lshl_b32 s18, s28, 3
	s_add_u32 s14, s14, s18
	s_addc_u32 s15, s15, 0
	s_add_u32 s14, s14, s16
	s_addc_u32 s15, s15, s17
	v_mov_b64_e32 v[2:3], s[14:15]
	v_mad_u64_u32 v[2:3], s[14:15], v4, s27, v[2:3]
	v_mul_lo_u32 v1, v4, s5
	v_mul_lo_u32 v4, v5, s27
	s_mul_i32 s5, s28, 0xa0
	v_add3_u32 v3, v4, v3, v1
	v_lshl_add_u32 v1, v0, 3, s5
	s_mov_b32 s6, s13
	s_mov_b32 s7, s12
	v_add_u32_e32 v1, 0xc80, v1
.LBB153_22:                             ; =>This Inner Loop Header: Depth=1
	flat_load_dwordx2 v[4:5], v[2:3]
	s_add_i32 s20, s20, -1
	v_lshl_add_u64 v[2:3], v[2:3], 0, 8
	s_cmp_lg_u32 s20, 0
	s_waitcnt vmcnt(0) lgkmcnt(0)
	v_pk_mul_f32 v[6:7], s[6:7], v[4:5] op_sel:[0,1]
	s_nop 0
	v_pk_fma_f32 v[8:9], s[12:13], v[4:5], v[6:7] neg_lo:[0,0,1] neg_hi:[0,0,1]
	v_pk_fma_f32 v[4:5], s[12:13], v[4:5], v[6:7] op_sel_hi:[1,0,1]
	s_nop 0
	v_mov_b32_e32 v9, v5
	ds_write_b64 v1, v[8:9]
	v_add_u32_e32 v1, 0xa0, v1
	s_cbranch_scc1 .LBB153_22
.LBB153_23:
	s_or_b64 exec, exec, s[10:11]
	v_mov_b32_e32 v1, 0xc80
	s_cmpk_eq_i32 s4, 0x6f
	v_lshl_add_u32 v1, v0, 3, v1
	s_mov_b64 s[4:5], -1
	s_waitcnt lgkmcnt(0)
	; wave barrier
	s_cbranch_scc1 .LBB153_52
; %bb.24:
	s_mov_b32 s5, 0
	s_mov_b32 s4, s5
	;; [unrolled: 1-line block ×3, first 2 shown]
	s_branch .LBB153_26
.LBB153_25:                             ;   in Loop: Header=BB153_26 Depth=1
	s_cmp_ge_i32 s16, s26
	s_cselect_b64 s[6:7], -1, 0
	s_add_i32 s4, s4, 1
	s_cmp_eq_u32 s4, 3
	s_cselect_b64 s[10:11], -1, 0
	s_or_b64 s[6:7], s[6:7], s[10:11]
	s_andn2_b64 vcc, exec, s[6:7]
	s_cbranch_vccz .LBB153_51
.LBB153_26:                             ; =>This Loop Header: Depth=1
                                        ;     Child Loop BB153_29 Depth 2
                                        ;       Child Loop BB153_30 Depth 3
                                        ;       Child Loop BB153_34 Depth 3
                                        ;         Child Loop BB153_36 Depth 4
                                        ;         Child Loop BB153_42 Depth 4
                                        ;       Child Loop BB153_45 Depth 3
                                        ;         Child Loop BB153_47 Depth 4
	s_lshl_b64 s[6:7], s[4:5], 2
	s_getpc_b64 s[10:11]
	s_add_u32 s10, s10, __const._ZL38rocblas_trsm_small_left_device_sharedBILi20ELi20ELb0E19rocblas_complex_numIfES1_PKPKS1_PKPS1_Ev13rocblas_fill_18rocblas_operation_17rocblas_diagonal_iiT3_T4_lilT5_lili.step_sizes@rel32@lo+4
	s_addc_u32 s11, s11, __const._ZL38rocblas_trsm_small_left_device_sharedBILi20ELi20ELb0E19rocblas_complex_numIfES1_PKPKS1_PKPS1_Ev13rocblas_fill_18rocblas_operation_17rocblas_diagonal_iiT3_T4_lilT5_lili.step_sizes@rel32@hi+12
	s_add_u32 s6, s10, s6
	s_addc_u32 s7, s11, s7
	s_load_dword s17, s[6:7], 0x0
	s_waitcnt lgkmcnt(0)
	s_add_i32 s18, s17, -1
	s_add_i32 s6, s18, s16
	s_cmp_ge_i32 s6, s26
	s_cbranch_scc1 .LBB153_25
; %bb.27:                               ;   in Loop: Header=BB153_26 Depth=1
	s_max_i32 s19, s17, 1
	s_cmp_lg_u32 s4, 2
	s_cselect_b64 s[6:7], -1, 0
	s_and_b32 s20, s19, 0x7ffffffe
	s_cmp_lg_u32 s19, s20
	s_mul_i32 s12, s16, 0xa0
	s_cselect_b64 s[10:11], -1, 0
	v_add_u32_e32 v10, s12, v1
	s_mul_i32 s21, s17, 0xa0
	s_mul_i32 s22, s16, 0xa8
	;; [unrolled: 1-line block ×3, first 2 shown]
	s_branch .LBB153_29
.LBB153_28:                             ;   in Loop: Header=BB153_29 Depth=2
	s_add_i32 s16, s16, s17
	s_add_i32 s12, s18, s16
	;; [unrolled: 1-line block ×3, first 2 shown]
	s_cmp_ge_i32 s12, s26
	v_add_u32_e32 v10, s21, v10
	s_cbranch_scc1 .LBB153_25
.LBB153_29:                             ;   Parent Loop BB153_26 Depth=1
                                        ; =>  This Loop Header: Depth=2
                                        ;       Child Loop BB153_30 Depth 3
                                        ;       Child Loop BB153_34 Depth 3
                                        ;         Child Loop BB153_36 Depth 4
                                        ;         Child Loop BB153_42 Depth 4
                                        ;       Child Loop BB153_45 Depth 3
                                        ;         Child Loop BB153_47 Depth 4
	s_mov_b32 s12, 0
	v_mov_b32_e32 v2, v10
	s_mov_b32 s13, s19
.LBB153_30:                             ;   Parent Loop BB153_26 Depth=1
                                        ;     Parent Loop BB153_29 Depth=2
                                        ; =>    This Inner Loop Header: Depth=3
	ds_read_b64 v[4:5], v2
	s_add_i32 s13, s13, -1
	v_add_u32_e32 v2, 0xa0, v2
	s_waitcnt lgkmcnt(0)
	scratch_store_dwordx2 off, v[4:5], s12
	s_add_i32 s12, s12, 8
	s_cmp_eq_u32 s13, 0
	s_cbranch_scc0 .LBB153_30
; %bb.31:                               ;   in Loop: Header=BB153_29 Depth=2
	s_cmp_lt_i32 s16, 1
	s_cbranch_scc1 .LBB153_43
; %bb.32:                               ;   in Loop: Header=BB153_29 Depth=2
	s_mov_b32 s24, s16
	s_mov_b32 s25, 0
	;; [unrolled: 1-line block ×3, first 2 shown]
	s_branch .LBB153_34
.LBB153_33:                             ;   in Loop: Header=BB153_34 Depth=3
	s_add_i32 s28, s28, 1
	s_add_i32 s25, s25, 8
	s_cmp_eq_u32 s28, s16
	s_cbranch_scc1 .LBB153_43
.LBB153_34:                             ;   Parent Loop BB153_26 Depth=1
                                        ;     Parent Loop BB153_29 Depth=2
                                        ; =>    This Loop Header: Depth=3
                                        ;         Child Loop BB153_36 Depth 4
                                        ;         Child Loop BB153_42 Depth 4
	s_mul_i32 s12, s28, 0xa0
	v_add_u32_e32 v2, s12, v1
	ds_read_b64 v[2:3], v2
	s_and_b64 vcc, exec, s[6:7]
	s_cbranch_vccz .LBB153_38
; %bb.35:                               ;   in Loop: Header=BB153_34 Depth=3
	s_lshl_b32 s12, s28, 3
	s_waitcnt lgkmcnt(0)
	v_mov_b32_e32 v6, v2
	v_mov_b32_e32 v7, v2
	;; [unrolled: 1-line block ×3, first 2 shown]
	s_mov_b32 s13, 0
	v_mov_b32_e32 v8, v3
	v_mov_b32_e32 v9, v3
	s_mov_b32 s14, 1
	s_mov_b32 s15, 0
	;; [unrolled: 1-line block ×3, first 2 shown]
.LBB153_36:                             ;   Parent Loop BB153_26 Depth=1
                                        ;     Parent Loop BB153_29 Depth=2
                                        ;       Parent Loop BB153_34 Depth=3
                                        ; =>      This Inner Loop Header: Depth=4
	scratch_load_dwordx4 v[12:15], off, s13
	s_add_i32 s30, s15, s16
	s_add_i32 s31, s14, s24
	s_mulk_i32 s30, 0xa0
	s_mulk_i32 s31, 0xa0
	s_add_i32 s30, s12, s30
	s_add_i32 s31, s12, s31
	v_mov_b32_e32 v5, s30
	v_mov_b32_e32 v11, s31
	ds_read_b64 v[20:21], v5
	ds_read_b64 v[16:17], v11
	s_add_i32 s15, s15, 2
	s_add_i32 s14, s14, 2
	s_add_i32 s29, s29, -2
	s_waitcnt lgkmcnt(1)
	v_mov_b32_e32 v18, v20
	s_waitcnt lgkmcnt(0)
	v_mov_b32_e32 v19, v16
	v_mov_b32_e32 v16, v21
	v_pk_mul_f32 v[20:21], v[16:17], v[8:9]
	v_pk_mul_f32 v[16:17], v[16:17], v[6:7]
	v_pk_fma_f32 v[20:21], v[18:19], v[6:7], v[20:21] neg_lo:[0,0,1] neg_hi:[0,0,1]
	v_pk_fma_f32 v[16:17], v[18:19], v[8:9], v[16:17]
	s_waitcnt vmcnt(0)
	v_mov_b32_e32 v18, v12
	v_mov_b32_e32 v19, v14
	;; [unrolled: 1-line block ×3, first 2 shown]
	v_pk_add_f32 v[18:19], v[18:19], v[20:21] neg_lo:[0,1] neg_hi:[0,1]
	v_pk_add_f32 v[14:15], v[14:15], v[16:17] neg_lo:[0,1] neg_hi:[0,1]
	v_mov_b32_e32 v12, v18
	v_mov_b32_e32 v13, v14
	;; [unrolled: 1-line block ×3, first 2 shown]
	scratch_store_dwordx4 off, v[12:15], s13
	s_add_i32 s13, s13, 16
	s_cmp_lg_u32 s29, 0
	s_cbranch_scc1 .LBB153_36
; %bb.37:                               ;   in Loop: Header=BB153_34 Depth=3
	s_mov_b64 s[12:13], s[10:11]
	s_mov_b32 s14, s20
	s_branch .LBB153_40
.LBB153_38:                             ;   in Loop: Header=BB153_34 Depth=3
	s_waitcnt lgkmcnt(0)
	v_mov_b32_e32 v4, v3
	s_mov_b64 s[12:13], 0
	s_mov_b32 s14, s20
	s_cbranch_execz .LBB153_40
; %bb.39:                               ;   in Loop: Header=BB153_34 Depth=3
	s_mov_b64 s[12:13], -1
	s_mov_b32 s14, 0
.LBB153_40:                             ;   in Loop: Header=BB153_34 Depth=3
	s_andn2_b64 vcc, exec, s[12:13]
	s_cbranch_vccnz .LBB153_33
; %bb.41:                               ;   in Loop: Header=BB153_34 Depth=3
	s_add_i32 s13, s16, s14
	s_mulk_i32 s13, 0xa0
	v_mov_b32_e32 v5, v3
	v_mov_b32_e32 v3, v2
	s_sub_i32 s12, s19, s14
	s_add_i32 s13, s25, s13
	s_lshl_b32 s14, s14, 3
.LBB153_42:                             ;   Parent Loop BB153_26 Depth=1
                                        ;     Parent Loop BB153_29 Depth=2
                                        ;       Parent Loop BB153_34 Depth=3
                                        ; =>      This Inner Loop Header: Depth=4
	scratch_load_dwordx2 v[6:7], off, s14
	v_mov_b32_e32 v8, s13
	ds_read_b64 v[8:9], v8
	s_add_i32 s12, s12, -1
	s_addk_i32 s13, 0xa0
	s_waitcnt lgkmcnt(0)
	v_pk_mul_f32 v[12:13], v[8:9], v[4:5] op_sel:[1,0] op_sel_hi:[0,1]
	v_pk_fma_f32 v[14:15], v[8:9], v[2:3], v[12:13] neg_lo:[0,0,1] neg_hi:[0,0,1]
	v_pk_fma_f32 v[8:9], v[8:9], v[2:3], v[12:13]
	s_nop 0
	v_mov_b32_e32 v15, v9
	s_waitcnt vmcnt(0)
	v_pk_add_f32 v[6:7], v[6:7], v[14:15] neg_lo:[0,1] neg_hi:[0,1]
	scratch_store_dwordx2 off, v[6:7], s14
	s_add_i32 s14, s14, 8
	s_cmp_eq_u32 s12, 0
	s_cbranch_scc0 .LBB153_42
	s_branch .LBB153_33
.LBB153_43:                             ;   in Loop: Header=BB153_29 Depth=2
	s_mul_i32 s14, s16, 0xa0
	s_mov_b32 s15, 0
	s_mov_b32 s24, s22
	s_branch .LBB153_45
.LBB153_44:                             ;   in Loop: Header=BB153_45 Depth=3
	s_mul_i32 s12, s28, 0xa8
	v_mov_b32_e32 v3, s12
	ds_read_b64 v[6:7], v3
	s_lshl_b32 s12, s15, 3
	s_add_i32 s15, s15, 1
	s_addk_i32 s24, 0xa0
	v_add_u32_e32 v11, s25, v1
	s_waitcnt lgkmcnt(0)
	v_pk_mul_f32 v[4:5], v[6:7], v[4:5] op_sel:[1,0] op_sel_hi:[0,0]
	v_pk_fma_f32 v[8:9], v[6:7], v[2:3], v[4:5] neg_lo:[0,0,1] neg_hi:[0,0,1]
	v_pk_fma_f32 v[2:3], v[6:7], v[2:3], v[4:5] op_sel_hi:[1,0,1]
	s_cmp_eq_u32 s15, s19
	v_mov_b32_e32 v9, v3
	scratch_store_dwordx2 off, v[8:9], s12
	ds_write_b64 v11, v[8:9]
	s_cbranch_scc1 .LBB153_28
.LBB153_45:                             ;   Parent Loop BB153_26 Depth=1
                                        ;     Parent Loop BB153_29 Depth=2
                                        ; =>    This Loop Header: Depth=3
                                        ;         Child Loop BB153_47 Depth 4
	s_cmp_lg_u32 s15, 0
	s_cbranch_scc0 .LBB153_49
; %bb.46:                               ;   in Loop: Header=BB153_45 Depth=3
	s_lshl_b32 s12, s15, 3
	scratch_load_dwordx2 v[2:3], off, s12
	s_mov_b32 s13, 0
	s_mov_b32 s25, s24
	;; [unrolled: 1-line block ×3, first 2 shown]
.LBB153_47:                             ;   Parent Loop BB153_26 Depth=1
                                        ;     Parent Loop BB153_29 Depth=2
                                        ;       Parent Loop BB153_45 Depth=3
                                        ; =>      This Inner Loop Header: Depth=4
	scratch_load_dwordx2 v[4:5], off, s13
	v_mov_b32_e32 v6, s25
	ds_read_b64 v[6:7], v6
	s_add_i32 s28, s28, -1
	s_add_i32 s13, s13, 8
	s_add_i32 s25, s25, 8
	s_cmp_eq_u32 s28, 0
	s_waitcnt vmcnt(0) lgkmcnt(0)
	v_pk_mul_f32 v[8:9], v[6:7], v[4:5] op_sel:[1,1] op_sel_hi:[0,1]
	v_pk_fma_f32 v[12:13], v[6:7], v[4:5], v[8:9] neg_lo:[0,0,1] neg_hi:[0,0,1]
	v_pk_fma_f32 v[4:5], v[6:7], v[4:5], v[8:9] op_sel_hi:[1,0,1]
	s_nop 0
	v_mov_b32_e32 v13, v5
	v_pk_add_f32 v[2:3], v[2:3], v[12:13] neg_lo:[0,1] neg_hi:[0,1]
	scratch_store_dwordx2 off, v[2:3], s12
	s_cbranch_scc0 .LBB153_47
; %bb.48:                               ;   in Loop: Header=BB153_45 Depth=3
	s_add_i32 s28, s15, s16
	s_mul_i32 s25, s28, 0xa0
	v_mov_b32_e32 v4, v3
	s_branch .LBB153_44
.LBB153_49:                             ;   in Loop: Header=BB153_45 Depth=3
                                        ; implicit-def: $vgpr2
                                        ; implicit-def: $vgpr4
                                        ; implicit-def: $sgpr28
                                        ; implicit-def: $sgpr25
	s_cbranch_execz .LBB153_44
; %bb.50:                               ;   in Loop: Header=BB153_45 Depth=3
	scratch_load_dwordx2 v[2:3], off, off
	s_mov_b32 s25, s14
	s_mov_b32 s28, s16
	s_waitcnt vmcnt(0)
	v_mov_b32_e32 v4, v3
	s_branch .LBB153_44
.LBB153_51:
	s_mov_b64 s[4:5], 0
.LBB153_52:
	s_and_b64 vcc, exec, s[4:5]
	s_cbranch_vccz .LBB153_80
; %bb.53:
	s_add_i32 s16, s26, -1
	v_mov_b32_e32 v2, 0xc80
	s_mul_i32 s17, s26, 0xa0
	s_mov_b32 s5, 0
	v_lshl_add_u32 v10, v0, 3, v2
	s_addk_i32 s17, 0xff60
	s_mov_b32 s4, s5
	s_mov_b32 s18, s16
	s_branch .LBB153_55
.LBB153_54:                             ;   in Loop: Header=BB153_55 Depth=1
	s_cmp_lt_i32 s18, 0
	s_cselect_b64 s[6:7], -1, 0
	s_add_i32 s4, s4, 1
	s_cmp_eq_u32 s4, 3
	s_cselect_b64 s[10:11], -1, 0
	s_or_b64 s[6:7], s[6:7], s[10:11]
	s_and_b64 vcc, exec, s[6:7]
	s_cbranch_vccnz .LBB153_80
.LBB153_55:                             ; =>This Loop Header: Depth=1
                                        ;     Child Loop BB153_58 Depth 2
                                        ;       Child Loop BB153_59 Depth 3
                                        ;       Child Loop BB153_63 Depth 3
                                        ;         Child Loop BB153_65 Depth 4
                                        ;         Child Loop BB153_71 Depth 4
                                        ;       Child Loop BB153_74 Depth 3
                                        ;         Child Loop BB153_76 Depth 4
	s_lshl_b64 s[6:7], s[4:5], 2
	s_getpc_b64 s[10:11]
	s_add_u32 s10, s10, __const._ZL38rocblas_trsm_small_left_device_sharedBILi20ELi20ELb0E19rocblas_complex_numIfES1_PKPKS1_PKPS1_Ev13rocblas_fill_18rocblas_operation_17rocblas_diagonal_iiT3_T4_lilT5_lili.step_sizes@rel32@lo+4
	s_addc_u32 s11, s11, __const._ZL38rocblas_trsm_small_left_device_sharedBILi20ELi20ELb0E19rocblas_complex_numIfES1_PKPKS1_PKPS1_Ev13rocblas_fill_18rocblas_operation_17rocblas_diagonal_iiT3_T4_lilT5_lili.step_sizes@rel32@hi+12
	s_add_u32 s6, s10, s6
	s_addc_u32 s7, s11, s7
	s_load_dword s19, s[6:7], 0x0
	s_waitcnt lgkmcnt(0)
	s_add_i32 s20, s19, -1
	s_cmp_lt_i32 s18, s20
	s_cbranch_scc1 .LBB153_54
; %bb.56:                               ;   in Loop: Header=BB153_55 Depth=1
	s_max_i32 s21, s19, 1
	s_cmp_lg_u32 s4, 2
	s_cselect_b64 s[6:7], -1, 0
	s_and_b32 s22, s21, 0x7ffffffe
	s_cmp_lg_u32 s21, s22
	s_mul_i32 s12, s18, 0xa0
	s_cselect_b64 s[10:11], -1, 0
	v_add_u32_e32 v11, s12, v10
	s_lshl_b32 s12, s18, 3
	s_add_i32 s24, s17, s12
	s_lshl_b32 s12, s19, 3
	s_mul_i32 s23, s19, 0xffffff60
	s_sub_i32 s25, 0, s12
	s_mul_i32 s28, s18, 0xa8
	s_mul_i32 s29, s19, 0xffffff58
	s_branch .LBB153_58
.LBB153_57:                             ;   in Loop: Header=BB153_58 Depth=2
	s_sub_i32 s18, s18, s19
	s_add_i32 s24, s24, s25
	s_add_i32 s28, s28, s29
	s_cmp_lt_i32 s18, s20
	v_add_u32_e32 v11, s23, v11
	s_cbranch_scc1 .LBB153_54
.LBB153_58:                             ;   Parent Loop BB153_55 Depth=1
                                        ; =>  This Loop Header: Depth=2
                                        ;       Child Loop BB153_59 Depth 3
                                        ;       Child Loop BB153_63 Depth 3
                                        ;         Child Loop BB153_65 Depth 4
                                        ;         Child Loop BB153_71 Depth 4
                                        ;       Child Loop BB153_74 Depth 3
                                        ;         Child Loop BB153_76 Depth 4
	s_mov_b32 s12, 0
	v_mov_b32_e32 v2, v11
	s_mov_b32 s13, s21
.LBB153_59:                             ;   Parent Loop BB153_55 Depth=1
                                        ;     Parent Loop BB153_58 Depth=2
                                        ; =>    This Inner Loop Header: Depth=3
	ds_read_b64 v[4:5], v2
	s_add_i32 s13, s13, -1
	v_add_u32_e32 v2, 0xffffff60, v2
	s_waitcnt lgkmcnt(0)
	scratch_store_dwordx2 off, v[4:5], s12
	s_add_i32 s12, s12, 8
	s_cmp_eq_u32 s13, 0
	s_cbranch_scc0 .LBB153_59
; %bb.60:                               ;   in Loop: Header=BB153_58 Depth=2
	s_cmp_le_i32 s16, s18
	s_cbranch_scc1 .LBB153_72
; %bb.61:                               ;   in Loop: Header=BB153_58 Depth=2
	s_mov_b32 s30, s18
	s_mov_b32 s31, s24
	;; [unrolled: 1-line block ×3, first 2 shown]
	s_branch .LBB153_63
.LBB153_62:                             ;   in Loop: Header=BB153_63 Depth=3
	s_add_i32 s33, s33, -1
	s_addk_i32 s31, 0xff60
	s_cmp_le_i32 s33, s18
	s_cbranch_scc1 .LBB153_72
.LBB153_63:                             ;   Parent Loop BB153_55 Depth=1
                                        ;     Parent Loop BB153_58 Depth=2
                                        ; =>    This Loop Header: Depth=3
                                        ;         Child Loop BB153_65 Depth 4
                                        ;         Child Loop BB153_71 Depth 4
	s_mul_i32 s12, s33, 20
	v_lshl_add_u32 v2, s12, 3, v1
	ds_read_b64 v[2:3], v2
	s_and_b64 vcc, exec, s[6:7]
	s_cbranch_vccz .LBB153_67
; %bb.64:                               ;   in Loop: Header=BB153_63 Depth=3
	s_lshl_b32 s12, s12, 3
	s_waitcnt lgkmcnt(0)
	v_mov_b32_e32 v6, v2
	v_mov_b32_e32 v7, v2
	;; [unrolled: 1-line block ×3, first 2 shown]
	s_mov_b32 s13, 0
	v_mov_b32_e32 v8, v3
	v_mov_b32_e32 v9, v3
	s_mov_b32 s14, 1
	s_mov_b32 s15, 0
	;; [unrolled: 1-line block ×3, first 2 shown]
.LBB153_65:                             ;   Parent Loop BB153_55 Depth=1
                                        ;     Parent Loop BB153_58 Depth=2
                                        ;       Parent Loop BB153_63 Depth=3
                                        ; =>      This Inner Loop Header: Depth=4
	scratch_load_dwordx4 v[12:15], off, s13
	s_sub_i32 s35, s30, s14
	s_sub_i32 s36, s18, s15
	s_lshl_b32 s36, s36, 3
	s_lshl_b32 s35, s35, 3
	s_add_i32 s36, s12, s36
	s_add_i32 s35, s12, s35
	v_mov_b32_e32 v5, s36
	v_mov_b32_e32 v16, s35
	ds_read_b64 v[20:21], v5
	ds_read_b64 v[16:17], v16
	s_add_i32 s15, s15, 2
	s_add_i32 s14, s14, 2
	s_add_i32 s34, s34, -2
	s_waitcnt lgkmcnt(1)
	v_mov_b32_e32 v18, v20
	s_waitcnt lgkmcnt(0)
	v_mov_b32_e32 v19, v16
	v_mov_b32_e32 v16, v21
	v_pk_mul_f32 v[20:21], v[16:17], v[8:9]
	v_pk_mul_f32 v[16:17], v[16:17], v[6:7]
	v_pk_fma_f32 v[20:21], v[18:19], v[6:7], v[20:21] neg_lo:[0,0,1] neg_hi:[0,0,1]
	v_pk_fma_f32 v[16:17], v[18:19], v[8:9], v[16:17]
	s_waitcnt vmcnt(0)
	v_mov_b32_e32 v18, v12
	v_mov_b32_e32 v19, v14
	;; [unrolled: 1-line block ×3, first 2 shown]
	v_pk_add_f32 v[18:19], v[18:19], v[20:21] neg_lo:[0,1] neg_hi:[0,1]
	v_pk_add_f32 v[14:15], v[14:15], v[16:17] neg_lo:[0,1] neg_hi:[0,1]
	v_mov_b32_e32 v12, v18
	v_mov_b32_e32 v13, v14
	;; [unrolled: 1-line block ×3, first 2 shown]
	scratch_store_dwordx4 off, v[12:15], s13
	s_add_i32 s13, s13, 16
	s_cmp_lg_u32 s34, 0
	s_cbranch_scc1 .LBB153_65
; %bb.66:                               ;   in Loop: Header=BB153_63 Depth=3
	s_mov_b64 s[12:13], s[10:11]
	s_mov_b32 s14, s22
	s_branch .LBB153_69
.LBB153_67:                             ;   in Loop: Header=BB153_63 Depth=3
	s_waitcnt lgkmcnt(0)
	v_mov_b32_e32 v4, v3
	s_mov_b64 s[12:13], 0
	s_mov_b32 s14, s22
	s_cbranch_execz .LBB153_69
; %bb.68:                               ;   in Loop: Header=BB153_63 Depth=3
	s_mov_b64 s[12:13], -1
	s_mov_b32 s14, 0
.LBB153_69:                             ;   in Loop: Header=BB153_63 Depth=3
	s_andn2_b64 vcc, exec, s[12:13]
	s_cbranch_vccnz .LBB153_62
; %bb.70:                               ;   in Loop: Header=BB153_63 Depth=3
	s_sub_i32 s12, s21, s14
	s_lshl_b32 s14, s14, 3
	v_mov_b32_e32 v5, v3
	v_mov_b32_e32 v3, v2
	s_sub_i32 s13, s31, s14
.LBB153_71:                             ;   Parent Loop BB153_55 Depth=1
                                        ;     Parent Loop BB153_58 Depth=2
                                        ;       Parent Loop BB153_63 Depth=3
                                        ; =>      This Inner Loop Header: Depth=4
	scratch_load_dwordx2 v[6:7], off, s14
	v_mov_b32_e32 v8, s13
	ds_read_b64 v[8:9], v8
	s_add_i32 s12, s12, -1
	s_add_i32 s13, s13, -8
	s_waitcnt lgkmcnt(0)
	v_pk_mul_f32 v[12:13], v[8:9], v[4:5] op_sel:[1,0] op_sel_hi:[0,1]
	v_pk_fma_f32 v[14:15], v[8:9], v[2:3], v[12:13] neg_lo:[0,0,1] neg_hi:[0,0,1]
	v_pk_fma_f32 v[8:9], v[8:9], v[2:3], v[12:13]
	s_nop 0
	v_mov_b32_e32 v15, v9
	s_waitcnt vmcnt(0)
	v_pk_add_f32 v[6:7], v[6:7], v[14:15] neg_lo:[0,1] neg_hi:[0,1]
	scratch_store_dwordx2 off, v[6:7], s14
	s_add_i32 s14, s14, 8
	s_cmp_eq_u32 s12, 0
	s_cbranch_scc0 .LBB153_71
	s_branch .LBB153_62
.LBB153_72:                             ;   in Loop: Header=BB153_58 Depth=2
	s_mov_b32 s14, 0
	s_mov_b32 s15, s28
	s_branch .LBB153_74
.LBB153_73:                             ;   in Loop: Header=BB153_74 Depth=3
	s_mul_i32 s12, s30, 0xa8
	v_mov_b32_e32 v3, s12
	ds_read_b64 v[6:7], v3
	s_lshl_b32 s12, s14, 3
	s_mul_i32 s13, s30, 0xa0
	s_add_i32 s14, s14, 1
	s_add_i32 s15, s15, -8
	s_waitcnt lgkmcnt(0)
	v_pk_mul_f32 v[4:5], v[6:7], v[4:5] op_sel:[1,0] op_sel_hi:[0,0]
	v_pk_fma_f32 v[8:9], v[6:7], v[2:3], v[4:5] neg_lo:[0,0,1] neg_hi:[0,0,1]
	v_pk_fma_f32 v[2:3], v[6:7], v[2:3], v[4:5] op_sel_hi:[1,0,1]
	s_cmp_eq_u32 s14, s21
	v_mov_b32_e32 v9, v3
	v_add_u32_e32 v2, s13, v1
	scratch_store_dwordx2 off, v[8:9], s12
	ds_write_b64 v2, v[8:9]
	s_cbranch_scc1 .LBB153_57
.LBB153_74:                             ;   Parent Loop BB153_55 Depth=1
                                        ;     Parent Loop BB153_58 Depth=2
                                        ; =>    This Loop Header: Depth=3
                                        ;         Child Loop BB153_76 Depth 4
	s_cmp_lg_u32 s14, 0
	s_cbranch_scc0 .LBB153_78
; %bb.75:                               ;   in Loop: Header=BB153_74 Depth=3
	s_lshl_b32 s12, s14, 3
	scratch_load_dwordx2 v[2:3], off, s12
	s_mov_b32 s13, 0
	s_mov_b32 s30, s15
	;; [unrolled: 1-line block ×3, first 2 shown]
.LBB153_76:                             ;   Parent Loop BB153_55 Depth=1
                                        ;     Parent Loop BB153_58 Depth=2
                                        ;       Parent Loop BB153_74 Depth=3
                                        ; =>      This Inner Loop Header: Depth=4
	scratch_load_dwordx2 v[4:5], off, s13
	v_mov_b32_e32 v6, s30
	ds_read_b64 v[6:7], v6
	s_add_i32 s31, s31, -1
	s_addk_i32 s30, 0xff60
	s_add_i32 s13, s13, 8
	s_cmp_eq_u32 s31, 0
	s_waitcnt vmcnt(0) lgkmcnt(0)
	v_pk_mul_f32 v[8:9], v[6:7], v[4:5] op_sel:[1,1] op_sel_hi:[0,1]
	v_pk_fma_f32 v[12:13], v[6:7], v[4:5], v[8:9] neg_lo:[0,0,1] neg_hi:[0,0,1]
	v_pk_fma_f32 v[4:5], v[6:7], v[4:5], v[8:9] op_sel_hi:[1,0,1]
	s_nop 0
	v_mov_b32_e32 v13, v5
	v_pk_add_f32 v[2:3], v[2:3], v[12:13] neg_lo:[0,1] neg_hi:[0,1]
	scratch_store_dwordx2 off, v[2:3], s12
	s_cbranch_scc0 .LBB153_76
; %bb.77:                               ;   in Loop: Header=BB153_74 Depth=3
	s_sub_i32 s30, s18, s14
	v_mov_b32_e32 v4, v3
	s_branch .LBB153_73
.LBB153_78:                             ;   in Loop: Header=BB153_74 Depth=3
                                        ; implicit-def: $vgpr2
                                        ; implicit-def: $vgpr4
                                        ; implicit-def: $sgpr30
	s_cbranch_execz .LBB153_73
; %bb.79:                               ;   in Loop: Header=BB153_74 Depth=3
	scratch_load_dwordx2 v[2:3], off, off
	s_mov_b32 s30, s18
	s_waitcnt vmcnt(0)
	v_mov_b32_e32 v4, v3
	s_branch .LBB153_73
.LBB153_80:
	s_waitcnt lgkmcnt(0)
	; wave barrier
	s_and_saveexec_b64 s[4:5], s[0:1]
	s_cbranch_execz .LBB153_84
; %bb.81:
	s_andn2_b64 vcc, exec, s[8:9]
	s_cbranch_vccnz .LBB153_84
; %bb.82:
	v_mad_i64_i32 v[2:3], s[0:1], s27, v0, 0
	v_mov_b32_e32 v1, 0xc80
	v_lshl_add_u64 v[2:3], v[2:3], 3, s[2:3]
	v_lshl_add_u32 v0, v0, 3, v1
.LBB153_83:                             ; =>This Inner Loop Header: Depth=1
	ds_read_b64 v[4:5], v0
	s_add_i32 s26, s26, -1
	v_add_u32_e32 v0, 0xa0, v0
	s_cmp_lg_u32 s26, 0
	s_waitcnt lgkmcnt(0)
	flat_store_dwordx2 v[2:3], v[4:5]
	v_lshl_add_u64 v[2:3], v[2:3], 0, 8
	s_cbranch_scc1 .LBB153_83
.LBB153_84:
	s_endpgm
	.section	.rodata,"a",@progbits
	.p2align	6, 0x0
	.amdhsa_kernel _ZL38rocblas_trsm_small_left_device_sharedBILi20ELi20ELb0E19rocblas_complex_numIfES1_PKPKS1_PKPS1_Ev13rocblas_fill_18rocblas_operation_17rocblas_diagonal_iiT3_T4_lilT5_lili
		.amdhsa_group_segment_fixed_size 6400
		.amdhsa_private_segment_fixed_size 176
		.amdhsa_kernarg_size 360
		.amdhsa_user_sgpr_count 2
		.amdhsa_user_sgpr_dispatch_ptr 0
		.amdhsa_user_sgpr_queue_ptr 0
		.amdhsa_user_sgpr_kernarg_segment_ptr 1
		.amdhsa_user_sgpr_dispatch_id 0
		.amdhsa_user_sgpr_kernarg_preload_length 0
		.amdhsa_user_sgpr_kernarg_preload_offset 0
		.amdhsa_user_sgpr_private_segment_size 0
		.amdhsa_uses_dynamic_stack 0
		.amdhsa_enable_private_segment 1
		.amdhsa_system_sgpr_workgroup_id_x 1
		.amdhsa_system_sgpr_workgroup_id_y 0
		.amdhsa_system_sgpr_workgroup_id_z 1
		.amdhsa_system_sgpr_workgroup_info 0
		.amdhsa_system_vgpr_workitem_id 0
		.amdhsa_next_free_vgpr 65
		.amdhsa_next_free_sgpr 75
		.amdhsa_accum_offset 24
		.amdhsa_reserve_vcc 1
		.amdhsa_float_round_mode_32 0
		.amdhsa_float_round_mode_16_64 0
		.amdhsa_float_denorm_mode_32 3
		.amdhsa_float_denorm_mode_16_64 3
		.amdhsa_dx10_clamp 1
		.amdhsa_ieee_mode 1
		.amdhsa_fp16_overflow 0
		.amdhsa_tg_split 0
		.amdhsa_exception_fp_ieee_invalid_op 0
		.amdhsa_exception_fp_denorm_src 0
		.amdhsa_exception_fp_ieee_div_zero 0
		.amdhsa_exception_fp_ieee_overflow 0
		.amdhsa_exception_fp_ieee_underflow 0
		.amdhsa_exception_fp_ieee_inexact 0
		.amdhsa_exception_int_div_zero 0
	.end_amdhsa_kernel
	.section	.text._ZL38rocblas_trsm_small_left_device_sharedBILi20ELi20ELb0E19rocblas_complex_numIfES1_PKPKS1_PKPS1_Ev13rocblas_fill_18rocblas_operation_17rocblas_diagonal_iiT3_T4_lilT5_lili,"axG",@progbits,_ZL38rocblas_trsm_small_left_device_sharedBILi20ELi20ELb0E19rocblas_complex_numIfES1_PKPKS1_PKPS1_Ev13rocblas_fill_18rocblas_operation_17rocblas_diagonal_iiT3_T4_lilT5_lili,comdat
.Lfunc_end153:
	.size	_ZL38rocblas_trsm_small_left_device_sharedBILi20ELi20ELb0E19rocblas_complex_numIfES1_PKPKS1_PKPS1_Ev13rocblas_fill_18rocblas_operation_17rocblas_diagonal_iiT3_T4_lilT5_lili, .Lfunc_end153-_ZL38rocblas_trsm_small_left_device_sharedBILi20ELi20ELb0E19rocblas_complex_numIfES1_PKPKS1_PKPS1_Ev13rocblas_fill_18rocblas_operation_17rocblas_diagonal_iiT3_T4_lilT5_lili
                                        ; -- End function
	.set _ZL38rocblas_trsm_small_left_device_sharedBILi20ELi20ELb0E19rocblas_complex_numIfES1_PKPKS1_PKPS1_Ev13rocblas_fill_18rocblas_operation_17rocblas_diagonal_iiT3_T4_lilT5_lili.num_vgpr, 22
	.set _ZL38rocblas_trsm_small_left_device_sharedBILi20ELi20ELb0E19rocblas_complex_numIfES1_PKPKS1_PKPS1_Ev13rocblas_fill_18rocblas_operation_17rocblas_diagonal_iiT3_T4_lilT5_lili.num_agpr, 0
	.set _ZL38rocblas_trsm_small_left_device_sharedBILi20ELi20ELb0E19rocblas_complex_numIfES1_PKPKS1_PKPS1_Ev13rocblas_fill_18rocblas_operation_17rocblas_diagonal_iiT3_T4_lilT5_lili.numbered_sgpr, 37
	.set _ZL38rocblas_trsm_small_left_device_sharedBILi20ELi20ELb0E19rocblas_complex_numIfES1_PKPKS1_PKPS1_Ev13rocblas_fill_18rocblas_operation_17rocblas_diagonal_iiT3_T4_lilT5_lili.num_named_barrier, 0
	.set _ZL38rocblas_trsm_small_left_device_sharedBILi20ELi20ELb0E19rocblas_complex_numIfES1_PKPKS1_PKPS1_Ev13rocblas_fill_18rocblas_operation_17rocblas_diagonal_iiT3_T4_lilT5_lili.private_seg_size, 176
	.set _ZL38rocblas_trsm_small_left_device_sharedBILi20ELi20ELb0E19rocblas_complex_numIfES1_PKPKS1_PKPS1_Ev13rocblas_fill_18rocblas_operation_17rocblas_diagonal_iiT3_T4_lilT5_lili.uses_vcc, 1
	.set _ZL38rocblas_trsm_small_left_device_sharedBILi20ELi20ELb0E19rocblas_complex_numIfES1_PKPKS1_PKPS1_Ev13rocblas_fill_18rocblas_operation_17rocblas_diagonal_iiT3_T4_lilT5_lili.uses_flat_scratch, 0
	.set _ZL38rocblas_trsm_small_left_device_sharedBILi20ELi20ELb0E19rocblas_complex_numIfES1_PKPKS1_PKPS1_Ev13rocblas_fill_18rocblas_operation_17rocblas_diagonal_iiT3_T4_lilT5_lili.has_dyn_sized_stack, 0
	.set _ZL38rocblas_trsm_small_left_device_sharedBILi20ELi20ELb0E19rocblas_complex_numIfES1_PKPKS1_PKPS1_Ev13rocblas_fill_18rocblas_operation_17rocblas_diagonal_iiT3_T4_lilT5_lili.has_recursion, 0
	.set _ZL38rocblas_trsm_small_left_device_sharedBILi20ELi20ELb0E19rocblas_complex_numIfES1_PKPKS1_PKPS1_Ev13rocblas_fill_18rocblas_operation_17rocblas_diagonal_iiT3_T4_lilT5_lili.has_indirect_call, 0
	.section	.AMDGPU.csdata,"",@progbits
; Kernel info:
; codeLenInByte = 3508
; TotalNumSgprs: 43
; NumVgprs: 22
; NumAgprs: 0
; TotalNumVgprs: 22
; ScratchSize: 176
; MemoryBound: 0
; FloatMode: 240
; IeeeMode: 1
; LDSByteSize: 6400 bytes/workgroup (compile time only)
; SGPRBlocks: 10
; VGPRBlocks: 8
; NumSGPRsForWavesPerEU: 81
; NumVGPRsForWavesPerEU: 65
; AccumOffset: 24
; Occupancy: 7
; WaveLimiterHint : 1
; COMPUTE_PGM_RSRC2:SCRATCH_EN: 1
; COMPUTE_PGM_RSRC2:USER_SGPR: 2
; COMPUTE_PGM_RSRC2:TRAP_HANDLER: 0
; COMPUTE_PGM_RSRC2:TGID_X_EN: 1
; COMPUTE_PGM_RSRC2:TGID_Y_EN: 0
; COMPUTE_PGM_RSRC2:TGID_Z_EN: 1
; COMPUTE_PGM_RSRC2:TIDIG_COMP_CNT: 0
; COMPUTE_PGM_RSRC3_GFX90A:ACCUM_OFFSET: 5
; COMPUTE_PGM_RSRC3_GFX90A:TG_SPLIT: 0
	.section	.text._ZL30rocblas_trsm_small_left_deviceILi20ELi20ELb0E19rocblas_complex_numIfES1_PKPKS1_PKPS1_Ev13rocblas_fill_18rocblas_operation_17rocblas_diagonal_iiT3_T4_lilT5_lili,"axG",@progbits,_ZL30rocblas_trsm_small_left_deviceILi20ELi20ELb0E19rocblas_complex_numIfES1_PKPKS1_PKPS1_Ev13rocblas_fill_18rocblas_operation_17rocblas_diagonal_iiT3_T4_lilT5_lili,comdat
	.globl	_ZL30rocblas_trsm_small_left_deviceILi20ELi20ELb0E19rocblas_complex_numIfES1_PKPKS1_PKPS1_Ev13rocblas_fill_18rocblas_operation_17rocblas_diagonal_iiT3_T4_lilT5_lili ; -- Begin function _ZL30rocblas_trsm_small_left_deviceILi20ELi20ELb0E19rocblas_complex_numIfES1_PKPKS1_PKPS1_Ev13rocblas_fill_18rocblas_operation_17rocblas_diagonal_iiT3_T4_lilT5_lili
	.p2align	8
	.type	_ZL30rocblas_trsm_small_left_deviceILi20ELi20ELb0E19rocblas_complex_numIfES1_PKPKS1_PKPS1_Ev13rocblas_fill_18rocblas_operation_17rocblas_diagonal_iiT3_T4_lilT5_lili,@function
_ZL30rocblas_trsm_small_left_deviceILi20ELi20ELb0E19rocblas_complex_numIfES1_PKPKS1_PKPS1_Ev13rocblas_fill_18rocblas_operation_17rocblas_diagonal_iiT3_T4_lilT5_lili: ; @_ZL30rocblas_trsm_small_left_deviceILi20ELi20ELb0E19rocblas_complex_numIfES1_PKPKS1_PKPS1_Ev13rocblas_fill_18rocblas_operation_17rocblas_diagonal_iiT3_T4_lilT5_lili
; %bb.0:
	s_load_dwordx4 s[8:11], s[0:1], 0x40
	s_load_dwordx4 s[4:7], s[0:1], 0x4
	s_load_dwordx2 s[12:13], s[0:1], 0x14
	s_mov_b32 s14, s3
	s_mov_b32 s15, 0
	s_lshl_b64 s[18:19], s[14:15], 3
	s_waitcnt lgkmcnt(0)
	s_add_u32 s8, s8, s18
	s_addc_u32 s9, s9, s19
	s_load_dword s3, s[0:1], 0x68
	s_min_i32 s26, s6, 20
	s_load_dwordx2 s[8:9], s[8:9], 0x0
	v_cmp_gt_i32_e32 vcc, s26, v0
	s_and_saveexec_b64 s[14:15], vcc
	s_cbranch_execz .LBB154_15
; %bb.1:
	s_load_dword s24, s[0:1], 0x30
	s_load_dwordx4 s[20:23], s[0:1], 0x20
	v_lshlrev_b32_e32 v2, 3, v0
	v_mov_b32_e32 v3, 0
	v_mov_b32_e32 v1, v2
	s_waitcnt lgkmcnt(0)
	s_ashr_i32 s25, s24, 31
	s_cmpk_lg_i32 s4, 0x71
	s_cselect_b64 s[16:17], -1, 0
	s_add_u32 s18, s20, s18
	s_addc_u32 s19, s21, s19
	s_load_dwordx2 s[18:19], s[18:19], 0x0
	s_lshl_b64 s[20:21], s[22:23], 3
	s_mov_b32 s6, s26
	s_waitcnt lgkmcnt(0)
	s_add_u32 s20, s18, s20
	s_addc_u32 s21, s19, s21
	s_lshl_b64 s[18:19], s[24:25], 3
	v_lshl_add_u64 v[4:5], s[20:21], 0, v[2:3]
	s_branch .LBB154_3
.LBB154_2:                              ;   in Loop: Header=BB154_3 Depth=1
	flat_load_dword v6, v[4:5]
	s_add_i32 s6, s6, -1
	v_lshl_add_u64 v[4:5], v[4:5], 0, s[18:19]
	s_cmp_eq_u32 s6, 0
	s_waitcnt vmcnt(0) lgkmcnt(0)
	ds_write_b64 v1, v[6:7]
	v_add_u32_e32 v1, 0xa0, v1
	s_cbranch_scc1 .LBB154_7
.LBB154_3:                              ; =>This Inner Loop Header: Depth=1
	s_mov_b64 s[20:21], -1
	s_and_b64 vcc, exec, s[16:17]
                                        ; implicit-def: $vgpr7
	s_cbranch_vccz .LBB154_5
; %bb.4:                                ;   in Loop: Header=BB154_3 Depth=1
	flat_load_dword v7, v[4:5] offset:4
	s_mov_b64 s[20:21], 0
.LBB154_5:                              ;   in Loop: Header=BB154_3 Depth=1
	s_andn2_b64 vcc, exec, s[20:21]
	s_cbranch_vccnz .LBB154_2
; %bb.6:                                ;   in Loop: Header=BB154_3 Depth=1
	flat_load_dword v3, v[4:5] offset:4
	s_waitcnt vmcnt(0) lgkmcnt(0)
	v_xor_b32_e32 v7, 0x80000000, v3
	s_branch .LBB154_2
.LBB154_7:
	s_cmpk_lg_i32 s5, 0x84
	v_mul_u32_u24_e32 v1, 0xa0, v0
	s_mov_b64 s[16:17], -1
	s_cbranch_scc0 .LBB154_13
; %bb.8:
	v_add_u32_e32 v3, v2, v1
	ds_read_b64 v[4:5], v3
                                        ; implicit-def: $vgpr6_vgpr7
	s_waitcnt lgkmcnt(0)
	v_cmp_ngt_f32_e64 s[16:17], |v4|, |v5|
	s_and_saveexec_b64 s[18:19], s[16:17]
	s_xor_b64 s[16:17], exec, s[18:19]
	s_cbranch_execz .LBB154_10
; %bb.9:
	v_div_scale_f32 v6, s[18:19], v5, v5, v4
	v_rcp_f32_e32 v7, v6
	v_div_scale_f32 v8, vcc, v4, v5, v4
	v_fma_f32 v9, -v6, v7, 1.0
	v_fmac_f32_e32 v7, v9, v7
	v_mul_f32_e32 v9, v8, v7
	v_fma_f32 v10, -v6, v9, v8
	v_fmac_f32_e32 v9, v10, v7
	v_fma_f32 v6, -v6, v9, v8
	v_div_fmas_f32 v6, v6, v7, v9
	v_div_fixup_f32 v6, v6, v5, v4
	v_fmac_f32_e32 v5, v4, v6
	v_div_scale_f32 v4, s[18:19], v5, v5, 1.0
	v_rcp_f32_e32 v7, v4
	s_mov_b32 s18, 0
	s_mov_b32 s19, -1.0
	v_fma_f32 v8, -v4, v7, 1.0
	v_fmac_f32_e32 v7, v8, v7
	v_div_scale_f32 v8, vcc, 1.0, v5, 1.0
	v_mul_f32_e32 v9, v8, v7
	v_fma_f32 v10, -v4, v9, v8
	v_fmac_f32_e32 v9, v10, v7
	v_fma_f32 v4, -v4, v9, v8
	v_div_fmas_f32 v4, v4, v7, v9
	v_mul_f32_e32 v7, 0, v6
	v_div_fixup_f32 v4, v4, v5, 1.0
	v_pk_add_f32 v[6:7], v[6:7], s[18:19]
	s_nop 0
	v_pk_mul_f32 v[6:7], v[6:7], v[4:5] op_sel_hi:[1,0]
                                        ; implicit-def: $vgpr4_vgpr5
.LBB154_10:
	s_andn2_saveexec_b64 s[16:17], s[16:17]
	s_cbranch_execz .LBB154_12
; %bb.11:
	v_div_scale_f32 v6, s[18:19], v4, v4, v5
	v_rcp_f32_e32 v7, v6
	v_div_scale_f32 v8, vcc, v5, v4, v5
	v_fma_f32 v9, -v6, v7, 1.0
	v_fmac_f32_e32 v7, v9, v7
	v_mul_f32_e32 v9, v8, v7
	v_fma_f32 v10, -v6, v9, v8
	v_fmac_f32_e32 v9, v10, v7
	v_fma_f32 v6, -v6, v9, v8
	v_div_fmas_f32 v6, v6, v7, v9
	v_div_fixup_f32 v7, v6, v4, v5
	v_fmac_f32_e32 v4, v5, v7
	v_div_scale_f32 v5, s[18:19], v4, v4, 1.0
	v_rcp_f32_e32 v6, v5
	s_nop 0
	v_fma_f32 v8, -v5, v6, 1.0
	v_fmac_f32_e32 v6, v8, v6
	v_div_scale_f32 v8, vcc, 1.0, v4, 1.0
	v_mul_f32_e32 v9, v8, v6
	v_fma_f32 v10, -v5, v9, v8
	v_fmac_f32_e32 v9, v10, v6
	v_fma_f32 v5, -v5, v9, v8
	v_div_fmas_f32 v5, v5, v6, v9
	v_div_fixup_f32 v4, v5, v4, 1.0
	v_mul_f32_e32 v5, 0, v7
	v_add_f32_e32 v6, 1.0, v5
	v_sub_f32_e32 v7, 0, v7
	v_pk_mul_f32 v[6:7], v[6:7], v[4:5] op_sel_hi:[1,0]
.LBB154_12:
	s_or_b64 exec, exec, s[16:17]
	s_mov_b64 s[16:17], 0
	ds_write_b64 v3, v[6:7]
.LBB154_13:
	s_and_b64 vcc, exec, s[16:17]
	s_cbranch_vccz .LBB154_15
; %bb.14:
	v_add_u32_e32 v1, v2, v1
	v_mov_b32_e32 v2, 1.0
	v_mov_b32_e32 v3, 0
	ds_write_b64 v1, v[2:3]
.LBB154_15:
	s_or_b64 exec, exec, s[14:15]
	s_mul_i32 s5, s2, 0xffffffec
	s_waitcnt lgkmcnt(0)
	s_add_i32 s3, s3, -1
	s_add_i32 s5, s7, s5
	s_cmp_ge_u32 s2, s3
	s_cselect_b32 s3, s5, 20
	v_cmp_gt_i32_e32 vcc, s3, v0
	; wave barrier
	s_and_saveexec_b64 s[6:7], vcc
	s_cbranch_execz .LBB154_83
; %bb.16:
	s_load_dword s5, s[0:1], 0x50
	s_lshl_b64 s[6:7], s[10:11], 3
	s_add_u32 s0, s8, s6
	v_mad_u64_u32 v[0:1], s[2:3], s2, 20, v[0:1]
	s_addc_u32 s1, s9, s7
	s_waitcnt lgkmcnt(0)
	v_mad_i64_i32 v[2:3], s[2:3], s5, v0, 0
	v_lshl_add_u64 v[0:1], v[2:3], 3, s[0:1]
	s_cmpk_eq_i32 s4, 0x6f
	s_mov_b64 s[0:1], -1
	s_cbranch_scc1 .LBB154_50
; %bb.17:
	s_add_u32 s0, s8, s6
	s_addc_u32 s1, s9, s7
	s_mov_b32 s15, 0
	s_mov_b32 s2, s12
	;; [unrolled: 1-line block ×7, first 2 shown]
	v_lshl_add_u64 v[4:5], v[2:3], 3, s[0:1]
	s_mov_b32 s16, s15
	s_mov_b32 s27, s15
	s_branch .LBB154_19
.LBB154_18:                             ;   in Loop: Header=BB154_19 Depth=1
	s_cmp_ge_i32 s27, s26
	s_cselect_b64 s[0:1], -1, 0
	s_add_i32 s16, s16, 1
	s_cmp_eq_u32 s16, 3
	s_cselect_b64 s[18:19], -1, 0
	s_or_b64 s[0:1], s[0:1], s[18:19]
	s_andn2_b64 vcc, exec, s[0:1]
	s_cbranch_vccz .LBB154_49
.LBB154_19:                             ; =>This Loop Header: Depth=1
                                        ;     Child Loop BB154_22 Depth 2
                                        ;       Child Loop BB154_24 Depth 3
                                        ;       Child Loop BB154_28 Depth 3
	;; [unrolled: 1-line block ×3, first 2 shown]
                                        ;         Child Loop BB154_34 Depth 4
                                        ;         Child Loop BB154_40 Depth 4
                                        ;       Child Loop BB154_43 Depth 3
                                        ;         Child Loop BB154_45 Depth 4
	s_mov_b32 s17, s15
	s_lshl_b64 s[0:1], s[16:17], 2
	s_getpc_b64 s[18:19]
	s_add_u32 s18, s18, __const._ZL30rocblas_trsm_small_left_deviceILi20ELi20ELb0E19rocblas_complex_numIfES1_PKPKS1_PKPS1_Ev13rocblas_fill_18rocblas_operation_17rocblas_diagonal_iiT3_T4_lilT5_lili.step_sizes@rel32@lo+4
	s_addc_u32 s19, s19, __const._ZL30rocblas_trsm_small_left_deviceILi20ELi20ELb0E19rocblas_complex_numIfES1_PKPKS1_PKPS1_Ev13rocblas_fill_18rocblas_operation_17rocblas_diagonal_iiT3_T4_lilT5_lili.step_sizes@rel32@hi+12
	s_add_u32 s0, s18, s0
	s_addc_u32 s1, s19, s1
	s_load_dword s17, s[0:1], 0x0
	s_waitcnt lgkmcnt(0)
	s_add_i32 s28, s17, -1
	s_add_i32 s0, s28, s27
	s_cmp_ge_i32 s0, s26
	s_cbranch_scc1 .LBB154_18
; %bb.20:                               ;   in Loop: Header=BB154_19 Depth=1
	s_max_i32 s29, s17, 1
	s_cmp_lg_u32 s16, 2
	s_cselect_b64 s[18:19], -1, 0
	s_and_b32 s30, s29, 0x7ffffffe
	s_cmp_lg_u32 s29, s30
	v_cndmask_b32_e64 v6, 0, 1, s[18:19]
	s_cselect_b64 s[20:21], -1, 0
	s_ashr_i32 s31, s27, 31
	s_ashr_i32 s33, s17, 31
	s_mul_i32 s34, s27, 0xa8
	s_mul_i32 s35, s17, 0xa8
	v_cmp_ne_u32_e64 s[0:1], 1, v6
	s_branch .LBB154_22
.LBB154_21:                             ;   in Loop: Header=BB154_22 Depth=2
	s_add_u32 s27, s27, s17
	s_addc_u32 s31, s31, s33
	s_add_i32 s14, s28, s27
	s_add_i32 s34, s34, s35
	s_cmp_ge_i32 s14, s26
	s_cbranch_scc1 .LBB154_18
.LBB154_22:                             ;   Parent Loop BB154_19 Depth=1
                                        ; =>  This Loop Header: Depth=2
                                        ;       Child Loop BB154_24 Depth 3
                                        ;       Child Loop BB154_28 Depth 3
	;; [unrolled: 1-line block ×3, first 2 shown]
                                        ;         Child Loop BB154_34 Depth 4
                                        ;         Child Loop BB154_40 Depth 4
                                        ;       Child Loop BB154_43 Depth 3
                                        ;         Child Loop BB154_45 Depth 4
	s_and_b64 vcc, exec, s[0:1]
	s_cbranch_vccnz .LBB154_26
; %bb.23:                               ;   in Loop: Header=BB154_22 Depth=2
	s_mov_b32 s14, 0
	s_mov_b32 s24, s27
	;; [unrolled: 1-line block ×6, first 2 shown]
.LBB154_24:                             ;   Parent Loop BB154_19 Depth=1
                                        ;     Parent Loop BB154_22 Depth=2
                                        ; =>    This Inner Loop Header: Depth=3
	s_add_i32 s22, s37, s24
	s_add_i32 s40, s36, s25
	s_ashr_i32 s23, s22, 31
	s_ashr_i32 s41, s40, 31
	v_lshl_add_u64 v[6:7], s[22:23], 3, v[0:1]
	v_lshl_add_u64 v[8:9], s[40:41], 3, v[0:1]
	flat_load_dwordx2 v[12:13], v[6:7]
	flat_load_dwordx2 v[10:11], v[8:9]
	s_add_i32 s37, s37, 2
	s_add_i32 s36, s36, 2
	s_add_i32 s38, s38, -2
	s_mov_b32 s39, s30
	s_mov_b64 s[22:23], s[20:21]
	s_waitcnt vmcnt(0) lgkmcnt(0)
	v_mov_b32_e32 v6, v12
	v_mov_b32_e32 v7, v10
	;; [unrolled: 1-line block ×3, first 2 shown]
	v_pk_mul_f32 v[8:9], v[10:11], s[4:5]
	v_pk_mul_f32 v[10:11], v[10:11], s[2:3]
	v_pk_fma_f32 v[12:13], v[6:7], s[2:3], v[8:9] neg_lo:[0,0,1] neg_hi:[0,0,1]
	v_pk_fma_f32 v[8:9], v[6:7], s[4:5], v[10:11]
	v_mov_b32_e32 v6, v12
	v_mov_b32_e32 v7, v8
	;; [unrolled: 1-line block ×3, first 2 shown]
	scratch_store_dwordx4 off, v[6:9], s14
	s_add_i32 s14, s14, 16
	s_cmp_lg_u32 s38, 0
	s_cbranch_scc1 .LBB154_24
; %bb.25:                               ;   in Loop: Header=BB154_22 Depth=2
	s_and_b64 vcc, exec, s[22:23]
	s_cbranch_vccnz .LBB154_27
	s_branch .LBB154_29
.LBB154_26:                             ;   in Loop: Header=BB154_22 Depth=2
	s_mov_b32 s39, 0
	s_cbranch_execz .LBB154_29
.LBB154_27:                             ;   in Loop: Header=BB154_22 Depth=2
	s_sub_i32 s14, s29, s39
	s_add_u32 s22, s27, s39
	s_addc_u32 s23, s31, 0
	v_lshl_add_u64 v[6:7], s[22:23], 3, v[4:5]
	s_lshl_b32 s22, s39, 3
.LBB154_28:                             ;   Parent Loop BB154_19 Depth=1
                                        ;     Parent Loop BB154_22 Depth=2
                                        ; =>    This Inner Loop Header: Depth=3
	flat_load_dwordx2 v[8:9], v[6:7]
	s_add_i32 s14, s14, -1
	v_lshl_add_u64 v[6:7], v[6:7], 0, 8
	s_waitcnt vmcnt(0) lgkmcnt(0)
	v_pk_mul_f32 v[10:11], v[8:9], s[10:11] op_sel:[1,0]
	s_nop 0
	v_pk_fma_f32 v[12:13], v[8:9], s[12:13], v[10:11] neg_lo:[0,0,1] neg_hi:[0,0,1]
	v_pk_fma_f32 v[8:9], v[8:9], s[12:13], v[10:11] op_sel_hi:[0,1,1]
	v_mov_b32_e32 v13, v9
	scratch_store_dwordx2 off, v[12:13], s22
	s_add_i32 s22, s22, 8
	s_cmp_eq_u32 s14, 0
	s_cbranch_scc0 .LBB154_28
.LBB154_29:                             ;   in Loop: Header=BB154_22 Depth=2
	s_cmp_lt_i32 s27, 1
	s_cbranch_scc1 .LBB154_41
; %bb.30:                               ;   in Loop: Header=BB154_22 Depth=2
	s_mov_b32 s38, 0
	s_mov_b32 s36, s27
	;; [unrolled: 1-line block ×4, first 2 shown]
	s_branch .LBB154_32
.LBB154_31:                             ;   in Loop: Header=BB154_32 Depth=3
	s_add_i32 s14, s14, 1
	s_add_i32 s38, s38, 8
	s_cmp_eq_u32 s14, s27
	s_cbranch_scc1 .LBB154_41
.LBB154_32:                             ;   Parent Loop BB154_19 Depth=1
                                        ;     Parent Loop BB154_22 Depth=2
                                        ; =>    This Loop Header: Depth=3
                                        ;         Child Loop BB154_34 Depth 4
                                        ;         Child Loop BB154_40 Depth 4
	v_lshl_add_u64 v[6:7], s[14:15], 3, v[0:1]
	flat_load_dwordx2 v[6:7], v[6:7]
	s_and_b64 vcc, exec, s[18:19]
	s_cbranch_vccz .LBB154_36
; %bb.33:                               ;   in Loop: Header=BB154_32 Depth=3
	s_lshl_b32 s22, s14, 3
	s_waitcnt vmcnt(0) lgkmcnt(0)
	v_mov_b32_e32 v10, v6
	v_mov_b32_e32 v11, v6
	;; [unrolled: 1-line block ×3, first 2 shown]
	s_mov_b32 s23, 0
	v_mov_b32_e32 v12, v7
	v_mov_b32_e32 v13, v7
	s_mov_b32 s24, 1
	s_mov_b32 s25, 0
	;; [unrolled: 1-line block ×3, first 2 shown]
.LBB154_34:                             ;   Parent Loop BB154_19 Depth=1
                                        ;     Parent Loop BB154_22 Depth=2
                                        ;       Parent Loop BB154_32 Depth=3
                                        ; =>      This Inner Loop Header: Depth=4
	scratch_load_dwordx4 v[14:17], off, s23
	s_add_i32 s40, s25, s36
	s_add_i32 s41, s24, s37
	s_mulk_i32 s41, 0xa0
	s_mulk_i32 s40, 0xa0
	s_add_i32 s40, s22, s40
	s_add_i32 s41, s22, s41
	v_mov_b32_e32 v9, s40
	v_mov_b32_e32 v18, s41
	ds_read_b64 v[22:23], v9
	ds_read_b64 v[18:19], v18
	s_add_i32 s25, s25, 2
	s_add_i32 s24, s24, 2
	s_add_i32 s39, s39, -2
	s_waitcnt lgkmcnt(1)
	v_mov_b32_e32 v20, v22
	s_waitcnt lgkmcnt(0)
	v_mov_b32_e32 v21, v18
	v_mov_b32_e32 v18, v23
	v_pk_mul_f32 v[22:23], v[18:19], v[12:13]
	v_pk_mul_f32 v[18:19], v[18:19], v[10:11]
	v_pk_fma_f32 v[22:23], v[20:21], v[10:11], v[22:23] neg_lo:[0,0,1] neg_hi:[0,0,1]
	v_pk_fma_f32 v[18:19], v[20:21], v[12:13], v[18:19]
	s_waitcnt vmcnt(0)
	v_mov_b32_e32 v20, v14
	v_mov_b32_e32 v21, v16
	;; [unrolled: 1-line block ×3, first 2 shown]
	v_pk_add_f32 v[20:21], v[20:21], v[22:23] neg_lo:[0,1] neg_hi:[0,1]
	v_pk_add_f32 v[16:17], v[16:17], v[18:19] neg_lo:[0,1] neg_hi:[0,1]
	v_mov_b32_e32 v14, v20
	v_mov_b32_e32 v15, v16
	;; [unrolled: 1-line block ×3, first 2 shown]
	scratch_store_dwordx4 off, v[14:17], s23
	s_add_i32 s23, s23, 16
	s_cmp_lg_u32 s39, 0
	s_cbranch_scc1 .LBB154_34
; %bb.35:                               ;   in Loop: Header=BB154_32 Depth=3
	s_mov_b64 s[22:23], s[20:21]
	s_mov_b32 s24, s30
	s_branch .LBB154_38
.LBB154_36:                             ;   in Loop: Header=BB154_32 Depth=3
	s_waitcnt vmcnt(0) lgkmcnt(0)
	v_mov_b32_e32 v8, v7
	s_mov_b64 s[22:23], 0
	s_mov_b32 s24, s30
	s_cbranch_execz .LBB154_38
; %bb.37:                               ;   in Loop: Header=BB154_32 Depth=3
	s_mov_b64 s[22:23], -1
	s_mov_b32 s24, 0
.LBB154_38:                             ;   in Loop: Header=BB154_32 Depth=3
	s_andn2_b64 vcc, exec, s[22:23]
	s_cbranch_vccnz .LBB154_31
; %bb.39:                               ;   in Loop: Header=BB154_32 Depth=3
	s_add_i32 s23, s27, s24
	s_mulk_i32 s23, 0xa0
	v_mov_b32_e32 v9, v7
	v_mov_b32_e32 v7, v6
	s_sub_i32 s22, s29, s24
	s_add_i32 s23, s38, s23
	s_lshl_b32 s24, s24, 3
.LBB154_40:                             ;   Parent Loop BB154_19 Depth=1
                                        ;     Parent Loop BB154_22 Depth=2
                                        ;       Parent Loop BB154_32 Depth=3
                                        ; =>      This Inner Loop Header: Depth=4
	scratch_load_dwordx2 v[10:11], off, s24
	v_mov_b32_e32 v12, s23
	ds_read_b64 v[12:13], v12
	s_add_i32 s22, s22, -1
	s_addk_i32 s23, 0xa0
	s_waitcnt lgkmcnt(0)
	v_pk_mul_f32 v[14:15], v[12:13], v[8:9] op_sel:[1,0] op_sel_hi:[0,1]
	v_pk_fma_f32 v[16:17], v[12:13], v[6:7], v[14:15] neg_lo:[0,0,1] neg_hi:[0,0,1]
	v_pk_fma_f32 v[12:13], v[12:13], v[6:7], v[14:15]
	s_nop 0
	v_mov_b32_e32 v17, v13
	s_waitcnt vmcnt(0)
	v_pk_add_f32 v[10:11], v[10:11], v[16:17] neg_lo:[0,1] neg_hi:[0,1]
	scratch_store_dwordx2 off, v[10:11], s24
	s_add_i32 s24, s24, 8
	s_cmp_eq_u32 s22, 0
	s_cbranch_scc0 .LBB154_40
	s_branch .LBB154_31
.LBB154_41:                             ;   in Loop: Header=BB154_22 Depth=2
	s_mov_b32 s14, 0
	s_mov_b32 s36, s34
	s_branch .LBB154_43
.LBB154_42:                             ;   in Loop: Header=BB154_43 Depth=3
	s_mul_i32 s23, s22, 0xa8
	v_mov_b32_e32 v7, s23
	ds_read_b64 v[10:11], v7
	s_lshl_b32 s24, s14, 3
	s_ashr_i32 s23, s22, 31
	s_add_i32 s14, s14, 1
	s_addk_i32 s36, 0xa0
	s_waitcnt lgkmcnt(0)
	v_pk_mul_f32 v[8:9], v[10:11], v[8:9] op_sel:[1,0] op_sel_hi:[0,0]
	v_pk_fma_f32 v[12:13], v[10:11], v[6:7], v[8:9] neg_lo:[0,0,1] neg_hi:[0,0,1]
	v_pk_fma_f32 v[6:7], v[10:11], v[6:7], v[8:9] op_sel_hi:[1,0,1]
	s_cmp_eq_u32 s14, s29
	v_mov_b32_e32 v13, v7
	v_lshl_add_u64 v[6:7], s[22:23], 3, v[0:1]
	scratch_store_dwordx2 off, v[12:13], s24
	flat_store_dwordx2 v[6:7], v[12:13]
	s_cbranch_scc1 .LBB154_21
.LBB154_43:                             ;   Parent Loop BB154_19 Depth=1
                                        ;     Parent Loop BB154_22 Depth=2
                                        ; =>    This Loop Header: Depth=3
                                        ;         Child Loop BB154_45 Depth 4
	s_cmp_lg_u32 s14, 0
	s_cbranch_scc0 .LBB154_47
; %bb.44:                               ;   in Loop: Header=BB154_43 Depth=3
	s_lshl_b32 s22, s14, 3
	scratch_load_dwordx2 v[6:7], off, s22
	s_mov_b32 s23, 0
	s_mov_b32 s24, s36
	;; [unrolled: 1-line block ×3, first 2 shown]
.LBB154_45:                             ;   Parent Loop BB154_19 Depth=1
                                        ;     Parent Loop BB154_22 Depth=2
                                        ;       Parent Loop BB154_43 Depth=3
                                        ; =>      This Inner Loop Header: Depth=4
	scratch_load_dwordx2 v[8:9], off, s23
	v_mov_b32_e32 v10, s24
	ds_read_b64 v[10:11], v10
	s_add_i32 s25, s25, -1
	s_add_i32 s23, s23, 8
	s_add_i32 s24, s24, 8
	s_cmp_eq_u32 s25, 0
	s_waitcnt vmcnt(0) lgkmcnt(0)
	v_pk_mul_f32 v[12:13], v[10:11], v[8:9] op_sel:[1,1] op_sel_hi:[0,1]
	v_pk_fma_f32 v[14:15], v[10:11], v[8:9], v[12:13] neg_lo:[0,0,1] neg_hi:[0,0,1]
	v_pk_fma_f32 v[8:9], v[10:11], v[8:9], v[12:13] op_sel_hi:[1,0,1]
	s_nop 0
	v_mov_b32_e32 v15, v9
	v_pk_add_f32 v[6:7], v[6:7], v[14:15] neg_lo:[0,1] neg_hi:[0,1]
	scratch_store_dwordx2 off, v[6:7], s22
	s_cbranch_scc0 .LBB154_45
; %bb.46:                               ;   in Loop: Header=BB154_43 Depth=3
	s_add_i32 s22, s14, s27
	v_mov_b32_e32 v8, v7
	s_branch .LBB154_42
.LBB154_47:                             ;   in Loop: Header=BB154_43 Depth=3
                                        ; implicit-def: $vgpr6
                                        ; implicit-def: $vgpr8
                                        ; implicit-def: $sgpr22
	s_cbranch_execz .LBB154_42
; %bb.48:                               ;   in Loop: Header=BB154_43 Depth=3
	scratch_load_dwordx2 v[6:7], off, off
	s_mov_b32 s22, s27
	s_waitcnt vmcnt(0)
	v_mov_b32_e32 v8, v7
	s_branch .LBB154_42
.LBB154_49:
	s_mov_b64 s[0:1], 0
.LBB154_50:
	s_and_b64 vcc, exec, s[0:1]
	s_cbranch_vccz .LBB154_83
; %bb.51:
	s_add_i32 s27, s26, -1
	s_add_u32 s0, s8, s6
	s_addc_u32 s1, s9, s7
	s_mulk_i32 s26, 0xa0
	s_mov_b32 s7, 0
	s_mov_b32 s2, s12
	;; [unrolled: 1-line block ×7, first 2 shown]
	v_lshl_add_u64 v[2:3], v[2:3], 3, s[0:1]
	s_addk_i32 s26, 0xff60
	s_mov_b32 s8, s27
	s_mov_b32 s14, s7
	s_branch .LBB154_53
.LBB154_52:                             ;   in Loop: Header=BB154_53 Depth=1
	s_cmp_lt_i32 s8, 0
	s_cselect_b64 s[0:1], -1, 0
	s_add_i32 s14, s14, 1
	s_cmp_eq_u32 s14, 3
	s_cselect_b64 s[16:17], -1, 0
	s_or_b64 s[0:1], s[0:1], s[16:17]
	s_and_b64 vcc, exec, s[0:1]
	s_cbranch_vccnz .LBB154_83
.LBB154_53:                             ; =>This Loop Header: Depth=1
                                        ;     Child Loop BB154_56 Depth 2
                                        ;       Child Loop BB154_58 Depth 3
                                        ;       Child Loop BB154_62 Depth 3
	;; [unrolled: 1-line block ×3, first 2 shown]
                                        ;         Child Loop BB154_68 Depth 4
                                        ;         Child Loop BB154_74 Depth 4
                                        ;       Child Loop BB154_77 Depth 3
                                        ;         Child Loop BB154_79 Depth 4
	s_mov_b32 s15, s7
	s_lshl_b64 s[0:1], s[14:15], 2
	s_getpc_b64 s[16:17]
	s_add_u32 s16, s16, __const._ZL30rocblas_trsm_small_left_deviceILi20ELi20ELb0E19rocblas_complex_numIfES1_PKPKS1_PKPS1_Ev13rocblas_fill_18rocblas_operation_17rocblas_diagonal_iiT3_T4_lilT5_lili.step_sizes@rel32@lo+4
	s_addc_u32 s17, s17, __const._ZL30rocblas_trsm_small_left_deviceILi20ELi20ELb0E19rocblas_complex_numIfES1_PKPKS1_PKPS1_Ev13rocblas_fill_18rocblas_operation_17rocblas_diagonal_iiT3_T4_lilT5_lili.step_sizes@rel32@hi+12
	s_add_u32 s0, s16, s0
	s_addc_u32 s1, s17, s1
	s_load_dword s15, s[0:1], 0x0
	s_waitcnt lgkmcnt(0)
	s_add_i32 s28, s15, -1
	s_cmp_lt_i32 s8, s28
	s_cbranch_scc1 .LBB154_52
; %bb.54:                               ;   in Loop: Header=BB154_53 Depth=1
	s_max_i32 s29, s15, 1
	s_cmp_lg_u32 s14, 2
	s_cselect_b64 s[16:17], -1, 0
	s_and_b32 s30, s29, 0x7ffffffe
	s_cmp_lg_u32 s29, s30
	s_cselect_b64 s[18:19], -1, 0
	s_lshl_b32 s0, s8, 3
	s_add_i32 s31, s26, s0
	s_lshl_b32 s0, s15, 3
	v_cndmask_b32_e64 v4, 0, 1, s[16:17]
	s_sub_i32 s33, 0, s0
	s_mul_i32 s34, s8, 0xa8
	s_mul_i32 s35, s15, 0xffffff58
	v_cmp_ne_u32_e64 s[0:1], 1, v4
	s_branch .LBB154_56
.LBB154_55:                             ;   in Loop: Header=BB154_56 Depth=2
	s_sub_i32 s8, s8, s15
	s_add_i32 s31, s31, s33
	s_add_i32 s34, s34, s35
	s_cmp_lt_i32 s8, s28
	s_cbranch_scc1 .LBB154_52
.LBB154_56:                             ;   Parent Loop BB154_53 Depth=1
                                        ; =>  This Loop Header: Depth=2
                                        ;       Child Loop BB154_58 Depth 3
                                        ;       Child Loop BB154_62 Depth 3
	;; [unrolled: 1-line block ×3, first 2 shown]
                                        ;         Child Loop BB154_68 Depth 4
                                        ;         Child Loop BB154_74 Depth 4
                                        ;       Child Loop BB154_77 Depth 3
                                        ;         Child Loop BB154_79 Depth 4
	s_and_b64 vcc, exec, s[0:1]
	s_cbranch_vccnz .LBB154_60
; %bb.57:                               ;   in Loop: Header=BB154_56 Depth=2
	s_mov_b32 s9, 0
	s_mov_b32 s22, s8
	;; [unrolled: 1-line block ×5, first 2 shown]
.LBB154_58:                             ;   Parent Loop BB154_53 Depth=1
                                        ;     Parent Loop BB154_56 Depth=2
                                        ; =>    This Inner Loop Header: Depth=3
	s_sub_i32 s20, s8, s24
	s_sub_i32 s36, s22, s23
	s_ashr_i32 s21, s20, 31
	s_ashr_i32 s37, s36, 31
	v_lshl_add_u64 v[4:5], s[20:21], 3, v[0:1]
	v_lshl_add_u64 v[6:7], s[36:37], 3, v[0:1]
	flat_load_dwordx2 v[10:11], v[4:5]
	flat_load_dwordx2 v[8:9], v[6:7]
	s_add_i32 s24, s24, 2
	s_add_i32 s23, s23, 2
	s_add_i32 s25, s25, -2
	s_mov_b32 s6, s30
	s_mov_b64 s[20:21], s[18:19]
	s_waitcnt vmcnt(0) lgkmcnt(0)
	v_mov_b32_e32 v4, v10
	v_mov_b32_e32 v5, v8
	;; [unrolled: 1-line block ×3, first 2 shown]
	v_pk_mul_f32 v[6:7], v[8:9], s[4:5]
	v_pk_mul_f32 v[8:9], v[8:9], s[2:3]
	v_pk_fma_f32 v[10:11], v[4:5], s[2:3], v[6:7] neg_lo:[0,0,1] neg_hi:[0,0,1]
	v_pk_fma_f32 v[6:7], v[4:5], s[4:5], v[8:9]
	v_mov_b32_e32 v4, v10
	v_mov_b32_e32 v5, v6
	;; [unrolled: 1-line block ×3, first 2 shown]
	scratch_store_dwordx4 off, v[4:7], s9
	s_add_i32 s9, s9, 16
	s_cmp_lg_u32 s25, 0
	s_cbranch_scc1 .LBB154_58
; %bb.59:                               ;   in Loop: Header=BB154_56 Depth=2
	s_ashr_i32 s9, s8, 31
	s_and_b64 vcc, exec, s[20:21]
	s_cbranch_vccnz .LBB154_61
	s_branch .LBB154_63
.LBB154_60:                             ;   in Loop: Header=BB154_56 Depth=2
	s_mov_b32 s6, 0
	s_ashr_i32 s9, s8, 31
	s_cbranch_execz .LBB154_63
.LBB154_61:                             ;   in Loop: Header=BB154_56 Depth=2
	s_lshl_b64 s[22:23], s[8:9], 3
	s_sub_i32 s20, s29, s6
	s_lshl_b64 s[24:25], s[6:7], 3
	s_sub_u32 s22, s22, s24
	s_subb_u32 s23, s23, s25
	v_lshl_add_u64 v[4:5], v[2:3], 0, s[22:23]
	s_lshl_b32 s6, s6, 3
.LBB154_62:                             ;   Parent Loop BB154_53 Depth=1
                                        ;     Parent Loop BB154_56 Depth=2
                                        ; =>    This Inner Loop Header: Depth=3
	flat_load_dwordx2 v[6:7], v[4:5]
	s_add_i32 s20, s20, -1
	v_lshl_add_u64 v[4:5], v[4:5], 0, -8
	s_waitcnt vmcnt(0) lgkmcnt(0)
	v_pk_mul_f32 v[8:9], v[6:7], s[10:11] op_sel:[1,0]
	s_nop 0
	v_pk_fma_f32 v[10:11], v[6:7], s[12:13], v[8:9] neg_lo:[0,0,1] neg_hi:[0,0,1]
	v_pk_fma_f32 v[6:7], v[6:7], s[12:13], v[8:9] op_sel_hi:[0,1,1]
	v_mov_b32_e32 v11, v7
	scratch_store_dwordx2 off, v[10:11], s6
	s_add_i32 s6, s6, 8
	s_cmp_eq_u32 s20, 0
	s_cbranch_scc0 .LBB154_62
.LBB154_63:                             ;   in Loop: Header=BB154_56 Depth=2
	s_cmp_le_i32 s27, s8
	s_cbranch_scc1 .LBB154_75
; %bb.64:                               ;   in Loop: Header=BB154_56 Depth=2
	s_mov_b32 s6, s8
	s_mov_b32 s36, s8
	;; [unrolled: 1-line block ×4, first 2 shown]
	s_branch .LBB154_66
.LBB154_65:                             ;   in Loop: Header=BB154_66 Depth=3
	s_add_i32 s20, s20, -1
	s_addk_i32 s37, 0xff60
	s_cmp_le_i32 s20, s8
	s_cbranch_scc1 .LBB154_75
.LBB154_66:                             ;   Parent Loop BB154_53 Depth=1
                                        ;     Parent Loop BB154_56 Depth=2
                                        ; =>    This Loop Header: Depth=3
                                        ;         Child Loop BB154_68 Depth 4
                                        ;         Child Loop BB154_74 Depth 4
	s_ashr_i32 s21, s20, 31
	v_lshl_add_u64 v[4:5], s[20:21], 3, v[0:1]
	flat_load_dwordx2 v[4:5], v[4:5]
	s_and_b64 vcc, exec, s[16:17]
	s_cbranch_vccz .LBB154_70
; %bb.67:                               ;   in Loop: Header=BB154_66 Depth=3
	s_mul_i32 s21, s20, 0xa0
	s_waitcnt vmcnt(0) lgkmcnt(0)
	v_mov_b32_e32 v8, v4
	v_mov_b32_e32 v9, v4
	;; [unrolled: 1-line block ×3, first 2 shown]
	s_mov_b32 s22, 0
	v_mov_b32_e32 v10, v5
	v_mov_b32_e32 v11, v5
	s_mov_b32 s23, 1
	s_mov_b32 s24, 0
	;; [unrolled: 1-line block ×3, first 2 shown]
.LBB154_68:                             ;   Parent Loop BB154_53 Depth=1
                                        ;     Parent Loop BB154_56 Depth=2
                                        ;       Parent Loop BB154_66 Depth=3
                                        ; =>      This Inner Loop Header: Depth=4
	scratch_load_dwordx4 v[12:15], off, s22
	s_sub_i32 s38, s36, s23
	s_sub_i32 s39, s6, s24
	s_lshl_b32 s39, s39, 3
	s_lshl_b32 s38, s38, 3
	s_add_i32 s39, s21, s39
	s_add_i32 s38, s21, s38
	v_mov_b32_e32 v7, s39
	v_mov_b32_e32 v16, s38
	ds_read_b64 v[20:21], v7
	ds_read_b64 v[16:17], v16
	s_add_i32 s24, s24, 2
	s_add_i32 s23, s23, 2
	s_add_i32 s25, s25, -2
	s_waitcnt lgkmcnt(1)
	v_mov_b32_e32 v18, v20
	s_waitcnt lgkmcnt(0)
	v_mov_b32_e32 v19, v16
	v_mov_b32_e32 v16, v21
	v_pk_mul_f32 v[20:21], v[16:17], v[10:11]
	v_pk_mul_f32 v[16:17], v[16:17], v[8:9]
	v_pk_fma_f32 v[20:21], v[18:19], v[8:9], v[20:21] neg_lo:[0,0,1] neg_hi:[0,0,1]
	v_pk_fma_f32 v[16:17], v[18:19], v[10:11], v[16:17]
	s_waitcnt vmcnt(0)
	v_mov_b32_e32 v18, v12
	v_mov_b32_e32 v19, v14
	;; [unrolled: 1-line block ×3, first 2 shown]
	v_pk_add_f32 v[18:19], v[18:19], v[20:21] neg_lo:[0,1] neg_hi:[0,1]
	v_pk_add_f32 v[14:15], v[14:15], v[16:17] neg_lo:[0,1] neg_hi:[0,1]
	v_mov_b32_e32 v12, v18
	v_mov_b32_e32 v13, v14
	;; [unrolled: 1-line block ×3, first 2 shown]
	scratch_store_dwordx4 off, v[12:15], s22
	s_add_i32 s22, s22, 16
	s_cmp_lg_u32 s25, 0
	s_cbranch_scc1 .LBB154_68
; %bb.69:                               ;   in Loop: Header=BB154_66 Depth=3
	s_mov_b64 s[22:23], s[18:19]
	s_mov_b32 s24, s30
	s_branch .LBB154_72
.LBB154_70:                             ;   in Loop: Header=BB154_66 Depth=3
	s_waitcnt vmcnt(0) lgkmcnt(0)
	v_mov_b32_e32 v6, v5
	s_mov_b64 s[22:23], 0
	s_mov_b32 s24, s30
	s_cbranch_execz .LBB154_72
; %bb.71:                               ;   in Loop: Header=BB154_66 Depth=3
	s_mov_b64 s[22:23], -1
	s_mov_b32 s24, 0
.LBB154_72:                             ;   in Loop: Header=BB154_66 Depth=3
	s_andn2_b64 vcc, exec, s[22:23]
	s_cbranch_vccnz .LBB154_65
; %bb.73:                               ;   in Loop: Header=BB154_66 Depth=3
	s_lshl_b32 s23, s24, 3
	v_mov_b32_e32 v7, v5
	v_mov_b32_e32 v5, v4
	s_sub_i32 s21, s29, s24
	s_sub_i32 s22, s37, s23
.LBB154_74:                             ;   Parent Loop BB154_53 Depth=1
                                        ;     Parent Loop BB154_56 Depth=2
                                        ;       Parent Loop BB154_66 Depth=3
                                        ; =>      This Inner Loop Header: Depth=4
	scratch_load_dwordx2 v[8:9], off, s23
	v_mov_b32_e32 v10, s22
	ds_read_b64 v[10:11], v10
	s_add_i32 s21, s21, -1
	s_add_i32 s22, s22, -8
	s_waitcnt lgkmcnt(0)
	v_pk_mul_f32 v[12:13], v[10:11], v[6:7] op_sel:[1,0] op_sel_hi:[0,1]
	v_pk_fma_f32 v[14:15], v[10:11], v[4:5], v[12:13] neg_lo:[0,0,1] neg_hi:[0,0,1]
	v_pk_fma_f32 v[10:11], v[10:11], v[4:5], v[12:13]
	s_nop 0
	v_mov_b32_e32 v15, v11
	s_waitcnt vmcnt(0)
	v_pk_add_f32 v[8:9], v[8:9], v[14:15] neg_lo:[0,1] neg_hi:[0,1]
	scratch_store_dwordx2 off, v[8:9], s23
	s_add_i32 s23, s23, 8
	s_cmp_eq_u32 s21, 0
	s_cbranch_scc0 .LBB154_74
	s_branch .LBB154_65
.LBB154_75:                             ;   in Loop: Header=BB154_56 Depth=2
	s_mov_b32 s6, 0
	s_mov_b32 s36, s34
	s_branch .LBB154_77
.LBB154_76:                             ;   in Loop: Header=BB154_77 Depth=3
	s_mulk_i32 s22, 0xa8
	v_mov_b32_e32 v5, s22
	ds_read_b64 v[8:9], v5
	s_lshl_b32 s22, s6, 3
	s_add_i32 s6, s6, 1
	s_add_i32 s36, s36, -8
	v_lshl_add_u64 v[10:11], s[20:21], 3, v[0:1]
	s_waitcnt lgkmcnt(0)
	v_pk_mul_f32 v[6:7], v[8:9], v[6:7] op_sel:[1,0] op_sel_hi:[0,0]
	v_pk_fma_f32 v[12:13], v[8:9], v[4:5], v[6:7] neg_lo:[0,0,1] neg_hi:[0,0,1]
	v_pk_fma_f32 v[4:5], v[8:9], v[4:5], v[6:7] op_sel_hi:[1,0,1]
	s_cmp_eq_u32 s6, s29
	v_mov_b32_e32 v13, v5
	scratch_store_dwordx2 off, v[12:13], s22
	flat_store_dwordx2 v[10:11], v[12:13]
	s_cbranch_scc1 .LBB154_55
.LBB154_77:                             ;   Parent Loop BB154_53 Depth=1
                                        ;     Parent Loop BB154_56 Depth=2
                                        ; =>    This Loop Header: Depth=3
                                        ;         Child Loop BB154_79 Depth 4
	s_cmp_lg_u32 s6, 0
	s_cbranch_scc0 .LBB154_81
; %bb.78:                               ;   in Loop: Header=BB154_77 Depth=3
	s_lshl_b32 s20, s6, 3
	scratch_load_dwordx2 v[4:5], off, s20
	s_mov_b32 s21, 0
	s_mov_b32 s22, s36
	;; [unrolled: 1-line block ×3, first 2 shown]
.LBB154_79:                             ;   Parent Loop BB154_53 Depth=1
                                        ;     Parent Loop BB154_56 Depth=2
                                        ;       Parent Loop BB154_77 Depth=3
                                        ; =>      This Inner Loop Header: Depth=4
	scratch_load_dwordx2 v[6:7], off, s21
	v_mov_b32_e32 v8, s22
	ds_read_b64 v[8:9], v8
	s_add_i32 s23, s23, -1
	s_addk_i32 s22, 0xff60
	s_add_i32 s21, s21, 8
	s_cmp_eq_u32 s23, 0
	s_waitcnt vmcnt(0) lgkmcnt(0)
	v_pk_mul_f32 v[10:11], v[8:9], v[6:7] op_sel:[1,1] op_sel_hi:[0,1]
	v_pk_fma_f32 v[12:13], v[8:9], v[6:7], v[10:11] neg_lo:[0,0,1] neg_hi:[0,0,1]
	v_pk_fma_f32 v[6:7], v[8:9], v[6:7], v[10:11] op_sel_hi:[1,0,1]
	s_nop 0
	v_mov_b32_e32 v13, v7
	v_pk_add_f32 v[4:5], v[4:5], v[12:13] neg_lo:[0,1] neg_hi:[0,1]
	scratch_store_dwordx2 off, v[4:5], s20
	s_cbranch_scc0 .LBB154_79
; %bb.80:                               ;   in Loop: Header=BB154_77 Depth=3
	s_sub_i32 s22, s8, s6
	s_ashr_i32 s23, s22, 31
	v_mov_b32_e32 v6, v5
	s_mov_b64 s[20:21], s[22:23]
	s_branch .LBB154_76
.LBB154_81:                             ;   in Loop: Header=BB154_77 Depth=3
                                        ; implicit-def: $vgpr4
                                        ; implicit-def: $vgpr6
                                        ; implicit-def: $sgpr22
                                        ; implicit-def: $sgpr20_sgpr21
	s_cbranch_execz .LBB154_76
; %bb.82:                               ;   in Loop: Header=BB154_77 Depth=3
	scratch_load_dwordx2 v[4:5], off, off
	s_mov_b64 s[20:21], s[8:9]
	s_mov_b32 s22, s8
	s_waitcnt vmcnt(0)
	v_mov_b32_e32 v6, v5
	s_branch .LBB154_76
.LBB154_83:
	s_endpgm
	.section	.rodata,"a",@progbits
	.p2align	6, 0x0
	.amdhsa_kernel _ZL30rocblas_trsm_small_left_deviceILi20ELi20ELb0E19rocblas_complex_numIfES1_PKPKS1_PKPS1_Ev13rocblas_fill_18rocblas_operation_17rocblas_diagonal_iiT3_T4_lilT5_lili
		.amdhsa_group_segment_fixed_size 3200
		.amdhsa_private_segment_fixed_size 176
		.amdhsa_kernarg_size 360
		.amdhsa_user_sgpr_count 2
		.amdhsa_user_sgpr_dispatch_ptr 0
		.amdhsa_user_sgpr_queue_ptr 0
		.amdhsa_user_sgpr_kernarg_segment_ptr 1
		.amdhsa_user_sgpr_dispatch_id 0
		.amdhsa_user_sgpr_kernarg_preload_length 0
		.amdhsa_user_sgpr_kernarg_preload_offset 0
		.amdhsa_user_sgpr_private_segment_size 0
		.amdhsa_uses_dynamic_stack 0
		.amdhsa_enable_private_segment 1
		.amdhsa_system_sgpr_workgroup_id_x 1
		.amdhsa_system_sgpr_workgroup_id_y 0
		.amdhsa_system_sgpr_workgroup_id_z 1
		.amdhsa_system_sgpr_workgroup_info 0
		.amdhsa_system_vgpr_workitem_id 0
		.amdhsa_next_free_vgpr 24
		.amdhsa_next_free_sgpr 42
		.amdhsa_accum_offset 24
		.amdhsa_reserve_vcc 1
		.amdhsa_float_round_mode_32 0
		.amdhsa_float_round_mode_16_64 0
		.amdhsa_float_denorm_mode_32 3
		.amdhsa_float_denorm_mode_16_64 3
		.amdhsa_dx10_clamp 1
		.amdhsa_ieee_mode 1
		.amdhsa_fp16_overflow 0
		.amdhsa_tg_split 0
		.amdhsa_exception_fp_ieee_invalid_op 0
		.amdhsa_exception_fp_denorm_src 0
		.amdhsa_exception_fp_ieee_div_zero 0
		.amdhsa_exception_fp_ieee_overflow 0
		.amdhsa_exception_fp_ieee_underflow 0
		.amdhsa_exception_fp_ieee_inexact 0
		.amdhsa_exception_int_div_zero 0
	.end_amdhsa_kernel
	.section	.text._ZL30rocblas_trsm_small_left_deviceILi20ELi20ELb0E19rocblas_complex_numIfES1_PKPKS1_PKPS1_Ev13rocblas_fill_18rocblas_operation_17rocblas_diagonal_iiT3_T4_lilT5_lili,"axG",@progbits,_ZL30rocblas_trsm_small_left_deviceILi20ELi20ELb0E19rocblas_complex_numIfES1_PKPKS1_PKPS1_Ev13rocblas_fill_18rocblas_operation_17rocblas_diagonal_iiT3_T4_lilT5_lili,comdat
.Lfunc_end154:
	.size	_ZL30rocblas_trsm_small_left_deviceILi20ELi20ELb0E19rocblas_complex_numIfES1_PKPKS1_PKPS1_Ev13rocblas_fill_18rocblas_operation_17rocblas_diagonal_iiT3_T4_lilT5_lili, .Lfunc_end154-_ZL30rocblas_trsm_small_left_deviceILi20ELi20ELb0E19rocblas_complex_numIfES1_PKPKS1_PKPS1_Ev13rocblas_fill_18rocblas_operation_17rocblas_diagonal_iiT3_T4_lilT5_lili
                                        ; -- End function
	.set _ZL30rocblas_trsm_small_left_deviceILi20ELi20ELb0E19rocblas_complex_numIfES1_PKPKS1_PKPS1_Ev13rocblas_fill_18rocblas_operation_17rocblas_diagonal_iiT3_T4_lilT5_lili.num_vgpr, 24
	.set _ZL30rocblas_trsm_small_left_deviceILi20ELi20ELb0E19rocblas_complex_numIfES1_PKPKS1_PKPS1_Ev13rocblas_fill_18rocblas_operation_17rocblas_diagonal_iiT3_T4_lilT5_lili.num_agpr, 0
	.set _ZL30rocblas_trsm_small_left_deviceILi20ELi20ELb0E19rocblas_complex_numIfES1_PKPKS1_PKPS1_Ev13rocblas_fill_18rocblas_operation_17rocblas_diagonal_iiT3_T4_lilT5_lili.numbered_sgpr, 42
	.set _ZL30rocblas_trsm_small_left_deviceILi20ELi20ELb0E19rocblas_complex_numIfES1_PKPKS1_PKPS1_Ev13rocblas_fill_18rocblas_operation_17rocblas_diagonal_iiT3_T4_lilT5_lili.num_named_barrier, 0
	.set _ZL30rocblas_trsm_small_left_deviceILi20ELi20ELb0E19rocblas_complex_numIfES1_PKPKS1_PKPS1_Ev13rocblas_fill_18rocblas_operation_17rocblas_diagonal_iiT3_T4_lilT5_lili.private_seg_size, 176
	.set _ZL30rocblas_trsm_small_left_deviceILi20ELi20ELb0E19rocblas_complex_numIfES1_PKPKS1_PKPS1_Ev13rocblas_fill_18rocblas_operation_17rocblas_diagonal_iiT3_T4_lilT5_lili.uses_vcc, 1
	.set _ZL30rocblas_trsm_small_left_deviceILi20ELi20ELb0E19rocblas_complex_numIfES1_PKPKS1_PKPS1_Ev13rocblas_fill_18rocblas_operation_17rocblas_diagonal_iiT3_T4_lilT5_lili.uses_flat_scratch, 0
	.set _ZL30rocblas_trsm_small_left_deviceILi20ELi20ELb0E19rocblas_complex_numIfES1_PKPKS1_PKPS1_Ev13rocblas_fill_18rocblas_operation_17rocblas_diagonal_iiT3_T4_lilT5_lili.has_dyn_sized_stack, 0
	.set _ZL30rocblas_trsm_small_left_deviceILi20ELi20ELb0E19rocblas_complex_numIfES1_PKPKS1_PKPS1_Ev13rocblas_fill_18rocblas_operation_17rocblas_diagonal_iiT3_T4_lilT5_lili.has_recursion, 0
	.set _ZL30rocblas_trsm_small_left_deviceILi20ELi20ELb0E19rocblas_complex_numIfES1_PKPKS1_PKPS1_Ev13rocblas_fill_18rocblas_operation_17rocblas_diagonal_iiT3_T4_lilT5_lili.has_indirect_call, 0
	.section	.AMDGPU.csdata,"",@progbits
; Kernel info:
; codeLenInByte = 3480
; TotalNumSgprs: 48
; NumVgprs: 24
; NumAgprs: 0
; TotalNumVgprs: 24
; ScratchSize: 176
; MemoryBound: 0
; FloatMode: 240
; IeeeMode: 1
; LDSByteSize: 3200 bytes/workgroup (compile time only)
; SGPRBlocks: 5
; VGPRBlocks: 2
; NumSGPRsForWavesPerEU: 48
; NumVGPRsForWavesPerEU: 24
; AccumOffset: 24
; Occupancy: 8
; WaveLimiterHint : 1
; COMPUTE_PGM_RSRC2:SCRATCH_EN: 1
; COMPUTE_PGM_RSRC2:USER_SGPR: 2
; COMPUTE_PGM_RSRC2:TRAP_HANDLER: 0
; COMPUTE_PGM_RSRC2:TGID_X_EN: 1
; COMPUTE_PGM_RSRC2:TGID_Y_EN: 0
; COMPUTE_PGM_RSRC2:TGID_Z_EN: 1
; COMPUTE_PGM_RSRC2:TIDIG_COMP_CNT: 0
; COMPUTE_PGM_RSRC3_GFX90A:ACCUM_OFFSET: 5
; COMPUTE_PGM_RSRC3_GFX90A:TG_SPLIT: 0
	.section	.text._ZL38rocblas_trsm_small_left_device_sharedBILi20ELi20ELb1E19rocblas_complex_numIfES1_PKPKS1_PKPS1_Ev13rocblas_fill_18rocblas_operation_17rocblas_diagonal_iiT3_T4_lilT5_lili,"axG",@progbits,_ZL38rocblas_trsm_small_left_device_sharedBILi20ELi20ELb1E19rocblas_complex_numIfES1_PKPKS1_PKPS1_Ev13rocblas_fill_18rocblas_operation_17rocblas_diagonal_iiT3_T4_lilT5_lili,comdat
	.globl	_ZL38rocblas_trsm_small_left_device_sharedBILi20ELi20ELb1E19rocblas_complex_numIfES1_PKPKS1_PKPS1_Ev13rocblas_fill_18rocblas_operation_17rocblas_diagonal_iiT3_T4_lilT5_lili ; -- Begin function _ZL38rocblas_trsm_small_left_device_sharedBILi20ELi20ELb1E19rocblas_complex_numIfES1_PKPKS1_PKPS1_Ev13rocblas_fill_18rocblas_operation_17rocblas_diagonal_iiT3_T4_lilT5_lili
	.p2align	8
	.type	_ZL38rocblas_trsm_small_left_device_sharedBILi20ELi20ELb1E19rocblas_complex_numIfES1_PKPKS1_PKPS1_Ev13rocblas_fill_18rocblas_operation_17rocblas_diagonal_iiT3_T4_lilT5_lili,@function
_ZL38rocblas_trsm_small_left_device_sharedBILi20ELi20ELb1E19rocblas_complex_numIfES1_PKPKS1_PKPS1_Ev13rocblas_fill_18rocblas_operation_17rocblas_diagonal_iiT3_T4_lilT5_lili: ; @_ZL38rocblas_trsm_small_left_device_sharedBILi20ELi20ELb1E19rocblas_complex_numIfES1_PKPKS1_PKPS1_Ev13rocblas_fill_18rocblas_operation_17rocblas_diagonal_iiT3_T4_lilT5_lili
; %bb.0:
	s_load_dwordx4 s[8:11], s[0:1], 0x40
	s_load_dwordx4 s[4:7], s[0:1], 0x4
	s_load_dwordx2 s[12:13], s[0:1], 0x14
	s_mov_b32 s14, s3
	s_mov_b32 s15, 0
	s_lshl_b64 s[18:19], s[14:15], 3
	s_waitcnt lgkmcnt(0)
	s_add_u32 s8, s8, s18
	s_addc_u32 s9, s9, s19
	s_load_dword s3, s[0:1], 0x68
	s_load_dwordx2 s[14:15], s[8:9], 0x0
	s_min_i32 s26, s6, 20
	v_cmp_gt_i32_e32 vcc, s26, v0
	s_and_saveexec_b64 s[8:9], vcc
	s_cbranch_execz .LBB155_15
; %bb.1:
	s_load_dword s24, s[0:1], 0x30
	s_load_dwordx4 s[20:23], s[0:1], 0x20
	v_lshlrev_b32_e32 v2, 3, v0
	v_mov_b32_e32 v3, 0
	v_mov_b32_e32 v1, v2
	s_waitcnt lgkmcnt(0)
	s_ashr_i32 s25, s24, 31
	s_cmpk_lg_i32 s4, 0x71
	s_cselect_b64 s[16:17], -1, 0
	s_add_u32 s18, s20, s18
	s_addc_u32 s19, s21, s19
	s_load_dwordx2 s[18:19], s[18:19], 0x0
	s_lshl_b64 s[20:21], s[22:23], 3
	s_mov_b32 s22, s26
	s_waitcnt lgkmcnt(0)
	s_add_u32 s20, s18, s20
	s_addc_u32 s21, s19, s21
	s_lshl_b64 s[18:19], s[24:25], 3
	v_lshl_add_u64 v[4:5], s[20:21], 0, v[2:3]
	s_branch .LBB155_3
.LBB155_2:                              ;   in Loop: Header=BB155_3 Depth=1
	flat_load_dword v6, v[4:5]
	s_add_i32 s22, s22, -1
	v_lshl_add_u64 v[4:5], v[4:5], 0, s[18:19]
	s_cmp_eq_u32 s22, 0
	s_waitcnt vmcnt(0) lgkmcnt(0)
	ds_write_b64 v1, v[6:7]
	v_add_u32_e32 v1, 0xa0, v1
	s_cbranch_scc1 .LBB155_7
.LBB155_3:                              ; =>This Inner Loop Header: Depth=1
	s_mov_b64 s[20:21], -1
	s_and_b64 vcc, exec, s[16:17]
                                        ; implicit-def: $vgpr7
	s_cbranch_vccz .LBB155_5
; %bb.4:                                ;   in Loop: Header=BB155_3 Depth=1
	flat_load_dword v7, v[4:5] offset:4
	s_mov_b64 s[20:21], 0
.LBB155_5:                              ;   in Loop: Header=BB155_3 Depth=1
	s_andn2_b64 vcc, exec, s[20:21]
	s_cbranch_vccnz .LBB155_2
; %bb.6:                                ;   in Loop: Header=BB155_3 Depth=1
	flat_load_dword v3, v[4:5] offset:4
	s_waitcnt vmcnt(0) lgkmcnt(0)
	v_xor_b32_e32 v7, 0x80000000, v3
	s_branch .LBB155_2
.LBB155_7:
	v_mul_u32_u24_e32 v1, 0xa0, v0
	s_cmpk_lg_i32 s5, 0x84
	s_mov_b64 s[16:17], -1
	v_add_u32_e32 v1, v2, v1
	s_cbranch_scc0 .LBB155_13
; %bb.8:
	ds_read_b64 v[2:3], v1
                                        ; implicit-def: $vgpr4_vgpr5
	s_waitcnt lgkmcnt(0)
	v_cmp_ngt_f32_e64 s[16:17], |v2|, |v3|
	s_and_saveexec_b64 s[18:19], s[16:17]
	s_xor_b64 s[16:17], exec, s[18:19]
	s_cbranch_execz .LBB155_10
; %bb.9:
	v_div_scale_f32 v4, s[18:19], v3, v3, v2
	v_rcp_f32_e32 v5, v4
	v_div_scale_f32 v6, vcc, v2, v3, v2
	v_fma_f32 v7, -v4, v5, 1.0
	v_fmac_f32_e32 v5, v7, v5
	v_mul_f32_e32 v7, v6, v5
	v_fma_f32 v8, -v4, v7, v6
	v_fmac_f32_e32 v7, v8, v5
	v_fma_f32 v4, -v4, v7, v6
	v_div_fmas_f32 v4, v4, v5, v7
	v_div_fixup_f32 v4, v4, v3, v2
	v_fmac_f32_e32 v3, v2, v4
	v_div_scale_f32 v2, s[18:19], v3, v3, 1.0
	v_rcp_f32_e32 v5, v2
	s_mov_b32 s18, 0
	s_mov_b32 s19, -1.0
	v_fma_f32 v6, -v2, v5, 1.0
	v_fmac_f32_e32 v5, v6, v5
	v_div_scale_f32 v6, vcc, 1.0, v3, 1.0
	v_mul_f32_e32 v7, v6, v5
	v_fma_f32 v8, -v2, v7, v6
	v_fmac_f32_e32 v7, v8, v5
	v_fma_f32 v2, -v2, v7, v6
	v_div_fmas_f32 v2, v2, v5, v7
	v_mul_f32_e32 v5, 0, v4
	v_div_fixup_f32 v2, v2, v3, 1.0
	v_pk_add_f32 v[4:5], v[4:5], s[18:19]
	s_nop 0
	v_pk_mul_f32 v[4:5], v[4:5], v[2:3] op_sel_hi:[1,0]
                                        ; implicit-def: $vgpr2_vgpr3
.LBB155_10:
	s_andn2_saveexec_b64 s[16:17], s[16:17]
	s_cbranch_execz .LBB155_12
; %bb.11:
	v_div_scale_f32 v4, s[18:19], v2, v2, v3
	v_rcp_f32_e32 v5, v4
	v_div_scale_f32 v6, vcc, v3, v2, v3
	v_fma_f32 v7, -v4, v5, 1.0
	v_fmac_f32_e32 v5, v7, v5
	v_mul_f32_e32 v7, v6, v5
	v_fma_f32 v8, -v4, v7, v6
	v_fmac_f32_e32 v7, v8, v5
	v_fma_f32 v4, -v4, v7, v6
	v_div_fmas_f32 v4, v4, v5, v7
	v_div_fixup_f32 v5, v4, v2, v3
	v_fmac_f32_e32 v2, v3, v5
	v_div_scale_f32 v3, s[18:19], v2, v2, 1.0
	v_rcp_f32_e32 v4, v3
	s_nop 0
	v_fma_f32 v6, -v3, v4, 1.0
	v_fmac_f32_e32 v4, v6, v4
	v_div_scale_f32 v6, vcc, 1.0, v2, 1.0
	v_mul_f32_e32 v7, v6, v4
	v_fma_f32 v8, -v3, v7, v6
	v_fmac_f32_e32 v7, v8, v4
	v_fma_f32 v3, -v3, v7, v6
	v_div_fmas_f32 v3, v3, v4, v7
	v_div_fixup_f32 v2, v3, v2, 1.0
	v_mul_f32_e32 v3, 0, v5
	v_add_f32_e32 v4, 1.0, v3
	v_sub_f32_e32 v5, 0, v5
	v_pk_mul_f32 v[4:5], v[4:5], v[2:3] op_sel_hi:[1,0]
.LBB155_12:
	s_or_b64 exec, exec, s[16:17]
	s_mov_b64 s[16:17], 0
	ds_write_b64 v1, v[4:5]
.LBB155_13:
	s_and_b64 vcc, exec, s[16:17]
	s_cbranch_vccz .LBB155_15
; %bb.14:
	v_mov_b32_e32 v2, 1.0
	v_mov_b32_e32 v3, 0
	ds_write_b64 v1, v[2:3]
.LBB155_15:
	s_or_b64 exec, exec, s[8:9]
	s_load_dword s27, s[0:1], 0x50
	s_lshl_b64 s[16:17], s[10:11], 3
	s_mul_i32 s0, s2, 0xffffffec
	s_mul_i32 s18, s2, 20
	s_mov_b32 s28, 0
	s_waitcnt lgkmcnt(0)
	s_ashr_i32 s5, s27, 31
	s_add_u32 s8, s14, s16
	s_addc_u32 s9, s15, s17
	s_add_i32 s3, s3, -1
	s_add_i32 s0, s7, s0
	s_cmp_ge_u32 s2, s3
	s_cselect_b32 s7, s0, 20
	s_mul_hi_i32 s1, s27, s18
	s_mul_i32 s0, s27, s18
	s_lshl_b64 s[0:1], s[0:1], 3
	s_add_u32 s2, s8, s0
	s_addc_u32 s3, s9, s1
	s_cmp_gt_i32 s6, 0
	v_cmp_gt_i32_e64 s[0:1], s7, v0
	s_cselect_b64 s[8:9], -1, 0
	s_and_b64 s[20:21], s[0:1], s[8:9]
	s_and_saveexec_b64 s[10:11], s[20:21]
	s_cbranch_execz .LBB155_23
; %bb.16:
	s_cmp_lt_i32 s6, 2
	s_mov_b64 s[6:7], -1
	s_cbranch_scc1 .LBB155_20
; %bb.17:
	v_mad_i64_i32 v[2:3], s[6:7], s27, v0, 0
	v_mov_b32_e32 v1, 0xc80
	s_and_b32 s28, s26, 30
	s_mov_b32 s25, 0
	v_lshl_add_u64 v[2:3], v[2:3], 3, s[2:3]
	v_lshl_add_u32 v1, v0, 3, v1
	s_mov_b32 s6, s12
	s_mov_b32 s7, s12
	;; [unrolled: 1-line block ×7, first 2 shown]
.LBB155_18:                             ; =>This Inner Loop Header: Depth=1
	v_lshl_add_u64 v[4:5], s[24:25], 3, v[2:3]
	s_mov_b32 s23, s25
	v_lshl_add_u64 v[6:7], s[22:23], 3, v[2:3]
	flat_load_dwordx2 v[12:13], v[4:5]
	flat_load_dwordx2 v[8:9], v[6:7]
	s_mul_i32 s23, s22, 0xa0
	s_mul_i32 s29, s24, 0xa0
	s_add_i32 s24, s24, 2
	s_add_i32 s19, s19, -2
	s_add_i32 s22, s22, 2
	v_add_u32_e32 v10, s29, v1
	s_cmp_lg_u32 s19, 0
	v_add_u32_e32 v11, s23, v1
	s_waitcnt vmcnt(0) lgkmcnt(0)
	v_mov_b32_e32 v4, v12
	v_mov_b32_e32 v5, v8
	;; [unrolled: 1-line block ×3, first 2 shown]
	v_pk_mul_f32 v[6:7], s[20:21], v[8:9]
	v_pk_mul_f32 v[8:9], s[6:7], v[8:9]
	v_pk_fma_f32 v[6:7], s[6:7], v[4:5], v[6:7] neg_lo:[0,0,1] neg_hi:[0,0,1]
	v_pk_fma_f32 v[4:5], s[20:21], v[4:5], v[8:9]
	ds_write_b32 v10, v6
	ds_write_b32 v11, v7
	ds_write_b32 v10, v4 offset:4
	ds_write_b32 v11, v5 offset:4
	s_cbranch_scc1 .LBB155_18
; %bb.19:
	s_cmp_lg_u32 s26, s28
	s_cselect_b64 s[6:7], -1, 0
.LBB155_20:
	s_and_b64 vcc, exec, s[6:7]
	s_cbranch_vccz .LBB155_23
; %bb.21:
	s_ashr_i32 s19, s18, 31
	v_lshlrev_b32_e32 v2, 3, v0
	v_mov_b32_e32 v3, 0
	s_sub_i32 s20, s26, s28
	v_lshl_add_u64 v[4:5], s[18:19], 3, v[2:3]
	s_lshl_b32 s18, s28, 3
	s_add_u32 s14, s14, s18
	s_addc_u32 s15, s15, 0
	s_add_u32 s14, s14, s16
	s_addc_u32 s15, s15, s17
	v_mov_b64_e32 v[2:3], s[14:15]
	v_mad_u64_u32 v[2:3], s[14:15], v4, s27, v[2:3]
	v_mul_lo_u32 v1, v4, s5
	v_mul_lo_u32 v4, v5, s27
	s_mul_i32 s5, s28, 0xa0
	v_add3_u32 v3, v4, v3, v1
	v_lshl_add_u32 v1, v0, 3, s5
	s_mov_b32 s6, s13
	s_mov_b32 s7, s12
	v_add_u32_e32 v1, 0xc80, v1
.LBB155_22:                             ; =>This Inner Loop Header: Depth=1
	flat_load_dwordx2 v[4:5], v[2:3]
	s_add_i32 s20, s20, -1
	v_lshl_add_u64 v[2:3], v[2:3], 0, 8
	s_cmp_lg_u32 s20, 0
	s_waitcnt vmcnt(0) lgkmcnt(0)
	v_pk_mul_f32 v[6:7], s[6:7], v[4:5] op_sel:[0,1]
	s_nop 0
	v_pk_fma_f32 v[8:9], s[12:13], v[4:5], v[6:7] neg_lo:[0,0,1] neg_hi:[0,0,1]
	v_pk_fma_f32 v[4:5], s[12:13], v[4:5], v[6:7] op_sel_hi:[1,0,1]
	s_nop 0
	v_mov_b32_e32 v9, v5
	ds_write_b64 v1, v[8:9]
	v_add_u32_e32 v1, 0xa0, v1
	s_cbranch_scc1 .LBB155_22
.LBB155_23:
	s_or_b64 exec, exec, s[10:11]
	v_mov_b32_e32 v1, 0xc80
	s_cmpk_eq_i32 s4, 0x6f
	v_lshl_add_u32 v1, v0, 3, v1
	s_mov_b64 s[4:5], -1
	s_waitcnt lgkmcnt(0)
	; wave barrier
	s_cbranch_scc1 .LBB155_52
; %bb.24:
	s_add_i32 s16, s26, -1
	s_lshl_b32 s17, s26, 3
	s_mov_b32 s5, 0
	s_add_i32 s17, s17, -8
	s_mov_b32 s4, s5
	s_mov_b32 s18, s16
	s_branch .LBB155_26
.LBB155_25:                             ;   in Loop: Header=BB155_26 Depth=1
	s_cmp_lt_i32 s18, 0
	s_cselect_b64 s[6:7], -1, 0
	s_add_i32 s4, s4, 1
	s_cmp_eq_u32 s4, 3
	s_cselect_b64 s[10:11], -1, 0
	s_or_b64 s[6:7], s[6:7], s[10:11]
	s_andn2_b64 vcc, exec, s[6:7]
	s_cbranch_vccz .LBB155_51
.LBB155_26:                             ; =>This Loop Header: Depth=1
                                        ;     Child Loop BB155_29 Depth 2
                                        ;       Child Loop BB155_30 Depth 3
                                        ;       Child Loop BB155_34 Depth 3
                                        ;         Child Loop BB155_36 Depth 4
                                        ;         Child Loop BB155_42 Depth 4
                                        ;       Child Loop BB155_45 Depth 3
                                        ;         Child Loop BB155_47 Depth 4
	s_lshl_b64 s[6:7], s[4:5], 2
	s_getpc_b64 s[10:11]
	s_add_u32 s10, s10, __const._ZL38rocblas_trsm_small_left_device_sharedBILi20ELi20ELb1E19rocblas_complex_numIfES1_PKPKS1_PKPS1_Ev13rocblas_fill_18rocblas_operation_17rocblas_diagonal_iiT3_T4_lilT5_lili.step_sizes@rel32@lo+4
	s_addc_u32 s11, s11, __const._ZL38rocblas_trsm_small_left_device_sharedBILi20ELi20ELb1E19rocblas_complex_numIfES1_PKPKS1_PKPS1_Ev13rocblas_fill_18rocblas_operation_17rocblas_diagonal_iiT3_T4_lilT5_lili.step_sizes@rel32@hi+12
	s_add_u32 s6, s10, s6
	s_addc_u32 s7, s11, s7
	s_load_dword s19, s[6:7], 0x0
	s_waitcnt lgkmcnt(0)
	s_add_i32 s20, s19, -1
	s_cmp_lt_i32 s18, s20
	s_cbranch_scc1 .LBB155_25
; %bb.27:                               ;   in Loop: Header=BB155_26 Depth=1
	s_max_i32 s21, s19, 1
	s_cmp_lg_u32 s4, 2
	s_cselect_b64 s[6:7], -1, 0
	s_and_b32 s22, s21, 0x7ffffffe
	s_cmp_lg_u32 s21, s22
	s_mul_i32 s12, s18, 0xa0
	s_cselect_b64 s[10:11], -1, 0
	v_add_u32_e32 v10, s12, v1
	s_mul_i32 s23, s19, 0xffffff60
	s_add_i32 s24, s17, s12
	s_mul_i32 s25, s18, 0xa8
	s_mul_i32 s28, s19, 0xffffff58
	s_branch .LBB155_29
.LBB155_28:                             ;   in Loop: Header=BB155_29 Depth=2
	s_sub_i32 s18, s18, s19
	s_add_i32 s24, s24, s23
	s_add_i32 s25, s25, s28
	s_cmp_lt_i32 s18, s20
	v_add_u32_e32 v10, s23, v10
	s_cbranch_scc1 .LBB155_25
.LBB155_29:                             ;   Parent Loop BB155_26 Depth=1
                                        ; =>  This Loop Header: Depth=2
                                        ;       Child Loop BB155_30 Depth 3
                                        ;       Child Loop BB155_34 Depth 3
                                        ;         Child Loop BB155_36 Depth 4
                                        ;         Child Loop BB155_42 Depth 4
                                        ;       Child Loop BB155_45 Depth 3
                                        ;         Child Loop BB155_47 Depth 4
	s_mov_b32 s12, 0
	v_mov_b32_e32 v2, v10
	s_mov_b32 s13, s21
.LBB155_30:                             ;   Parent Loop BB155_26 Depth=1
                                        ;     Parent Loop BB155_29 Depth=2
                                        ; =>    This Inner Loop Header: Depth=3
	ds_read_b64 v[4:5], v2
	s_add_i32 s13, s13, -1
	v_add_u32_e32 v2, 0xffffff60, v2
	s_waitcnt lgkmcnt(0)
	scratch_store_dwordx2 off, v[4:5], s12
	s_add_i32 s12, s12, 8
	s_cmp_eq_u32 s13, 0
	s_cbranch_scc0 .LBB155_30
; %bb.31:                               ;   in Loop: Header=BB155_29 Depth=2
	s_cmp_le_i32 s16, s18
	s_cbranch_scc1 .LBB155_43
; %bb.32:                               ;   in Loop: Header=BB155_29 Depth=2
	s_mov_b32 s29, s18
	s_mov_b32 s30, s24
	;; [unrolled: 1-line block ×3, first 2 shown]
	s_branch .LBB155_34
.LBB155_33:                             ;   in Loop: Header=BB155_34 Depth=3
	s_add_i32 s31, s31, -1
	s_add_i32 s30, s30, -8
	s_cmp_le_i32 s31, s18
	s_cbranch_scc1 .LBB155_43
.LBB155_34:                             ;   Parent Loop BB155_26 Depth=1
                                        ;     Parent Loop BB155_29 Depth=2
                                        ; =>    This Loop Header: Depth=3
                                        ;         Child Loop BB155_36 Depth 4
                                        ;         Child Loop BB155_42 Depth 4
	s_mul_i32 s12, s31, 0xa0
	v_add_u32_e32 v2, s12, v1
	ds_read_b64 v[2:3], v2
	s_and_b64 vcc, exec, s[6:7]
	s_cbranch_vccz .LBB155_38
; %bb.35:                               ;   in Loop: Header=BB155_34 Depth=3
	s_lshl_b32 s12, s31, 3
	s_waitcnt lgkmcnt(0)
	v_mov_b32_e32 v6, v2
	v_mov_b32_e32 v7, v2
	;; [unrolled: 1-line block ×3, first 2 shown]
	s_mov_b32 s13, 0
	v_mov_b32_e32 v8, v3
	v_mov_b32_e32 v9, v3
	s_mov_b32 s14, 1
	s_mov_b32 s15, 0
	;; [unrolled: 1-line block ×3, first 2 shown]
.LBB155_36:                             ;   Parent Loop BB155_26 Depth=1
                                        ;     Parent Loop BB155_29 Depth=2
                                        ;       Parent Loop BB155_34 Depth=3
                                        ; =>      This Inner Loop Header: Depth=4
	scratch_load_dwordx4 v[12:15], off, s13
	s_sub_i32 s34, s18, s15
	s_sub_i32 s35, s29, s14
	s_mulk_i32 s34, 0xa0
	s_mulk_i32 s35, 0xa0
	s_add_i32 s34, s12, s34
	s_add_i32 s35, s12, s35
	v_mov_b32_e32 v5, s34
	v_mov_b32_e32 v11, s35
	ds_read_b64 v[20:21], v5
	ds_read_b64 v[16:17], v11
	s_add_i32 s15, s15, 2
	s_add_i32 s14, s14, 2
	s_add_i32 s33, s33, -2
	s_waitcnt lgkmcnt(1)
	v_mov_b32_e32 v18, v20
	s_waitcnt lgkmcnt(0)
	v_mov_b32_e32 v19, v16
	v_mov_b32_e32 v16, v21
	v_pk_mul_f32 v[20:21], v[16:17], v[8:9]
	v_pk_mul_f32 v[16:17], v[16:17], v[6:7]
	v_pk_fma_f32 v[20:21], v[18:19], v[6:7], v[20:21] neg_lo:[0,0,1] neg_hi:[0,0,1]
	v_pk_fma_f32 v[16:17], v[18:19], v[8:9], v[16:17]
	s_waitcnt vmcnt(0)
	v_mov_b32_e32 v18, v12
	v_mov_b32_e32 v19, v14
	;; [unrolled: 1-line block ×3, first 2 shown]
	v_pk_add_f32 v[18:19], v[18:19], v[20:21] neg_lo:[0,1] neg_hi:[0,1]
	v_pk_add_f32 v[14:15], v[14:15], v[16:17] neg_lo:[0,1] neg_hi:[0,1]
	v_mov_b32_e32 v12, v18
	v_mov_b32_e32 v13, v14
	;; [unrolled: 1-line block ×3, first 2 shown]
	scratch_store_dwordx4 off, v[12:15], s13
	s_add_i32 s13, s13, 16
	s_cmp_lg_u32 s33, 0
	s_cbranch_scc1 .LBB155_36
; %bb.37:                               ;   in Loop: Header=BB155_34 Depth=3
	s_mov_b64 s[12:13], s[10:11]
	s_mov_b32 s14, s22
	s_branch .LBB155_40
.LBB155_38:                             ;   in Loop: Header=BB155_34 Depth=3
	s_waitcnt lgkmcnt(0)
	v_mov_b32_e32 v4, v3
	s_mov_b64 s[12:13], 0
	s_mov_b32 s14, s22
	s_cbranch_execz .LBB155_40
; %bb.39:                               ;   in Loop: Header=BB155_34 Depth=3
	s_mov_b64 s[12:13], -1
	s_mov_b32 s14, 0
.LBB155_40:                             ;   in Loop: Header=BB155_34 Depth=3
	s_andn2_b64 vcc, exec, s[12:13]
	s_cbranch_vccnz .LBB155_33
; %bb.41:                               ;   in Loop: Header=BB155_34 Depth=3
	s_mul_i32 s13, s14, 0xffffff60
	v_mov_b32_e32 v5, v3
	v_mov_b32_e32 v3, v2
	s_sub_i32 s12, s21, s14
	s_add_i32 s13, s30, s13
	s_lshl_b32 s14, s14, 3
.LBB155_42:                             ;   Parent Loop BB155_26 Depth=1
                                        ;     Parent Loop BB155_29 Depth=2
                                        ;       Parent Loop BB155_34 Depth=3
                                        ; =>      This Inner Loop Header: Depth=4
	scratch_load_dwordx2 v[6:7], off, s14
	v_mov_b32_e32 v8, s13
	ds_read_b64 v[8:9], v8
	s_add_i32 s12, s12, -1
	s_addk_i32 s13, 0xff60
	s_waitcnt lgkmcnt(0)
	v_pk_mul_f32 v[12:13], v[8:9], v[4:5] op_sel:[1,0] op_sel_hi:[0,1]
	v_pk_fma_f32 v[14:15], v[8:9], v[2:3], v[12:13] neg_lo:[0,0,1] neg_hi:[0,0,1]
	v_pk_fma_f32 v[8:9], v[8:9], v[2:3], v[12:13]
	s_nop 0
	v_mov_b32_e32 v15, v9
	s_waitcnt vmcnt(0)
	v_pk_add_f32 v[6:7], v[6:7], v[14:15] neg_lo:[0,1] neg_hi:[0,1]
	scratch_store_dwordx2 off, v[6:7], s14
	s_add_i32 s14, s14, 8
	s_cmp_eq_u32 s12, 0
	s_cbranch_scc0 .LBB155_42
	s_branch .LBB155_33
.LBB155_43:                             ;   in Loop: Header=BB155_29 Depth=2
	s_mul_i32 s14, s18, 0xa0
	s_mov_b32 s15, 0
	s_mov_b32 s29, s25
	s_branch .LBB155_45
.LBB155_44:                             ;   in Loop: Header=BB155_45 Depth=3
	s_mul_i32 s12, s31, 0xa8
	v_mov_b32_e32 v3, s12
	ds_read_b64 v[6:7], v3
	s_lshl_b32 s12, s15, 3
	s_add_i32 s15, s15, 1
	s_addk_i32 s29, 0xff60
	v_add_u32_e32 v11, s30, v1
	s_waitcnt lgkmcnt(0)
	v_pk_mul_f32 v[4:5], v[6:7], v[4:5] op_sel:[1,0] op_sel_hi:[0,0]
	v_pk_fma_f32 v[8:9], v[6:7], v[2:3], v[4:5] neg_lo:[0,0,1] neg_hi:[0,0,1]
	v_pk_fma_f32 v[2:3], v[6:7], v[2:3], v[4:5] op_sel_hi:[1,0,1]
	s_cmp_eq_u32 s15, s21
	v_mov_b32_e32 v9, v3
	scratch_store_dwordx2 off, v[8:9], s12
	ds_write_b64 v11, v[8:9]
	s_cbranch_scc1 .LBB155_28
.LBB155_45:                             ;   Parent Loop BB155_26 Depth=1
                                        ;     Parent Loop BB155_29 Depth=2
                                        ; =>    This Loop Header: Depth=3
                                        ;         Child Loop BB155_47 Depth 4
	s_cmp_lg_u32 s15, 0
	s_cbranch_scc0 .LBB155_49
; %bb.46:                               ;   in Loop: Header=BB155_45 Depth=3
	s_lshl_b32 s12, s15, 3
	scratch_load_dwordx2 v[2:3], off, s12
	s_mov_b32 s13, 0
	s_mov_b32 s30, s29
	;; [unrolled: 1-line block ×3, first 2 shown]
.LBB155_47:                             ;   Parent Loop BB155_26 Depth=1
                                        ;     Parent Loop BB155_29 Depth=2
                                        ;       Parent Loop BB155_45 Depth=3
                                        ; =>      This Inner Loop Header: Depth=4
	scratch_load_dwordx2 v[4:5], off, s13
	v_mov_b32_e32 v6, s30
	ds_read_b64 v[6:7], v6
	s_add_i32 s31, s31, -1
	s_add_i32 s30, s30, -8
	s_add_i32 s13, s13, 8
	s_cmp_eq_u32 s31, 0
	s_waitcnt vmcnt(0) lgkmcnt(0)
	v_pk_mul_f32 v[8:9], v[6:7], v[4:5] op_sel:[1,1] op_sel_hi:[0,1]
	v_pk_fma_f32 v[12:13], v[6:7], v[4:5], v[8:9] neg_lo:[0,0,1] neg_hi:[0,0,1]
	v_pk_fma_f32 v[4:5], v[6:7], v[4:5], v[8:9] op_sel_hi:[1,0,1]
	s_nop 0
	v_mov_b32_e32 v13, v5
	v_pk_add_f32 v[2:3], v[2:3], v[12:13] neg_lo:[0,1] neg_hi:[0,1]
	scratch_store_dwordx2 off, v[2:3], s12
	s_cbranch_scc0 .LBB155_47
; %bb.48:                               ;   in Loop: Header=BB155_45 Depth=3
	s_sub_i32 s31, s18, s15
	s_mul_i32 s30, s31, 0xa0
	v_mov_b32_e32 v4, v3
	s_branch .LBB155_44
.LBB155_49:                             ;   in Loop: Header=BB155_45 Depth=3
                                        ; implicit-def: $vgpr2
                                        ; implicit-def: $vgpr4
                                        ; implicit-def: $sgpr31
                                        ; implicit-def: $sgpr30
	s_cbranch_execz .LBB155_44
; %bb.50:                               ;   in Loop: Header=BB155_45 Depth=3
	scratch_load_dwordx2 v[2:3], off, off
	s_mov_b32 s30, s14
	s_mov_b32 s31, s18
	s_waitcnt vmcnt(0)
	v_mov_b32_e32 v4, v3
	s_branch .LBB155_44
.LBB155_51:
	s_mov_b64 s[4:5], 0
.LBB155_52:
	s_and_b64 vcc, exec, s[4:5]
	s_cbranch_vccz .LBB155_80
; %bb.53:
	v_mov_b32_e32 v2, 0xc80
	s_mov_b32 s5, 0
	v_lshl_add_u32 v10, v0, 3, v2
	s_mov_b32 s4, s5
	s_mov_b32 s16, s5
	s_branch .LBB155_55
.LBB155_54:                             ;   in Loop: Header=BB155_55 Depth=1
	s_cmp_ge_i32 s16, s26
	s_cselect_b64 s[6:7], -1, 0
	s_add_i32 s4, s4, 1
	s_cmp_eq_u32 s4, 3
	s_cselect_b64 s[10:11], -1, 0
	s_or_b64 s[6:7], s[6:7], s[10:11]
	s_and_b64 vcc, exec, s[6:7]
	s_cbranch_vccnz .LBB155_80
.LBB155_55:                             ; =>This Loop Header: Depth=1
                                        ;     Child Loop BB155_58 Depth 2
                                        ;       Child Loop BB155_59 Depth 3
                                        ;       Child Loop BB155_63 Depth 3
                                        ;         Child Loop BB155_65 Depth 4
                                        ;         Child Loop BB155_71 Depth 4
                                        ;       Child Loop BB155_74 Depth 3
                                        ;         Child Loop BB155_76 Depth 4
	s_lshl_b64 s[6:7], s[4:5], 2
	s_getpc_b64 s[10:11]
	s_add_u32 s10, s10, __const._ZL38rocblas_trsm_small_left_device_sharedBILi20ELi20ELb1E19rocblas_complex_numIfES1_PKPKS1_PKPS1_Ev13rocblas_fill_18rocblas_operation_17rocblas_diagonal_iiT3_T4_lilT5_lili.step_sizes@rel32@lo+4
	s_addc_u32 s11, s11, __const._ZL38rocblas_trsm_small_left_device_sharedBILi20ELi20ELb1E19rocblas_complex_numIfES1_PKPKS1_PKPS1_Ev13rocblas_fill_18rocblas_operation_17rocblas_diagonal_iiT3_T4_lilT5_lili.step_sizes@rel32@hi+12
	s_add_u32 s6, s10, s6
	s_addc_u32 s7, s11, s7
	s_load_dword s17, s[6:7], 0x0
	s_waitcnt lgkmcnt(0)
	s_add_i32 s18, s17, -1
	s_add_i32 s6, s18, s16
	s_cmp_ge_i32 s6, s26
	s_cbranch_scc1 .LBB155_54
; %bb.56:                               ;   in Loop: Header=BB155_55 Depth=1
	s_max_i32 s19, s17, 1
	s_cmp_lg_u32 s4, 2
	s_cselect_b64 s[6:7], -1, 0
	s_and_b32 s20, s19, 0x7ffffffe
	s_cmp_lg_u32 s19, s20
	s_mul_i32 s12, s16, 0xa0
	s_cselect_b64 s[10:11], -1, 0
	v_add_u32_e32 v11, s12, v10
	s_mul_i32 s21, s17, 0xa0
	s_lshl_b32 s22, s16, 3
	s_lshl_b32 s23, s17, 3
	s_mul_i32 s24, s16, 0xa8
	s_mul_i32 s25, s17, 0xa8
	s_branch .LBB155_58
.LBB155_57:                             ;   in Loop: Header=BB155_58 Depth=2
	s_add_i32 s16, s16, s17
	s_add_i32 s12, s18, s16
	s_add_i32 s22, s22, s23
	s_add_i32 s24, s24, s25
	s_cmp_ge_i32 s12, s26
	v_add_u32_e32 v11, s21, v11
	s_cbranch_scc1 .LBB155_54
.LBB155_58:                             ;   Parent Loop BB155_55 Depth=1
                                        ; =>  This Loop Header: Depth=2
                                        ;       Child Loop BB155_59 Depth 3
                                        ;       Child Loop BB155_63 Depth 3
                                        ;         Child Loop BB155_65 Depth 4
                                        ;         Child Loop BB155_71 Depth 4
                                        ;       Child Loop BB155_74 Depth 3
                                        ;         Child Loop BB155_76 Depth 4
	s_mov_b32 s12, 0
	v_mov_b32_e32 v2, v11
	s_mov_b32 s13, s19
.LBB155_59:                             ;   Parent Loop BB155_55 Depth=1
                                        ;     Parent Loop BB155_58 Depth=2
                                        ; =>    This Inner Loop Header: Depth=3
	ds_read_b64 v[4:5], v2
	s_add_i32 s13, s13, -1
	v_add_u32_e32 v2, 0xa0, v2
	s_waitcnt lgkmcnt(0)
	scratch_store_dwordx2 off, v[4:5], s12
	s_add_i32 s12, s12, 8
	s_cmp_eq_u32 s13, 0
	s_cbranch_scc0 .LBB155_59
; %bb.60:                               ;   in Loop: Header=BB155_58 Depth=2
	s_cmp_lt_i32 s16, 1
	s_cbranch_scc1 .LBB155_72
; %bb.61:                               ;   in Loop: Header=BB155_58 Depth=2
	s_mov_b32 s28, 0
	s_mov_b32 s29, s22
	s_branch .LBB155_63
.LBB155_62:                             ;   in Loop: Header=BB155_63 Depth=3
	s_add_i32 s28, s28, 1
	s_addk_i32 s29, 0xa0
	s_cmp_eq_u32 s28, s16
	s_cbranch_scc1 .LBB155_72
.LBB155_63:                             ;   Parent Loop BB155_55 Depth=1
                                        ;     Parent Loop BB155_58 Depth=2
                                        ; =>    This Loop Header: Depth=3
                                        ;         Child Loop BB155_65 Depth 4
                                        ;         Child Loop BB155_71 Depth 4
	s_mul_i32 s12, s28, 0xa0
	v_add_u32_e32 v2, s12, v1
	ds_read_b64 v[2:3], v2
	s_and_b64 vcc, exec, s[6:7]
	s_cbranch_vccz .LBB155_67
; %bb.64:                               ;   in Loop: Header=BB155_63 Depth=3
	s_waitcnt lgkmcnt(0)
	v_mov_b32_e32 v6, v2
	v_mov_b32_e32 v7, v2
	;; [unrolled: 1-line block ×3, first 2 shown]
	s_mov_b32 s12, 0
	v_mov_b32_e32 v8, v3
	v_mov_b32_e32 v9, v3
	s_mov_b32 s13, s20
	s_mov_b32 s14, s29
.LBB155_65:                             ;   Parent Loop BB155_55 Depth=1
                                        ;     Parent Loop BB155_58 Depth=2
                                        ;       Parent Loop BB155_63 Depth=3
                                        ; =>      This Inner Loop Header: Depth=4
	scratch_load_dwordx4 v[12:15], off, s12
	v_mov_b32_e32 v5, s14
	ds_read2_b64 v[16:19], v5 offset1:1
	s_add_i32 s14, s14, 16
	s_add_i32 s13, s13, -2
	s_waitcnt lgkmcnt(0)
	v_mov_b32_e32 v21, v18
	v_mov_b32_e32 v18, v17
	;; [unrolled: 1-line block ×3, first 2 shown]
	v_pk_mul_f32 v[16:17], v[18:19], v[8:9]
	v_pk_mul_f32 v[18:19], v[18:19], v[6:7]
	v_pk_fma_f32 v[16:17], v[20:21], v[6:7], v[16:17] neg_lo:[0,0,1] neg_hi:[0,0,1]
	v_pk_fma_f32 v[18:19], v[20:21], v[8:9], v[18:19]
	s_waitcnt vmcnt(0)
	v_mov_b32_e32 v20, v12
	v_mov_b32_e32 v21, v14
	;; [unrolled: 1-line block ×3, first 2 shown]
	v_pk_add_f32 v[16:17], v[20:21], v[16:17] neg_lo:[0,1] neg_hi:[0,1]
	v_pk_add_f32 v[14:15], v[14:15], v[18:19] neg_lo:[0,1] neg_hi:[0,1]
	v_mov_b32_e32 v12, v16
	v_mov_b32_e32 v13, v14
	;; [unrolled: 1-line block ×3, first 2 shown]
	scratch_store_dwordx4 off, v[12:15], s12
	s_add_i32 s12, s12, 16
	s_cmp_lg_u32 s13, 0
	s_cbranch_scc1 .LBB155_65
; %bb.66:                               ;   in Loop: Header=BB155_63 Depth=3
	s_mov_b64 s[12:13], s[10:11]
	s_mov_b32 s14, s20
	s_branch .LBB155_69
.LBB155_67:                             ;   in Loop: Header=BB155_63 Depth=3
	s_waitcnt lgkmcnt(0)
	v_mov_b32_e32 v4, v3
	s_mov_b64 s[12:13], 0
	s_mov_b32 s14, s20
	s_cbranch_execz .LBB155_69
; %bb.68:                               ;   in Loop: Header=BB155_63 Depth=3
	s_mov_b64 s[12:13], -1
	s_mov_b32 s14, 0
.LBB155_69:                             ;   in Loop: Header=BB155_63 Depth=3
	s_andn2_b64 vcc, exec, s[12:13]
	s_cbranch_vccnz .LBB155_62
; %bb.70:                               ;   in Loop: Header=BB155_63 Depth=3
	v_mov_b32_e32 v5, v3
	v_mov_b32_e32 v3, v2
	s_sub_i32 s12, s19, s14
	s_lshl_b32 s13, s14, 3
.LBB155_71:                             ;   Parent Loop BB155_55 Depth=1
                                        ;     Parent Loop BB155_58 Depth=2
                                        ;       Parent Loop BB155_63 Depth=3
                                        ; =>      This Inner Loop Header: Depth=4
	scratch_load_dwordx2 v[6:7], off, s13
	s_add_i32 s15, s29, s13
	v_mov_b32_e32 v8, s15
	ds_read_b64 v[8:9], v8
	s_mov_b32 s14, s13
	s_add_i32 s12, s12, -1
	s_add_i32 s13, s13, 8
	s_cmp_eq_u32 s12, 0
	s_waitcnt lgkmcnt(0)
	v_pk_mul_f32 v[12:13], v[8:9], v[4:5] op_sel:[1,0] op_sel_hi:[0,1]
	v_pk_fma_f32 v[14:15], v[8:9], v[2:3], v[12:13] neg_lo:[0,0,1] neg_hi:[0,0,1]
	v_pk_fma_f32 v[8:9], v[8:9], v[2:3], v[12:13]
	s_nop 0
	v_mov_b32_e32 v15, v9
	s_waitcnt vmcnt(0)
	v_pk_add_f32 v[6:7], v[6:7], v[14:15] neg_lo:[0,1] neg_hi:[0,1]
	scratch_store_dwordx2 off, v[6:7], s14
	s_cbranch_scc0 .LBB155_71
	s_branch .LBB155_62
.LBB155_72:                             ;   in Loop: Header=BB155_58 Depth=2
	s_mov_b32 s14, 0
	s_mov_b32 s15, s24
	s_branch .LBB155_74
.LBB155_73:                             ;   in Loop: Header=BB155_74 Depth=3
	s_add_i32 s12, s14, s16
	s_mul_i32 s13, s12, 0xa8
	v_mov_b32_e32 v3, s13
	ds_read_b64 v[6:7], v3
	s_lshl_b32 s13, s14, 3
	s_mulk_i32 s12, 0xa0
	s_add_i32 s14, s14, 1
	s_add_i32 s15, s15, 8
	s_waitcnt lgkmcnt(0)
	v_pk_mul_f32 v[4:5], v[6:7], v[4:5] op_sel:[1,0] op_sel_hi:[0,0]
	v_pk_fma_f32 v[8:9], v[6:7], v[2:3], v[4:5] neg_lo:[0,0,1] neg_hi:[0,0,1]
	v_pk_fma_f32 v[2:3], v[6:7], v[2:3], v[4:5] op_sel_hi:[1,0,1]
	s_cmp_eq_u32 s14, s19
	v_mov_b32_e32 v9, v3
	v_add_u32_e32 v2, s12, v1
	scratch_store_dwordx2 off, v[8:9], s13
	ds_write_b64 v2, v[8:9]
	s_cbranch_scc1 .LBB155_57
.LBB155_74:                             ;   Parent Loop BB155_55 Depth=1
                                        ;     Parent Loop BB155_58 Depth=2
                                        ; =>    This Loop Header: Depth=3
                                        ;         Child Loop BB155_76 Depth 4
	s_cmp_lg_u32 s14, 0
	s_cbranch_scc0 .LBB155_78
; %bb.75:                               ;   in Loop: Header=BB155_74 Depth=3
	s_lshl_b32 s12, s14, 3
	scratch_load_dwordx2 v[2:3], off, s12
	s_mov_b32 s13, 0
	s_mov_b32 s28, s15
	;; [unrolled: 1-line block ×3, first 2 shown]
.LBB155_76:                             ;   Parent Loop BB155_55 Depth=1
                                        ;     Parent Loop BB155_58 Depth=2
                                        ;       Parent Loop BB155_74 Depth=3
                                        ; =>      This Inner Loop Header: Depth=4
	scratch_load_dwordx2 v[4:5], off, s13
	v_mov_b32_e32 v6, s28
	ds_read_b64 v[6:7], v6
	s_add_i32 s29, s29, -1
	s_addk_i32 s28, 0xa0
	s_add_i32 s13, s13, 8
	s_cmp_eq_u32 s29, 0
	s_waitcnt vmcnt(0) lgkmcnt(0)
	v_pk_mul_f32 v[8:9], v[6:7], v[4:5] op_sel:[1,1] op_sel_hi:[0,1]
	v_pk_fma_f32 v[12:13], v[6:7], v[4:5], v[8:9] neg_lo:[0,0,1] neg_hi:[0,0,1]
	v_pk_fma_f32 v[4:5], v[6:7], v[4:5], v[8:9] op_sel_hi:[1,0,1]
	s_nop 0
	v_mov_b32_e32 v13, v5
	v_pk_add_f32 v[2:3], v[2:3], v[12:13] neg_lo:[0,1] neg_hi:[0,1]
	scratch_store_dwordx2 off, v[2:3], s12
	s_cbranch_scc0 .LBB155_76
; %bb.77:                               ;   in Loop: Header=BB155_74 Depth=3
	v_mov_b32_e32 v4, v3
	s_branch .LBB155_73
.LBB155_78:                             ;   in Loop: Header=BB155_74 Depth=3
                                        ; implicit-def: $vgpr2
                                        ; implicit-def: $vgpr4
	s_cbranch_execz .LBB155_73
; %bb.79:                               ;   in Loop: Header=BB155_74 Depth=3
	scratch_load_dwordx2 v[2:3], off, off
	s_waitcnt vmcnt(0)
	v_mov_b32_e32 v4, v3
	s_branch .LBB155_73
.LBB155_80:
	s_waitcnt lgkmcnt(0)
	; wave barrier
	s_and_saveexec_b64 s[4:5], s[0:1]
	s_cbranch_execz .LBB155_84
; %bb.81:
	s_andn2_b64 vcc, exec, s[8:9]
	s_cbranch_vccnz .LBB155_84
; %bb.82:
	v_mad_i64_i32 v[2:3], s[0:1], s27, v0, 0
	v_mov_b32_e32 v1, 0xc80
	v_lshl_add_u64 v[2:3], v[2:3], 3, s[2:3]
	v_lshl_add_u32 v0, v0, 3, v1
.LBB155_83:                             ; =>This Inner Loop Header: Depth=1
	ds_read_b64 v[4:5], v0
	s_add_i32 s26, s26, -1
	v_add_u32_e32 v0, 0xa0, v0
	s_cmp_lg_u32 s26, 0
	s_waitcnt lgkmcnt(0)
	flat_store_dwordx2 v[2:3], v[4:5]
	v_lshl_add_u64 v[2:3], v[2:3], 0, 8
	s_cbranch_scc1 .LBB155_83
.LBB155_84:
	s_endpgm
	.section	.rodata,"a",@progbits
	.p2align	6, 0x0
	.amdhsa_kernel _ZL38rocblas_trsm_small_left_device_sharedBILi20ELi20ELb1E19rocblas_complex_numIfES1_PKPKS1_PKPS1_Ev13rocblas_fill_18rocblas_operation_17rocblas_diagonal_iiT3_T4_lilT5_lili
		.amdhsa_group_segment_fixed_size 6400
		.amdhsa_private_segment_fixed_size 176
		.amdhsa_kernarg_size 360
		.amdhsa_user_sgpr_count 2
		.amdhsa_user_sgpr_dispatch_ptr 0
		.amdhsa_user_sgpr_queue_ptr 0
		.amdhsa_user_sgpr_kernarg_segment_ptr 1
		.amdhsa_user_sgpr_dispatch_id 0
		.amdhsa_user_sgpr_kernarg_preload_length 0
		.amdhsa_user_sgpr_kernarg_preload_offset 0
		.amdhsa_user_sgpr_private_segment_size 0
		.amdhsa_uses_dynamic_stack 0
		.amdhsa_enable_private_segment 1
		.amdhsa_system_sgpr_workgroup_id_x 1
		.amdhsa_system_sgpr_workgroup_id_y 0
		.amdhsa_system_sgpr_workgroup_id_z 1
		.amdhsa_system_sgpr_workgroup_info 0
		.amdhsa_system_vgpr_workitem_id 0
		.amdhsa_next_free_vgpr 65
		.amdhsa_next_free_sgpr 75
		.amdhsa_accum_offset 24
		.amdhsa_reserve_vcc 1
		.amdhsa_float_round_mode_32 0
		.amdhsa_float_round_mode_16_64 0
		.amdhsa_float_denorm_mode_32 3
		.amdhsa_float_denorm_mode_16_64 3
		.amdhsa_dx10_clamp 1
		.amdhsa_ieee_mode 1
		.amdhsa_fp16_overflow 0
		.amdhsa_tg_split 0
		.amdhsa_exception_fp_ieee_invalid_op 0
		.amdhsa_exception_fp_denorm_src 0
		.amdhsa_exception_fp_ieee_div_zero 0
		.amdhsa_exception_fp_ieee_overflow 0
		.amdhsa_exception_fp_ieee_underflow 0
		.amdhsa_exception_fp_ieee_inexact 0
		.amdhsa_exception_int_div_zero 0
	.end_amdhsa_kernel
	.section	.text._ZL38rocblas_trsm_small_left_device_sharedBILi20ELi20ELb1E19rocblas_complex_numIfES1_PKPKS1_PKPS1_Ev13rocblas_fill_18rocblas_operation_17rocblas_diagonal_iiT3_T4_lilT5_lili,"axG",@progbits,_ZL38rocblas_trsm_small_left_device_sharedBILi20ELi20ELb1E19rocblas_complex_numIfES1_PKPKS1_PKPS1_Ev13rocblas_fill_18rocblas_operation_17rocblas_diagonal_iiT3_T4_lilT5_lili,comdat
.Lfunc_end155:
	.size	_ZL38rocblas_trsm_small_left_device_sharedBILi20ELi20ELb1E19rocblas_complex_numIfES1_PKPKS1_PKPS1_Ev13rocblas_fill_18rocblas_operation_17rocblas_diagonal_iiT3_T4_lilT5_lili, .Lfunc_end155-_ZL38rocblas_trsm_small_left_device_sharedBILi20ELi20ELb1E19rocblas_complex_numIfES1_PKPKS1_PKPS1_Ev13rocblas_fill_18rocblas_operation_17rocblas_diagonal_iiT3_T4_lilT5_lili
                                        ; -- End function
	.set _ZL38rocblas_trsm_small_left_device_sharedBILi20ELi20ELb1E19rocblas_complex_numIfES1_PKPKS1_PKPS1_Ev13rocblas_fill_18rocblas_operation_17rocblas_diagonal_iiT3_T4_lilT5_lili.num_vgpr, 22
	.set _ZL38rocblas_trsm_small_left_device_sharedBILi20ELi20ELb1E19rocblas_complex_numIfES1_PKPKS1_PKPS1_Ev13rocblas_fill_18rocblas_operation_17rocblas_diagonal_iiT3_T4_lilT5_lili.num_agpr, 0
	.set _ZL38rocblas_trsm_small_left_device_sharedBILi20ELi20ELb1E19rocblas_complex_numIfES1_PKPKS1_PKPS1_Ev13rocblas_fill_18rocblas_operation_17rocblas_diagonal_iiT3_T4_lilT5_lili.numbered_sgpr, 36
	.set _ZL38rocblas_trsm_small_left_device_sharedBILi20ELi20ELb1E19rocblas_complex_numIfES1_PKPKS1_PKPS1_Ev13rocblas_fill_18rocblas_operation_17rocblas_diagonal_iiT3_T4_lilT5_lili.num_named_barrier, 0
	.set _ZL38rocblas_trsm_small_left_device_sharedBILi20ELi20ELb1E19rocblas_complex_numIfES1_PKPKS1_PKPS1_Ev13rocblas_fill_18rocblas_operation_17rocblas_diagonal_iiT3_T4_lilT5_lili.private_seg_size, 176
	.set _ZL38rocblas_trsm_small_left_device_sharedBILi20ELi20ELb1E19rocblas_complex_numIfES1_PKPKS1_PKPS1_Ev13rocblas_fill_18rocblas_operation_17rocblas_diagonal_iiT3_T4_lilT5_lili.uses_vcc, 1
	.set _ZL38rocblas_trsm_small_left_device_sharedBILi20ELi20ELb1E19rocblas_complex_numIfES1_PKPKS1_PKPS1_Ev13rocblas_fill_18rocblas_operation_17rocblas_diagonal_iiT3_T4_lilT5_lili.uses_flat_scratch, 0
	.set _ZL38rocblas_trsm_small_left_device_sharedBILi20ELi20ELb1E19rocblas_complex_numIfES1_PKPKS1_PKPS1_Ev13rocblas_fill_18rocblas_operation_17rocblas_diagonal_iiT3_T4_lilT5_lili.has_dyn_sized_stack, 0
	.set _ZL38rocblas_trsm_small_left_device_sharedBILi20ELi20ELb1E19rocblas_complex_numIfES1_PKPKS1_PKPS1_Ev13rocblas_fill_18rocblas_operation_17rocblas_diagonal_iiT3_T4_lilT5_lili.has_recursion, 0
	.set _ZL38rocblas_trsm_small_left_device_sharedBILi20ELi20ELb1E19rocblas_complex_numIfES1_PKPKS1_PKPS1_Ev13rocblas_fill_18rocblas_operation_17rocblas_diagonal_iiT3_T4_lilT5_lili.has_indirect_call, 0
	.section	.AMDGPU.csdata,"",@progbits
; Kernel info:
; codeLenInByte = 3440
; TotalNumSgprs: 42
; NumVgprs: 22
; NumAgprs: 0
; TotalNumVgprs: 22
; ScratchSize: 176
; MemoryBound: 0
; FloatMode: 240
; IeeeMode: 1
; LDSByteSize: 6400 bytes/workgroup (compile time only)
; SGPRBlocks: 10
; VGPRBlocks: 8
; NumSGPRsForWavesPerEU: 81
; NumVGPRsForWavesPerEU: 65
; AccumOffset: 24
; Occupancy: 7
; WaveLimiterHint : 1
; COMPUTE_PGM_RSRC2:SCRATCH_EN: 1
; COMPUTE_PGM_RSRC2:USER_SGPR: 2
; COMPUTE_PGM_RSRC2:TRAP_HANDLER: 0
; COMPUTE_PGM_RSRC2:TGID_X_EN: 1
; COMPUTE_PGM_RSRC2:TGID_Y_EN: 0
; COMPUTE_PGM_RSRC2:TGID_Z_EN: 1
; COMPUTE_PGM_RSRC2:TIDIG_COMP_CNT: 0
; COMPUTE_PGM_RSRC3_GFX90A:ACCUM_OFFSET: 5
; COMPUTE_PGM_RSRC3_GFX90A:TG_SPLIT: 0
	.section	.text._ZL30rocblas_trsm_small_left_deviceILi20ELi20ELb1E19rocblas_complex_numIfES1_PKPKS1_PKPS1_Ev13rocblas_fill_18rocblas_operation_17rocblas_diagonal_iiT3_T4_lilT5_lili,"axG",@progbits,_ZL30rocblas_trsm_small_left_deviceILi20ELi20ELb1E19rocblas_complex_numIfES1_PKPKS1_PKPS1_Ev13rocblas_fill_18rocblas_operation_17rocblas_diagonal_iiT3_T4_lilT5_lili,comdat
	.globl	_ZL30rocblas_trsm_small_left_deviceILi20ELi20ELb1E19rocblas_complex_numIfES1_PKPKS1_PKPS1_Ev13rocblas_fill_18rocblas_operation_17rocblas_diagonal_iiT3_T4_lilT5_lili ; -- Begin function _ZL30rocblas_trsm_small_left_deviceILi20ELi20ELb1E19rocblas_complex_numIfES1_PKPKS1_PKPS1_Ev13rocblas_fill_18rocblas_operation_17rocblas_diagonal_iiT3_T4_lilT5_lili
	.p2align	8
	.type	_ZL30rocblas_trsm_small_left_deviceILi20ELi20ELb1E19rocblas_complex_numIfES1_PKPKS1_PKPS1_Ev13rocblas_fill_18rocblas_operation_17rocblas_diagonal_iiT3_T4_lilT5_lili,@function
_ZL30rocblas_trsm_small_left_deviceILi20ELi20ELb1E19rocblas_complex_numIfES1_PKPKS1_PKPS1_Ev13rocblas_fill_18rocblas_operation_17rocblas_diagonal_iiT3_T4_lilT5_lili: ; @_ZL30rocblas_trsm_small_left_deviceILi20ELi20ELb1E19rocblas_complex_numIfES1_PKPKS1_PKPS1_Ev13rocblas_fill_18rocblas_operation_17rocblas_diagonal_iiT3_T4_lilT5_lili
; %bb.0:
	s_load_dwordx4 s[8:11], s[0:1], 0x40
	s_load_dwordx4 s[4:7], s[0:1], 0x4
	s_load_dwordx2 s[12:13], s[0:1], 0x14
	s_mov_b32 s14, s3
	s_mov_b32 s15, 0
	s_lshl_b64 s[18:19], s[14:15], 3
	s_waitcnt lgkmcnt(0)
	s_add_u32 s8, s8, s18
	s_addc_u32 s9, s9, s19
	s_load_dword s3, s[0:1], 0x68
	s_min_i32 s30, s6, 20
	s_load_dwordx2 s[8:9], s[8:9], 0x0
	v_cmp_gt_i32_e32 vcc, s30, v0
	s_and_saveexec_b64 s[14:15], vcc
	s_cbranch_execz .LBB156_15
; %bb.1:
	s_load_dword s24, s[0:1], 0x30
	s_load_dwordx4 s[20:23], s[0:1], 0x20
	v_lshlrev_b32_e32 v2, 3, v0
	v_mov_b32_e32 v3, 0
	v_mov_b32_e32 v1, v2
	s_waitcnt lgkmcnt(0)
	s_ashr_i32 s25, s24, 31
	s_cmpk_lg_i32 s4, 0x71
	s_cselect_b64 s[16:17], -1, 0
	s_add_u32 s18, s20, s18
	s_addc_u32 s19, s21, s19
	s_load_dwordx2 s[18:19], s[18:19], 0x0
	s_lshl_b64 s[20:21], s[22:23], 3
	s_mov_b32 s6, s30
	s_waitcnt lgkmcnt(0)
	s_add_u32 s20, s18, s20
	s_addc_u32 s21, s19, s21
	s_lshl_b64 s[18:19], s[24:25], 3
	v_lshl_add_u64 v[4:5], s[20:21], 0, v[2:3]
	s_branch .LBB156_3
.LBB156_2:                              ;   in Loop: Header=BB156_3 Depth=1
	flat_load_dword v6, v[4:5]
	s_add_i32 s6, s6, -1
	v_lshl_add_u64 v[4:5], v[4:5], 0, s[18:19]
	s_cmp_eq_u32 s6, 0
	s_waitcnt vmcnt(0) lgkmcnt(0)
	ds_write_b64 v1, v[6:7]
	v_add_u32_e32 v1, 0xa0, v1
	s_cbranch_scc1 .LBB156_7
.LBB156_3:                              ; =>This Inner Loop Header: Depth=1
	s_mov_b64 s[20:21], -1
	s_and_b64 vcc, exec, s[16:17]
                                        ; implicit-def: $vgpr7
	s_cbranch_vccz .LBB156_5
; %bb.4:                                ;   in Loop: Header=BB156_3 Depth=1
	flat_load_dword v7, v[4:5] offset:4
	s_mov_b64 s[20:21], 0
.LBB156_5:                              ;   in Loop: Header=BB156_3 Depth=1
	s_andn2_b64 vcc, exec, s[20:21]
	s_cbranch_vccnz .LBB156_2
; %bb.6:                                ;   in Loop: Header=BB156_3 Depth=1
	flat_load_dword v3, v[4:5] offset:4
	s_waitcnt vmcnt(0) lgkmcnt(0)
	v_xor_b32_e32 v7, 0x80000000, v3
	s_branch .LBB156_2
.LBB156_7:
	s_cmpk_lg_i32 s5, 0x84
	v_mul_u32_u24_e32 v1, 0xa0, v0
	s_mov_b64 s[16:17], -1
	s_cbranch_scc0 .LBB156_13
; %bb.8:
	v_add_u32_e32 v3, v2, v1
	ds_read_b64 v[4:5], v3
                                        ; implicit-def: $vgpr6_vgpr7
	s_waitcnt lgkmcnt(0)
	v_cmp_ngt_f32_e64 s[16:17], |v4|, |v5|
	s_and_saveexec_b64 s[18:19], s[16:17]
	s_xor_b64 s[16:17], exec, s[18:19]
	s_cbranch_execz .LBB156_10
; %bb.9:
	v_div_scale_f32 v6, s[18:19], v5, v5, v4
	v_rcp_f32_e32 v7, v6
	v_div_scale_f32 v8, vcc, v4, v5, v4
	v_fma_f32 v9, -v6, v7, 1.0
	v_fmac_f32_e32 v7, v9, v7
	v_mul_f32_e32 v9, v8, v7
	v_fma_f32 v10, -v6, v9, v8
	v_fmac_f32_e32 v9, v10, v7
	v_fma_f32 v6, -v6, v9, v8
	v_div_fmas_f32 v6, v6, v7, v9
	v_div_fixup_f32 v6, v6, v5, v4
	v_fmac_f32_e32 v5, v4, v6
	v_div_scale_f32 v4, s[18:19], v5, v5, 1.0
	v_rcp_f32_e32 v7, v4
	s_mov_b32 s18, 0
	s_mov_b32 s19, -1.0
	v_fma_f32 v8, -v4, v7, 1.0
	v_fmac_f32_e32 v7, v8, v7
	v_div_scale_f32 v8, vcc, 1.0, v5, 1.0
	v_mul_f32_e32 v9, v8, v7
	v_fma_f32 v10, -v4, v9, v8
	v_fmac_f32_e32 v9, v10, v7
	v_fma_f32 v4, -v4, v9, v8
	v_div_fmas_f32 v4, v4, v7, v9
	v_mul_f32_e32 v7, 0, v6
	v_div_fixup_f32 v4, v4, v5, 1.0
	v_pk_add_f32 v[6:7], v[6:7], s[18:19]
	s_nop 0
	v_pk_mul_f32 v[6:7], v[6:7], v[4:5] op_sel_hi:[1,0]
                                        ; implicit-def: $vgpr4_vgpr5
.LBB156_10:
	s_andn2_saveexec_b64 s[16:17], s[16:17]
	s_cbranch_execz .LBB156_12
; %bb.11:
	v_div_scale_f32 v6, s[18:19], v4, v4, v5
	v_rcp_f32_e32 v7, v6
	v_div_scale_f32 v8, vcc, v5, v4, v5
	v_fma_f32 v9, -v6, v7, 1.0
	v_fmac_f32_e32 v7, v9, v7
	v_mul_f32_e32 v9, v8, v7
	v_fma_f32 v10, -v6, v9, v8
	v_fmac_f32_e32 v9, v10, v7
	v_fma_f32 v6, -v6, v9, v8
	v_div_fmas_f32 v6, v6, v7, v9
	v_div_fixup_f32 v7, v6, v4, v5
	v_fmac_f32_e32 v4, v5, v7
	v_div_scale_f32 v5, s[18:19], v4, v4, 1.0
	v_rcp_f32_e32 v6, v5
	s_nop 0
	v_fma_f32 v8, -v5, v6, 1.0
	v_fmac_f32_e32 v6, v8, v6
	v_div_scale_f32 v8, vcc, 1.0, v4, 1.0
	v_mul_f32_e32 v9, v8, v6
	v_fma_f32 v10, -v5, v9, v8
	v_fmac_f32_e32 v9, v10, v6
	v_fma_f32 v5, -v5, v9, v8
	v_div_fmas_f32 v5, v5, v6, v9
	v_div_fixup_f32 v4, v5, v4, 1.0
	v_mul_f32_e32 v5, 0, v7
	v_add_f32_e32 v6, 1.0, v5
	v_sub_f32_e32 v7, 0, v7
	v_pk_mul_f32 v[6:7], v[6:7], v[4:5] op_sel_hi:[1,0]
.LBB156_12:
	s_or_b64 exec, exec, s[16:17]
	s_mov_b64 s[16:17], 0
	ds_write_b64 v3, v[6:7]
.LBB156_13:
	s_and_b64 vcc, exec, s[16:17]
	s_cbranch_vccz .LBB156_15
; %bb.14:
	v_add_u32_e32 v1, v2, v1
	v_mov_b32_e32 v2, 1.0
	v_mov_b32_e32 v3, 0
	ds_write_b64 v1, v[2:3]
.LBB156_15:
	s_or_b64 exec, exec, s[14:15]
	s_mul_i32 s5, s2, 0xffffffec
	s_waitcnt lgkmcnt(0)
	s_add_i32 s3, s3, -1
	s_add_i32 s5, s7, s5
	s_cmp_ge_u32 s2, s3
	s_cselect_b32 s3, s5, 20
	v_cmp_gt_i32_e32 vcc, s3, v0
	; wave barrier
	s_and_saveexec_b64 s[6:7], vcc
	s_cbranch_execz .LBB156_83
; %bb.16:
	s_load_dword s5, s[0:1], 0x50
	s_lshl_b64 s[6:7], s[10:11], 3
	s_add_u32 s0, s8, s6
	v_mad_u64_u32 v[0:1], s[2:3], s2, 20, v[0:1]
	s_addc_u32 s1, s9, s7
	s_waitcnt lgkmcnt(0)
	v_mad_i64_i32 v[2:3], s[2:3], s5, v0, 0
	v_lshl_add_u64 v[0:1], v[2:3], 3, s[0:1]
	s_cmpk_eq_i32 s4, 0x6f
	s_mov_b64 s[0:1], -1
	s_cbranch_scc1 .LBB156_50
; %bb.17:
	s_add_i32 s31, s30, -1
	s_add_u32 s0, s8, s6
	s_addc_u32 s1, s9, s7
	s_lshl_b32 s33, s30, 3
	s_mov_b32 s15, 0
	s_mov_b32 s2, s12
	;; [unrolled: 1-line block ×7, first 2 shown]
	v_lshl_add_u64 v[4:5], v[2:3], 3, s[0:1]
	s_add_i32 s33, s33, -8
	s_mov_b32 s16, s15
	s_mov_b32 s18, s31
	s_branch .LBB156_19
.LBB156_18:                             ;   in Loop: Header=BB156_19 Depth=1
	s_cmp_lt_i32 s18, 0
	s_cselect_b64 s[0:1], -1, 0
	s_add_i32 s16, s16, 1
	s_cmp_eq_u32 s16, 3
	s_cselect_b64 s[20:21], -1, 0
	s_or_b64 s[0:1], s[0:1], s[20:21]
	s_andn2_b64 vcc, exec, s[0:1]
	s_cbranch_vccz .LBB156_49
.LBB156_19:                             ; =>This Loop Header: Depth=1
                                        ;     Child Loop BB156_22 Depth 2
                                        ;       Child Loop BB156_24 Depth 3
                                        ;       Child Loop BB156_28 Depth 3
                                        ;       Child Loop BB156_32 Depth 3
                                        ;         Child Loop BB156_34 Depth 4
                                        ;         Child Loop BB156_40 Depth 4
                                        ;       Child Loop BB156_43 Depth 3
                                        ;         Child Loop BB156_45 Depth 4
	s_mov_b32 s17, s15
	s_lshl_b64 s[0:1], s[16:17], 2
	s_getpc_b64 s[20:21]
	s_add_u32 s20, s20, __const._ZL30rocblas_trsm_small_left_deviceILi20ELi20ELb1E19rocblas_complex_numIfES1_PKPKS1_PKPS1_Ev13rocblas_fill_18rocblas_operation_17rocblas_diagonal_iiT3_T4_lilT5_lili.step_sizes@rel32@lo+4
	s_addc_u32 s21, s21, __const._ZL30rocblas_trsm_small_left_deviceILi20ELi20ELb1E19rocblas_complex_numIfES1_PKPKS1_PKPS1_Ev13rocblas_fill_18rocblas_operation_17rocblas_diagonal_iiT3_T4_lilT5_lili.step_sizes@rel32@hi+12
	s_add_u32 s0, s20, s0
	s_addc_u32 s1, s21, s1
	s_load_dword s17, s[0:1], 0x0
	s_waitcnt lgkmcnt(0)
	s_add_i32 s34, s17, -1
	s_cmp_lt_i32 s18, s34
	s_cbranch_scc1 .LBB156_18
; %bb.20:                               ;   in Loop: Header=BB156_19 Depth=1
	s_max_i32 s35, s17, 1
	s_cmp_lg_u32 s16, 2
	s_cselect_b64 s[20:21], -1, 0
	s_and_b32 s36, s35, 0x7ffffffe
	s_cmp_lg_u32 s35, s36
	s_mul_i32 s0, s18, 0xa0
	v_cndmask_b32_e64 v6, 0, 1, s[20:21]
	s_cselect_b64 s[22:23], -1, 0
	s_add_i32 s37, s33, s0
	s_mul_i32 s38, s17, 0xffffff60
	s_mul_i32 s39, s18, 0xa8
	;; [unrolled: 1-line block ×3, first 2 shown]
	v_cmp_ne_u32_e64 s[0:1], 1, v6
	s_branch .LBB156_22
.LBB156_21:                             ;   in Loop: Header=BB156_22 Depth=2
	s_sub_i32 s18, s18, s17
	s_add_i32 s37, s37, s38
	s_add_i32 s39, s39, s40
	s_cmp_lt_i32 s18, s34
	s_cbranch_scc1 .LBB156_18
.LBB156_22:                             ;   Parent Loop BB156_19 Depth=1
                                        ; =>  This Loop Header: Depth=2
                                        ;       Child Loop BB156_24 Depth 3
                                        ;       Child Loop BB156_28 Depth 3
	;; [unrolled: 1-line block ×3, first 2 shown]
                                        ;         Child Loop BB156_34 Depth 4
                                        ;         Child Loop BB156_40 Depth 4
                                        ;       Child Loop BB156_43 Depth 3
                                        ;         Child Loop BB156_45 Depth 4
	s_and_b64 vcc, exec, s[0:1]
	s_cbranch_vccnz .LBB156_26
; %bb.23:                               ;   in Loop: Header=BB156_22 Depth=2
	s_mov_b32 s19, 0
	s_mov_b32 s26, s18
	;; [unrolled: 1-line block ×5, first 2 shown]
.LBB156_24:                             ;   Parent Loop BB156_19 Depth=1
                                        ;     Parent Loop BB156_22 Depth=2
                                        ; =>    This Inner Loop Header: Depth=3
	s_sub_i32 s24, s18, s28
	s_sub_i32 s42, s26, s27
	s_ashr_i32 s25, s24, 31
	s_ashr_i32 s43, s42, 31
	v_lshl_add_u64 v[6:7], s[24:25], 3, v[0:1]
	v_lshl_add_u64 v[8:9], s[42:43], 3, v[0:1]
	flat_load_dwordx2 v[12:13], v[6:7]
	flat_load_dwordx2 v[10:11], v[8:9]
	s_add_i32 s28, s28, 2
	s_add_i32 s27, s27, 2
	s_add_i32 s29, s29, -2
	s_mov_b32 s14, s36
	s_mov_b64 s[24:25], s[22:23]
	s_waitcnt vmcnt(0) lgkmcnt(0)
	v_mov_b32_e32 v6, v12
	v_mov_b32_e32 v7, v10
	;; [unrolled: 1-line block ×3, first 2 shown]
	v_pk_mul_f32 v[8:9], v[10:11], s[4:5]
	v_pk_mul_f32 v[10:11], v[10:11], s[2:3]
	v_pk_fma_f32 v[12:13], v[6:7], s[2:3], v[8:9] neg_lo:[0,0,1] neg_hi:[0,0,1]
	v_pk_fma_f32 v[8:9], v[6:7], s[4:5], v[10:11]
	v_mov_b32_e32 v6, v12
	v_mov_b32_e32 v7, v8
	;; [unrolled: 1-line block ×3, first 2 shown]
	scratch_store_dwordx4 off, v[6:9], s19
	s_add_i32 s19, s19, 16
	s_cmp_lg_u32 s29, 0
	s_cbranch_scc1 .LBB156_24
; %bb.25:                               ;   in Loop: Header=BB156_22 Depth=2
	s_ashr_i32 s19, s18, 31
	s_and_b64 vcc, exec, s[24:25]
	s_cbranch_vccnz .LBB156_27
	s_branch .LBB156_29
.LBB156_26:                             ;   in Loop: Header=BB156_22 Depth=2
	s_mov_b32 s14, 0
	s_ashr_i32 s19, s18, 31
	s_cbranch_execz .LBB156_29
.LBB156_27:                             ;   in Loop: Header=BB156_22 Depth=2
	s_lshl_b64 s[26:27], s[18:19], 3
	s_sub_i32 s24, s35, s14
	s_lshl_b64 s[28:29], s[14:15], 3
	s_sub_u32 s26, s26, s28
	s_subb_u32 s27, s27, s29
	v_lshl_add_u64 v[6:7], v[4:5], 0, s[26:27]
	s_lshl_b32 s14, s14, 3
.LBB156_28:                             ;   Parent Loop BB156_19 Depth=1
                                        ;     Parent Loop BB156_22 Depth=2
                                        ; =>    This Inner Loop Header: Depth=3
	flat_load_dwordx2 v[8:9], v[6:7]
	s_add_i32 s24, s24, -1
	v_lshl_add_u64 v[6:7], v[6:7], 0, -8
	s_waitcnt vmcnt(0) lgkmcnt(0)
	v_pk_mul_f32 v[10:11], v[8:9], s[10:11] op_sel:[1,0]
	s_nop 0
	v_pk_fma_f32 v[12:13], v[8:9], s[12:13], v[10:11] neg_lo:[0,0,1] neg_hi:[0,0,1]
	v_pk_fma_f32 v[8:9], v[8:9], s[12:13], v[10:11] op_sel_hi:[0,1,1]
	v_mov_b32_e32 v13, v9
	scratch_store_dwordx2 off, v[12:13], s14
	s_add_i32 s14, s14, 8
	s_cmp_eq_u32 s24, 0
	s_cbranch_scc0 .LBB156_28
.LBB156_29:                             ;   in Loop: Header=BB156_22 Depth=2
	s_cmp_le_i32 s31, s18
	s_cbranch_scc1 .LBB156_41
; %bb.30:                               ;   in Loop: Header=BB156_22 Depth=2
	s_mov_b32 s14, s18
	s_mov_b32 s41, s18
	s_mov_b32 s42, s37
	s_mov_b32 s24, s31
	s_branch .LBB156_32
.LBB156_31:                             ;   in Loop: Header=BB156_32 Depth=3
	s_add_i32 s24, s24, -1
	s_add_i32 s42, s42, -8
	s_cmp_le_i32 s24, s18
	s_cbranch_scc1 .LBB156_41
.LBB156_32:                             ;   Parent Loop BB156_19 Depth=1
                                        ;     Parent Loop BB156_22 Depth=2
                                        ; =>    This Loop Header: Depth=3
                                        ;         Child Loop BB156_34 Depth 4
                                        ;         Child Loop BB156_40 Depth 4
	s_ashr_i32 s25, s24, 31
	v_lshl_add_u64 v[6:7], s[24:25], 3, v[0:1]
	flat_load_dwordx2 v[6:7], v[6:7]
	s_and_b64 vcc, exec, s[20:21]
	s_cbranch_vccz .LBB156_36
; %bb.33:                               ;   in Loop: Header=BB156_32 Depth=3
	s_lshl_b32 s25, s24, 3
	s_waitcnt vmcnt(0) lgkmcnt(0)
	v_mov_b32_e32 v10, v6
	v_mov_b32_e32 v11, v6
	;; [unrolled: 1-line block ×3, first 2 shown]
	s_mov_b32 s26, 0
	v_mov_b32_e32 v12, v7
	v_mov_b32_e32 v13, v7
	s_mov_b32 s27, 1
	s_mov_b32 s28, 0
	;; [unrolled: 1-line block ×3, first 2 shown]
.LBB156_34:                             ;   Parent Loop BB156_19 Depth=1
                                        ;     Parent Loop BB156_22 Depth=2
                                        ;       Parent Loop BB156_32 Depth=3
                                        ; =>      This Inner Loop Header: Depth=4
	scratch_load_dwordx4 v[14:17], off, s26
	s_sub_i32 s43, s14, s28
	s_sub_i32 s44, s41, s27
	s_mulk_i32 s44, 0xa0
	s_mulk_i32 s43, 0xa0
	s_add_i32 s43, s25, s43
	s_add_i32 s44, s25, s44
	v_mov_b32_e32 v9, s43
	v_mov_b32_e32 v18, s44
	ds_read_b64 v[22:23], v9
	ds_read_b64 v[18:19], v18
	s_add_i32 s28, s28, 2
	s_add_i32 s27, s27, 2
	s_add_i32 s29, s29, -2
	s_waitcnt lgkmcnt(1)
	v_mov_b32_e32 v20, v22
	s_waitcnt lgkmcnt(0)
	v_mov_b32_e32 v21, v18
	v_mov_b32_e32 v18, v23
	v_pk_mul_f32 v[22:23], v[18:19], v[12:13]
	v_pk_mul_f32 v[18:19], v[18:19], v[10:11]
	v_pk_fma_f32 v[22:23], v[20:21], v[10:11], v[22:23] neg_lo:[0,0,1] neg_hi:[0,0,1]
	v_pk_fma_f32 v[18:19], v[20:21], v[12:13], v[18:19]
	s_waitcnt vmcnt(0)
	v_mov_b32_e32 v20, v14
	v_mov_b32_e32 v21, v16
	;; [unrolled: 1-line block ×3, first 2 shown]
	v_pk_add_f32 v[20:21], v[20:21], v[22:23] neg_lo:[0,1] neg_hi:[0,1]
	v_pk_add_f32 v[16:17], v[16:17], v[18:19] neg_lo:[0,1] neg_hi:[0,1]
	v_mov_b32_e32 v14, v20
	v_mov_b32_e32 v15, v16
	;; [unrolled: 1-line block ×3, first 2 shown]
	scratch_store_dwordx4 off, v[14:17], s26
	s_add_i32 s26, s26, 16
	s_cmp_lg_u32 s29, 0
	s_cbranch_scc1 .LBB156_34
; %bb.35:                               ;   in Loop: Header=BB156_32 Depth=3
	s_mov_b64 s[26:27], s[22:23]
	s_mov_b32 s28, s36
	s_branch .LBB156_38
.LBB156_36:                             ;   in Loop: Header=BB156_32 Depth=3
	s_waitcnt vmcnt(0) lgkmcnt(0)
	v_mov_b32_e32 v8, v7
	s_mov_b64 s[26:27], 0
	s_mov_b32 s28, s36
	s_cbranch_execz .LBB156_38
; %bb.37:                               ;   in Loop: Header=BB156_32 Depth=3
	s_mov_b64 s[26:27], -1
	s_mov_b32 s28, 0
.LBB156_38:                             ;   in Loop: Header=BB156_32 Depth=3
	s_andn2_b64 vcc, exec, s[26:27]
	s_cbranch_vccnz .LBB156_31
; %bb.39:                               ;   in Loop: Header=BB156_32 Depth=3
	s_mul_i32 s26, s28, 0xffffff60
	v_mov_b32_e32 v9, v7
	v_mov_b32_e32 v7, v6
	s_sub_i32 s25, s35, s28
	s_add_i32 s26, s42, s26
	s_lshl_b32 s27, s28, 3
.LBB156_40:                             ;   Parent Loop BB156_19 Depth=1
                                        ;     Parent Loop BB156_22 Depth=2
                                        ;       Parent Loop BB156_32 Depth=3
                                        ; =>      This Inner Loop Header: Depth=4
	scratch_load_dwordx2 v[10:11], off, s27
	v_mov_b32_e32 v12, s26
	ds_read_b64 v[12:13], v12
	s_add_i32 s25, s25, -1
	s_addk_i32 s26, 0xff60
	s_waitcnt lgkmcnt(0)
	v_pk_mul_f32 v[14:15], v[12:13], v[8:9] op_sel:[1,0] op_sel_hi:[0,1]
	v_pk_fma_f32 v[16:17], v[12:13], v[6:7], v[14:15] neg_lo:[0,0,1] neg_hi:[0,0,1]
	v_pk_fma_f32 v[12:13], v[12:13], v[6:7], v[14:15]
	s_nop 0
	v_mov_b32_e32 v17, v13
	s_waitcnt vmcnt(0)
	v_pk_add_f32 v[10:11], v[10:11], v[16:17] neg_lo:[0,1] neg_hi:[0,1]
	scratch_store_dwordx2 off, v[10:11], s27
	s_add_i32 s27, s27, 8
	s_cmp_eq_u32 s25, 0
	s_cbranch_scc0 .LBB156_40
	s_branch .LBB156_31
.LBB156_41:                             ;   in Loop: Header=BB156_22 Depth=2
	s_mov_b32 s14, 0
	s_mov_b32 s41, s39
	s_branch .LBB156_43
.LBB156_42:                             ;   in Loop: Header=BB156_43 Depth=3
	s_mulk_i32 s26, 0xa8
	v_mov_b32_e32 v7, s26
	ds_read_b64 v[10:11], v7
	s_lshl_b32 s26, s14, 3
	s_add_i32 s14, s14, 1
	s_addk_i32 s41, 0xff60
	v_lshl_add_u64 v[12:13], s[24:25], 3, v[0:1]
	s_waitcnt lgkmcnt(0)
	v_pk_mul_f32 v[8:9], v[10:11], v[8:9] op_sel:[1,0] op_sel_hi:[0,0]
	v_pk_fma_f32 v[14:15], v[10:11], v[6:7], v[8:9] neg_lo:[0,0,1] neg_hi:[0,0,1]
	v_pk_fma_f32 v[6:7], v[10:11], v[6:7], v[8:9] op_sel_hi:[1,0,1]
	s_cmp_eq_u32 s14, s35
	v_mov_b32_e32 v15, v7
	scratch_store_dwordx2 off, v[14:15], s26
	flat_store_dwordx2 v[12:13], v[14:15]
	s_cbranch_scc1 .LBB156_21
.LBB156_43:                             ;   Parent Loop BB156_19 Depth=1
                                        ;     Parent Loop BB156_22 Depth=2
                                        ; =>    This Loop Header: Depth=3
                                        ;         Child Loop BB156_45 Depth 4
	s_cmp_lg_u32 s14, 0
	s_cbranch_scc0 .LBB156_47
; %bb.44:                               ;   in Loop: Header=BB156_43 Depth=3
	s_lshl_b32 s24, s14, 3
	scratch_load_dwordx2 v[6:7], off, s24
	s_mov_b32 s25, 0
	s_mov_b32 s26, s41
	;; [unrolled: 1-line block ×3, first 2 shown]
.LBB156_45:                             ;   Parent Loop BB156_19 Depth=1
                                        ;     Parent Loop BB156_22 Depth=2
                                        ;       Parent Loop BB156_43 Depth=3
                                        ; =>      This Inner Loop Header: Depth=4
	scratch_load_dwordx2 v[8:9], off, s25
	v_mov_b32_e32 v10, s26
	ds_read_b64 v[10:11], v10
	s_add_i32 s27, s27, -1
	s_add_i32 s26, s26, -8
	s_add_i32 s25, s25, 8
	s_cmp_eq_u32 s27, 0
	s_waitcnt vmcnt(0) lgkmcnt(0)
	v_pk_mul_f32 v[12:13], v[10:11], v[8:9] op_sel:[1,1] op_sel_hi:[0,1]
	v_pk_fma_f32 v[14:15], v[10:11], v[8:9], v[12:13] neg_lo:[0,0,1] neg_hi:[0,0,1]
	v_pk_fma_f32 v[8:9], v[10:11], v[8:9], v[12:13] op_sel_hi:[1,0,1]
	s_nop 0
	v_mov_b32_e32 v15, v9
	v_pk_add_f32 v[6:7], v[6:7], v[14:15] neg_lo:[0,1] neg_hi:[0,1]
	scratch_store_dwordx2 off, v[6:7], s24
	s_cbranch_scc0 .LBB156_45
; %bb.46:                               ;   in Loop: Header=BB156_43 Depth=3
	s_sub_i32 s26, s18, s14
	s_ashr_i32 s27, s26, 31
	v_mov_b32_e32 v8, v7
	s_mov_b64 s[24:25], s[26:27]
	s_branch .LBB156_42
.LBB156_47:                             ;   in Loop: Header=BB156_43 Depth=3
                                        ; implicit-def: $vgpr6
                                        ; implicit-def: $vgpr8
                                        ; implicit-def: $sgpr26
                                        ; implicit-def: $sgpr24_sgpr25
	s_cbranch_execz .LBB156_42
; %bb.48:                               ;   in Loop: Header=BB156_43 Depth=3
	scratch_load_dwordx2 v[6:7], off, off
	s_mov_b64 s[24:25], s[18:19]
	s_mov_b32 s26, s18
	s_waitcnt vmcnt(0)
	v_mov_b32_e32 v8, v7
	s_branch .LBB156_42
.LBB156_49:
	s_mov_b64 s[0:1], 0
.LBB156_50:
	s_and_b64 vcc, exec, s[0:1]
	s_cbranch_vccz .LBB156_83
; %bb.51:
	s_add_u32 s0, s8, s6
	s_addc_u32 s1, s9, s7
	s_mov_b32 s7, 0
	s_mov_b32 s2, s12
	;; [unrolled: 1-line block ×7, first 2 shown]
	v_lshl_add_u64 v[2:3], v[2:3], 3, s[0:1]
	s_mov_b32 s22, s7
	s_mov_b32 s8, s7
	s_branch .LBB156_53
.LBB156_52:                             ;   in Loop: Header=BB156_53 Depth=1
	s_cmp_ge_i32 s22, s30
	s_cselect_b64 s[0:1], -1, 0
	s_add_i32 s8, s8, 1
	s_cmp_eq_u32 s8, 3
	s_cselect_b64 s[14:15], -1, 0
	s_or_b64 s[0:1], s[0:1], s[14:15]
	s_and_b64 vcc, exec, s[0:1]
	s_cbranch_vccnz .LBB156_83
.LBB156_53:                             ; =>This Loop Header: Depth=1
                                        ;     Child Loop BB156_56 Depth 2
                                        ;       Child Loop BB156_58 Depth 3
                                        ;       Child Loop BB156_62 Depth 3
	;; [unrolled: 1-line block ×3, first 2 shown]
                                        ;         Child Loop BB156_68 Depth 4
                                        ;         Child Loop BB156_74 Depth 4
                                        ;       Child Loop BB156_77 Depth 3
                                        ;         Child Loop BB156_79 Depth 4
	s_mov_b32 s9, s7
	s_lshl_b64 s[0:1], s[8:9], 2
	s_getpc_b64 s[14:15]
	s_add_u32 s14, s14, __const._ZL30rocblas_trsm_small_left_deviceILi20ELi20ELb1E19rocblas_complex_numIfES1_PKPKS1_PKPS1_Ev13rocblas_fill_18rocblas_operation_17rocblas_diagonal_iiT3_T4_lilT5_lili.step_sizes@rel32@lo+4
	s_addc_u32 s15, s15, __const._ZL30rocblas_trsm_small_left_deviceILi20ELi20ELb1E19rocblas_complex_numIfES1_PKPKS1_PKPS1_Ev13rocblas_fill_18rocblas_operation_17rocblas_diagonal_iiT3_T4_lilT5_lili.step_sizes@rel32@hi+12
	s_add_u32 s0, s14, s0
	s_addc_u32 s1, s15, s1
	s_load_dword s9, s[0:1], 0x0
	s_waitcnt lgkmcnt(0)
	s_add_i32 s23, s9, -1
	s_add_i32 s0, s23, s22
	s_cmp_ge_i32 s0, s30
	s_cbranch_scc1 .LBB156_52
; %bb.54:                               ;   in Loop: Header=BB156_53 Depth=1
	s_max_i32 s24, s9, 1
	s_cmp_lg_u32 s8, 2
	s_cselect_b64 s[14:15], -1, 0
	s_and_b32 s25, s24, 0x7ffffffe
	s_cmp_lg_u32 s24, s25
	v_cndmask_b32_e64 v4, 0, 1, s[14:15]
	s_cselect_b64 s[16:17], -1, 0
	s_ashr_i32 s26, s22, 31
	s_ashr_i32 s27, s9, 31
	s_lshl_b32 s28, s22, 3
	s_lshl_b32 s29, s9, 3
	s_mul_i32 s31, s22, 0xa8
	s_mul_i32 s33, s9, 0xa8
	v_cmp_ne_u32_e64 s[0:1], 1, v4
	s_branch .LBB156_56
.LBB156_55:                             ;   in Loop: Header=BB156_56 Depth=2
	s_add_u32 s22, s22, s9
	s_addc_u32 s26, s26, s27
	s_add_i32 s6, s23, s22
	s_add_i32 s28, s28, s29
	;; [unrolled: 1-line block ×3, first 2 shown]
	s_cmp_ge_i32 s6, s30
	s_cbranch_scc1 .LBB156_52
.LBB156_56:                             ;   Parent Loop BB156_53 Depth=1
                                        ; =>  This Loop Header: Depth=2
                                        ;       Child Loop BB156_58 Depth 3
                                        ;       Child Loop BB156_62 Depth 3
	;; [unrolled: 1-line block ×3, first 2 shown]
                                        ;         Child Loop BB156_68 Depth 4
                                        ;         Child Loop BB156_74 Depth 4
                                        ;       Child Loop BB156_77 Depth 3
                                        ;         Child Loop BB156_79 Depth 4
	s_and_b64 vcc, exec, s[0:1]
	s_cbranch_vccnz .LBB156_60
; %bb.57:                               ;   in Loop: Header=BB156_56 Depth=2
	s_mov_b32 s6, 0
	s_mov_b32 s20, s22
	;; [unrolled: 1-line block ×6, first 2 shown]
.LBB156_58:                             ;   Parent Loop BB156_53 Depth=1
                                        ;     Parent Loop BB156_56 Depth=2
                                        ; =>    This Inner Loop Header: Depth=3
	s_add_i32 s18, s35, s20
	s_add_i32 s38, s34, s21
	s_ashr_i32 s19, s18, 31
	s_ashr_i32 s39, s38, 31
	v_lshl_add_u64 v[4:5], s[18:19], 3, v[0:1]
	v_lshl_add_u64 v[6:7], s[38:39], 3, v[0:1]
	flat_load_dwordx2 v[10:11], v[4:5]
	flat_load_dwordx2 v[8:9], v[6:7]
	s_add_i32 s35, s35, 2
	s_add_i32 s34, s34, 2
	s_add_i32 s36, s36, -2
	s_mov_b32 s37, s25
	s_mov_b64 s[18:19], s[16:17]
	s_waitcnt vmcnt(0) lgkmcnt(0)
	v_mov_b32_e32 v4, v10
	v_mov_b32_e32 v5, v8
	v_mov_b32_e32 v8, v11
	v_pk_mul_f32 v[6:7], v[8:9], s[4:5]
	v_pk_mul_f32 v[8:9], v[8:9], s[2:3]
	v_pk_fma_f32 v[10:11], v[4:5], s[2:3], v[6:7] neg_lo:[0,0,1] neg_hi:[0,0,1]
	v_pk_fma_f32 v[6:7], v[4:5], s[4:5], v[8:9]
	v_mov_b32_e32 v4, v10
	v_mov_b32_e32 v5, v6
	;; [unrolled: 1-line block ×3, first 2 shown]
	scratch_store_dwordx4 off, v[4:7], s6
	s_add_i32 s6, s6, 16
	s_cmp_lg_u32 s36, 0
	s_cbranch_scc1 .LBB156_58
; %bb.59:                               ;   in Loop: Header=BB156_56 Depth=2
	s_and_b64 vcc, exec, s[18:19]
	s_cbranch_vccnz .LBB156_61
	s_branch .LBB156_63
.LBB156_60:                             ;   in Loop: Header=BB156_56 Depth=2
	s_mov_b32 s37, 0
	s_cbranch_execz .LBB156_63
.LBB156_61:                             ;   in Loop: Header=BB156_56 Depth=2
	s_sub_i32 s6, s24, s37
	s_add_u32 s18, s22, s37
	s_addc_u32 s19, s26, 0
	v_lshl_add_u64 v[4:5], s[18:19], 3, v[2:3]
	s_lshl_b32 s18, s37, 3
.LBB156_62:                             ;   Parent Loop BB156_53 Depth=1
                                        ;     Parent Loop BB156_56 Depth=2
                                        ; =>    This Inner Loop Header: Depth=3
	flat_load_dwordx2 v[6:7], v[4:5]
	s_add_i32 s6, s6, -1
	v_lshl_add_u64 v[4:5], v[4:5], 0, 8
	s_waitcnt vmcnt(0) lgkmcnt(0)
	v_pk_mul_f32 v[8:9], v[6:7], s[10:11] op_sel:[1,0]
	s_nop 0
	v_pk_fma_f32 v[10:11], v[6:7], s[12:13], v[8:9] neg_lo:[0,0,1] neg_hi:[0,0,1]
	v_pk_fma_f32 v[6:7], v[6:7], s[12:13], v[8:9] op_sel_hi:[0,1,1]
	v_mov_b32_e32 v11, v7
	scratch_store_dwordx2 off, v[10:11], s18
	s_add_i32 s18, s18, 8
	s_cmp_eq_u32 s6, 0
	s_cbranch_scc0 .LBB156_62
.LBB156_63:                             ;   in Loop: Header=BB156_56 Depth=2
	s_cmp_lt_i32 s22, 1
	s_cbranch_scc1 .LBB156_75
; %bb.64:                               ;   in Loop: Header=BB156_56 Depth=2
	s_mov_b32 s6, 0
	s_mov_b32 s34, s28
	s_branch .LBB156_66
.LBB156_65:                             ;   in Loop: Header=BB156_66 Depth=3
	s_add_i32 s6, s6, 1
	s_addk_i32 s34, 0xa0
	s_cmp_eq_u32 s6, s22
	s_cbranch_scc1 .LBB156_75
.LBB156_66:                             ;   Parent Loop BB156_53 Depth=1
                                        ;     Parent Loop BB156_56 Depth=2
                                        ; =>    This Loop Header: Depth=3
                                        ;         Child Loop BB156_68 Depth 4
                                        ;         Child Loop BB156_74 Depth 4
	v_lshl_add_u64 v[4:5], s[6:7], 3, v[0:1]
	flat_load_dwordx2 v[4:5], v[4:5]
	s_and_b64 vcc, exec, s[14:15]
	s_cbranch_vccz .LBB156_70
; %bb.67:                               ;   in Loop: Header=BB156_66 Depth=3
	s_waitcnt vmcnt(0) lgkmcnt(0)
	v_mov_b32_e32 v8, v4
	v_mov_b32_e32 v9, v4
	;; [unrolled: 1-line block ×3, first 2 shown]
	s_mov_b32 s18, 0
	v_mov_b32_e32 v10, v5
	v_mov_b32_e32 v11, v5
	s_mov_b32 s19, s25
	s_mov_b32 s20, s34
.LBB156_68:                             ;   Parent Loop BB156_53 Depth=1
                                        ;     Parent Loop BB156_56 Depth=2
                                        ;       Parent Loop BB156_66 Depth=3
                                        ; =>      This Inner Loop Header: Depth=4
	scratch_load_dwordx4 v[12:15], off, s18
	v_mov_b32_e32 v7, s20
	ds_read2_b64 v[16:19], v7 offset1:1
	s_add_i32 s20, s20, 16
	s_add_i32 s19, s19, -2
	s_waitcnt lgkmcnt(0)
	v_mov_b32_e32 v21, v18
	v_mov_b32_e32 v18, v17
	;; [unrolled: 1-line block ×3, first 2 shown]
	v_pk_mul_f32 v[16:17], v[18:19], v[10:11]
	v_pk_mul_f32 v[18:19], v[18:19], v[8:9]
	v_pk_fma_f32 v[16:17], v[20:21], v[8:9], v[16:17] neg_lo:[0,0,1] neg_hi:[0,0,1]
	v_pk_fma_f32 v[18:19], v[20:21], v[10:11], v[18:19]
	s_waitcnt vmcnt(0)
	v_mov_b32_e32 v20, v12
	v_mov_b32_e32 v21, v14
	;; [unrolled: 1-line block ×3, first 2 shown]
	v_pk_add_f32 v[16:17], v[20:21], v[16:17] neg_lo:[0,1] neg_hi:[0,1]
	v_pk_add_f32 v[14:15], v[14:15], v[18:19] neg_lo:[0,1] neg_hi:[0,1]
	v_mov_b32_e32 v12, v16
	v_mov_b32_e32 v13, v14
	;; [unrolled: 1-line block ×3, first 2 shown]
	scratch_store_dwordx4 off, v[12:15], s18
	s_add_i32 s18, s18, 16
	s_cmp_lg_u32 s19, 0
	s_cbranch_scc1 .LBB156_68
; %bb.69:                               ;   in Loop: Header=BB156_66 Depth=3
	s_mov_b64 s[18:19], s[16:17]
	s_mov_b32 s20, s25
	s_branch .LBB156_72
.LBB156_70:                             ;   in Loop: Header=BB156_66 Depth=3
	s_waitcnt vmcnt(0) lgkmcnt(0)
	v_mov_b32_e32 v6, v5
	s_mov_b64 s[18:19], 0
	s_mov_b32 s20, s25
	s_cbranch_execz .LBB156_72
; %bb.71:                               ;   in Loop: Header=BB156_66 Depth=3
	s_mov_b64 s[18:19], -1
	s_mov_b32 s20, 0
.LBB156_72:                             ;   in Loop: Header=BB156_66 Depth=3
	s_andn2_b64 vcc, exec, s[18:19]
	s_cbranch_vccnz .LBB156_65
; %bb.73:                               ;   in Loop: Header=BB156_66 Depth=3
	v_mov_b32_e32 v7, v5
	v_mov_b32_e32 v5, v4
	s_sub_i32 s18, s24, s20
	s_lshl_b32 s19, s20, 3
.LBB156_74:                             ;   Parent Loop BB156_53 Depth=1
                                        ;     Parent Loop BB156_56 Depth=2
                                        ;       Parent Loop BB156_66 Depth=3
                                        ; =>      This Inner Loop Header: Depth=4
	scratch_load_dwordx2 v[8:9], off, s19
	s_add_i32 s21, s34, s19
	v_mov_b32_e32 v10, s21
	ds_read_b64 v[10:11], v10
	s_mov_b32 s20, s19
	s_add_i32 s18, s18, -1
	s_add_i32 s19, s19, 8
	s_cmp_eq_u32 s18, 0
	s_waitcnt lgkmcnt(0)
	v_pk_mul_f32 v[12:13], v[10:11], v[6:7] op_sel:[1,0] op_sel_hi:[0,1]
	v_pk_fma_f32 v[14:15], v[10:11], v[4:5], v[12:13] neg_lo:[0,0,1] neg_hi:[0,0,1]
	v_pk_fma_f32 v[10:11], v[10:11], v[4:5], v[12:13]
	s_nop 0
	v_mov_b32_e32 v15, v11
	s_waitcnt vmcnt(0)
	v_pk_add_f32 v[8:9], v[8:9], v[14:15] neg_lo:[0,1] neg_hi:[0,1]
	scratch_store_dwordx2 off, v[8:9], s20
	s_cbranch_scc0 .LBB156_74
	s_branch .LBB156_65
.LBB156_75:                             ;   in Loop: Header=BB156_56 Depth=2
	s_mov_b32 s6, 0
	s_mov_b32 s20, s31
	s_branch .LBB156_77
.LBB156_76:                             ;   in Loop: Header=BB156_77 Depth=3
	s_add_i32 s18, s6, s22
	s_mul_i32 s19, s18, 0xa8
	v_mov_b32_e32 v5, s19
	ds_read_b64 v[8:9], v5
	s_lshl_b32 s21, s6, 3
	s_ashr_i32 s19, s18, 31
	s_add_i32 s6, s6, 1
	s_add_i32 s20, s20, 8
	s_waitcnt lgkmcnt(0)
	v_pk_mul_f32 v[6:7], v[8:9], v[6:7] op_sel:[1,0] op_sel_hi:[0,0]
	v_pk_fma_f32 v[10:11], v[8:9], v[4:5], v[6:7] neg_lo:[0,0,1] neg_hi:[0,0,1]
	v_pk_fma_f32 v[4:5], v[8:9], v[4:5], v[6:7] op_sel_hi:[1,0,1]
	s_cmp_eq_u32 s6, s24
	v_mov_b32_e32 v11, v5
	v_lshl_add_u64 v[4:5], s[18:19], 3, v[0:1]
	scratch_store_dwordx2 off, v[10:11], s21
	flat_store_dwordx2 v[4:5], v[10:11]
	s_cbranch_scc1 .LBB156_55
.LBB156_77:                             ;   Parent Loop BB156_53 Depth=1
                                        ;     Parent Loop BB156_56 Depth=2
                                        ; =>    This Loop Header: Depth=3
                                        ;         Child Loop BB156_79 Depth 4
	s_cmp_lg_u32 s6, 0
	s_cbranch_scc0 .LBB156_81
; %bb.78:                               ;   in Loop: Header=BB156_77 Depth=3
	s_lshl_b32 s18, s6, 3
	scratch_load_dwordx2 v[4:5], off, s18
	s_mov_b32 s19, 0
	s_mov_b32 s21, s20
	;; [unrolled: 1-line block ×3, first 2 shown]
.LBB156_79:                             ;   Parent Loop BB156_53 Depth=1
                                        ;     Parent Loop BB156_56 Depth=2
                                        ;       Parent Loop BB156_77 Depth=3
                                        ; =>      This Inner Loop Header: Depth=4
	scratch_load_dwordx2 v[6:7], off, s19
	v_mov_b32_e32 v8, s21
	ds_read_b64 v[8:9], v8
	s_add_i32 s34, s34, -1
	s_addk_i32 s21, 0xa0
	s_add_i32 s19, s19, 8
	s_cmp_eq_u32 s34, 0
	s_waitcnt vmcnt(0) lgkmcnt(0)
	v_pk_mul_f32 v[10:11], v[8:9], v[6:7] op_sel:[1,1] op_sel_hi:[0,1]
	v_pk_fma_f32 v[12:13], v[8:9], v[6:7], v[10:11] neg_lo:[0,0,1] neg_hi:[0,0,1]
	v_pk_fma_f32 v[6:7], v[8:9], v[6:7], v[10:11] op_sel_hi:[1,0,1]
	s_nop 0
	v_mov_b32_e32 v13, v7
	v_pk_add_f32 v[4:5], v[4:5], v[12:13] neg_lo:[0,1] neg_hi:[0,1]
	scratch_store_dwordx2 off, v[4:5], s18
	s_cbranch_scc0 .LBB156_79
; %bb.80:                               ;   in Loop: Header=BB156_77 Depth=3
	v_mov_b32_e32 v6, v5
	s_branch .LBB156_76
.LBB156_81:                             ;   in Loop: Header=BB156_77 Depth=3
                                        ; implicit-def: $vgpr4
                                        ; implicit-def: $vgpr6
	s_cbranch_execz .LBB156_76
; %bb.82:                               ;   in Loop: Header=BB156_77 Depth=3
	scratch_load_dwordx2 v[4:5], off, off
	s_waitcnt vmcnt(0)
	v_mov_b32_e32 v6, v5
	s_branch .LBB156_76
.LBB156_83:
	s_endpgm
	.section	.rodata,"a",@progbits
	.p2align	6, 0x0
	.amdhsa_kernel _ZL30rocblas_trsm_small_left_deviceILi20ELi20ELb1E19rocblas_complex_numIfES1_PKPKS1_PKPS1_Ev13rocblas_fill_18rocblas_operation_17rocblas_diagonal_iiT3_T4_lilT5_lili
		.amdhsa_group_segment_fixed_size 3200
		.amdhsa_private_segment_fixed_size 176
		.amdhsa_kernarg_size 360
		.amdhsa_user_sgpr_count 2
		.amdhsa_user_sgpr_dispatch_ptr 0
		.amdhsa_user_sgpr_queue_ptr 0
		.amdhsa_user_sgpr_kernarg_segment_ptr 1
		.amdhsa_user_sgpr_dispatch_id 0
		.amdhsa_user_sgpr_kernarg_preload_length 0
		.amdhsa_user_sgpr_kernarg_preload_offset 0
		.amdhsa_user_sgpr_private_segment_size 0
		.amdhsa_uses_dynamic_stack 0
		.amdhsa_enable_private_segment 1
		.amdhsa_system_sgpr_workgroup_id_x 1
		.amdhsa_system_sgpr_workgroup_id_y 0
		.amdhsa_system_sgpr_workgroup_id_z 1
		.amdhsa_system_sgpr_workgroup_info 0
		.amdhsa_system_vgpr_workitem_id 0
		.amdhsa_next_free_vgpr 24
		.amdhsa_next_free_sgpr 45
		.amdhsa_accum_offset 24
		.amdhsa_reserve_vcc 1
		.amdhsa_float_round_mode_32 0
		.amdhsa_float_round_mode_16_64 0
		.amdhsa_float_denorm_mode_32 3
		.amdhsa_float_denorm_mode_16_64 3
		.amdhsa_dx10_clamp 1
		.amdhsa_ieee_mode 1
		.amdhsa_fp16_overflow 0
		.amdhsa_tg_split 0
		.amdhsa_exception_fp_ieee_invalid_op 0
		.amdhsa_exception_fp_denorm_src 0
		.amdhsa_exception_fp_ieee_div_zero 0
		.amdhsa_exception_fp_ieee_overflow 0
		.amdhsa_exception_fp_ieee_underflow 0
		.amdhsa_exception_fp_ieee_inexact 0
		.amdhsa_exception_int_div_zero 0
	.end_amdhsa_kernel
	.section	.text._ZL30rocblas_trsm_small_left_deviceILi20ELi20ELb1E19rocblas_complex_numIfES1_PKPKS1_PKPS1_Ev13rocblas_fill_18rocblas_operation_17rocblas_diagonal_iiT3_T4_lilT5_lili,"axG",@progbits,_ZL30rocblas_trsm_small_left_deviceILi20ELi20ELb1E19rocblas_complex_numIfES1_PKPKS1_PKPS1_Ev13rocblas_fill_18rocblas_operation_17rocblas_diagonal_iiT3_T4_lilT5_lili,comdat
.Lfunc_end156:
	.size	_ZL30rocblas_trsm_small_left_deviceILi20ELi20ELb1E19rocblas_complex_numIfES1_PKPKS1_PKPS1_Ev13rocblas_fill_18rocblas_operation_17rocblas_diagonal_iiT3_T4_lilT5_lili, .Lfunc_end156-_ZL30rocblas_trsm_small_left_deviceILi20ELi20ELb1E19rocblas_complex_numIfES1_PKPKS1_PKPS1_Ev13rocblas_fill_18rocblas_operation_17rocblas_diagonal_iiT3_T4_lilT5_lili
                                        ; -- End function
	.set _ZL30rocblas_trsm_small_left_deviceILi20ELi20ELb1E19rocblas_complex_numIfES1_PKPKS1_PKPS1_Ev13rocblas_fill_18rocblas_operation_17rocblas_diagonal_iiT3_T4_lilT5_lili.num_vgpr, 24
	.set _ZL30rocblas_trsm_small_left_deviceILi20ELi20ELb1E19rocblas_complex_numIfES1_PKPKS1_PKPS1_Ev13rocblas_fill_18rocblas_operation_17rocblas_diagonal_iiT3_T4_lilT5_lili.num_agpr, 0
	.set _ZL30rocblas_trsm_small_left_deviceILi20ELi20ELb1E19rocblas_complex_numIfES1_PKPKS1_PKPS1_Ev13rocblas_fill_18rocblas_operation_17rocblas_diagonal_iiT3_T4_lilT5_lili.numbered_sgpr, 45
	.set _ZL30rocblas_trsm_small_left_deviceILi20ELi20ELb1E19rocblas_complex_numIfES1_PKPKS1_PKPS1_Ev13rocblas_fill_18rocblas_operation_17rocblas_diagonal_iiT3_T4_lilT5_lili.num_named_barrier, 0
	.set _ZL30rocblas_trsm_small_left_deviceILi20ELi20ELb1E19rocblas_complex_numIfES1_PKPKS1_PKPS1_Ev13rocblas_fill_18rocblas_operation_17rocblas_diagonal_iiT3_T4_lilT5_lili.private_seg_size, 176
	.set _ZL30rocblas_trsm_small_left_deviceILi20ELi20ELb1E19rocblas_complex_numIfES1_PKPKS1_PKPS1_Ev13rocblas_fill_18rocblas_operation_17rocblas_diagonal_iiT3_T4_lilT5_lili.uses_vcc, 1
	.set _ZL30rocblas_trsm_small_left_deviceILi20ELi20ELb1E19rocblas_complex_numIfES1_PKPKS1_PKPS1_Ev13rocblas_fill_18rocblas_operation_17rocblas_diagonal_iiT3_T4_lilT5_lili.uses_flat_scratch, 0
	.set _ZL30rocblas_trsm_small_left_deviceILi20ELi20ELb1E19rocblas_complex_numIfES1_PKPKS1_PKPS1_Ev13rocblas_fill_18rocblas_operation_17rocblas_diagonal_iiT3_T4_lilT5_lili.has_dyn_sized_stack, 0
	.set _ZL30rocblas_trsm_small_left_deviceILi20ELi20ELb1E19rocblas_complex_numIfES1_PKPKS1_PKPS1_Ev13rocblas_fill_18rocblas_operation_17rocblas_diagonal_iiT3_T4_lilT5_lili.has_recursion, 0
	.set _ZL30rocblas_trsm_small_left_deviceILi20ELi20ELb1E19rocblas_complex_numIfES1_PKPKS1_PKPS1_Ev13rocblas_fill_18rocblas_operation_17rocblas_diagonal_iiT3_T4_lilT5_lili.has_indirect_call, 0
	.section	.AMDGPU.csdata,"",@progbits
; Kernel info:
; codeLenInByte = 3428
; TotalNumSgprs: 51
; NumVgprs: 24
; NumAgprs: 0
; TotalNumVgprs: 24
; ScratchSize: 176
; MemoryBound: 0
; FloatMode: 240
; IeeeMode: 1
; LDSByteSize: 3200 bytes/workgroup (compile time only)
; SGPRBlocks: 6
; VGPRBlocks: 2
; NumSGPRsForWavesPerEU: 51
; NumVGPRsForWavesPerEU: 24
; AccumOffset: 24
; Occupancy: 8
; WaveLimiterHint : 1
; COMPUTE_PGM_RSRC2:SCRATCH_EN: 1
; COMPUTE_PGM_RSRC2:USER_SGPR: 2
; COMPUTE_PGM_RSRC2:TRAP_HANDLER: 0
; COMPUTE_PGM_RSRC2:TGID_X_EN: 1
; COMPUTE_PGM_RSRC2:TGID_Y_EN: 0
; COMPUTE_PGM_RSRC2:TGID_Z_EN: 1
; COMPUTE_PGM_RSRC2:TIDIG_COMP_CNT: 0
; COMPUTE_PGM_RSRC3_GFX90A:ACCUM_OFFSET: 5
; COMPUTE_PGM_RSRC3_GFX90A:TG_SPLIT: 0
	.section	.text._ZL31rocblas_trsm_small_right_deviceI19rocblas_complex_numIfES1_PKPKS1_PKPS1_Li20EEv13rocblas_fill_18rocblas_operation_17rocblas_diagonal_iiT0_T1_lilT2_lili,"axG",@progbits,_ZL31rocblas_trsm_small_right_deviceI19rocblas_complex_numIfES1_PKPKS1_PKPS1_Li20EEv13rocblas_fill_18rocblas_operation_17rocblas_diagonal_iiT0_T1_lilT2_lili,comdat
	.globl	_ZL31rocblas_trsm_small_right_deviceI19rocblas_complex_numIfES1_PKPKS1_PKPS1_Li20EEv13rocblas_fill_18rocblas_operation_17rocblas_diagonal_iiT0_T1_lilT2_lili ; -- Begin function _ZL31rocblas_trsm_small_right_deviceI19rocblas_complex_numIfES1_PKPKS1_PKPS1_Li20EEv13rocblas_fill_18rocblas_operation_17rocblas_diagonal_iiT0_T1_lilT2_lili
	.p2align	8
	.type	_ZL31rocblas_trsm_small_right_deviceI19rocblas_complex_numIfES1_PKPKS1_PKPS1_Li20EEv13rocblas_fill_18rocblas_operation_17rocblas_diagonal_iiT0_T1_lilT2_lili,@function
_ZL31rocblas_trsm_small_right_deviceI19rocblas_complex_numIfES1_PKPKS1_PKPS1_Li20EEv13rocblas_fill_18rocblas_operation_17rocblas_diagonal_iiT0_T1_lilT2_lili: ; @_ZL31rocblas_trsm_small_right_deviceI19rocblas_complex_numIfES1_PKPKS1_PKPS1_Li20EEv13rocblas_fill_18rocblas_operation_17rocblas_diagonal_iiT0_T1_lilT2_lili
; %bb.0:
	s_load_dwordx4 s[12:15], s[0:1], 0x40
	s_load_dwordx8 s[4:11], s[0:1], 0x0
	s_mov_b32 s16, s3
	s_mov_b32 s17, 0
	s_lshl_b64 s[20:21], s[16:17], 3
	s_waitcnt lgkmcnt(0)
	s_add_u32 s12, s12, s20
	s_addc_u32 s13, s13, s21
	s_load_dwordx2 s[12:13], s[12:13], 0x0
	s_min_i32 s26, s8, 20
	v_cmp_gt_i32_e32 vcc, s26, v0
	s_and_saveexec_b64 s[16:17], vcc
	s_cbranch_execz .LBB157_9
; %bb.1:
	s_load_dword s22, s[0:1], 0x30
	s_load_dwordx4 s[28:31], s[0:1], 0x20
	v_lshlrev_b32_e32 v2, 3, v0
	v_mov_b32_e32 v3, 0
	v_mov_b32_e32 v1, v2
	s_waitcnt lgkmcnt(0)
	s_ashr_i32 s23, s22, 31
	s_cmpk_lg_i32 s5, 0x71
	s_cselect_b64 s[18:19], -1, 0
	s_add_u32 s20, s28, s20
	s_addc_u32 s21, s29, s21
	s_load_dwordx2 s[20:21], s[20:21], 0x0
	s_lshl_b64 s[24:25], s[30:31], 3
	s_mov_b32 s3, s26
	s_waitcnt lgkmcnt(0)
	s_add_u32 s24, s20, s24
	s_addc_u32 s25, s21, s25
	s_lshl_b64 s[20:21], s[22:23], 3
	v_lshl_add_u64 v[4:5], s[24:25], 0, v[2:3]
	s_branch .LBB157_3
.LBB157_2:                              ;   in Loop: Header=BB157_3 Depth=1
	flat_load_dword v6, v[4:5]
	s_add_i32 s3, s3, -1
	v_lshl_add_u64 v[4:5], v[4:5], 0, s[20:21]
	s_cmp_eq_u32 s3, 0
	s_waitcnt vmcnt(0) lgkmcnt(0)
	ds_write_b64 v1, v[6:7]
	v_add_u32_e32 v1, 0xa0, v1
	s_cbranch_scc1 .LBB157_7
.LBB157_3:                              ; =>This Inner Loop Header: Depth=1
	s_mov_b64 s[22:23], -1
	s_and_b64 vcc, exec, s[18:19]
                                        ; implicit-def: $vgpr7
	s_cbranch_vccz .LBB157_5
; %bb.4:                                ;   in Loop: Header=BB157_3 Depth=1
	flat_load_dword v7, v[4:5] offset:4
	s_mov_b64 s[22:23], 0
.LBB157_5:                              ;   in Loop: Header=BB157_3 Depth=1
	s_andn2_b64 vcc, exec, s[22:23]
	s_cbranch_vccnz .LBB157_2
; %bb.6:                                ;   in Loop: Header=BB157_3 Depth=1
	flat_load_dword v3, v[4:5] offset:4
	s_waitcnt vmcnt(0) lgkmcnt(0)
	v_xor_b32_e32 v7, 0x80000000, v3
	s_branch .LBB157_2
.LBB157_7:
	s_cmpk_eq_i32 s6, 0x84
	s_cbranch_scc0 .LBB157_9
; %bb.8:
	s_movk_i32 s3, 0xa0
	v_mad_u32_u24 v1, v0, s3, v2
	v_mov_b32_e32 v2, 1.0
	v_mov_b32_e32 v3, 0
	ds_write_b64 v1, v[2:3]
.LBB157_9:
	s_or_b64 exec, exec, s[16:17]
	s_load_dword s3, s[0:1], 0x68
	s_load_dword s6, s[0:1], 0x50
	s_lshl_b64 s[18:19], s[14:15], 3
	s_waitcnt lgkmcnt(0)
	s_add_u32 s0, s12, s18
	s_mul_i32 s11, s2, 0xffffffec
	s_addc_u32 s1, s13, s19
	s_add_i32 s3, s3, -1
	s_add_i32 s7, s7, s11
	s_cmp_ge_u32 s2, s3
	s_mul_i32 s28, s2, 0xa0
	s_cselect_b32 s7, s7, 20
	s_mul_hi_i32 s27, s2, 0xa0
	s_add_u32 s2, s0, s28
	s_addc_u32 s3, s1, s27
	v_cmp_gt_i32_e64 s[0:1], s7, v0
	s_and_saveexec_b64 s[14:15], s[0:1]
	s_cbranch_execz .LBB157_18
; %bb.10:
	s_cmp_lt_i32 s8, 1
	s_cbranch_scc1 .LBB157_18
; %bb.11:
	s_cmp_eq_u32 s8, 1
	s_cselect_b64 s[20:21], -1, 0
	s_cmp_lg_u32 s6, 1
	s_cselect_b64 s[22:23], -1, 0
	s_or_b64 s[20:21], s[20:21], s[22:23]
	s_mov_b32 s16, s9
	s_mov_b32 s17, s10
	v_mov_b32_e32 v3, 0
	s_and_b64 vcc, exec, s[20:21]
	s_cbranch_vccnz .LBB157_15
; %bb.12:
	v_lshlrev_b32_e32 v2, 3, v0
	v_mov_b32_e32 v1, 0xc80
	s_and_b32 s29, s8, 0x7ffffffe
	s_mov_b32 s25, 0
	v_lshl_add_u64 v[2:3], s[2:3], 0, v[2:3]
	v_lshl_add_u32 v1, v0, 3, v1
	s_mov_b32 s20, s16
	s_mov_b32 s21, s9
	;; [unrolled: 1-line block ×6, first 2 shown]
.LBB157_13:                             ; =>This Inner Loop Header: Depth=1
	v_lshl_add_u64 v[4:5], s[24:25], 3, v[2:3]
	s_mov_b32 s23, s25
	v_lshl_add_u64 v[6:7], s[22:23], 3, v[2:3]
	flat_load_dwordx2 v[12:13], v[4:5]
	flat_load_dwordx2 v[8:9], v[6:7]
	s_mul_i32 s23, s22, 0xa0
	s_mul_i32 s30, s24, 0xa0
	s_add_i32 s24, s24, 2
	s_add_i32 s7, s7, -2
	s_add_i32 s22, s22, 2
	v_add_u32_e32 v10, s30, v1
	s_cmp_lg_u32 s7, 0
	v_add_u32_e32 v11, s23, v1
	s_waitcnt vmcnt(0) lgkmcnt(0)
	v_mov_b32_e32 v4, v12
	v_mov_b32_e32 v5, v8
	;; [unrolled: 1-line block ×3, first 2 shown]
	v_pk_mul_f32 v[6:7], s[10:11], v[8:9]
	v_pk_mul_f32 v[8:9], s[20:21], v[8:9]
	v_pk_fma_f32 v[6:7], s[20:21], v[4:5], v[6:7] neg_lo:[0,0,1] neg_hi:[0,0,1]
	v_pk_fma_f32 v[4:5], s[10:11], v[4:5], v[8:9]
	ds_write_b32 v10, v6
	ds_write_b32 v11, v7
	ds_write_b32 v10, v4 offset:4
	ds_write_b32 v11, v5 offset:4
	s_cbranch_scc1 .LBB157_13
; %bb.14:
	s_cmp_lg_u32 s8, s29
	s_cselect_b64 s[20:21], -1, 0
	s_and_b64 vcc, exec, s[20:21]
	s_cbranch_vccnz .LBB157_16
	s_branch .LBB157_18
.LBB157_15:
	s_mov_b32 s29, 0
	s_cbranch_execz .LBB157_18
.LBB157_16:
	s_mul_hi_i32 s21, s6, s29
	s_mul_i32 s20, s6, s29
	s_ashr_i32 s7, s6, 31
	s_mov_b32 s11, s9
	s_sub_i32 s9, s8, s29
	s_lshl_b64 s[20:21], s[20:21], 3
	s_add_u32 s20, s20, s28
	s_addc_u32 s21, s21, s27
	s_add_u32 s18, s20, s18
	s_addc_u32 s19, s21, s19
	s_add_u32 s12, s12, s18
	v_lshlrev_b32_e32 v2, 3, v0
	v_mov_b32_e32 v3, 0
	s_addc_u32 s13, s13, s19
	v_lshl_add_u64 v[2:3], s[12:13], 0, v[2:3]
	s_lshl_b64 s[12:13], s[6:7], 3
	s_mul_i32 s7, s29, 0xa0
	v_lshl_add_u32 v1, v0, 3, s7
	v_add_u32_e32 v1, 0xc80, v1
.LBB157_17:                             ; =>This Inner Loop Header: Depth=1
	flat_load_dwordx2 v[4:5], v[2:3]
	s_add_i32 s9, s9, -1
	v_lshl_add_u64 v[2:3], v[2:3], 0, s[12:13]
	s_cmp_lg_u32 s9, 0
	s_waitcnt vmcnt(0) lgkmcnt(0)
	v_pk_mul_f32 v[6:7], s[10:11], v[4:5] op_sel:[0,1]
	s_nop 0
	v_pk_fma_f32 v[8:9], s[16:17], v[4:5], v[6:7] neg_lo:[0,0,1] neg_hi:[0,0,1]
	v_pk_fma_f32 v[4:5], s[16:17], v[4:5], v[6:7] op_sel_hi:[1,0,1]
	s_nop 0
	v_mov_b32_e32 v9, v5
	ds_write_b64 v1, v[8:9]
	v_add_u32_e32 v1, 0xa0, v1
	s_cbranch_scc1 .LBB157_17
.LBB157_18:
	s_or_b64 exec, exec, s[14:15]
	s_cmpk_eq_i32 s5, 0x6f
	s_cselect_b64 s[12:13], -1, 0
	s_cmpk_lg_i32 s4, 0x79
	s_cselect_b64 s[10:11], -1, 0
	s_cmpk_eq_i32 s4, 0x79
	s_cselect_b64 s[14:15], -1, 0
	s_and_b64 s[14:15], s[14:15], s[12:13]
	s_andn2_b64 vcc, exec, s[14:15]
	s_mov_b64 s[14:15], -1
	s_waitcnt lgkmcnt(0)
	; wave barrier
	s_cbranch_vccz .LBB157_119
; %bb.19:
	s_cmpk_lg_i32 s4, 0x7a
	s_cselect_b64 s[4:5], -1, 0
	s_xor_b64 s[12:13], s[12:13], -1
	s_add_i32 s7, s26, -1
	s_or_b64 s[12:13], s[4:5], s[12:13]
	v_mov_b32_e32 v1, 0xc80
	s_cmp_gt_i32 s8, 3
	v_lshl_add_u32 v1, v0, 3, v1
	s_cselect_b64 s[4:5], -1, 0
	s_and_b64 vcc, exec, s[12:13]
	s_cbranch_vccz .LBB157_86
; %bb.20:
	s_andn2_b64 vcc, exec, s[10:11]
	s_mov_b64 s[10:11], -1
	s_cbranch_vccnz .LBB157_53
; %bb.21:
	s_andn2_b64 vcc, exec, s[4:5]
	s_mov_b32 s13, 0
	s_cbranch_vccnz .LBB157_43
; %bb.22:
	v_mov_b32_e32 v2, 0xc80
	v_lshl_add_u32 v16, v0, 3, v2
	s_mov_b32 s9, 0
	s_mov_b32 s12, 0
.LBB157_23:                             ; =>This Loop Header: Depth=1
                                        ;     Child Loop BB157_24 Depth 2
	s_or_b32 s11, s12, 3
	s_mul_i32 s10, s12, 0xa0
	v_add_u32_e32 v18, s10, v1
	s_mulk_i32 s11, 0xa0
	ds_read2_b64 v[2:5], v18 offset1:20
	v_add_u32_e32 v17, s11, v1
	ds_read_b64 v[12:13], v18 offset:320
	ds_read_b64 v[10:11], v17
	s_cmp_eq_u32 s12, 0
	v_mov_b32_e32 v6, v16
	s_mov_b32 s11, s9
	s_mov_b32 s13, s12
	s_cbranch_scc1 .LBB157_25
.LBB157_24:                             ;   Parent Loop BB157_23 Depth=1
                                        ; =>  This Inner Loop Header: Depth=2
	v_mov_b32_e32 v7, s11
	ds_read_b64 v[8:9], v6
	ds_read_b128 v[20:23], v7
	ds_read_b128 v[24:27], v7 offset:16
	s_add_i32 s13, s13, -1
	s_addk_i32 s11, 0xa0
	v_add_u32_e32 v6, 0xa0, v6
	s_waitcnt lgkmcnt(1)
	v_mul_f32_e32 v7, v21, v9
	v_mul_f32_e32 v19, v20, v9
	;; [unrolled: 1-line block ×4, first 2 shown]
	s_waitcnt lgkmcnt(0)
	v_pk_mul_f32 v[14:15], v[24:25], v[8:9] op_sel:[0,1]
	v_pk_mul_f32 v[28:29], v[26:27], v[8:9] op_sel:[0,1]
	v_fma_f32 v7, v20, v8, -v7
	v_fmac_f32_e32 v19, v21, v8
	v_fma_f32 v30, v22, v8, -v30
	v_fmac_f32_e32 v31, v22, v9
	v_pk_fma_f32 v[20:21], v[24:25], v[8:9], v[14:15] op_sel:[0,0,1] op_sel_hi:[1,1,0] neg_lo:[0,0,1] neg_hi:[0,0,1]
	v_pk_fma_f32 v[14:15], v[24:25], v[8:9], v[14:15] op_sel:[0,0,1] op_sel_hi:[1,0,0]
	v_pk_fma_f32 v[22:23], v[26:27], v[8:9], v[28:29] op_sel:[0,0,1] op_sel_hi:[1,1,0] neg_lo:[0,0,1] neg_hi:[0,0,1]
	v_pk_fma_f32 v[8:9], v[26:27], v[8:9], v[28:29] op_sel:[0,0,1] op_sel_hi:[1,0,0]
	v_mov_b32_e32 v21, v15
	v_mov_b32_e32 v23, v9
	s_cmp_eq_u32 s13, 0
	v_sub_f32_e32 v2, v2, v7
	v_sub_f32_e32 v3, v3, v19
	;; [unrolled: 1-line block ×4, first 2 shown]
	v_pk_add_f32 v[12:13], v[12:13], v[20:21] neg_lo:[0,1] neg_hi:[0,1]
	v_pk_add_f32 v[10:11], v[10:11], v[22:23] neg_lo:[0,1] neg_hi:[0,1]
	s_cbranch_scc0 .LBB157_24
.LBB157_25:                             ;   in Loop: Header=BB157_23 Depth=1
	s_lshl_b32 s13, s12, 3
	s_add_i32 s14, s13, s10
	v_mov_b32_e32 v6, s14
	ds_read_b64 v[6:7], v6
	s_mov_b64 s[10:11], -1
                                        ; implicit-def: $vgpr15
	s_waitcnt lgkmcnt(0)
	v_cmp_ngt_f32_e64 s[16:17], |v6|, |v7|
	s_and_b64 vcc, exec, s[16:17]
	s_cbranch_vccz .LBB157_27
; %bb.26:                               ;   in Loop: Header=BB157_23 Depth=1
	v_div_scale_f32 v8, s[10:11], v7, v7, v6
	v_rcp_f32_e32 v9, v8
	v_div_scale_f32 v14, vcc, v6, v7, v6
	v_fma_f32 v15, -v8, v9, 1.0
	v_fmac_f32_e32 v9, v15, v9
	v_mul_f32_e32 v15, v14, v9
	v_fma_f32 v19, -v8, v15, v14
	v_fmac_f32_e32 v15, v19, v9
	v_fma_f32 v8, -v8, v15, v14
	v_div_fmas_f32 v8, v8, v9, v15
	v_div_fixup_f32 v8, v8, v7, v6
	v_fma_f32 v9, v6, v8, v7
	v_div_scale_f32 v14, s[10:11], v9, v9, 1.0
	v_rcp_f32_e32 v15, v14
	s_mov_b64 s[10:11], 0
	v_fma_f32 v19, -v14, v15, 1.0
	v_fmac_f32_e32 v15, v19, v15
	v_div_scale_f32 v19, vcc, 1.0, v9, 1.0
	v_mul_f32_e32 v20, v19, v15
	v_fma_f32 v21, -v14, v20, v19
	v_fmac_f32_e32 v20, v21, v15
	v_fma_f32 v14, -v14, v20, v19
	v_div_fmas_f32 v14, v14, v15, v20
	v_div_fixup_f32 v9, v14, v9, 1.0
	v_fma_f32 v14, v2, v8, v3
	v_fma_f32 v8, v3, v8, -v2
	v_mul_f32_e32 v14, v14, v9
	v_mul_f32_e32 v15, v8, v9
.LBB157_27:                             ;   in Loop: Header=BB157_23 Depth=1
	s_andn2_b64 vcc, exec, s[10:11]
	s_cbranch_vccnz .LBB157_29
; %bb.28:                               ;   in Loop: Header=BB157_23 Depth=1
	v_div_scale_f32 v8, s[10:11], v6, v6, v7
	v_rcp_f32_e32 v9, v8
	v_div_scale_f32 v14, vcc, v7, v6, v7
	v_fma_f32 v15, -v8, v9, 1.0
	v_fmac_f32_e32 v9, v15, v9
	v_mul_f32_e32 v15, v14, v9
	v_fma_f32 v19, -v8, v15, v14
	v_fmac_f32_e32 v15, v19, v9
	v_fma_f32 v8, -v8, v15, v14
	v_div_fmas_f32 v8, v8, v9, v15
	v_div_fixup_f32 v8, v8, v6, v7
	v_fmac_f32_e32 v6, v7, v8
	v_div_scale_f32 v7, s[10:11], v6, v6, 1.0
	v_rcp_f32_e32 v9, v7
	s_nop 0
	v_fma_f32 v14, -v7, v9, 1.0
	v_fmac_f32_e32 v9, v14, v9
	v_div_scale_f32 v14, vcc, 1.0, v6, 1.0
	v_mul_f32_e32 v15, v14, v9
	v_fma_f32 v19, -v7, v15, v14
	v_fmac_f32_e32 v15, v19, v9
	v_fma_f32 v7, -v7, v15, v14
	v_div_fmas_f32 v7, v7, v9, v15
	v_div_fixup_f32 v6, v7, v6, 1.0
	v_fma_f32 v7, v3, v8, v2
	v_fma_f32 v2, -v2, v8, v3
	v_mul_f32_e32 v14, v7, v6
	v_mul_f32_e32 v15, v2, v6
.LBB157_29:                             ;   in Loop: Header=BB157_23 Depth=1
	v_mov_b32_e32 v2, s14
	ds_read2_b64 v[6:9], v2 offset0:1 offset1:21
	s_mov_b64 s[10:11], -1
	ds_write_b64 v18, v[14:15]
	s_waitcnt lgkmcnt(1)
	v_mul_f32_e32 v2, v15, v7
	v_mul_f32_e32 v3, v14, v7
	v_fma_f32 v2, v14, v6, -v2
	v_fmac_f32_e32 v3, v15, v6
	v_cmp_ngt_f32_e64 s[16:17], |v8|, |v9|
	v_sub_f32_e32 v2, v4, v2
	v_sub_f32_e32 v3, v5, v3
	s_and_b64 vcc, exec, s[16:17]
                                        ; implicit-def: $vgpr7
	s_cbranch_vccz .LBB157_31
; %bb.30:                               ;   in Loop: Header=BB157_23 Depth=1
	v_div_scale_f32 v4, s[10:11], v9, v9, v8
	v_rcp_f32_e32 v5, v4
	v_div_scale_f32 v6, vcc, v8, v9, v8
	v_fma_f32 v7, -v4, v5, 1.0
	v_fmac_f32_e32 v5, v7, v5
	v_mul_f32_e32 v7, v6, v5
	v_fma_f32 v19, -v4, v7, v6
	v_fmac_f32_e32 v7, v19, v5
	v_fma_f32 v4, -v4, v7, v6
	v_div_fmas_f32 v4, v4, v5, v7
	v_div_fixup_f32 v4, v4, v9, v8
	v_fma_f32 v5, v8, v4, v9
	v_div_scale_f32 v6, s[10:11], v5, v5, 1.0
	v_rcp_f32_e32 v7, v6
	s_mov_b64 s[10:11], 0
	v_fma_f32 v19, -v6, v7, 1.0
	v_fmac_f32_e32 v7, v19, v7
	v_div_scale_f32 v19, vcc, 1.0, v5, 1.0
	v_mul_f32_e32 v20, v19, v7
	v_fma_f32 v21, -v6, v20, v19
	v_fmac_f32_e32 v20, v21, v7
	v_fma_f32 v6, -v6, v20, v19
	v_div_fmas_f32 v6, v6, v7, v20
	v_div_fixup_f32 v5, v6, v5, 1.0
	v_fma_f32 v6, v4, v2, v3
	v_fma_f32 v4, v4, v3, -v2
	v_mul_f32_e32 v6, v6, v5
	v_mul_f32_e32 v7, v4, v5
.LBB157_31:                             ;   in Loop: Header=BB157_23 Depth=1
	s_andn2_b64 vcc, exec, s[10:11]
	s_cbranch_vccnz .LBB157_33
; %bb.32:                               ;   in Loop: Header=BB157_23 Depth=1
	v_div_scale_f32 v4, s[10:11], v8, v8, v9
	v_rcp_f32_e32 v5, v4
	v_div_scale_f32 v6, vcc, v9, v8, v9
	v_fma_f32 v7, -v4, v5, 1.0
	v_fmac_f32_e32 v5, v7, v5
	v_mul_f32_e32 v7, v6, v5
	v_fma_f32 v19, -v4, v7, v6
	v_fmac_f32_e32 v7, v19, v5
	v_fma_f32 v4, -v4, v7, v6
	v_div_fmas_f32 v4, v4, v5, v7
	v_div_fixup_f32 v4, v4, v8, v9
	v_fmac_f32_e32 v8, v9, v4
	v_div_scale_f32 v5, s[10:11], v8, v8, 1.0
	v_rcp_f32_e32 v6, v5
	s_nop 0
	v_fma_f32 v7, -v5, v6, 1.0
	v_fmac_f32_e32 v6, v7, v6
	v_div_scale_f32 v7, vcc, 1.0, v8, 1.0
	v_mul_f32_e32 v9, v7, v6
	v_fma_f32 v19, -v5, v9, v7
	v_fmac_f32_e32 v9, v19, v6
	v_fma_f32 v5, -v5, v9, v7
	v_div_fmas_f32 v5, v5, v6, v9
	v_div_fixup_f32 v5, v5, v8, 1.0
	v_fma_f32 v6, v4, v3, v2
	v_fma_f32 v2, -v4, v2, v3
	v_mul_f32_e32 v6, v6, v5
	v_mul_f32_e32 v7, v2, v5
.LBB157_33:                             ;   in Loop: Header=BB157_23 Depth=1
	s_add_i32 s15, s14, 0xa8
	s_or_b32 s10, s13, 8
	v_mov_b32_e32 v2, s14
	s_sub_i32 s16, s15, s10
	ds_read2_b64 v[2:5], v2 offset0:2 offset1:42
	s_add_i32 s16, s16, s13
	v_mov_b32_e32 v19, s16
	ds_read_b64 v[22:23], v19 offset:16
	v_mov_b32_e32 v8, v15
	s_waitcnt lgkmcnt(1)
	v_pk_mul_f32 v[8:9], v[8:9], v[2:3] op_sel_hi:[0,1]
	v_pk_fma_f32 v[20:21], v[14:15], v[2:3], v[8:9] op_sel:[0,0,1] op_sel_hi:[1,1,0] neg_lo:[0,0,1] neg_hi:[0,0,1]
	v_pk_fma_f32 v[2:3], v[14:15], v[2:3], v[8:9] op_sel:[0,0,1] op_sel_hi:[0,1,0]
	v_mov_b32_e32 v8, v7
	v_mov_b32_e32 v21, v3
	s_waitcnt lgkmcnt(0)
	v_pk_mul_f32 v[8:9], v[8:9], v[22:23] op_sel_hi:[0,1]
	v_pk_add_f32 v[2:3], v[12:13], v[20:21] neg_lo:[0,1] neg_hi:[0,1]
	v_pk_fma_f32 v[12:13], v[6:7], v[22:23], v[8:9] op_sel:[0,0,1] op_sel_hi:[1,1,0] neg_lo:[0,0,1] neg_hi:[0,0,1]
	v_pk_fma_f32 v[8:9], v[6:7], v[22:23], v[8:9] op_sel:[0,0,1] op_sel_hi:[0,1,0]
	v_mov_b32_e32 v13, v9
	v_cmp_ngt_f32_e64 s[18:19], |v4|, |v5|
	v_pk_add_f32 v[2:3], v[2:3], v[12:13] neg_lo:[0,1] neg_hi:[0,1]
	s_mov_b64 s[10:11], -1
	s_and_b64 vcc, exec, s[18:19]
	ds_write_b64 v18, v[6:7] offset:160
                                        ; implicit-def: $vgpr8_vgpr9
	s_cbranch_vccz .LBB157_35
; %bb.34:                               ;   in Loop: Header=BB157_23 Depth=1
	v_div_scale_f32 v8, s[10:11], v5, v5, v4
	v_rcp_f32_e32 v9, v8
	v_div_scale_f32 v12, vcc, v4, v5, v4
	v_fma_f32 v13, -v8, v9, 1.0
	v_fmac_f32_e32 v9, v13, v9
	v_mul_f32_e32 v13, v12, v9
	v_fma_f32 v19, -v8, v13, v12
	v_fmac_f32_e32 v13, v19, v9
	v_fma_f32 v8, -v8, v13, v12
	v_div_fmas_f32 v8, v8, v9, v13
	v_div_fixup_f32 v8, v8, v5, v4
	v_fma_f32 v9, v4, v8, v5
	v_div_scale_f32 v19, s[10:11], v9, v9, 1.0
	v_rcp_f32_e32 v20, v19
	v_pk_fma_f32 v[12:13], v[8:9], v[2:3], v[2:3] op_sel:[0,0,1] op_sel_hi:[1,1,0]
	s_mov_b64 s[10:11], 0
	v_fma_f32 v13, -v19, v20, 1.0
	v_fmac_f32_e32 v20, v13, v20
	v_div_scale_f32 v13, vcc, 1.0, v9, 1.0
	v_mul_f32_e32 v21, v13, v20
	v_fma_f32 v22, -v19, v21, v13
	v_fmac_f32_e32 v21, v22, v20
	v_fma_f32 v13, -v19, v21, v13
	v_div_fmas_f32 v13, v13, v20, v21
	v_div_fixup_f32 v13, v13, v9, 1.0
	v_fma_f32 v9, v8, v3, -v2
	v_mov_b32_e32 v8, v13
	v_pk_mul_f32 v[8:9], v[12:13], v[8:9]
.LBB157_35:                             ;   in Loop: Header=BB157_23 Depth=1
	s_andn2_b64 vcc, exec, s[10:11]
	s_cbranch_vccnz .LBB157_37
; %bb.36:                               ;   in Loop: Header=BB157_23 Depth=1
	v_div_scale_f32 v8, s[10:11], v4, v4, v5
	v_rcp_f32_e32 v9, v8
	v_div_scale_f32 v12, vcc, v5, v4, v5
	v_fma_f32 v13, -v8, v9, 1.0
	v_fmac_f32_e32 v9, v13, v9
	v_mul_f32_e32 v13, v12, v9
	v_fma_f32 v19, -v8, v13, v12
	v_fmac_f32_e32 v13, v19, v9
	v_fma_f32 v8, -v8, v13, v12
	v_div_fmas_f32 v8, v8, v9, v13
	v_div_fixup_f32 v8, v8, v4, v5
	v_fma_f32 v4, v5, v8, v4
	v_div_scale_f32 v5, s[10:11], v4, v4, 1.0
	v_rcp_f32_e32 v9, v5
	s_nop 0
	v_fma_f32 v12, -v5, v9, 1.0
	v_fmac_f32_e32 v9, v12, v9
	v_div_scale_f32 v12, vcc, 1.0, v4, 1.0
	v_mul_f32_e32 v13, v12, v9
	v_fma_f32 v19, -v5, v13, v12
	v_fmac_f32_e32 v13, v19, v9
	v_fma_f32 v5, -v5, v13, v12
	v_div_fmas_f32 v5, v5, v9, v13
	v_pk_fma_f32 v[12:13], v[8:9], v[2:3], v[2:3] op_sel:[0,1,0] op_sel_hi:[1,0,1]
	v_pk_fma_f32 v[2:3], v[8:9], v[2:3], v[2:3] op_sel:[0,1,0] op_sel_hi:[0,0,1] neg_lo:[1,0,0] neg_hi:[1,0,0]
	v_div_fixup_f32 v4, v5, v4, 1.0
	v_mov_b32_e32 v13, v3
	v_pk_mul_f32 v[8:9], v[12:13], v[4:5] op_sel_hi:[1,0]
.LBB157_37:                             ;   in Loop: Header=BB157_23 Depth=1
	v_mov_b32_e32 v2, s14
	ds_read2_b64 v[2:5], v2 offset0:3 offset1:63
	v_mov_b32_e32 v12, v15
	v_mov_b32_e32 v13, v15
	;; [unrolled: 1-line block ×3, first 2 shown]
	s_or_b32 s10, s13, 16
	s_waitcnt lgkmcnt(0)
	v_pk_mul_f32 v[12:13], v[12:13], v[2:3]
	ds_write_b64 v18, v[8:9] offset:320
	v_pk_fma_f32 v[18:19], v[14:15], v[2:3], v[12:13] op_sel:[0,0,1] op_sel_hi:[1,1,0] neg_lo:[0,0,1] neg_hi:[0,0,1]
	v_pk_fma_f32 v[2:3], v[14:15], v[2:3], v[12:13] op_sel:[0,0,1] op_sel_hi:[1,1,0]
	s_sub_i32 s10, s15, s10
	v_mov_b32_e32 v2, s16
	s_add_i32 s10, s10, s13
	ds_read_b64 v[12:13], v2 offset:24
	v_mov_b32_e32 v19, v3
	v_pk_add_f32 v[2:3], v[10:11], v[18:19] neg_lo:[0,1] neg_hi:[0,1]
	v_mov_b32_e32 v10, s10
	ds_read_b64 v[10:11], v10 offset:192
	v_mov_b32_e32 v20, v7
	v_mov_b32_e32 v21, v7
	;; [unrolled: 1-line block ×3, first 2 shown]
	s_waitcnt lgkmcnt(1)
	v_pk_mul_f32 v[14:15], v[20:21], v[12:13]
	v_cmp_ngt_f32_e64 s[14:15], |v4|, |v5|
	v_pk_fma_f32 v[18:19], v[6:7], v[12:13], v[14:15] op_sel:[0,0,1] op_sel_hi:[1,1,0] neg_lo:[0,0,1] neg_hi:[0,0,1]
	v_pk_fma_f32 v[6:7], v[6:7], v[12:13], v[14:15] op_sel:[0,0,1] op_sel_hi:[1,1,0]
	s_mov_b64 s[10:11], -1
	v_mov_b32_e32 v19, v7
	s_waitcnt lgkmcnt(0)
	v_pk_mul_f32 v[6:7], v[8:9], v[10:11] op_sel:[1,1] op_sel_hi:[1,0]
	v_pk_add_f32 v[2:3], v[2:3], v[18:19] neg_lo:[0,1] neg_hi:[0,1]
	v_pk_fma_f32 v[12:13], v[8:9], v[10:11], v[6:7] neg_lo:[0,0,1] neg_hi:[0,0,1]
	v_pk_fma_f32 v[6:7], v[8:9], v[10:11], v[6:7] op_sel_hi:[0,1,1]
	v_mov_b32_e32 v13, v7
	v_pk_add_f32 v[2:3], v[2:3], v[12:13] neg_lo:[0,1] neg_hi:[0,1]
	s_and_b64 vcc, exec, s[14:15]
                                        ; implicit-def: $vgpr6_vgpr7
	s_cbranch_vccz .LBB157_39
; %bb.38:                               ;   in Loop: Header=BB157_23 Depth=1
	v_div_scale_f32 v6, s[10:11], v5, v5, v4
	v_rcp_f32_e32 v7, v6
	v_div_scale_f32 v8, vcc, v4, v5, v4
	v_fma_f32 v9, -v6, v7, 1.0
	v_fmac_f32_e32 v7, v9, v7
	v_mul_f32_e32 v9, v8, v7
	v_fma_f32 v10, -v6, v9, v8
	v_fmac_f32_e32 v9, v10, v7
	v_fma_f32 v6, -v6, v9, v8
	v_div_fmas_f32 v6, v6, v7, v9
	v_div_fixup_f32 v6, v6, v5, v4
	v_fma_f32 v7, v4, v6, v5
	v_div_scale_f32 v10, s[10:11], v7, v7, 1.0
	v_rcp_f32_e32 v11, v10
	v_pk_fma_f32 v[8:9], v[6:7], v[2:3], v[2:3] op_sel:[0,0,1] op_sel_hi:[1,1,0]
	s_mov_b64 s[10:11], 0
	v_fma_f32 v9, -v10, v11, 1.0
	v_fmac_f32_e32 v11, v9, v11
	v_div_scale_f32 v9, vcc, 1.0, v7, 1.0
	v_mul_f32_e32 v12, v9, v11
	v_fma_f32 v13, -v10, v12, v9
	v_fmac_f32_e32 v12, v13, v11
	v_fma_f32 v9, -v10, v12, v9
	v_div_fmas_f32 v9, v9, v11, v12
	v_div_fixup_f32 v9, v9, v7, 1.0
	v_fma_f32 v7, v6, v3, -v2
	v_mov_b32_e32 v6, v9
	v_pk_mul_f32 v[6:7], v[8:9], v[6:7]
.LBB157_39:                             ;   in Loop: Header=BB157_23 Depth=1
	s_andn2_b64 vcc, exec, s[10:11]
	s_cbranch_vccnz .LBB157_41
; %bb.40:                               ;   in Loop: Header=BB157_23 Depth=1
	v_div_scale_f32 v6, s[10:11], v4, v4, v5
	v_rcp_f32_e32 v7, v6
	v_div_scale_f32 v8, vcc, v5, v4, v5
	v_fma_f32 v9, -v6, v7, 1.0
	v_fmac_f32_e32 v7, v9, v7
	v_mul_f32_e32 v9, v8, v7
	v_fma_f32 v10, -v6, v9, v8
	v_fmac_f32_e32 v9, v10, v7
	v_fma_f32 v6, -v6, v9, v8
	v_div_fmas_f32 v6, v6, v7, v9
	v_div_fixup_f32 v6, v6, v4, v5
	v_fma_f32 v4, v5, v6, v4
	v_div_scale_f32 v5, s[10:11], v4, v4, 1.0
	v_rcp_f32_e32 v7, v5
	s_nop 0
	v_fma_f32 v8, -v5, v7, 1.0
	v_fmac_f32_e32 v7, v8, v7
	v_div_scale_f32 v8, vcc, 1.0, v4, 1.0
	v_mul_f32_e32 v9, v8, v7
	v_fma_f32 v10, -v5, v9, v8
	v_fmac_f32_e32 v9, v10, v7
	v_fma_f32 v5, -v5, v9, v8
	v_div_fmas_f32 v5, v5, v7, v9
	v_pk_fma_f32 v[8:9], v[6:7], v[2:3], v[2:3] op_sel:[0,1,0] op_sel_hi:[1,0,1]
	v_pk_fma_f32 v[2:3], v[6:7], v[2:3], v[2:3] op_sel:[0,1,0] op_sel_hi:[0,0,1] neg_lo:[1,0,0] neg_hi:[1,0,0]
	v_div_fixup_f32 v4, v5, v4, 1.0
	v_mov_b32_e32 v9, v3
	v_pk_mul_f32 v[6:7], v[8:9], v[4:5] op_sel_hi:[1,0]
.LBB157_41:                             ;   in Loop: Header=BB157_23 Depth=1
	s_add_i32 s13, s12, 4
	s_add_i32 s10, s12, 7
	;; [unrolled: 1-line block ×3, first 2 shown]
	s_cmp_ge_i32 s10, s26
	ds_write_b64 v17, v[6:7]
	s_cbranch_scc1 .LBB157_43
; %bb.42:                               ;   in Loop: Header=BB157_23 Depth=1
	s_mov_b32 s12, s13
	s_branch .LBB157_23
.LBB157_43:
	s_cmp_ge_i32 s13, s26
	s_cbranch_scc1 .LBB157_52
; %bb.44:
	v_mov_b32_e32 v2, 0xc80
	s_lshl_b32 s9, s13, 3
	v_lshl_add_u32 v8, v0, 3, v2
	s_branch .LBB157_46
.LBB157_45:                             ;   in Loop: Header=BB157_46 Depth=1
	s_add_i32 s13, s13, 1
	s_add_i32 s9, s9, 8
	s_cmp_ge_i32 s13, s26
	ds_write_b64 v9, v[6:7]
	s_cbranch_scc1 .LBB157_52
.LBB157_46:                             ; =>This Loop Header: Depth=1
                                        ;     Child Loop BB157_47 Depth 2
	s_mul_i32 s10, s13, 0xa0
	v_add_u32_e32 v9, s10, v1
	ds_read_b64 v[2:3], v9
	s_cmp_eq_u32 s13, 0
	v_mov_b32_e32 v4, v8
	s_mov_b32 s11, s9
	s_mov_b32 s12, s13
	s_cbranch_scc1 .LBB157_48
.LBB157_47:                             ;   Parent Loop BB157_46 Depth=1
                                        ; =>  This Inner Loop Header: Depth=2
	v_mov_b32_e32 v5, s11
	ds_read_b64 v[6:7], v4
	ds_read_b64 v[10:11], v5
	s_add_i32 s12, s12, -1
	s_addk_i32 s11, 0xa0
	v_add_u32_e32 v4, 0xa0, v4
	s_cmp_eq_u32 s12, 0
	s_waitcnt lgkmcnt(0)
	v_pk_mul_f32 v[12:13], v[10:11], v[6:7] op_sel:[1,1] op_sel_hi:[0,1]
	v_pk_fma_f32 v[14:15], v[10:11], v[6:7], v[12:13] op_sel_hi:[1,0,1]
	v_pk_fma_f32 v[6:7], v[10:11], v[6:7], v[12:13] op_sel_hi:[1,0,1] neg_lo:[0,0,1] neg_hi:[0,0,1]
	s_nop 0
	v_mov_b32_e32 v7, v15
	v_pk_add_f32 v[2:3], v[2:3], v[6:7] neg_lo:[0,1] neg_hi:[0,1]
	s_cbranch_scc0 .LBB157_47
.LBB157_48:                             ;   in Loop: Header=BB157_46 Depth=1
	s_lshl_b32 s11, s13, 3
	s_add_i32 s10, s11, s10
	v_mov_b32_e32 v4, s10
	ds_read_b64 v[4:5], v4
	s_mov_b64 s[10:11], -1
                                        ; implicit-def: $vgpr6_vgpr7
	s_waitcnt lgkmcnt(0)
	v_cmp_ngt_f32_e64 s[14:15], |v4|, |v5|
	s_and_b64 vcc, exec, s[14:15]
	s_cbranch_vccz .LBB157_50
; %bb.49:                               ;   in Loop: Header=BB157_46 Depth=1
	v_div_scale_f32 v6, s[10:11], v5, v5, v4
	v_rcp_f32_e32 v7, v6
	v_div_scale_f32 v10, vcc, v4, v5, v4
	v_fma_f32 v11, -v6, v7, 1.0
	v_fmac_f32_e32 v7, v11, v7
	v_mul_f32_e32 v11, v10, v7
	v_fma_f32 v12, -v6, v11, v10
	v_fmac_f32_e32 v11, v12, v7
	v_fma_f32 v6, -v6, v11, v10
	v_div_fmas_f32 v6, v6, v7, v11
	v_div_fixup_f32 v6, v6, v5, v4
	v_fma_f32 v7, v4, v6, v5
	v_div_scale_f32 v10, s[10:11], v7, v7, 1.0
	v_rcp_f32_e32 v11, v10
	s_mov_b64 s[10:11], 0
	v_fma_f32 v12, -v10, v11, 1.0
	v_fmac_f32_e32 v11, v12, v11
	v_div_scale_f32 v12, vcc, 1.0, v7, 1.0
	v_mul_f32_e32 v13, v12, v11
	v_fma_f32 v14, -v10, v13, v12
	v_fmac_f32_e32 v13, v14, v11
	v_fma_f32 v10, -v10, v13, v12
	v_div_fmas_f32 v10, v10, v11, v13
	v_div_fixup_f32 v10, v10, v7, 1.0
	v_pk_fma_f32 v[12:13], v[2:3], v[6:7], v[2:3] op_sel:[0,0,1] op_sel_hi:[1,0,0] neg_lo:[0,0,1] neg_hi:[0,0,1]
	v_pk_fma_f32 v[6:7], v[2:3], v[6:7], v[2:3] op_sel:[0,0,1] op_sel_hi:[1,0,0]
	s_nop 0
	v_mov_b32_e32 v7, v13
	v_pk_mul_f32 v[6:7], v[6:7], v[10:11] op_sel_hi:[1,0]
.LBB157_50:                             ;   in Loop: Header=BB157_46 Depth=1
	s_andn2_b64 vcc, exec, s[10:11]
	s_cbranch_vccnz .LBB157_45
; %bb.51:                               ;   in Loop: Header=BB157_46 Depth=1
	v_div_scale_f32 v6, s[10:11], v4, v4, v5
	v_rcp_f32_e32 v7, v6
	v_div_scale_f32 v10, vcc, v5, v4, v5
	v_fma_f32 v11, -v6, v7, 1.0
	v_fmac_f32_e32 v7, v11, v7
	v_mul_f32_e32 v11, v10, v7
	v_fma_f32 v12, -v6, v11, v10
	v_fmac_f32_e32 v11, v12, v7
	v_fma_f32 v6, -v6, v11, v10
	v_div_fmas_f32 v6, v6, v7, v11
	v_div_fixup_f32 v6, v6, v4, v5
	v_fmac_f32_e32 v4, v5, v6
	v_div_scale_f32 v5, s[10:11], v4, v4, 1.0
	v_rcp_f32_e32 v7, v5
	s_nop 0
	v_fma_f32 v10, -v5, v7, 1.0
	v_fmac_f32_e32 v7, v10, v7
	v_div_scale_f32 v10, vcc, 1.0, v4, 1.0
	v_mul_f32_e32 v11, v10, v7
	v_fma_f32 v12, -v5, v11, v10
	v_fmac_f32_e32 v11, v12, v7
	v_fma_f32 v5, -v5, v11, v10
	v_div_fmas_f32 v5, v5, v7, v11
	v_pk_fma_f32 v[10:11], v[2:3], v[6:7], v[2:3] op_sel:[1,0,0] op_sel_hi:[0,0,1] neg_lo:[1,0,0] neg_hi:[1,0,0]
	v_pk_fma_f32 v[2:3], v[2:3], v[6:7], v[2:3] op_sel:[1,0,0] op_sel_hi:[0,0,1]
	v_div_fixup_f32 v4, v5, v4, 1.0
	v_mov_b32_e32 v3, v11
	v_pk_mul_f32 v[6:7], v[2:3], v[4:5] op_sel_hi:[1,0]
	s_branch .LBB157_45
.LBB157_52:
	s_mov_b64 s[10:11], 0
.LBB157_53:
	s_and_b64 vcc, exec, s[10:11]
	s_cbranch_vccz .LBB157_85
; %bb.54:
	s_andn2_b64 vcc, exec, s[4:5]
	s_mov_b32 s13, s7
	s_cbranch_vccnz .LBB157_76
; %bb.55:
	s_mul_i32 s10, s26, 0xa0
	v_lshl_add_u32 v2, v0, 3, s10
	s_mul_i32 s9, s26, 0xa8
	v_add_u32_e32 v14, 0xbe0, v2
	s_mov_b32 s12, s7
.LBB157_56:                             ; =>This Loop Header: Depth=1
                                        ;     Child Loop BB157_57 Depth 2
	s_mul_i32 s10, s12, 0xa0
	v_add_u32_e32 v18, s10, v1
	s_add_i32 s13, s10, 0xfffffe20
	v_add_u32_e32 v17, 0xffffff60, v18
	v_add_u32_e32 v16, 0xfffffec0, v18
	;; [unrolled: 1-line block ×3, first 2 shown]
	ds_read_b64 v[10:11], v18
	ds_read_b64 v[8:9], v17
	;; [unrolled: 1-line block ×4, first 2 shown]
	s_cmp_le_i32 s7, s12
	v_mov_b32_e32 v6, v14
	s_mov_b32 s11, s9
	s_mov_b32 s14, s7
	s_cbranch_scc1 .LBB157_58
.LBB157_57:                             ;   Parent Loop BB157_56 Depth=1
                                        ; =>  This Inner Loop Header: Depth=2
	s_add_i32 s15, s11, 0xffffff50
	s_add_i32 s16, s11, 0xffffff40
	v_mov_b32_e32 v7, s15
	ds_read_b64 v[12:13], v6
	v_mov_b32_e32 v19, s16
	ds_read2_b64 v[20:23], v7 offset1:1
	ds_read2_b64 v[24:27], v19 offset1:1
	s_add_i32 s14, s14, -1
	s_addk_i32 s11, 0xff60
	v_add_u32_e32 v6, 0xffffff60, v6
	s_waitcnt lgkmcnt(1)
	v_mul_f32_e32 v7, v23, v13
	v_mul_f32_e32 v19, v22, v13
	;; [unrolled: 1-line block ×4, first 2 shown]
	s_waitcnt lgkmcnt(0)
	v_pk_mul_f32 v[28:29], v[26:27], v[12:13] op_sel:[0,1]
	v_pk_mul_f32 v[30:31], v[24:25], v[12:13] op_sel:[0,1]
	v_fma_f32 v7, v22, v12, -v7
	v_fmac_f32_e32 v19, v23, v12
	v_fma_f32 v32, v20, v12, -v32
	v_fmac_f32_e32 v33, v20, v13
	v_pk_fma_f32 v[20:21], v[26:27], v[12:13], v[28:29] op_sel:[0,0,1] op_sel_hi:[1,1,0] neg_lo:[0,0,1] neg_hi:[0,0,1]
	v_pk_fma_f32 v[22:23], v[26:27], v[12:13], v[28:29] op_sel:[0,0,1] op_sel_hi:[1,0,0]
	v_pk_fma_f32 v[26:27], v[24:25], v[12:13], v[30:31] op_sel:[0,0,1] op_sel_hi:[1,1,0] neg_lo:[0,0,1] neg_hi:[0,0,1]
	v_pk_fma_f32 v[12:13], v[24:25], v[12:13], v[30:31] op_sel:[0,0,1] op_sel_hi:[1,0,0]
	v_mov_b32_e32 v21, v23
	v_mov_b32_e32 v27, v13
	s_cmp_le_i32 s14, s12
	v_sub_f32_e32 v10, v10, v7
	v_sub_f32_e32 v11, v11, v19
	v_sub_f32_e32 v8, v8, v32
	v_sub_f32_e32 v9, v9, v33
	v_pk_add_f32 v[4:5], v[4:5], v[20:21] neg_lo:[0,1] neg_hi:[0,1]
	v_pk_add_f32 v[2:3], v[2:3], v[26:27] neg_lo:[0,1] neg_hi:[0,1]
	s_cbranch_scc0 .LBB157_57
.LBB157_58:                             ;   in Loop: Header=BB157_56 Depth=1
	s_lshl_b32 s16, s12, 3
	s_add_i32 s15, s16, s10
	v_mov_b32_e32 v6, s15
	ds_read_b64 v[12:13], v6
	s_add_i32 s14, s12, -3
	s_mov_b64 s[10:11], -1
                                        ; implicit-def: $vgpr7
	s_waitcnt lgkmcnt(0)
	v_cmp_ngt_f32_e64 s[18:19], |v12|, |v13|
	s_and_b64 vcc, exec, s[18:19]
	s_cbranch_vccz .LBB157_60
; %bb.59:                               ;   in Loop: Header=BB157_56 Depth=1
	v_div_scale_f32 v6, s[10:11], v13, v13, v12
	v_rcp_f32_e32 v7, v6
	v_div_scale_f32 v19, vcc, v12, v13, v12
	v_fma_f32 v20, -v6, v7, 1.0
	v_fmac_f32_e32 v7, v20, v7
	v_mul_f32_e32 v20, v19, v7
	v_fma_f32 v21, -v6, v20, v19
	v_fmac_f32_e32 v20, v21, v7
	v_fma_f32 v6, -v6, v20, v19
	v_div_fmas_f32 v6, v6, v7, v20
	v_div_fixup_f32 v7, v6, v13, v12
	v_fma_f32 v6, v12, v7, v13
	v_div_scale_f32 v19, s[10:11], v6, v6, 1.0
	v_rcp_f32_e32 v20, v19
	s_mov_b64 s[10:11], 0
	v_fma_f32 v21, -v19, v20, 1.0
	v_fmac_f32_e32 v20, v21, v20
	v_div_scale_f32 v21, vcc, 1.0, v6, 1.0
	v_mul_f32_e32 v22, v21, v20
	v_fma_f32 v23, -v19, v22, v21
	v_fmac_f32_e32 v22, v23, v20
	v_fma_f32 v19, -v19, v22, v21
	v_div_fmas_f32 v19, v19, v20, v22
	v_div_fixup_f32 v19, v19, v6, 1.0
	v_fma_f32 v6, v10, v7, v11
	v_fma_f32 v7, v11, v7, -v10
	v_mul_f32_e32 v6, v6, v19
	v_mul_f32_e32 v7, v7, v19
.LBB157_60:                             ;   in Loop: Header=BB157_56 Depth=1
	s_andn2_b64 vcc, exec, s[10:11]
	s_cbranch_vccnz .LBB157_62
; %bb.61:                               ;   in Loop: Header=BB157_56 Depth=1
	v_div_scale_f32 v6, s[10:11], v12, v12, v13
	v_rcp_f32_e32 v7, v6
	v_div_scale_f32 v19, vcc, v13, v12, v13
	v_fma_f32 v20, -v6, v7, 1.0
	v_fmac_f32_e32 v7, v20, v7
	v_mul_f32_e32 v20, v19, v7
	v_fma_f32 v21, -v6, v20, v19
	v_fmac_f32_e32 v20, v21, v7
	v_fma_f32 v6, -v6, v20, v19
	v_div_fmas_f32 v6, v6, v7, v20
	v_div_fixup_f32 v7, v6, v12, v13
	v_fmac_f32_e32 v12, v13, v7
	v_div_scale_f32 v6, s[10:11], v12, v12, 1.0
	v_rcp_f32_e32 v13, v6
	s_nop 0
	v_fma_f32 v19, -v6, v13, 1.0
	v_fmac_f32_e32 v13, v19, v13
	v_div_scale_f32 v19, vcc, 1.0, v12, 1.0
	v_mul_f32_e32 v20, v19, v13
	v_fma_f32 v21, -v6, v20, v19
	v_fmac_f32_e32 v20, v21, v13
	v_fma_f32 v6, -v6, v20, v19
	v_div_fmas_f32 v6, v6, v13, v20
	v_div_fixup_f32 v12, v6, v12, 1.0
	v_fma_f32 v6, v11, v7, v10
	v_fma_f32 v7, -v10, v7, v11
	v_mul_f32_e32 v6, v6, v12
	v_mul_f32_e32 v7, v7, v12
.LBB157_62:                             ;   in Loop: Header=BB157_56 Depth=1
	s_add_i32 s10, s15, -8
	v_mov_b32_e32 v10, s10
	s_add_i32 s17, s15, 0xffffff58
	ds_read_b64 v[12:13], v10
	v_mov_b32_e32 v10, s17
	ds_read_b64 v[10:11], v10
	ds_write_b64 v18, v[6:7]
	s_mov_b64 s[10:11], -1
	s_waitcnt lgkmcnt(2)
	v_mul_f32_e32 v18, v7, v13
	v_mul_f32_e32 v13, v6, v13
	v_fma_f32 v18, v6, v12, -v18
	v_fmac_f32_e32 v13, v7, v12
	s_waitcnt lgkmcnt(1)
	v_cmp_ngt_f32_e64 s[18:19], |v10|, |v11|
	v_sub_f32_e32 v12, v8, v18
	v_sub_f32_e32 v13, v9, v13
	s_and_b64 vcc, exec, s[18:19]
                                        ; implicit-def: $vgpr9
	s_cbranch_vccz .LBB157_64
; %bb.63:                               ;   in Loop: Header=BB157_56 Depth=1
	v_div_scale_f32 v8, s[10:11], v11, v11, v10
	v_rcp_f32_e32 v9, v8
	v_div_scale_f32 v18, vcc, v10, v11, v10
	v_fma_f32 v19, -v8, v9, 1.0
	v_fmac_f32_e32 v9, v19, v9
	v_mul_f32_e32 v19, v18, v9
	v_fma_f32 v20, -v8, v19, v18
	v_fmac_f32_e32 v19, v20, v9
	v_fma_f32 v8, -v8, v19, v18
	v_div_fmas_f32 v8, v8, v9, v19
	v_div_fixup_f32 v9, v8, v11, v10
	v_fma_f32 v8, v10, v9, v11
	v_div_scale_f32 v18, s[10:11], v8, v8, 1.0
	v_rcp_f32_e32 v19, v18
	s_mov_b64 s[10:11], 0
	v_fma_f32 v20, -v18, v19, 1.0
	v_fmac_f32_e32 v19, v20, v19
	v_div_scale_f32 v20, vcc, 1.0, v8, 1.0
	v_mul_f32_e32 v21, v20, v19
	v_fma_f32 v22, -v18, v21, v20
	v_fmac_f32_e32 v21, v22, v19
	v_fma_f32 v18, -v18, v21, v20
	v_div_fmas_f32 v18, v18, v19, v21
	v_div_fixup_f32 v18, v18, v8, 1.0
	v_fma_f32 v8, v9, v12, v13
	v_fma_f32 v9, v9, v13, -v12
	v_mul_f32_e32 v8, v8, v18
	v_mul_f32_e32 v9, v9, v18
.LBB157_64:                             ;   in Loop: Header=BB157_56 Depth=1
	s_andn2_b64 vcc, exec, s[10:11]
	s_cbranch_vccnz .LBB157_66
; %bb.65:                               ;   in Loop: Header=BB157_56 Depth=1
	v_div_scale_f32 v8, s[10:11], v10, v10, v11
	v_rcp_f32_e32 v9, v8
	v_div_scale_f32 v18, vcc, v11, v10, v11
	v_fma_f32 v19, -v8, v9, 1.0
	v_fmac_f32_e32 v9, v19, v9
	v_mul_f32_e32 v19, v18, v9
	v_fma_f32 v20, -v8, v19, v18
	v_fmac_f32_e32 v19, v20, v9
	v_fma_f32 v8, -v8, v19, v18
	v_div_fmas_f32 v8, v8, v9, v19
	v_div_fixup_f32 v9, v8, v10, v11
	v_fmac_f32_e32 v10, v11, v9
	v_div_scale_f32 v8, s[10:11], v10, v10, 1.0
	v_rcp_f32_e32 v11, v8
	s_nop 0
	v_fma_f32 v18, -v8, v11, 1.0
	v_fmac_f32_e32 v11, v18, v11
	v_div_scale_f32 v18, vcc, 1.0, v10, 1.0
	v_mul_f32_e32 v19, v18, v11
	v_fma_f32 v20, -v8, v19, v18
	v_fmac_f32_e32 v19, v20, v11
	v_fma_f32 v8, -v8, v19, v18
	v_div_fmas_f32 v8, v8, v11, v19
	v_div_fixup_f32 v10, v8, v10, 1.0
	v_fma_f32 v8, v9, v13, v12
	v_fma_f32 v9, -v9, v12, v13
	v_mul_f32_e32 v8, v8, v10
	v_mul_f32_e32 v9, v9, v10
.LBB157_66:                             ;   in Loop: Header=BB157_56 Depth=1
	s_add_i32 s19, s15, -16
	s_add_i32 s10, s12, -1
	v_mov_b32_e32 v10, s19
	s_add_i32 s11, s12, -2
	s_lshl_b32 s10, s10, 3
	ds_read_b64 v[12:13], v10
	s_sub_i32 s17, s17, s10
	s_lshl_b32 s18, s11, 3
	s_add_i32 s10, s17, s18
	s_add_i32 s19, s15, 0xfffffeb0
	ds_write_b64 v17, v[8:9]
	v_mov_b32_e32 v10, s10
	v_mov_b32_e32 v11, s19
	;; [unrolled: 1-line block ×3, first 2 shown]
	ds_read_b64 v[20:21], v10
	ds_read_b64 v[10:11], v11
	s_waitcnt lgkmcnt(3)
	v_pk_mul_f32 v[18:19], v[18:19], v[12:13] op_sel_hi:[0,1]
	v_pk_fma_f32 v[22:23], v[6:7], v[12:13], v[18:19] op_sel:[0,0,1] op_sel_hi:[1,1,0] neg_lo:[0,0,1] neg_hi:[0,0,1]
	v_pk_fma_f32 v[12:13], v[6:7], v[12:13], v[18:19] op_sel:[0,0,1] op_sel_hi:[0,1,0]
	v_mov_b32_e32 v12, v9
	v_mov_b32_e32 v23, v13
	s_waitcnt lgkmcnt(1)
	v_pk_mul_f32 v[12:13], v[12:13], v[20:21] op_sel_hi:[0,1]
	v_pk_fma_f32 v[18:19], v[8:9], v[20:21], v[12:13] op_sel:[0,0,1] op_sel_hi:[1,1,0] neg_lo:[0,0,1] neg_hi:[0,0,1]
	v_pk_fma_f32 v[12:13], v[8:9], v[20:21], v[12:13] op_sel:[0,0,1] op_sel_hi:[0,1,0]
	v_pk_add_f32 v[4:5], v[4:5], v[22:23] neg_lo:[0,1] neg_hi:[0,1]
	v_mov_b32_e32 v19, v13
	s_waitcnt lgkmcnt(0)
	v_cmp_ngt_f32_e64 s[20:21], |v10|, |v11|
	v_pk_add_f32 v[4:5], v[4:5], v[18:19] neg_lo:[0,1] neg_hi:[0,1]
	s_mov_b64 s[10:11], -1
	s_and_b64 vcc, exec, s[20:21]
                                        ; implicit-def: $vgpr12_vgpr13
	s_cbranch_vccz .LBB157_68
; %bb.67:                               ;   in Loop: Header=BB157_56 Depth=1
	v_div_scale_f32 v12, s[10:11], v11, v11, v10
	v_rcp_f32_e32 v13, v12
	v_div_scale_f32 v17, vcc, v10, v11, v10
	v_fma_f32 v18, -v12, v13, 1.0
	v_fmac_f32_e32 v13, v18, v13
	v_mul_f32_e32 v18, v17, v13
	v_fma_f32 v19, -v12, v18, v17
	v_fmac_f32_e32 v18, v19, v13
	v_fma_f32 v12, -v12, v18, v17
	v_div_fmas_f32 v12, v12, v13, v18
	v_div_fixup_f32 v12, v12, v11, v10
	v_fma_f32 v13, v10, v12, v11
	v_div_scale_f32 v17, s[10:11], v13, v13, 1.0
	v_rcp_f32_e32 v20, v17
	v_pk_fma_f32 v[18:19], v[12:13], v[4:5], v[4:5] op_sel:[0,0,1] op_sel_hi:[1,1,0]
	s_mov_b64 s[10:11], 0
	v_fma_f32 v19, -v17, v20, 1.0
	v_fmac_f32_e32 v20, v19, v20
	v_div_scale_f32 v19, vcc, 1.0, v13, 1.0
	v_mul_f32_e32 v21, v19, v20
	v_fma_f32 v22, -v17, v21, v19
	v_fmac_f32_e32 v21, v22, v20
	v_fma_f32 v17, -v17, v21, v19
	v_div_fmas_f32 v17, v17, v20, v21
	v_div_fixup_f32 v19, v17, v13, 1.0
	v_fma_f32 v13, v12, v5, -v4
	v_mov_b32_e32 v12, v19
	v_pk_mul_f32 v[12:13], v[18:19], v[12:13]
.LBB157_68:                             ;   in Loop: Header=BB157_56 Depth=1
	s_andn2_b64 vcc, exec, s[10:11]
	s_cbranch_vccnz .LBB157_70
; %bb.69:                               ;   in Loop: Header=BB157_56 Depth=1
	v_div_scale_f32 v12, s[10:11], v10, v10, v11
	v_rcp_f32_e32 v13, v12
	v_div_scale_f32 v17, vcc, v11, v10, v11
	v_fma_f32 v18, -v12, v13, 1.0
	v_fmac_f32_e32 v13, v18, v13
	v_mul_f32_e32 v18, v17, v13
	v_fma_f32 v19, -v12, v18, v17
	v_fmac_f32_e32 v18, v19, v13
	v_fma_f32 v12, -v12, v18, v17
	v_div_fmas_f32 v12, v12, v13, v18
	v_div_fixup_f32 v12, v12, v10, v11
	v_fmac_f32_e32 v10, v11, v12
	v_div_scale_f32 v11, s[10:11], v10, v10, 1.0
	v_rcp_f32_e32 v13, v11
	s_nop 0
	v_fma_f32 v17, -v11, v13, 1.0
	v_fmac_f32_e32 v13, v17, v13
	v_div_scale_f32 v17, vcc, 1.0, v10, 1.0
	v_mul_f32_e32 v18, v17, v13
	v_fma_f32 v19, -v11, v18, v17
	v_fmac_f32_e32 v18, v19, v13
	v_fma_f32 v11, -v11, v18, v17
	v_div_fmas_f32 v11, v11, v13, v18
	v_pk_fma_f32 v[18:19], v[12:13], v[4:5], v[4:5] op_sel:[0,1,0] op_sel_hi:[1,0,1]
	v_pk_fma_f32 v[4:5], v[12:13], v[4:5], v[4:5] op_sel:[0,1,0] op_sel_hi:[0,0,1] neg_lo:[1,0,0] neg_hi:[1,0,0]
	v_div_fixup_f32 v10, v11, v10, 1.0
	v_mov_b32_e32 v19, v5
	v_pk_mul_f32 v[12:13], v[18:19], v[10:11] op_sel_hi:[1,0]
.LBB157_70:                             ;   in Loop: Header=BB157_56 Depth=1
	s_sub_i32 s10, s15, 24
	v_mov_b32_e32 v4, s10
	ds_write_b64 v16, v[12:13]
	ds_read_b64 v[16:17], v4
	s_lshl_b32 s11, s14, 3
	s_sub_i32 s14, s19, s18
	s_add_i32 s16, s16, s13
	s_add_i32 s13, s17, s11
	;; [unrolled: 1-line block ×3, first 2 shown]
	v_mov_b32_e32 v4, s13
	v_mov_b32_e32 v5, s11
	s_sub_i32 s10, s16, 24
	v_mov_b32_e32 v10, v7
	v_mov_b32_e32 v11, v7
	;; [unrolled: 1-line block ×3, first 2 shown]
	ds_read_b64 v[20:21], v4
	ds_read_b64 v[22:23], v5
	;; [unrolled: 1-line block ×3, first 2 shown]
	v_mov_b32_e32 v7, v6
	s_waitcnt lgkmcnt(3)
	v_pk_mul_f32 v[10:11], v[10:11], v[16:17]
	v_mov_b32_e32 v18, v9
	v_mov_b32_e32 v19, v9
	v_pk_fma_f32 v[24:25], v[6:7], v[16:17], v[10:11] op_sel:[0,0,1] op_sel_hi:[1,1,0] neg_lo:[0,0,1] neg_hi:[0,0,1]
	v_pk_fma_f32 v[6:7], v[6:7], v[16:17], v[10:11] op_sel:[0,0,1] op_sel_hi:[1,1,0]
	v_mov_b32_e32 v9, v8
	v_mov_b32_e32 v25, v7
	s_waitcnt lgkmcnt(2)
	v_pk_mul_f32 v[6:7], v[18:19], v[20:21]
	v_pk_add_f32 v[2:3], v[2:3], v[24:25] neg_lo:[0,1] neg_hi:[0,1]
	v_pk_fma_f32 v[10:11], v[8:9], v[20:21], v[6:7] op_sel:[0,0,1] op_sel_hi:[1,1,0] neg_lo:[0,0,1] neg_hi:[0,0,1]
	v_pk_fma_f32 v[6:7], v[8:9], v[20:21], v[6:7] op_sel:[0,0,1] op_sel_hi:[1,1,0]
	s_waitcnt lgkmcnt(0)
	v_cmp_ngt_f32_e64 s[14:15], |v4|, |v5|
	v_mov_b32_e32 v11, v7
	v_pk_mul_f32 v[6:7], v[12:13], v[22:23] op_sel:[1,1] op_sel_hi:[1,0]
	v_pk_add_f32 v[2:3], v[2:3], v[10:11] neg_lo:[0,1] neg_hi:[0,1]
	v_pk_fma_f32 v[8:9], v[12:13], v[22:23], v[6:7] neg_lo:[0,0,1] neg_hi:[0,0,1]
	v_pk_fma_f32 v[6:7], v[12:13], v[22:23], v[6:7] op_sel_hi:[0,1,1]
	v_mov_b32_e32 v9, v7
	v_pk_add_f32 v[2:3], v[2:3], v[8:9] neg_lo:[0,1] neg_hi:[0,1]
	s_mov_b64 s[10:11], -1
	s_and_b64 vcc, exec, s[14:15]
                                        ; implicit-def: $vgpr6_vgpr7
	s_cbranch_vccz .LBB157_72
; %bb.71:                               ;   in Loop: Header=BB157_56 Depth=1
	v_div_scale_f32 v6, s[10:11], v5, v5, v4
	v_rcp_f32_e32 v7, v6
	v_div_scale_f32 v8, vcc, v4, v5, v4
	v_fma_f32 v9, -v6, v7, 1.0
	v_fmac_f32_e32 v7, v9, v7
	v_mul_f32_e32 v9, v8, v7
	v_fma_f32 v10, -v6, v9, v8
	v_fmac_f32_e32 v9, v10, v7
	v_fma_f32 v6, -v6, v9, v8
	v_div_fmas_f32 v6, v6, v7, v9
	v_div_fixup_f32 v6, v6, v5, v4
	v_fma_f32 v7, v4, v6, v5
	v_div_scale_f32 v10, s[10:11], v7, v7, 1.0
	v_rcp_f32_e32 v11, v10
	v_pk_fma_f32 v[8:9], v[6:7], v[2:3], v[2:3] op_sel:[0,0,1] op_sel_hi:[1,1,0]
	s_mov_b64 s[10:11], 0
	v_fma_f32 v9, -v10, v11, 1.0
	v_fmac_f32_e32 v11, v9, v11
	v_div_scale_f32 v9, vcc, 1.0, v7, 1.0
	v_mul_f32_e32 v12, v9, v11
	v_fma_f32 v13, -v10, v12, v9
	v_fmac_f32_e32 v12, v13, v11
	v_fma_f32 v9, -v10, v12, v9
	v_div_fmas_f32 v9, v9, v11, v12
	v_div_fixup_f32 v9, v9, v7, 1.0
	v_fma_f32 v7, v6, v3, -v2
	v_mov_b32_e32 v6, v9
	v_pk_mul_f32 v[6:7], v[8:9], v[6:7]
.LBB157_72:                             ;   in Loop: Header=BB157_56 Depth=1
	s_andn2_b64 vcc, exec, s[10:11]
	s_cbranch_vccnz .LBB157_74
; %bb.73:                               ;   in Loop: Header=BB157_56 Depth=1
	v_div_scale_f32 v6, s[10:11], v4, v4, v5
	v_rcp_f32_e32 v7, v6
	v_div_scale_f32 v8, vcc, v5, v4, v5
	v_fma_f32 v9, -v6, v7, 1.0
	v_fmac_f32_e32 v7, v9, v7
	v_mul_f32_e32 v9, v8, v7
	v_fma_f32 v10, -v6, v9, v8
	v_fmac_f32_e32 v9, v10, v7
	v_fma_f32 v6, -v6, v9, v8
	v_div_fmas_f32 v6, v6, v7, v9
	v_div_fixup_f32 v6, v6, v4, v5
	v_fmac_f32_e32 v4, v5, v6
	v_div_scale_f32 v5, s[10:11], v4, v4, 1.0
	v_rcp_f32_e32 v7, v5
	s_nop 0
	v_fma_f32 v8, -v5, v7, 1.0
	v_fmac_f32_e32 v7, v8, v7
	v_div_scale_f32 v8, vcc, 1.0, v4, 1.0
	v_mul_f32_e32 v9, v8, v7
	v_fma_f32 v10, -v5, v9, v8
	v_fmac_f32_e32 v9, v10, v7
	v_fma_f32 v5, -v5, v9, v8
	v_div_fmas_f32 v5, v5, v7, v9
	v_pk_fma_f32 v[8:9], v[6:7], v[2:3], v[2:3] op_sel:[0,1,0] op_sel_hi:[1,0,1]
	v_pk_fma_f32 v[2:3], v[6:7], v[2:3], v[2:3] op_sel:[0,1,0] op_sel_hi:[0,0,1] neg_lo:[1,0,0] neg_hi:[1,0,0]
	v_div_fixup_f32 v4, v5, v4, 1.0
	v_mov_b32_e32 v9, v3
	v_pk_mul_f32 v[6:7], v[8:9], v[4:5] op_sel_hi:[1,0]
.LBB157_74:                             ;   in Loop: Header=BB157_56 Depth=1
	s_add_i32 s13, s12, -4
	s_sub_i32 s9, s9, 32
	s_cmp_lt_i32 s12, 7
	ds_write_b64 v15, v[6:7]
	s_cbranch_scc1 .LBB157_76
; %bb.75:                               ;   in Loop: Header=BB157_56 Depth=1
	s_mov_b32 s12, s13
	s_branch .LBB157_56
.LBB157_76:
	s_cmp_lt_i32 s13, 0
	s_cbranch_scc1 .LBB157_85
; %bb.77:
	s_mul_i32 s10, s26, 0xa0
	s_lshl_b32 s9, s13, 3
	s_add_i32 s9, s10, s9
	v_lshl_add_u32 v2, v0, 3, s10
	s_addk_i32 s9, 0xff60
	v_add_u32_e32 v8, 0xbe0, v2
	s_branch .LBB157_79
.LBB157_78:                             ;   in Loop: Header=BB157_79 Depth=1
	v_sub_co_u32_e64 v2, s[10:11], s13, 1
	s_nop 0
	v_readfirstlane_b32 s13, v2
	s_add_i32 s9, s9, -8
	s_and_b64 vcc, exec, s[10:11]
	ds_write_b64 v9, v[6:7]
	s_cbranch_vccnz .LBB157_85
.LBB157_79:                             ; =>This Loop Header: Depth=1
                                        ;     Child Loop BB157_80 Depth 2
	s_mul_i32 s10, s13, 0xa0
	v_add_u32_e32 v9, s10, v1
	ds_read_b64 v[2:3], v9
	s_cmp_le_i32 s7, s13
	v_mov_b32_e32 v4, v8
	s_mov_b32 s11, s9
	s_mov_b32 s12, s7
	s_cbranch_scc1 .LBB157_81
.LBB157_80:                             ;   Parent Loop BB157_79 Depth=1
                                        ; =>  This Inner Loop Header: Depth=2
	v_mov_b32_e32 v5, s11
	ds_read_b64 v[6:7], v4
	ds_read_b64 v[10:11], v5
	s_add_i32 s12, s12, -1
	s_addk_i32 s11, 0xff60
	v_add_u32_e32 v4, 0xffffff60, v4
	s_cmp_le_u32 s12, s13
	s_waitcnt lgkmcnt(0)
	v_pk_mul_f32 v[12:13], v[10:11], v[6:7] op_sel:[1,1] op_sel_hi:[0,1]
	v_pk_fma_f32 v[14:15], v[10:11], v[6:7], v[12:13] op_sel_hi:[1,0,1]
	v_pk_fma_f32 v[6:7], v[10:11], v[6:7], v[12:13] op_sel_hi:[1,0,1] neg_lo:[0,0,1] neg_hi:[0,0,1]
	s_nop 0
	v_mov_b32_e32 v7, v15
	v_pk_add_f32 v[2:3], v[2:3], v[6:7] neg_lo:[0,1] neg_hi:[0,1]
	s_cbranch_scc0 .LBB157_80
.LBB157_81:                             ;   in Loop: Header=BB157_79 Depth=1
	s_lshl_b32 s11, s13, 3
	s_add_i32 s10, s11, s10
	v_mov_b32_e32 v4, s10
	ds_read_b64 v[4:5], v4
	s_mov_b64 s[10:11], -1
                                        ; implicit-def: $vgpr6_vgpr7
	s_waitcnt lgkmcnt(0)
	v_cmp_ngt_f32_e64 s[14:15], |v4|, |v5|
	s_and_b64 vcc, exec, s[14:15]
	s_cbranch_vccz .LBB157_83
; %bb.82:                               ;   in Loop: Header=BB157_79 Depth=1
	v_div_scale_f32 v6, s[10:11], v5, v5, v4
	v_rcp_f32_e32 v7, v6
	v_div_scale_f32 v10, vcc, v4, v5, v4
	v_fma_f32 v11, -v6, v7, 1.0
	v_fmac_f32_e32 v7, v11, v7
	v_mul_f32_e32 v11, v10, v7
	v_fma_f32 v12, -v6, v11, v10
	v_fmac_f32_e32 v11, v12, v7
	v_fma_f32 v6, -v6, v11, v10
	v_div_fmas_f32 v6, v6, v7, v11
	v_div_fixup_f32 v6, v6, v5, v4
	v_fma_f32 v7, v4, v6, v5
	v_div_scale_f32 v10, s[10:11], v7, v7, 1.0
	v_rcp_f32_e32 v11, v10
	s_mov_b64 s[10:11], 0
	v_fma_f32 v12, -v10, v11, 1.0
	v_fmac_f32_e32 v11, v12, v11
	v_div_scale_f32 v12, vcc, 1.0, v7, 1.0
	v_mul_f32_e32 v13, v12, v11
	v_fma_f32 v14, -v10, v13, v12
	v_fmac_f32_e32 v13, v14, v11
	v_fma_f32 v10, -v10, v13, v12
	v_div_fmas_f32 v10, v10, v11, v13
	v_div_fixup_f32 v10, v10, v7, 1.0
	v_pk_fma_f32 v[12:13], v[2:3], v[6:7], v[2:3] op_sel:[0,0,1] op_sel_hi:[1,0,0] neg_lo:[0,0,1] neg_hi:[0,0,1]
	v_pk_fma_f32 v[6:7], v[2:3], v[6:7], v[2:3] op_sel:[0,0,1] op_sel_hi:[1,0,0]
	s_nop 0
	v_mov_b32_e32 v7, v13
	v_pk_mul_f32 v[6:7], v[6:7], v[10:11] op_sel_hi:[1,0]
.LBB157_83:                             ;   in Loop: Header=BB157_79 Depth=1
	s_andn2_b64 vcc, exec, s[10:11]
	s_cbranch_vccnz .LBB157_78
; %bb.84:                               ;   in Loop: Header=BB157_79 Depth=1
	v_div_scale_f32 v6, s[10:11], v4, v4, v5
	v_rcp_f32_e32 v7, v6
	v_div_scale_f32 v10, vcc, v5, v4, v5
	v_fma_f32 v11, -v6, v7, 1.0
	v_fmac_f32_e32 v7, v11, v7
	v_mul_f32_e32 v11, v10, v7
	v_fma_f32 v12, -v6, v11, v10
	v_fmac_f32_e32 v11, v12, v7
	v_fma_f32 v6, -v6, v11, v10
	v_div_fmas_f32 v6, v6, v7, v11
	v_div_fixup_f32 v6, v6, v4, v5
	v_fmac_f32_e32 v4, v5, v6
	v_div_scale_f32 v5, s[10:11], v4, v4, 1.0
	v_rcp_f32_e32 v7, v5
	s_nop 0
	v_fma_f32 v10, -v5, v7, 1.0
	v_fmac_f32_e32 v7, v10, v7
	v_div_scale_f32 v10, vcc, 1.0, v4, 1.0
	v_mul_f32_e32 v11, v10, v7
	v_fma_f32 v12, -v5, v11, v10
	v_fmac_f32_e32 v11, v12, v7
	v_fma_f32 v5, -v5, v11, v10
	v_div_fmas_f32 v5, v5, v7, v11
	v_pk_fma_f32 v[10:11], v[2:3], v[6:7], v[2:3] op_sel:[1,0,0] op_sel_hi:[0,0,1] neg_lo:[1,0,0] neg_hi:[1,0,0]
	v_pk_fma_f32 v[2:3], v[2:3], v[6:7], v[2:3] op_sel:[1,0,0] op_sel_hi:[0,0,1]
	v_div_fixup_f32 v4, v5, v4, 1.0
	v_mov_b32_e32 v3, v11
	v_pk_mul_f32 v[6:7], v[2:3], v[4:5] op_sel_hi:[1,0]
	s_branch .LBB157_78
.LBB157_85:
	s_mov_b64 s[14:15], 0
.LBB157_86:
	s_andn2_b64 vcc, exec, s[14:15]
	s_cbranch_vccnz .LBB157_118
; %bb.87:
	s_andn2_b64 vcc, exec, s[4:5]
	s_mul_i32 s9, s26, 0xa0
	s_mov_b32 s12, s7
	s_cbranch_vccnz .LBB157_109
; %bb.88:
	v_lshl_add_u32 v2, v0, 3, s9
	s_mul_i32 s4, s26, 0xa8
	v_add_u32_e32 v14, 0xbe0, v2
	s_add_i32 s10, s4, 0xfffffd78
	s_mov_b32 s11, s7
.LBB157_89:                             ; =>This Loop Header: Depth=1
                                        ;     Child Loop BB157_90 Depth 2
	s_mul_i32 s12, s11, 20
	v_lshl_add_u32 v18, s12, 3, v1
	v_add_u32_e32 v17, 0xffffff60, v18
	v_add_u32_e32 v16, 0xfffffec0, v18
	v_add_u32_e32 v15, 0xfffffe20, v18
	ds_read_b64 v[2:3], v18
	ds_read_b64 v[12:13], v17
	;; [unrolled: 1-line block ×4, first 2 shown]
	s_cmp_le_i32 s7, s11
	s_mov_b32 s4, s10
	v_mov_b32_e32 v4, v14
	s_mov_b32 s5, s7
	s_cbranch_scc1 .LBB157_91
.LBB157_90:                             ;   Parent Loop BB157_89 Depth=1
                                        ; =>  This Inner Loop Header: Depth=2
	v_mov_b32_e32 v5, s4
	ds_read_b64 v[10:11], v4
	ds_read2_b64 v[20:23], v5 offset0:40 offset1:60
	ds_read2_b64 v[24:27], v5 offset1:20
	s_add_i32 s5, s5, -1
	s_add_i32 s4, s4, -8
	v_add_u32_e32 v4, 0xffffff60, v4
	s_waitcnt lgkmcnt(1)
	v_mul_f32_e32 v5, v23, v11
	v_mul_f32_e32 v19, v22, v11
	;; [unrolled: 1-line block ×4, first 2 shown]
	s_waitcnt lgkmcnt(0)
	v_pk_mul_f32 v[28:29], v[26:27], v[10:11] op_sel:[0,1]
	v_pk_mul_f32 v[30:31], v[24:25], v[10:11] op_sel:[0,1]
	v_fma_f32 v5, v22, v10, -v5
	v_fmac_f32_e32 v19, v23, v10
	v_fma_f32 v32, v20, v10, -v32
	v_fmac_f32_e32 v33, v20, v11
	v_pk_fma_f32 v[20:21], v[26:27], v[10:11], v[28:29] op_sel:[0,0,1] op_sel_hi:[1,1,0] neg_lo:[0,0,1] neg_hi:[0,0,1]
	v_pk_fma_f32 v[22:23], v[26:27], v[10:11], v[28:29] op_sel:[0,0,1] op_sel_hi:[1,0,0]
	v_pk_fma_f32 v[26:27], v[24:25], v[10:11], v[30:31] op_sel:[0,0,1] op_sel_hi:[1,1,0] neg_lo:[0,0,1] neg_hi:[0,0,1]
	v_pk_fma_f32 v[10:11], v[24:25], v[10:11], v[30:31] op_sel:[0,0,1] op_sel_hi:[1,0,0]
	v_mov_b32_e32 v21, v23
	v_mov_b32_e32 v27, v11
	s_cmp_le_i32 s5, s11
	v_sub_f32_e32 v2, v2, v5
	v_sub_f32_e32 v3, v3, v19
	;; [unrolled: 1-line block ×4, first 2 shown]
	v_pk_add_f32 v[8:9], v[8:9], v[20:21] neg_lo:[0,1] neg_hi:[0,1]
	v_pk_add_f32 v[6:7], v[6:7], v[26:27] neg_lo:[0,1] neg_hi:[0,1]
	s_cbranch_scc0 .LBB157_90
.LBB157_91:                             ;   in Loop: Header=BB157_89 Depth=1
	s_mul_i32 s4, s11, 0xa8
	v_mov_b32_e32 v4, s4
	ds_read_b64 v[4:5], v4
	s_mov_b64 s[4:5], -1
                                        ; implicit-def: $vgpr11
	s_waitcnt lgkmcnt(0)
	v_cmp_ngt_f32_e64 s[14:15], |v4|, |v5|
	s_and_b64 vcc, exec, s[14:15]
	s_cbranch_vccz .LBB157_93
; %bb.92:                               ;   in Loop: Header=BB157_89 Depth=1
	v_div_scale_f32 v10, s[4:5], v5, v5, v4
	v_rcp_f32_e32 v11, v10
	v_div_scale_f32 v19, vcc, v4, v5, v4
	v_fma_f32 v20, -v10, v11, 1.0
	v_fmac_f32_e32 v11, v20, v11
	v_mul_f32_e32 v20, v19, v11
	v_fma_f32 v21, -v10, v20, v19
	v_fmac_f32_e32 v20, v21, v11
	v_fma_f32 v10, -v10, v20, v19
	v_div_fmas_f32 v10, v10, v11, v20
	v_div_fixup_f32 v11, v10, v5, v4
	v_fma_f32 v10, v4, v11, v5
	v_div_scale_f32 v19, s[4:5], v10, v10, 1.0
	v_rcp_f32_e32 v20, v19
	s_mov_b64 s[4:5], 0
	v_fma_f32 v21, -v19, v20, 1.0
	v_fmac_f32_e32 v20, v21, v20
	v_div_scale_f32 v21, vcc, 1.0, v10, 1.0
	v_mul_f32_e32 v22, v21, v20
	v_fma_f32 v23, -v19, v22, v21
	v_fmac_f32_e32 v22, v23, v20
	v_fma_f32 v19, -v19, v22, v21
	v_div_fmas_f32 v19, v19, v20, v22
	v_div_fixup_f32 v19, v19, v10, 1.0
	v_fma_f32 v10, v2, v11, v3
	v_fma_f32 v11, v3, v11, -v2
	v_mul_f32_e32 v10, v10, v19
	v_mul_f32_e32 v11, v11, v19
.LBB157_93:                             ;   in Loop: Header=BB157_89 Depth=1
	s_andn2_b64 vcc, exec, s[4:5]
	s_cbranch_vccnz .LBB157_95
; %bb.94:                               ;   in Loop: Header=BB157_89 Depth=1
	v_div_scale_f32 v10, s[4:5], v4, v4, v5
	v_rcp_f32_e32 v11, v10
	v_div_scale_f32 v19, vcc, v5, v4, v5
	v_fma_f32 v20, -v10, v11, 1.0
	v_fmac_f32_e32 v11, v20, v11
	v_mul_f32_e32 v20, v19, v11
	v_fma_f32 v21, -v10, v20, v19
	v_fmac_f32_e32 v20, v21, v11
	v_fma_f32 v10, -v10, v20, v19
	v_div_fmas_f32 v10, v10, v11, v20
	v_div_fixup_f32 v11, v10, v4, v5
	v_fmac_f32_e32 v4, v5, v11
	v_div_scale_f32 v5, s[4:5], v4, v4, 1.0
	v_rcp_f32_e32 v10, v5
	s_nop 0
	v_fma_f32 v19, -v5, v10, 1.0
	v_fmac_f32_e32 v10, v19, v10
	v_div_scale_f32 v19, vcc, 1.0, v4, 1.0
	v_mul_f32_e32 v20, v19, v10
	v_fma_f32 v21, -v5, v20, v19
	v_fmac_f32_e32 v20, v21, v10
	v_fma_f32 v5, -v5, v20, v19
	v_div_fmas_f32 v5, v5, v10, v20
	v_div_fixup_f32 v4, v5, v4, 1.0
	v_fma_f32 v5, v3, v11, v2
	v_fma_f32 v2, -v2, v11, v3
	v_mul_f32_e32 v10, v5, v4
	v_mul_f32_e32 v11, v2, v4
.LBB157_95:                             ;   in Loop: Header=BB157_89 Depth=1
	s_lshl_b32 s12, s12, 3
	s_lshl_b32 s13, s11, 3
	s_addk_i32 s12, 0xff60
	s_add_i32 s4, s13, s12
	s_add_i32 s4, s4, -8
	v_mov_b32_e32 v2, s4
	ds_read2_b64 v[2:5], v2 offset1:1
	ds_write_b64 v18, v[10:11]
	s_mov_b64 s[4:5], -1
	s_waitcnt lgkmcnt(1)
	v_mul_f32_e32 v18, v11, v5
	v_mul_f32_e32 v5, v10, v5
	v_fma_f32 v18, v10, v4, -v18
	v_fmac_f32_e32 v5, v11, v4
	v_cmp_ngt_f32_e64 s[14:15], |v2|, |v3|
	v_sub_f32_e32 v4, v12, v18
	v_sub_f32_e32 v5, v13, v5
	s_and_b64 vcc, exec, s[14:15]
                                        ; implicit-def: $vgpr13
	s_cbranch_vccz .LBB157_97
; %bb.96:                               ;   in Loop: Header=BB157_89 Depth=1
	v_div_scale_f32 v12, s[4:5], v3, v3, v2
	v_rcp_f32_e32 v13, v12
	v_div_scale_f32 v18, vcc, v2, v3, v2
	v_fma_f32 v19, -v12, v13, 1.0
	v_fmac_f32_e32 v13, v19, v13
	v_mul_f32_e32 v19, v18, v13
	v_fma_f32 v20, -v12, v19, v18
	v_fmac_f32_e32 v19, v20, v13
	v_fma_f32 v12, -v12, v19, v18
	v_div_fmas_f32 v12, v12, v13, v19
	v_div_fixup_f32 v13, v12, v3, v2
	v_fma_f32 v12, v2, v13, v3
	v_div_scale_f32 v18, s[4:5], v12, v12, 1.0
	v_rcp_f32_e32 v19, v18
	s_mov_b64 s[4:5], 0
	v_fma_f32 v20, -v18, v19, 1.0
	v_fmac_f32_e32 v19, v20, v19
	v_div_scale_f32 v20, vcc, 1.0, v12, 1.0
	v_mul_f32_e32 v21, v20, v19
	v_fma_f32 v22, -v18, v21, v20
	v_fmac_f32_e32 v21, v22, v19
	v_fma_f32 v18, -v18, v21, v20
	v_div_fmas_f32 v18, v18, v19, v21
	v_div_fixup_f32 v18, v18, v12, 1.0
	v_fma_f32 v12, v13, v4, v5
	v_fma_f32 v13, v13, v5, -v4
	v_mul_f32_e32 v12, v12, v18
	v_mul_f32_e32 v13, v13, v18
.LBB157_97:                             ;   in Loop: Header=BB157_89 Depth=1
	s_andn2_b64 vcc, exec, s[4:5]
	s_cbranch_vccnz .LBB157_99
; %bb.98:                               ;   in Loop: Header=BB157_89 Depth=1
	v_div_scale_f32 v12, s[4:5], v2, v2, v3
	v_rcp_f32_e32 v13, v12
	v_div_scale_f32 v18, vcc, v3, v2, v3
	v_fma_f32 v19, -v12, v13, 1.0
	v_fmac_f32_e32 v13, v19, v13
	v_mul_f32_e32 v19, v18, v13
	v_fma_f32 v20, -v12, v19, v18
	v_fmac_f32_e32 v19, v20, v13
	v_fma_f32 v12, -v12, v19, v18
	v_div_fmas_f32 v12, v12, v13, v19
	v_div_fixup_f32 v13, v12, v2, v3
	v_fmac_f32_e32 v2, v3, v13
	v_div_scale_f32 v3, s[4:5], v2, v2, 1.0
	v_rcp_f32_e32 v12, v3
	s_nop 0
	v_fma_f32 v18, -v3, v12, 1.0
	v_fmac_f32_e32 v12, v18, v12
	v_div_scale_f32 v18, vcc, 1.0, v2, 1.0
	v_mul_f32_e32 v19, v18, v12
	v_fma_f32 v20, -v3, v19, v18
	v_fmac_f32_e32 v19, v20, v12
	v_fma_f32 v3, -v3, v19, v18
	v_div_fmas_f32 v3, v3, v12, v19
	v_div_fixup_f32 v2, v3, v2, 1.0
	v_fma_f32 v3, v13, v5, v4
	v_mul_f32_e32 v12, v3, v2
	v_fma_f32 v3, -v13, v4, v5
	v_mul_f32_e32 v13, v3, v2
.LBB157_99:                             ;   in Loop: Header=BB157_89 Depth=1
	s_addk_i32 s12, 0xff60
	s_add_i32 s12, s12, s13
	v_mov_b32_e32 v2, s12
	ds_read_b64 v[18:19], v2
	s_add_i32 s4, s12, -16
	v_mov_b32_e32 v2, s4
	ds_read2_b64 v[2:5], v2 offset1:1
	v_mov_b32_e32 v20, v11
	s_waitcnt lgkmcnt(1)
	v_pk_mul_f32 v[20:21], v[20:21], v[18:19] op_sel_hi:[0,1]
	v_pk_fma_f32 v[22:23], v[10:11], v[18:19], v[20:21] op_sel:[0,0,1] op_sel_hi:[1,1,0] neg_lo:[0,0,1] neg_hi:[0,0,1]
	v_pk_fma_f32 v[18:19], v[10:11], v[18:19], v[20:21] op_sel:[0,0,1] op_sel_hi:[0,1,0]
	v_mov_b32_e32 v18, v13
	v_mov_b32_e32 v23, v19
	s_waitcnt lgkmcnt(0)
	v_pk_mul_f32 v[18:19], v[18:19], v[4:5] op_sel_hi:[0,1]
	v_pk_fma_f32 v[20:21], v[12:13], v[4:5], v[18:19] op_sel:[0,0,1] op_sel_hi:[1,1,0] neg_lo:[0,0,1] neg_hi:[0,0,1]
	v_pk_fma_f32 v[4:5], v[12:13], v[4:5], v[18:19] op_sel:[0,0,1] op_sel_hi:[0,1,0]
	v_pk_add_f32 v[8:9], v[8:9], v[22:23] neg_lo:[0,1] neg_hi:[0,1]
	v_mov_b32_e32 v21, v5
	v_cmp_ngt_f32_e64 s[14:15], |v2|, |v3|
	v_pk_add_f32 v[4:5], v[8:9], v[20:21] neg_lo:[0,1] neg_hi:[0,1]
	s_mov_b64 s[4:5], -1
	s_and_b64 vcc, exec, s[14:15]
	ds_write_b64 v17, v[12:13]
                                        ; implicit-def: $vgpr8_vgpr9
	s_cbranch_vccz .LBB157_101
; %bb.100:                              ;   in Loop: Header=BB157_89 Depth=1
	v_div_scale_f32 v8, s[4:5], v3, v3, v2
	v_rcp_f32_e32 v9, v8
	v_div_scale_f32 v17, vcc, v2, v3, v2
	v_fma_f32 v18, -v8, v9, 1.0
	v_fmac_f32_e32 v9, v18, v9
	v_mul_f32_e32 v18, v17, v9
	v_fma_f32 v19, -v8, v18, v17
	v_fmac_f32_e32 v18, v19, v9
	v_fma_f32 v8, -v8, v18, v17
	v_div_fmas_f32 v8, v8, v9, v18
	v_div_fixup_f32 v8, v8, v3, v2
	v_fma_f32 v9, v2, v8, v3
	v_div_scale_f32 v17, s[4:5], v9, v9, 1.0
	v_rcp_f32_e32 v20, v17
	v_pk_fma_f32 v[18:19], v[8:9], v[4:5], v[4:5] op_sel:[0,0,1] op_sel_hi:[1,1,0]
	s_mov_b64 s[4:5], 0
	v_fma_f32 v19, -v17, v20, 1.0
	v_fmac_f32_e32 v20, v19, v20
	v_div_scale_f32 v19, vcc, 1.0, v9, 1.0
	v_mul_f32_e32 v21, v19, v20
	v_fma_f32 v22, -v17, v21, v19
	v_fmac_f32_e32 v21, v22, v20
	v_fma_f32 v17, -v17, v21, v19
	v_div_fmas_f32 v17, v17, v20, v21
	v_div_fixup_f32 v19, v17, v9, 1.0
	v_fma_f32 v9, v8, v5, -v4
	v_mov_b32_e32 v8, v19
	v_pk_mul_f32 v[8:9], v[18:19], v[8:9]
.LBB157_101:                            ;   in Loop: Header=BB157_89 Depth=1
	s_andn2_b64 vcc, exec, s[4:5]
	s_cbranch_vccnz .LBB157_103
; %bb.102:                              ;   in Loop: Header=BB157_89 Depth=1
	v_div_scale_f32 v8, s[4:5], v2, v2, v3
	v_rcp_f32_e32 v9, v8
	v_div_scale_f32 v17, vcc, v3, v2, v3
	v_fma_f32 v18, -v8, v9, 1.0
	v_fmac_f32_e32 v9, v18, v9
	v_mul_f32_e32 v18, v17, v9
	v_fma_f32 v19, -v8, v18, v17
	v_fmac_f32_e32 v18, v19, v9
	v_fma_f32 v8, -v8, v18, v17
	v_div_fmas_f32 v8, v8, v9, v18
	v_div_fixup_f32 v8, v8, v2, v3
	v_fmac_f32_e32 v2, v3, v8
	v_div_scale_f32 v3, s[4:5], v2, v2, 1.0
	v_rcp_f32_e32 v9, v3
	s_nop 0
	v_fma_f32 v17, -v3, v9, 1.0
	v_fmac_f32_e32 v9, v17, v9
	v_div_scale_f32 v17, vcc, 1.0, v2, 1.0
	v_mul_f32_e32 v18, v17, v9
	v_fma_f32 v19, -v3, v18, v17
	v_fmac_f32_e32 v18, v19, v9
	v_fma_f32 v3, -v3, v18, v17
	v_div_fmas_f32 v3, v3, v9, v18
	v_pk_fma_f32 v[18:19], v[8:9], v[4:5], v[4:5] op_sel:[0,1,0] op_sel_hi:[1,0,1]
	v_pk_fma_f32 v[4:5], v[8:9], v[4:5], v[4:5] op_sel:[0,1,0] op_sel_hi:[0,0,1] neg_lo:[1,0,0] neg_hi:[1,0,0]
	v_div_fixup_f32 v2, v3, v2, 1.0
	v_mov_b32_e32 v19, v5
	v_pk_mul_f32 v[8:9], v[18:19], v[2:3] op_sel_hi:[1,0]
.LBB157_103:                            ;   in Loop: Header=BB157_89 Depth=1
	s_add_i32 s4, s12, 0xffffff58
	v_mov_b32_e32 v2, s4
	ds_read2_b64 v[18:21], v2 offset1:1
	s_add_i32 s4, s12, 0xffffff48
	v_mov_b32_e32 v2, s4
	v_mov_b32_e32 v22, v11
	;; [unrolled: 1-line block ×3, first 2 shown]
	ds_read2_b64 v[2:5], v2 offset1:1
	v_mov_b32_e32 v11, v10
	ds_write_b64 v16, v[8:9]
	s_waitcnt lgkmcnt(2)
	v_pk_mul_f32 v[16:17], v[22:23], v[20:21]
	v_mov_b32_e32 v24, v13
	v_mov_b32_e32 v25, v13
	v_pk_fma_f32 v[22:23], v[10:11], v[20:21], v[16:17] op_sel:[0,0,1] op_sel_hi:[1,1,0] neg_lo:[0,0,1] neg_hi:[0,0,1]
	v_pk_fma_f32 v[10:11], v[10:11], v[20:21], v[16:17] op_sel:[0,0,1] op_sel_hi:[1,1,0]
	v_mov_b32_e32 v13, v12
	v_mov_b32_e32 v23, v11
	v_pk_mul_f32 v[10:11], v[24:25], v[18:19]
	v_pk_add_f32 v[6:7], v[6:7], v[22:23] neg_lo:[0,1] neg_hi:[0,1]
	v_pk_fma_f32 v[16:17], v[12:13], v[18:19], v[10:11] op_sel:[0,0,1] op_sel_hi:[1,1,0] neg_lo:[0,0,1] neg_hi:[0,0,1]
	v_pk_fma_f32 v[10:11], v[12:13], v[18:19], v[10:11] op_sel:[0,0,1] op_sel_hi:[1,1,0]
	s_waitcnt lgkmcnt(1)
	v_cmp_ngt_f32_e64 s[12:13], |v2|, |v3|
	v_mov_b32_e32 v17, v11
	v_pk_mul_f32 v[10:11], v[8:9], v[4:5] op_sel:[1,1] op_sel_hi:[1,0]
	v_pk_add_f32 v[6:7], v[6:7], v[16:17] neg_lo:[0,1] neg_hi:[0,1]
	v_pk_fma_f32 v[12:13], v[8:9], v[4:5], v[10:11] neg_lo:[0,0,1] neg_hi:[0,0,1]
	v_pk_fma_f32 v[4:5], v[8:9], v[4:5], v[10:11] op_sel_hi:[0,1,1]
	v_mov_b32_e32 v13, v5
	v_pk_add_f32 v[4:5], v[6:7], v[12:13] neg_lo:[0,1] neg_hi:[0,1]
	s_mov_b64 s[4:5], -1
	s_and_b64 vcc, exec, s[12:13]
                                        ; implicit-def: $vgpr6_vgpr7
	s_cbranch_vccz .LBB157_105
; %bb.104:                              ;   in Loop: Header=BB157_89 Depth=1
	v_div_scale_f32 v6, s[4:5], v3, v3, v2
	v_rcp_f32_e32 v7, v6
	v_div_scale_f32 v8, vcc, v2, v3, v2
	v_fma_f32 v9, -v6, v7, 1.0
	v_fmac_f32_e32 v7, v9, v7
	v_mul_f32_e32 v9, v8, v7
	v_fma_f32 v10, -v6, v9, v8
	v_fmac_f32_e32 v9, v10, v7
	v_fma_f32 v6, -v6, v9, v8
	v_div_fmas_f32 v6, v6, v7, v9
	v_div_fixup_f32 v6, v6, v3, v2
	v_fma_f32 v7, v2, v6, v3
	v_div_scale_f32 v10, s[4:5], v7, v7, 1.0
	v_rcp_f32_e32 v11, v10
	v_pk_fma_f32 v[8:9], v[6:7], v[4:5], v[4:5] op_sel:[0,0,1] op_sel_hi:[1,1,0]
	s_mov_b64 s[4:5], 0
	v_fma_f32 v9, -v10, v11, 1.0
	v_fmac_f32_e32 v11, v9, v11
	v_div_scale_f32 v9, vcc, 1.0, v7, 1.0
	v_mul_f32_e32 v12, v9, v11
	v_fma_f32 v13, -v10, v12, v9
	v_fmac_f32_e32 v12, v13, v11
	v_fma_f32 v9, -v10, v12, v9
	v_div_fmas_f32 v9, v9, v11, v12
	v_div_fixup_f32 v9, v9, v7, 1.0
	v_fma_f32 v7, v6, v5, -v4
	v_mov_b32_e32 v6, v9
	v_pk_mul_f32 v[6:7], v[8:9], v[6:7]
.LBB157_105:                            ;   in Loop: Header=BB157_89 Depth=1
	s_andn2_b64 vcc, exec, s[4:5]
	s_cbranch_vccnz .LBB157_107
; %bb.106:                              ;   in Loop: Header=BB157_89 Depth=1
	v_div_scale_f32 v6, s[4:5], v2, v2, v3
	v_rcp_f32_e32 v7, v6
	v_div_scale_f32 v8, vcc, v3, v2, v3
	v_fma_f32 v9, -v6, v7, 1.0
	v_fmac_f32_e32 v7, v9, v7
	v_mul_f32_e32 v9, v8, v7
	v_fma_f32 v10, -v6, v9, v8
	v_fmac_f32_e32 v9, v10, v7
	v_fma_f32 v6, -v6, v9, v8
	v_div_fmas_f32 v6, v6, v7, v9
	v_div_fixup_f32 v6, v6, v2, v3
	v_fmac_f32_e32 v2, v3, v6
	v_div_scale_f32 v3, s[4:5], v2, v2, 1.0
	v_rcp_f32_e32 v7, v3
	s_nop 0
	v_fma_f32 v8, -v3, v7, 1.0
	v_fmac_f32_e32 v7, v8, v7
	v_div_scale_f32 v8, vcc, 1.0, v2, 1.0
	v_mul_f32_e32 v9, v8, v7
	v_fma_f32 v10, -v3, v9, v8
	v_fmac_f32_e32 v9, v10, v7
	v_fma_f32 v3, -v3, v9, v8
	v_div_fmas_f32 v3, v3, v7, v9
	v_pk_fma_f32 v[8:9], v[6:7], v[4:5], v[4:5] op_sel:[0,1,0] op_sel_hi:[1,0,1]
	v_pk_fma_f32 v[4:5], v[6:7], v[4:5], v[4:5] op_sel:[0,1,0] op_sel_hi:[0,0,1] neg_lo:[1,0,0] neg_hi:[1,0,0]
	v_div_fixup_f32 v2, v3, v2, 1.0
	v_mov_b32_e32 v9, v5
	v_pk_mul_f32 v[6:7], v[8:9], v[2:3] op_sel_hi:[1,0]
.LBB157_107:                            ;   in Loop: Header=BB157_89 Depth=1
	s_add_i32 s12, s11, -4
	s_addk_i32 s10, 0xfd80
	s_cmp_lt_i32 s11, 7
	ds_write_b64 v15, v[6:7]
	s_cbranch_scc1 .LBB157_109
; %bb.108:                              ;   in Loop: Header=BB157_89 Depth=1
	s_mov_b32 s11, s12
	s_branch .LBB157_89
.LBB157_109:
	s_cmp_lt_i32 s12, 0
	s_cbranch_scc1 .LBB157_118
; %bb.110:
	s_mul_i32 s4, s12, 0xa0
	s_lshl_b32 s5, s26, 3
	v_lshl_add_u32 v2, v0, 3, s9
	s_add_i32 s4, s4, s5
	v_add_u32_e32 v8, 0xbe0, v2
	s_add_i32 s9, s4, -8
	s_branch .LBB157_112
.LBB157_111:                            ;   in Loop: Header=BB157_112 Depth=1
	v_sub_co_u32_e64 v2, s[4:5], s12, 1
	s_nop 0
	v_readfirstlane_b32 s12, v2
	s_addk_i32 s9, 0xff60
	s_and_b64 vcc, exec, s[4:5]
	ds_write_b64 v9, v[6:7]
	s_cbranch_vccnz .LBB157_118
.LBB157_112:                            ; =>This Loop Header: Depth=1
                                        ;     Child Loop BB157_113 Depth 2
	s_mul_i32 s4, s12, 0xa0
	v_add_u32_e32 v9, s4, v1
	ds_read_b64 v[2:3], v9
	s_cmp_le_i32 s7, s12
	s_mov_b32 s4, s9
	v_mov_b32_e32 v4, v8
	s_mov_b32 s5, s7
	s_cbranch_scc1 .LBB157_114
.LBB157_113:                            ;   Parent Loop BB157_112 Depth=1
                                        ; =>  This Inner Loop Header: Depth=2
	v_mov_b32_e32 v5, s4
	ds_read_b64 v[6:7], v4
	ds_read_b64 v[10:11], v5
	s_add_i32 s5, s5, -1
	s_add_i32 s4, s4, -8
	v_add_u32_e32 v4, 0xffffff60, v4
	s_cmp_le_u32 s5, s12
	s_waitcnt lgkmcnt(0)
	v_pk_mul_f32 v[12:13], v[10:11], v[6:7] op_sel:[1,1] op_sel_hi:[0,1]
	v_pk_fma_f32 v[14:15], v[10:11], v[6:7], v[12:13] op_sel_hi:[1,0,1]
	v_pk_fma_f32 v[6:7], v[10:11], v[6:7], v[12:13] op_sel_hi:[1,0,1] neg_lo:[0,0,1] neg_hi:[0,0,1]
	s_nop 0
	v_mov_b32_e32 v7, v15
	v_pk_add_f32 v[2:3], v[2:3], v[6:7] neg_lo:[0,1] neg_hi:[0,1]
	s_cbranch_scc0 .LBB157_113
.LBB157_114:                            ;   in Loop: Header=BB157_112 Depth=1
	s_mul_i32 s4, s12, 0xa8
	v_mov_b32_e32 v4, s4
	ds_read_b64 v[4:5], v4
	s_mov_b64 s[4:5], -1
                                        ; implicit-def: $vgpr6_vgpr7
	s_waitcnt lgkmcnt(0)
	v_cmp_ngt_f32_e64 s[10:11], |v4|, |v5|
	s_and_b64 vcc, exec, s[10:11]
	s_cbranch_vccz .LBB157_116
; %bb.115:                              ;   in Loop: Header=BB157_112 Depth=1
	v_div_scale_f32 v6, s[4:5], v5, v5, v4
	v_rcp_f32_e32 v7, v6
	v_div_scale_f32 v10, vcc, v4, v5, v4
	v_fma_f32 v11, -v6, v7, 1.0
	v_fmac_f32_e32 v7, v11, v7
	v_mul_f32_e32 v11, v10, v7
	v_fma_f32 v12, -v6, v11, v10
	v_fmac_f32_e32 v11, v12, v7
	v_fma_f32 v6, -v6, v11, v10
	v_div_fmas_f32 v6, v6, v7, v11
	v_div_fixup_f32 v6, v6, v5, v4
	v_fma_f32 v7, v4, v6, v5
	v_div_scale_f32 v10, s[4:5], v7, v7, 1.0
	v_rcp_f32_e32 v11, v10
	s_mov_b64 s[4:5], 0
	v_fma_f32 v12, -v10, v11, 1.0
	v_fmac_f32_e32 v11, v12, v11
	v_div_scale_f32 v12, vcc, 1.0, v7, 1.0
	v_mul_f32_e32 v13, v12, v11
	v_fma_f32 v14, -v10, v13, v12
	v_fmac_f32_e32 v13, v14, v11
	v_fma_f32 v10, -v10, v13, v12
	v_div_fmas_f32 v10, v10, v11, v13
	v_div_fixup_f32 v10, v10, v7, 1.0
	v_pk_fma_f32 v[12:13], v[2:3], v[6:7], v[2:3] op_sel:[0,0,1] op_sel_hi:[1,0,0] neg_lo:[0,0,1] neg_hi:[0,0,1]
	v_pk_fma_f32 v[6:7], v[2:3], v[6:7], v[2:3] op_sel:[0,0,1] op_sel_hi:[1,0,0]
	s_nop 0
	v_mov_b32_e32 v7, v13
	v_pk_mul_f32 v[6:7], v[6:7], v[10:11] op_sel_hi:[1,0]
.LBB157_116:                            ;   in Loop: Header=BB157_112 Depth=1
	s_andn2_b64 vcc, exec, s[4:5]
	s_cbranch_vccnz .LBB157_111
; %bb.117:                              ;   in Loop: Header=BB157_112 Depth=1
	v_div_scale_f32 v6, s[4:5], v4, v4, v5
	v_rcp_f32_e32 v7, v6
	v_div_scale_f32 v10, vcc, v5, v4, v5
	v_fma_f32 v11, -v6, v7, 1.0
	v_fmac_f32_e32 v7, v11, v7
	v_mul_f32_e32 v11, v10, v7
	v_fma_f32 v12, -v6, v11, v10
	v_fmac_f32_e32 v11, v12, v7
	v_fma_f32 v6, -v6, v11, v10
	v_div_fmas_f32 v6, v6, v7, v11
	v_div_fixup_f32 v6, v6, v4, v5
	v_fmac_f32_e32 v4, v5, v6
	v_div_scale_f32 v5, s[4:5], v4, v4, 1.0
	v_rcp_f32_e32 v7, v5
	s_nop 0
	v_fma_f32 v10, -v5, v7, 1.0
	v_fmac_f32_e32 v7, v10, v7
	v_div_scale_f32 v10, vcc, 1.0, v4, 1.0
	v_mul_f32_e32 v11, v10, v7
	v_fma_f32 v12, -v5, v11, v10
	v_fmac_f32_e32 v11, v12, v7
	v_fma_f32 v5, -v5, v11, v10
	v_div_fmas_f32 v5, v5, v7, v11
	v_pk_fma_f32 v[10:11], v[2:3], v[6:7], v[2:3] op_sel:[1,0,0] op_sel_hi:[0,0,1] neg_lo:[1,0,0] neg_hi:[1,0,0]
	v_pk_fma_f32 v[2:3], v[2:3], v[6:7], v[2:3] op_sel:[1,0,0] op_sel_hi:[0,0,1]
	v_div_fixup_f32 v4, v5, v4, 1.0
	v_mov_b32_e32 v3, v11
	v_pk_mul_f32 v[6:7], v[2:3], v[4:5] op_sel_hi:[1,0]
	s_branch .LBB157_111
.LBB157_118:
	s_mov_b64 s[14:15], 0
.LBB157_119:
	s_andn2_b64 vcc, exec, s[14:15]
	s_cbranch_vccnz .LBB157_151
; %bb.120:
	v_mov_b32_e32 v1, 0xc80
	v_lshl_add_u32 v1, v0, 3, v1
	s_cmp_lt_i32 s8, 4
	s_mov_b32 s10, 0
	s_cbranch_scc1 .LBB157_142
; %bb.121:
	s_mov_b32 s7, 0
	s_mov_b32 s9, 0
.LBB157_122:                            ; =>This Loop Header: Depth=1
                                        ;     Child Loop BB157_123 Depth 2
	s_mul_i32 s10, s9, 20
	v_lshl_add_u32 v16, s10, 3, v1
	ds_read2_b64 v[6:9], v16 offset1:20
	ds_read2_b64 v[2:5], v16 offset0:40 offset1:60
	s_cmp_eq_u32 s9, 0
	s_mov_b32 s4, s7
	v_mov_b32_e32 v10, v1
	s_mov_b32 s5, s9
	s_cbranch_scc1 .LBB157_124
.LBB157_123:                            ;   Parent Loop BB157_122 Depth=1
                                        ; =>  This Inner Loop Header: Depth=2
	v_mov_b32_e32 v11, s4
	ds_read_b64 v[22:23], v10
	ds_read2_b64 v[12:15], v11 offset1:20
	ds_read2_b64 v[18:21], v11 offset0:40 offset1:60
	s_add_i32 s5, s5, -1
	s_add_i32 s4, s4, 8
	v_add_u32_e32 v10, 0xa0, v10
	s_waitcnt lgkmcnt(1)
	v_mul_f32_e32 v11, v13, v23
	v_mul_f32_e32 v17, v12, v23
	;; [unrolled: 1-line block ×4, first 2 shown]
	s_waitcnt lgkmcnt(0)
	v_pk_mul_f32 v[24:25], v[18:19], v[22:23] op_sel:[0,1]
	v_pk_mul_f32 v[26:27], v[20:21], v[22:23] op_sel:[0,1]
	v_fma_f32 v11, v12, v22, -v11
	v_fmac_f32_e32 v17, v13, v22
	v_fma_f32 v28, v14, v22, -v28
	v_fmac_f32_e32 v29, v14, v23
	v_pk_fma_f32 v[12:13], v[18:19], v[22:23], v[24:25] op_sel:[0,0,1] op_sel_hi:[1,1,0] neg_lo:[0,0,1] neg_hi:[0,0,1]
	v_pk_fma_f32 v[14:15], v[18:19], v[22:23], v[24:25] op_sel:[0,0,1] op_sel_hi:[1,0,0]
	v_pk_fma_f32 v[18:19], v[20:21], v[22:23], v[26:27] op_sel:[0,0,1] op_sel_hi:[1,1,0] neg_lo:[0,0,1] neg_hi:[0,0,1]
	v_pk_fma_f32 v[20:21], v[20:21], v[22:23], v[26:27] op_sel:[0,0,1] op_sel_hi:[1,0,0]
	v_mov_b32_e32 v13, v15
	v_mov_b32_e32 v19, v21
	s_cmp_eq_u32 s5, 0
	v_sub_f32_e32 v6, v6, v11
	v_sub_f32_e32 v7, v7, v17
	;; [unrolled: 1-line block ×4, first 2 shown]
	v_pk_add_f32 v[2:3], v[2:3], v[12:13] neg_lo:[0,1] neg_hi:[0,1]
	v_pk_add_f32 v[4:5], v[4:5], v[18:19] neg_lo:[0,1] neg_hi:[0,1]
	s_cbranch_scc0 .LBB157_123
.LBB157_124:                            ;   in Loop: Header=BB157_122 Depth=1
	s_mul_i32 s4, s9, 0xa8
	v_mov_b32_e32 v10, s4
	ds_read_b64 v[10:11], v10
	s_mov_b64 s[4:5], -1
                                        ; implicit-def: $vgpr15
	s_waitcnt lgkmcnt(0)
	v_cmp_ngt_f32_e64 s[12:13], |v10|, |v11|
	s_and_b64 vcc, exec, s[12:13]
	s_cbranch_vccz .LBB157_126
; %bb.125:                              ;   in Loop: Header=BB157_122 Depth=1
	v_div_scale_f32 v12, s[4:5], v11, v11, v10
	v_rcp_f32_e32 v13, v12
	v_div_scale_f32 v14, vcc, v10, v11, v10
	v_fma_f32 v15, -v12, v13, 1.0
	v_fmac_f32_e32 v13, v15, v13
	v_mul_f32_e32 v15, v14, v13
	v_fma_f32 v17, -v12, v15, v14
	v_fmac_f32_e32 v15, v17, v13
	v_fma_f32 v12, -v12, v15, v14
	v_div_fmas_f32 v12, v12, v13, v15
	v_div_fixup_f32 v12, v12, v11, v10
	v_fma_f32 v13, v10, v12, v11
	v_div_scale_f32 v14, s[4:5], v13, v13, 1.0
	v_rcp_f32_e32 v15, v14
	s_mov_b64 s[4:5], 0
	v_fma_f32 v17, -v14, v15, 1.0
	v_fmac_f32_e32 v15, v17, v15
	v_div_scale_f32 v17, vcc, 1.0, v13, 1.0
	v_mul_f32_e32 v18, v17, v15
	v_fma_f32 v19, -v14, v18, v17
	v_fmac_f32_e32 v18, v19, v15
	v_fma_f32 v14, -v14, v18, v17
	v_div_fmas_f32 v14, v14, v15, v18
	v_div_fixup_f32 v13, v14, v13, 1.0
	v_fma_f32 v14, v6, v12, v7
	v_fma_f32 v12, v7, v12, -v6
	v_mul_f32_e32 v14, v14, v13
	v_mul_f32_e32 v15, v12, v13
.LBB157_126:                            ;   in Loop: Header=BB157_122 Depth=1
	s_andn2_b64 vcc, exec, s[4:5]
	s_cbranch_vccnz .LBB157_128
; %bb.127:                              ;   in Loop: Header=BB157_122 Depth=1
	v_div_scale_f32 v12, s[4:5], v10, v10, v11
	v_rcp_f32_e32 v13, v12
	v_div_scale_f32 v14, vcc, v11, v10, v11
	v_fma_f32 v15, -v12, v13, 1.0
	v_fmac_f32_e32 v13, v15, v13
	v_mul_f32_e32 v15, v14, v13
	v_fma_f32 v17, -v12, v15, v14
	v_fmac_f32_e32 v15, v17, v13
	v_fma_f32 v12, -v12, v15, v14
	v_div_fmas_f32 v12, v12, v13, v15
	v_div_fixup_f32 v12, v12, v10, v11
	v_fmac_f32_e32 v10, v11, v12
	v_div_scale_f32 v11, s[4:5], v10, v10, 1.0
	v_rcp_f32_e32 v13, v11
	s_nop 0
	v_fma_f32 v14, -v11, v13, 1.0
	v_fmac_f32_e32 v13, v14, v13
	v_div_scale_f32 v14, vcc, 1.0, v10, 1.0
	v_mul_f32_e32 v15, v14, v13
	v_fma_f32 v17, -v11, v15, v14
	v_fmac_f32_e32 v15, v17, v13
	v_fma_f32 v11, -v11, v15, v14
	v_div_fmas_f32 v11, v11, v13, v15
	v_div_fixup_f32 v10, v11, v10, 1.0
	v_fma_f32 v11, v7, v12, v6
	v_fma_f32 v6, -v6, v12, v7
	v_mul_f32_e32 v14, v11, v10
	v_mul_f32_e32 v15, v6, v10
.LBB157_128:                            ;   in Loop: Header=BB157_122 Depth=1
	s_lshl_b32 s10, s10, 3
	s_addk_i32 s10, 0xa0
	s_lshl_b32 s11, s9, 3
	s_add_i32 s4, s10, s11
	v_mov_b32_e32 v6, s4
	ds_read_b128 v[10:13], v6
	s_mov_b64 s[4:5], -1
	ds_write_b64 v16, v[14:15]
	s_waitcnt lgkmcnt(1)
	v_mul_f32_e32 v6, v15, v11
	v_mul_f32_e32 v7, v14, v11
	v_fma_f32 v6, v14, v10, -v6
	v_fmac_f32_e32 v7, v15, v10
	v_cmp_ngt_f32_e64 s[12:13], |v12|, |v13|
	v_sub_f32_e32 v6, v8, v6
	v_sub_f32_e32 v7, v9, v7
	s_and_b64 vcc, exec, s[12:13]
                                        ; implicit-def: $vgpr11
	s_cbranch_vccz .LBB157_130
; %bb.129:                              ;   in Loop: Header=BB157_122 Depth=1
	v_div_scale_f32 v8, s[4:5], v13, v13, v12
	v_rcp_f32_e32 v9, v8
	v_div_scale_f32 v10, vcc, v12, v13, v12
	v_fma_f32 v11, -v8, v9, 1.0
	v_fmac_f32_e32 v9, v11, v9
	v_mul_f32_e32 v11, v10, v9
	v_fma_f32 v17, -v8, v11, v10
	v_fmac_f32_e32 v11, v17, v9
	v_fma_f32 v8, -v8, v11, v10
	v_div_fmas_f32 v8, v8, v9, v11
	v_div_fixup_f32 v8, v8, v13, v12
	v_fma_f32 v9, v12, v8, v13
	v_div_scale_f32 v10, s[4:5], v9, v9, 1.0
	v_rcp_f32_e32 v11, v10
	s_mov_b64 s[4:5], 0
	v_fma_f32 v17, -v10, v11, 1.0
	v_fmac_f32_e32 v11, v17, v11
	v_div_scale_f32 v17, vcc, 1.0, v9, 1.0
	v_mul_f32_e32 v18, v17, v11
	v_fma_f32 v19, -v10, v18, v17
	v_fmac_f32_e32 v18, v19, v11
	v_fma_f32 v10, -v10, v18, v17
	v_div_fmas_f32 v10, v10, v11, v18
	v_div_fixup_f32 v9, v10, v9, 1.0
	v_fma_f32 v10, v8, v6, v7
	v_fma_f32 v8, v8, v7, -v6
	v_mul_f32_e32 v10, v10, v9
	v_mul_f32_e32 v11, v8, v9
.LBB157_130:                            ;   in Loop: Header=BB157_122 Depth=1
	s_andn2_b64 vcc, exec, s[4:5]
	s_cbranch_vccnz .LBB157_132
; %bb.131:                              ;   in Loop: Header=BB157_122 Depth=1
	v_div_scale_f32 v8, s[4:5], v12, v12, v13
	v_rcp_f32_e32 v9, v8
	v_div_scale_f32 v10, vcc, v13, v12, v13
	v_fma_f32 v11, -v8, v9, 1.0
	v_fmac_f32_e32 v9, v11, v9
	v_mul_f32_e32 v11, v10, v9
	v_fma_f32 v17, -v8, v11, v10
	v_fmac_f32_e32 v11, v17, v9
	v_fma_f32 v8, -v8, v11, v10
	v_div_fmas_f32 v8, v8, v9, v11
	v_div_fixup_f32 v8, v8, v12, v13
	v_fmac_f32_e32 v12, v13, v8
	v_div_scale_f32 v9, s[4:5], v12, v12, 1.0
	v_rcp_f32_e32 v10, v9
	s_nop 0
	v_fma_f32 v11, -v9, v10, 1.0
	v_fmac_f32_e32 v10, v11, v10
	v_div_scale_f32 v11, vcc, 1.0, v12, 1.0
	v_mul_f32_e32 v13, v11, v10
	v_fma_f32 v17, -v9, v13, v11
	v_fmac_f32_e32 v13, v17, v10
	v_fma_f32 v9, -v9, v13, v11
	v_div_fmas_f32 v9, v9, v10, v13
	v_div_fixup_f32 v9, v9, v12, 1.0
	v_fma_f32 v10, v8, v7, v6
	v_fma_f32 v6, -v8, v6, v7
	v_mul_f32_e32 v10, v10, v9
	v_mul_f32_e32 v11, v6, v9
.LBB157_132:                            ;   in Loop: Header=BB157_122 Depth=1
	s_addk_i32 s10, 0xa0
	s_add_i32 s10, s10, s11
	v_mov_b32_e32 v6, s10
	ds_read_b128 v[18:21], v6
	v_mov_b32_e32 v8, v15
	ds_read_b64 v[6:7], v6 offset:16
	s_mov_b64 s[4:5], -1
	ds_write_b64 v16, v[10:11] offset:160
	s_waitcnt lgkmcnt(2)
	v_pk_mul_f32 v[8:9], v[8:9], v[18:19] op_sel_hi:[0,1]
	v_pk_fma_f32 v[12:13], v[14:15], v[18:19], v[8:9] op_sel:[0,0,1] op_sel_hi:[1,1,0] neg_lo:[0,0,1] neg_hi:[0,0,1]
	v_pk_fma_f32 v[8:9], v[14:15], v[18:19], v[8:9] op_sel:[0,0,1] op_sel_hi:[0,1,0]
	v_mov_b32_e32 v8, v11
	v_mov_b32_e32 v13, v9
	v_pk_mul_f32 v[8:9], v[8:9], v[20:21] op_sel_hi:[0,1]
	v_pk_add_f32 v[2:3], v[2:3], v[12:13] neg_lo:[0,1] neg_hi:[0,1]
	v_pk_fma_f32 v[12:13], v[10:11], v[20:21], v[8:9] op_sel:[0,0,1] op_sel_hi:[1,1,0] neg_lo:[0,0,1] neg_hi:[0,0,1]
	v_pk_fma_f32 v[8:9], v[10:11], v[20:21], v[8:9] op_sel:[0,0,1] op_sel_hi:[0,1,0]
	v_mov_b32_e32 v13, v9
	s_waitcnt lgkmcnt(1)
	v_cmp_ngt_f32_e64 s[12:13], |v6|, |v7|
	v_pk_add_f32 v[2:3], v[2:3], v[12:13] neg_lo:[0,1] neg_hi:[0,1]
	s_and_b64 vcc, exec, s[12:13]
                                        ; implicit-def: $vgpr12_vgpr13
	s_cbranch_vccz .LBB157_134
; %bb.133:                              ;   in Loop: Header=BB157_122 Depth=1
	v_div_scale_f32 v8, s[4:5], v7, v7, v6
	v_rcp_f32_e32 v9, v8
	v_div_scale_f32 v12, vcc, v6, v7, v6
	v_fma_f32 v13, -v8, v9, 1.0
	v_fmac_f32_e32 v9, v13, v9
	v_mul_f32_e32 v13, v12, v9
	v_fma_f32 v17, -v8, v13, v12
	v_fmac_f32_e32 v13, v17, v9
	v_fma_f32 v8, -v8, v13, v12
	v_div_fmas_f32 v8, v8, v9, v13
	v_div_fixup_f32 v8, v8, v7, v6
	v_fma_f32 v9, v6, v8, v7
	v_div_scale_f32 v17, s[4:5], v9, v9, 1.0
	v_rcp_f32_e32 v18, v17
	v_pk_fma_f32 v[12:13], v[8:9], v[2:3], v[2:3] op_sel:[0,0,1] op_sel_hi:[1,1,0]
	s_mov_b64 s[4:5], 0
	v_fma_f32 v13, -v17, v18, 1.0
	v_fmac_f32_e32 v18, v13, v18
	v_div_scale_f32 v13, vcc, 1.0, v9, 1.0
	v_mul_f32_e32 v19, v13, v18
	v_fma_f32 v20, -v17, v19, v13
	v_fmac_f32_e32 v19, v20, v18
	v_fma_f32 v13, -v17, v19, v13
	v_div_fmas_f32 v13, v13, v18, v19
	v_div_fixup_f32 v13, v13, v9, 1.0
	v_fma_f32 v9, v8, v3, -v2
	v_mov_b32_e32 v8, v13
	v_pk_mul_f32 v[12:13], v[12:13], v[8:9]
.LBB157_134:                            ;   in Loop: Header=BB157_122 Depth=1
	s_andn2_b64 vcc, exec, s[4:5]
	s_cbranch_vccnz .LBB157_136
; %bb.135:                              ;   in Loop: Header=BB157_122 Depth=1
	v_div_scale_f32 v8, s[4:5], v6, v6, v7
	v_rcp_f32_e32 v9, v8
	v_div_scale_f32 v12, vcc, v7, v6, v7
	v_fma_f32 v13, -v8, v9, 1.0
	v_fmac_f32_e32 v9, v13, v9
	v_mul_f32_e32 v13, v12, v9
	v_fma_f32 v17, -v8, v13, v12
	v_fmac_f32_e32 v13, v17, v9
	v_fma_f32 v8, -v8, v13, v12
	v_div_fmas_f32 v8, v8, v9, v13
	v_div_fixup_f32 v8, v8, v6, v7
	v_fmac_f32_e32 v6, v7, v8
	v_div_scale_f32 v7, s[4:5], v6, v6, 1.0
	v_rcp_f32_e32 v9, v7
	s_nop 0
	v_fma_f32 v12, -v7, v9, 1.0
	v_fmac_f32_e32 v9, v12, v9
	v_div_scale_f32 v12, vcc, 1.0, v6, 1.0
	v_mul_f32_e32 v13, v12, v9
	v_fma_f32 v17, -v7, v13, v12
	v_fmac_f32_e32 v13, v17, v9
	v_fma_f32 v7, -v7, v13, v12
	v_div_fmas_f32 v7, v7, v9, v13
	v_pk_fma_f32 v[12:13], v[8:9], v[2:3], v[2:3] op_sel:[0,1,0] op_sel_hi:[1,0,1]
	v_pk_fma_f32 v[2:3], v[8:9], v[2:3], v[2:3] op_sel:[0,1,0] op_sel_hi:[0,0,1] neg_lo:[1,0,0] neg_hi:[1,0,0]
	v_div_fixup_f32 v6, v7, v6, 1.0
	v_mov_b32_e32 v13, v3
	v_pk_mul_f32 v[12:13], v[12:13], v[6:7] op_sel_hi:[1,0]
.LBB157_136:                            ;   in Loop: Header=BB157_122 Depth=1
	v_mov_b32_e32 v6, s10
	ds_read_b128 v[18:21], v6 offset:160
	v_mov_b32_e32 v2, v15
	v_mov_b32_e32 v3, v15
	;; [unrolled: 1-line block ×3, first 2 shown]
	ds_read_b128 v[6:9], v6 offset:176
	s_waitcnt lgkmcnt(1)
	v_pk_mul_f32 v[2:3], v[2:3], v[18:19]
	v_mov_b32_e32 v22, v11
	v_pk_fma_f32 v[24:25], v[14:15], v[18:19], v[2:3] op_sel:[0,0,1] op_sel_hi:[1,1,0] neg_lo:[0,0,1] neg_hi:[0,0,1]
	v_pk_fma_f32 v[2:3], v[14:15], v[18:19], v[2:3] op_sel:[0,0,1] op_sel_hi:[1,1,0]
	v_mov_b32_e32 v23, v11
	v_mov_b32_e32 v25, v3
	;; [unrolled: 1-line block ×3, first 2 shown]
	v_pk_add_f32 v[2:3], v[4:5], v[24:25] neg_lo:[0,1] neg_hi:[0,1]
	v_pk_mul_f32 v[4:5], v[22:23], v[20:21]
	s_waitcnt lgkmcnt(0)
	v_cmp_ngt_f32_e64 s[10:11], |v8|, |v9|
	v_pk_fma_f32 v[14:15], v[10:11], v[20:21], v[4:5] op_sel:[0,0,1] op_sel_hi:[1,1,0] neg_lo:[0,0,1] neg_hi:[0,0,1]
	v_pk_fma_f32 v[4:5], v[10:11], v[20:21], v[4:5] op_sel:[0,0,1] op_sel_hi:[1,1,0]
	s_mov_b64 s[4:5], -1
	v_mov_b32_e32 v15, v5
	v_pk_mul_f32 v[4:5], v[12:13], v[6:7] op_sel:[1,1] op_sel_hi:[1,0]
	v_pk_add_f32 v[2:3], v[2:3], v[14:15] neg_lo:[0,1] neg_hi:[0,1]
	v_pk_fma_f32 v[10:11], v[12:13], v[6:7], v[4:5] neg_lo:[0,0,1] neg_hi:[0,0,1]
	v_pk_fma_f32 v[4:5], v[12:13], v[6:7], v[4:5] op_sel_hi:[0,1,1]
	v_mov_b32_e32 v11, v5
	v_pk_add_f32 v[2:3], v[2:3], v[10:11] neg_lo:[0,1] neg_hi:[0,1]
	s_and_b64 vcc, exec, s[10:11]
	ds_write_b64 v16, v[12:13] offset:320
                                        ; implicit-def: $vgpr4_vgpr5
	s_cbranch_vccz .LBB157_138
; %bb.137:                              ;   in Loop: Header=BB157_122 Depth=1
	v_div_scale_f32 v4, s[4:5], v9, v9, v8
	v_rcp_f32_e32 v5, v4
	v_div_scale_f32 v6, vcc, v8, v9, v8
	v_fma_f32 v7, -v4, v5, 1.0
	v_fmac_f32_e32 v5, v7, v5
	v_mul_f32_e32 v7, v6, v5
	v_fma_f32 v10, -v4, v7, v6
	v_fmac_f32_e32 v7, v10, v5
	v_fma_f32 v4, -v4, v7, v6
	v_div_fmas_f32 v4, v4, v5, v7
	v_div_fixup_f32 v4, v4, v9, v8
	v_fma_f32 v5, v8, v4, v9
	v_div_scale_f32 v10, s[4:5], v5, v5, 1.0
	v_rcp_f32_e32 v11, v10
	v_pk_fma_f32 v[6:7], v[4:5], v[2:3], v[2:3] op_sel:[0,0,1] op_sel_hi:[1,1,0]
	s_mov_b64 s[4:5], 0
	v_fma_f32 v7, -v10, v11, 1.0
	v_fmac_f32_e32 v11, v7, v11
	v_div_scale_f32 v7, vcc, 1.0, v5, 1.0
	v_mul_f32_e32 v12, v7, v11
	v_fma_f32 v13, -v10, v12, v7
	v_fmac_f32_e32 v12, v13, v11
	v_fma_f32 v7, -v10, v12, v7
	v_div_fmas_f32 v7, v7, v11, v12
	v_div_fixup_f32 v7, v7, v5, 1.0
	v_fma_f32 v5, v4, v3, -v2
	v_mov_b32_e32 v4, v7
	v_pk_mul_f32 v[4:5], v[6:7], v[4:5]
.LBB157_138:                            ;   in Loop: Header=BB157_122 Depth=1
	s_andn2_b64 vcc, exec, s[4:5]
	s_cbranch_vccnz .LBB157_140
; %bb.139:                              ;   in Loop: Header=BB157_122 Depth=1
	v_div_scale_f32 v4, s[4:5], v8, v8, v9
	v_rcp_f32_e32 v5, v4
	v_div_scale_f32 v6, vcc, v9, v8, v9
	v_fma_f32 v7, -v4, v5, 1.0
	v_fmac_f32_e32 v5, v7, v5
	v_mul_f32_e32 v7, v6, v5
	v_fma_f32 v10, -v4, v7, v6
	v_fmac_f32_e32 v7, v10, v5
	v_fma_f32 v4, -v4, v7, v6
	v_div_fmas_f32 v4, v4, v5, v7
	v_div_fixup_f32 v4, v4, v8, v9
	v_fmac_f32_e32 v8, v9, v4
	v_div_scale_f32 v5, s[4:5], v8, v8, 1.0
	v_rcp_f32_e32 v6, v5
	s_nop 0
	v_fma_f32 v7, -v5, v6, 1.0
	v_fmac_f32_e32 v6, v7, v6
	v_div_scale_f32 v7, vcc, 1.0, v8, 1.0
	v_mul_f32_e32 v9, v7, v6
	v_fma_f32 v10, -v5, v9, v7
	v_fmac_f32_e32 v9, v10, v6
	v_fma_f32 v5, -v5, v9, v7
	v_div_fmas_f32 v5, v5, v6, v9
	v_div_fixup_f32 v6, v5, v8, 1.0
	v_pk_fma_f32 v[8:9], v[4:5], v[2:3], v[2:3] op_sel:[0,1,0] op_sel_hi:[1,0,1]
	v_pk_fma_f32 v[2:3], v[4:5], v[2:3], v[2:3] op_sel:[0,1,0] op_sel_hi:[0,0,1] neg_lo:[1,0,0] neg_hi:[1,0,0]
	v_mov_b32_e32 v9, v3
	v_pk_mul_f32 v[4:5], v[8:9], v[6:7] op_sel_hi:[1,0]
.LBB157_140:                            ;   in Loop: Header=BB157_122 Depth=1
	s_add_i32 s10, s9, 4
	s_add_i32 s4, s9, 7
	s_addk_i32 s7, 0x280
	s_cmp_ge_i32 s4, s26
	ds_write_b64 v16, v[4:5] offset:480
	s_cbranch_scc1 .LBB157_142
; %bb.141:                              ;   in Loop: Header=BB157_122 Depth=1
	s_mov_b32 s9, s10
	s_branch .LBB157_122
.LBB157_142:
	s_cmp_ge_i32 s10, s26
	s_cbranch_scc1 .LBB157_151
; %bb.143:
	v_mov_b32_e32 v2, 0xc80
	v_lshl_add_u32 v8, v0, 3, v2
	s_mul_i32 s7, s10, 0xa0
	s_branch .LBB157_145
.LBB157_144:                            ;   in Loop: Header=BB157_145 Depth=1
	s_add_i32 s10, s10, 1
	s_addk_i32 s7, 0xa0
	s_cmp_ge_i32 s10, s26
	ds_write_b64 v9, v[6:7]
	s_cbranch_scc1 .LBB157_151
.LBB157_145:                            ; =>This Loop Header: Depth=1
                                        ;     Child Loop BB157_146 Depth 2
	s_mul_i32 s4, s10, 0xa0
	v_add_u32_e32 v9, s4, v1
	ds_read_b64 v[2:3], v9
	s_cmp_eq_u32 s10, 0
	s_mov_b32 s4, s7
	v_mov_b32_e32 v4, v8
	s_mov_b32 s5, s10
	s_cbranch_scc1 .LBB157_147
.LBB157_146:                            ;   Parent Loop BB157_145 Depth=1
                                        ; =>  This Inner Loop Header: Depth=2
	v_mov_b32_e32 v5, s4
	ds_read_b64 v[6:7], v4
	ds_read_b64 v[10:11], v5
	s_add_i32 s5, s5, -1
	s_add_i32 s4, s4, 8
	v_add_u32_e32 v4, 0xa0, v4
	s_cmp_eq_u32 s5, 0
	s_waitcnt lgkmcnt(0)
	v_pk_mul_f32 v[12:13], v[10:11], v[6:7] op_sel:[1,1] op_sel_hi:[0,1]
	v_pk_fma_f32 v[14:15], v[10:11], v[6:7], v[12:13] op_sel_hi:[1,0,1]
	v_pk_fma_f32 v[6:7], v[10:11], v[6:7], v[12:13] op_sel_hi:[1,0,1] neg_lo:[0,0,1] neg_hi:[0,0,1]
	s_nop 0
	v_mov_b32_e32 v7, v15
	v_pk_add_f32 v[2:3], v[2:3], v[6:7] neg_lo:[0,1] neg_hi:[0,1]
	s_cbranch_scc0 .LBB157_146
.LBB157_147:                            ;   in Loop: Header=BB157_145 Depth=1
	s_mul_i32 s4, s10, 0xa8
	v_mov_b32_e32 v4, s4
	ds_read_b64 v[4:5], v4
	s_mov_b64 s[4:5], -1
                                        ; implicit-def: $vgpr6_vgpr7
	s_waitcnt lgkmcnt(0)
	v_cmp_ngt_f32_e64 s[12:13], |v4|, |v5|
	s_and_b64 vcc, exec, s[12:13]
	s_cbranch_vccz .LBB157_149
; %bb.148:                              ;   in Loop: Header=BB157_145 Depth=1
	v_div_scale_f32 v6, s[4:5], v5, v5, v4
	v_rcp_f32_e32 v7, v6
	v_div_scale_f32 v10, vcc, v4, v5, v4
	v_fma_f32 v11, -v6, v7, 1.0
	v_fmac_f32_e32 v7, v11, v7
	v_mul_f32_e32 v11, v10, v7
	v_fma_f32 v12, -v6, v11, v10
	v_fmac_f32_e32 v11, v12, v7
	v_fma_f32 v6, -v6, v11, v10
	v_div_fmas_f32 v6, v6, v7, v11
	v_div_fixup_f32 v6, v6, v5, v4
	v_fma_f32 v7, v4, v6, v5
	v_div_scale_f32 v10, s[4:5], v7, v7, 1.0
	v_rcp_f32_e32 v11, v10
	s_mov_b64 s[4:5], 0
	v_fma_f32 v12, -v10, v11, 1.0
	v_fmac_f32_e32 v11, v12, v11
	v_div_scale_f32 v12, vcc, 1.0, v7, 1.0
	v_mul_f32_e32 v13, v12, v11
	v_fma_f32 v14, -v10, v13, v12
	v_fmac_f32_e32 v13, v14, v11
	v_fma_f32 v10, -v10, v13, v12
	v_div_fmas_f32 v10, v10, v11, v13
	v_div_fixup_f32 v10, v10, v7, 1.0
	v_pk_fma_f32 v[12:13], v[2:3], v[6:7], v[2:3] op_sel:[0,0,1] op_sel_hi:[1,0,0] neg_lo:[0,0,1] neg_hi:[0,0,1]
	v_pk_fma_f32 v[6:7], v[2:3], v[6:7], v[2:3] op_sel:[0,0,1] op_sel_hi:[1,0,0]
	s_nop 0
	v_mov_b32_e32 v7, v13
	v_pk_mul_f32 v[6:7], v[6:7], v[10:11] op_sel_hi:[1,0]
.LBB157_149:                            ;   in Loop: Header=BB157_145 Depth=1
	s_andn2_b64 vcc, exec, s[4:5]
	s_cbranch_vccnz .LBB157_144
; %bb.150:                              ;   in Loop: Header=BB157_145 Depth=1
	v_div_scale_f32 v6, s[4:5], v4, v4, v5
	v_rcp_f32_e32 v7, v6
	v_div_scale_f32 v10, vcc, v5, v4, v5
	v_fma_f32 v11, -v6, v7, 1.0
	v_fmac_f32_e32 v7, v11, v7
	v_mul_f32_e32 v11, v10, v7
	v_fma_f32 v12, -v6, v11, v10
	v_fmac_f32_e32 v11, v12, v7
	v_fma_f32 v6, -v6, v11, v10
	v_div_fmas_f32 v6, v6, v7, v11
	v_div_fixup_f32 v6, v6, v4, v5
	v_fmac_f32_e32 v4, v5, v6
	v_div_scale_f32 v5, s[4:5], v4, v4, 1.0
	v_rcp_f32_e32 v7, v5
	s_nop 0
	v_fma_f32 v10, -v5, v7, 1.0
	v_fmac_f32_e32 v7, v10, v7
	v_div_scale_f32 v10, vcc, 1.0, v4, 1.0
	v_mul_f32_e32 v11, v10, v7
	v_fma_f32 v12, -v5, v11, v10
	v_fmac_f32_e32 v11, v12, v7
	v_fma_f32 v5, -v5, v11, v10
	v_div_fmas_f32 v5, v5, v7, v11
	v_pk_fma_f32 v[10:11], v[2:3], v[6:7], v[2:3] op_sel:[1,0,0] op_sel_hi:[0,0,1] neg_lo:[1,0,0] neg_hi:[1,0,0]
	v_pk_fma_f32 v[2:3], v[2:3], v[6:7], v[2:3] op_sel:[1,0,0] op_sel_hi:[0,0,1]
	v_div_fixup_f32 v4, v5, v4, 1.0
	v_mov_b32_e32 v3, v11
	v_pk_mul_f32 v[6:7], v[2:3], v[4:5] op_sel_hi:[1,0]
	s_branch .LBB157_144
.LBB157_151:
	s_and_saveexec_b64 s[4:5], s[0:1]
	s_cbranch_execz .LBB157_155
; %bb.152:
	s_cmp_lt_i32 s8, 1
	s_cbranch_scc1 .LBB157_155
; %bb.153:
	s_ashr_i32 s7, s6, 31
	v_lshlrev_b32_e32 v2, 3, v0
	v_mov_b32_e32 v3, 0
	v_lshl_add_u64 v[0:1], s[2:3], 0, v[2:3]
	s_lshl_b64 s[0:1], s[6:7], 3
	v_add_u32_e32 v2, 0xc80, v2
.LBB157_154:                            ; =>This Inner Loop Header: Depth=1
	ds_read_b64 v[4:5], v2
	s_add_i32 s8, s8, -1
	v_add_u32_e32 v2, 0xa0, v2
	s_cmp_lg_u32 s8, 0
	s_waitcnt lgkmcnt(0)
	flat_store_dwordx2 v[0:1], v[4:5]
	v_lshl_add_u64 v[0:1], v[0:1], 0, s[0:1]
	s_cbranch_scc1 .LBB157_154
.LBB157_155:
	s_endpgm
	.section	.rodata,"a",@progbits
	.p2align	6, 0x0
	.amdhsa_kernel _ZL31rocblas_trsm_small_right_deviceI19rocblas_complex_numIfES1_PKPKS1_PKPS1_Li20EEv13rocblas_fill_18rocblas_operation_17rocblas_diagonal_iiT0_T1_lilT2_lili
		.amdhsa_group_segment_fixed_size 6400
		.amdhsa_private_segment_fixed_size 0
		.amdhsa_kernarg_size 360
		.amdhsa_user_sgpr_count 2
		.amdhsa_user_sgpr_dispatch_ptr 0
		.amdhsa_user_sgpr_queue_ptr 0
		.amdhsa_user_sgpr_kernarg_segment_ptr 1
		.amdhsa_user_sgpr_dispatch_id 0
		.amdhsa_user_sgpr_kernarg_preload_length 0
		.amdhsa_user_sgpr_kernarg_preload_offset 0
		.amdhsa_user_sgpr_private_segment_size 0
		.amdhsa_uses_dynamic_stack 0
		.amdhsa_enable_private_segment 0
		.amdhsa_system_sgpr_workgroup_id_x 1
		.amdhsa_system_sgpr_workgroup_id_y 0
		.amdhsa_system_sgpr_workgroup_id_z 1
		.amdhsa_system_sgpr_workgroup_info 0
		.amdhsa_system_vgpr_workitem_id 0
		.amdhsa_next_free_vgpr 65
		.amdhsa_next_free_sgpr 75
		.amdhsa_accum_offset 36
		.amdhsa_reserve_vcc 1
		.amdhsa_float_round_mode_32 0
		.amdhsa_float_round_mode_16_64 0
		.amdhsa_float_denorm_mode_32 3
		.amdhsa_float_denorm_mode_16_64 3
		.amdhsa_dx10_clamp 1
		.amdhsa_ieee_mode 1
		.amdhsa_fp16_overflow 0
		.amdhsa_tg_split 0
		.amdhsa_exception_fp_ieee_invalid_op 0
		.amdhsa_exception_fp_denorm_src 0
		.amdhsa_exception_fp_ieee_div_zero 0
		.amdhsa_exception_fp_ieee_overflow 0
		.amdhsa_exception_fp_ieee_underflow 0
		.amdhsa_exception_fp_ieee_inexact 0
		.amdhsa_exception_int_div_zero 0
	.end_amdhsa_kernel
	.section	.text._ZL31rocblas_trsm_small_right_deviceI19rocblas_complex_numIfES1_PKPKS1_PKPS1_Li20EEv13rocblas_fill_18rocblas_operation_17rocblas_diagonal_iiT0_T1_lilT2_lili,"axG",@progbits,_ZL31rocblas_trsm_small_right_deviceI19rocblas_complex_numIfES1_PKPKS1_PKPS1_Li20EEv13rocblas_fill_18rocblas_operation_17rocblas_diagonal_iiT0_T1_lilT2_lili,comdat
.Lfunc_end157:
	.size	_ZL31rocblas_trsm_small_right_deviceI19rocblas_complex_numIfES1_PKPKS1_PKPS1_Li20EEv13rocblas_fill_18rocblas_operation_17rocblas_diagonal_iiT0_T1_lilT2_lili, .Lfunc_end157-_ZL31rocblas_trsm_small_right_deviceI19rocblas_complex_numIfES1_PKPKS1_PKPS1_Li20EEv13rocblas_fill_18rocblas_operation_17rocblas_diagonal_iiT0_T1_lilT2_lili
                                        ; -- End function
	.set _ZL31rocblas_trsm_small_right_deviceI19rocblas_complex_numIfES1_PKPKS1_PKPS1_Li20EEv13rocblas_fill_18rocblas_operation_17rocblas_diagonal_iiT0_T1_lilT2_lili.num_vgpr, 34
	.set _ZL31rocblas_trsm_small_right_deviceI19rocblas_complex_numIfES1_PKPKS1_PKPS1_Li20EEv13rocblas_fill_18rocblas_operation_17rocblas_diagonal_iiT0_T1_lilT2_lili.num_agpr, 0
	.set _ZL31rocblas_trsm_small_right_deviceI19rocblas_complex_numIfES1_PKPKS1_PKPS1_Li20EEv13rocblas_fill_18rocblas_operation_17rocblas_diagonal_iiT0_T1_lilT2_lili.numbered_sgpr, 32
	.set _ZL31rocblas_trsm_small_right_deviceI19rocblas_complex_numIfES1_PKPKS1_PKPS1_Li20EEv13rocblas_fill_18rocblas_operation_17rocblas_diagonal_iiT0_T1_lilT2_lili.num_named_barrier, 0
	.set _ZL31rocblas_trsm_small_right_deviceI19rocblas_complex_numIfES1_PKPKS1_PKPS1_Li20EEv13rocblas_fill_18rocblas_operation_17rocblas_diagonal_iiT0_T1_lilT2_lili.private_seg_size, 0
	.set _ZL31rocblas_trsm_small_right_deviceI19rocblas_complex_numIfES1_PKPKS1_PKPS1_Li20EEv13rocblas_fill_18rocblas_operation_17rocblas_diagonal_iiT0_T1_lilT2_lili.uses_vcc, 1
	.set _ZL31rocblas_trsm_small_right_deviceI19rocblas_complex_numIfES1_PKPKS1_PKPS1_Li20EEv13rocblas_fill_18rocblas_operation_17rocblas_diagonal_iiT0_T1_lilT2_lili.uses_flat_scratch, 0
	.set _ZL31rocblas_trsm_small_right_deviceI19rocblas_complex_numIfES1_PKPKS1_PKPS1_Li20EEv13rocblas_fill_18rocblas_operation_17rocblas_diagonal_iiT0_T1_lilT2_lili.has_dyn_sized_stack, 0
	.set _ZL31rocblas_trsm_small_right_deviceI19rocblas_complex_numIfES1_PKPKS1_PKPS1_Li20EEv13rocblas_fill_18rocblas_operation_17rocblas_diagonal_iiT0_T1_lilT2_lili.has_recursion, 0
	.set _ZL31rocblas_trsm_small_right_deviceI19rocblas_complex_numIfES1_PKPKS1_PKPS1_Li20EEv13rocblas_fill_18rocblas_operation_17rocblas_diagonal_iiT0_T1_lilT2_lili.has_indirect_call, 0
	.section	.AMDGPU.csdata,"",@progbits
; Kernel info:
; codeLenInByte = 12936
; TotalNumSgprs: 38
; NumVgprs: 34
; NumAgprs: 0
; TotalNumVgprs: 34
; ScratchSize: 0
; MemoryBound: 0
; FloatMode: 240
; IeeeMode: 1
; LDSByteSize: 6400 bytes/workgroup (compile time only)
; SGPRBlocks: 10
; VGPRBlocks: 8
; NumSGPRsForWavesPerEU: 81
; NumVGPRsForWavesPerEU: 65
; AccumOffset: 36
; Occupancy: 7
; WaveLimiterHint : 1
; COMPUTE_PGM_RSRC2:SCRATCH_EN: 0
; COMPUTE_PGM_RSRC2:USER_SGPR: 2
; COMPUTE_PGM_RSRC2:TRAP_HANDLER: 0
; COMPUTE_PGM_RSRC2:TGID_X_EN: 1
; COMPUTE_PGM_RSRC2:TGID_Y_EN: 0
; COMPUTE_PGM_RSRC2:TGID_Z_EN: 1
; COMPUTE_PGM_RSRC2:TIDIG_COMP_CNT: 0
; COMPUTE_PGM_RSRC3_GFX90A:ACCUM_OFFSET: 8
; COMPUTE_PGM_RSRC3_GFX90A:TG_SPLIT: 0
	.section	.text._ZL38rocblas_trsm_small_left_device_sharedBILi24ELi24ELb0E19rocblas_complex_numIfES1_PKPKS1_PKPS1_Ev13rocblas_fill_18rocblas_operation_17rocblas_diagonal_iiT3_T4_lilT5_lili,"axG",@progbits,_ZL38rocblas_trsm_small_left_device_sharedBILi24ELi24ELb0E19rocblas_complex_numIfES1_PKPKS1_PKPS1_Ev13rocblas_fill_18rocblas_operation_17rocblas_diagonal_iiT3_T4_lilT5_lili,comdat
	.globl	_ZL38rocblas_trsm_small_left_device_sharedBILi24ELi24ELb0E19rocblas_complex_numIfES1_PKPKS1_PKPS1_Ev13rocblas_fill_18rocblas_operation_17rocblas_diagonal_iiT3_T4_lilT5_lili ; -- Begin function _ZL38rocblas_trsm_small_left_device_sharedBILi24ELi24ELb0E19rocblas_complex_numIfES1_PKPKS1_PKPS1_Ev13rocblas_fill_18rocblas_operation_17rocblas_diagonal_iiT3_T4_lilT5_lili
	.p2align	8
	.type	_ZL38rocblas_trsm_small_left_device_sharedBILi24ELi24ELb0E19rocblas_complex_numIfES1_PKPKS1_PKPS1_Ev13rocblas_fill_18rocblas_operation_17rocblas_diagonal_iiT3_T4_lilT5_lili,@function
_ZL38rocblas_trsm_small_left_device_sharedBILi24ELi24ELb0E19rocblas_complex_numIfES1_PKPKS1_PKPS1_Ev13rocblas_fill_18rocblas_operation_17rocblas_diagonal_iiT3_T4_lilT5_lili: ; @_ZL38rocblas_trsm_small_left_device_sharedBILi24ELi24ELb0E19rocblas_complex_numIfES1_PKPKS1_PKPS1_Ev13rocblas_fill_18rocblas_operation_17rocblas_diagonal_iiT3_T4_lilT5_lili
; %bb.0:
	s_load_dwordx4 s[8:11], s[0:1], 0x40
	s_load_dwordx4 s[4:7], s[0:1], 0x4
	s_load_dwordx2 s[12:13], s[0:1], 0x14
	s_mov_b32 s14, s3
	s_mov_b32 s15, 0
	s_lshl_b64 s[18:19], s[14:15], 3
	s_waitcnt lgkmcnt(0)
	s_add_u32 s8, s8, s18
	s_addc_u32 s9, s9, s19
	s_load_dword s3, s[0:1], 0x68
	s_load_dwordx2 s[14:15], s[8:9], 0x0
	s_min_i32 s26, s6, 24
	v_cmp_gt_i32_e32 vcc, s26, v0
	s_and_saveexec_b64 s[8:9], vcc
	s_cbranch_execz .LBB158_15
; %bb.1:
	s_load_dword s24, s[0:1], 0x30
	s_load_dwordx4 s[20:23], s[0:1], 0x20
	v_lshlrev_b32_e32 v2, 3, v0
	v_mov_b32_e32 v3, 0
	v_mov_b32_e32 v1, v2
	s_waitcnt lgkmcnt(0)
	s_ashr_i32 s25, s24, 31
	s_cmpk_lg_i32 s4, 0x71
	s_cselect_b64 s[16:17], -1, 0
	s_add_u32 s18, s20, s18
	s_addc_u32 s19, s21, s19
	s_load_dwordx2 s[18:19], s[18:19], 0x0
	s_lshl_b64 s[20:21], s[22:23], 3
	s_mov_b32 s22, s26
	s_waitcnt lgkmcnt(0)
	s_add_u32 s20, s18, s20
	s_addc_u32 s21, s19, s21
	s_lshl_b64 s[18:19], s[24:25], 3
	v_lshl_add_u64 v[4:5], s[20:21], 0, v[2:3]
	s_branch .LBB158_3
.LBB158_2:                              ;   in Loop: Header=BB158_3 Depth=1
	flat_load_dword v6, v[4:5]
	s_add_i32 s22, s22, -1
	v_lshl_add_u64 v[4:5], v[4:5], 0, s[18:19]
	s_cmp_eq_u32 s22, 0
	s_waitcnt vmcnt(0) lgkmcnt(0)
	ds_write_b64 v1, v[6:7]
	v_add_u32_e32 v1, 0xc0, v1
	s_cbranch_scc1 .LBB158_7
.LBB158_3:                              ; =>This Inner Loop Header: Depth=1
	s_mov_b64 s[20:21], -1
	s_and_b64 vcc, exec, s[16:17]
                                        ; implicit-def: $vgpr7
	s_cbranch_vccz .LBB158_5
; %bb.4:                                ;   in Loop: Header=BB158_3 Depth=1
	flat_load_dword v7, v[4:5] offset:4
	s_mov_b64 s[20:21], 0
.LBB158_5:                              ;   in Loop: Header=BB158_3 Depth=1
	s_andn2_b64 vcc, exec, s[20:21]
	s_cbranch_vccnz .LBB158_2
; %bb.6:                                ;   in Loop: Header=BB158_3 Depth=1
	flat_load_dword v3, v[4:5] offset:4
	s_waitcnt vmcnt(0) lgkmcnt(0)
	v_xor_b32_e32 v7, 0x80000000, v3
	s_branch .LBB158_2
.LBB158_7:
	v_mul_u32_u24_e32 v1, 0xc0, v0
	s_cmpk_lg_i32 s5, 0x84
	s_mov_b64 s[16:17], -1
	v_add_u32_e32 v1, v2, v1
	s_cbranch_scc0 .LBB158_13
; %bb.8:
	ds_read_b64 v[2:3], v1
                                        ; implicit-def: $vgpr4_vgpr5
	s_waitcnt lgkmcnt(0)
	v_cmp_ngt_f32_e64 s[16:17], |v2|, |v3|
	s_and_saveexec_b64 s[18:19], s[16:17]
	s_xor_b64 s[16:17], exec, s[18:19]
	s_cbranch_execz .LBB158_10
; %bb.9:
	v_div_scale_f32 v4, s[18:19], v3, v3, v2
	v_rcp_f32_e32 v5, v4
	v_div_scale_f32 v6, vcc, v2, v3, v2
	v_fma_f32 v7, -v4, v5, 1.0
	v_fmac_f32_e32 v5, v7, v5
	v_mul_f32_e32 v7, v6, v5
	v_fma_f32 v8, -v4, v7, v6
	v_fmac_f32_e32 v7, v8, v5
	v_fma_f32 v4, -v4, v7, v6
	v_div_fmas_f32 v4, v4, v5, v7
	v_div_fixup_f32 v4, v4, v3, v2
	v_fmac_f32_e32 v3, v2, v4
	v_div_scale_f32 v2, s[18:19], v3, v3, 1.0
	v_rcp_f32_e32 v5, v2
	s_mov_b32 s18, 0
	s_mov_b32 s19, -1.0
	v_fma_f32 v6, -v2, v5, 1.0
	v_fmac_f32_e32 v5, v6, v5
	v_div_scale_f32 v6, vcc, 1.0, v3, 1.0
	v_mul_f32_e32 v7, v6, v5
	v_fma_f32 v8, -v2, v7, v6
	v_fmac_f32_e32 v7, v8, v5
	v_fma_f32 v2, -v2, v7, v6
	v_div_fmas_f32 v2, v2, v5, v7
	v_mul_f32_e32 v5, 0, v4
	v_div_fixup_f32 v2, v2, v3, 1.0
	v_pk_add_f32 v[4:5], v[4:5], s[18:19]
	s_nop 0
	v_pk_mul_f32 v[4:5], v[4:5], v[2:3] op_sel_hi:[1,0]
                                        ; implicit-def: $vgpr2_vgpr3
.LBB158_10:
	s_andn2_saveexec_b64 s[16:17], s[16:17]
	s_cbranch_execz .LBB158_12
; %bb.11:
	v_div_scale_f32 v4, s[18:19], v2, v2, v3
	v_rcp_f32_e32 v5, v4
	v_div_scale_f32 v6, vcc, v3, v2, v3
	v_fma_f32 v7, -v4, v5, 1.0
	v_fmac_f32_e32 v5, v7, v5
	v_mul_f32_e32 v7, v6, v5
	v_fma_f32 v8, -v4, v7, v6
	v_fmac_f32_e32 v7, v8, v5
	v_fma_f32 v4, -v4, v7, v6
	v_div_fmas_f32 v4, v4, v5, v7
	v_div_fixup_f32 v5, v4, v2, v3
	v_fmac_f32_e32 v2, v3, v5
	v_div_scale_f32 v3, s[18:19], v2, v2, 1.0
	v_rcp_f32_e32 v4, v3
	s_nop 0
	v_fma_f32 v6, -v3, v4, 1.0
	v_fmac_f32_e32 v4, v6, v4
	v_div_scale_f32 v6, vcc, 1.0, v2, 1.0
	v_mul_f32_e32 v7, v6, v4
	v_fma_f32 v8, -v3, v7, v6
	v_fmac_f32_e32 v7, v8, v4
	v_fma_f32 v3, -v3, v7, v6
	v_div_fmas_f32 v3, v3, v4, v7
	v_div_fixup_f32 v2, v3, v2, 1.0
	v_mul_f32_e32 v3, 0, v5
	v_add_f32_e32 v4, 1.0, v3
	v_sub_f32_e32 v5, 0, v5
	v_pk_mul_f32 v[4:5], v[4:5], v[2:3] op_sel_hi:[1,0]
.LBB158_12:
	s_or_b64 exec, exec, s[16:17]
	s_mov_b64 s[16:17], 0
	ds_write_b64 v1, v[4:5]
.LBB158_13:
	s_and_b64 vcc, exec, s[16:17]
	s_cbranch_vccz .LBB158_15
; %bb.14:
	v_mov_b32_e32 v2, 1.0
	v_mov_b32_e32 v3, 0
	ds_write_b64 v1, v[2:3]
.LBB158_15:
	s_or_b64 exec, exec, s[8:9]
	s_load_dword s27, s[0:1], 0x50
	s_lshl_b64 s[16:17], s[10:11], 3
	s_mul_i32 s0, s2, 0xffffffe8
	s_mul_i32 s18, s2, 24
	s_mov_b32 s28, 0
	s_waitcnt lgkmcnt(0)
	s_ashr_i32 s5, s27, 31
	s_add_u32 s8, s14, s16
	s_addc_u32 s9, s15, s17
	s_add_i32 s3, s3, -1
	s_add_i32 s0, s7, s0
	s_cmp_ge_u32 s2, s3
	s_cselect_b32 s7, s0, 24
	s_mul_hi_i32 s1, s27, s18
	s_mul_i32 s0, s27, s18
	s_lshl_b64 s[0:1], s[0:1], 3
	s_add_u32 s2, s8, s0
	s_addc_u32 s3, s9, s1
	s_cmp_gt_i32 s6, 0
	v_cmp_gt_i32_e64 s[0:1], s7, v0
	s_cselect_b64 s[8:9], -1, 0
	s_and_b64 s[20:21], s[0:1], s[8:9]
	s_and_saveexec_b64 s[10:11], s[20:21]
	s_cbranch_execz .LBB158_23
; %bb.16:
	s_cmp_lt_i32 s6, 2
	s_mov_b64 s[6:7], -1
	s_cbranch_scc1 .LBB158_20
; %bb.17:
	v_mad_i64_i32 v[2:3], s[6:7], s27, v0, 0
	v_mov_b32_e32 v1, 0x1200
	s_and_b32 s28, s26, 30
	s_mov_b32 s25, 0
	v_lshl_add_u64 v[2:3], v[2:3], 3, s[2:3]
	v_lshl_or_b32 v1, v0, 3, v1
	s_mov_b32 s6, s12
	s_mov_b32 s7, s12
	;; [unrolled: 1-line block ×7, first 2 shown]
.LBB158_18:                             ; =>This Inner Loop Header: Depth=1
	v_lshl_add_u64 v[4:5], s[24:25], 3, v[2:3]
	s_mov_b32 s23, s25
	v_lshl_add_u64 v[6:7], s[22:23], 3, v[2:3]
	flat_load_dwordx2 v[12:13], v[4:5]
	flat_load_dwordx2 v[8:9], v[6:7]
	s_mul_i32 s23, s22, 0xc0
	s_mul_i32 s29, s24, 0xc0
	s_add_i32 s24, s24, 2
	s_add_i32 s19, s19, -2
	s_add_i32 s22, s22, 2
	v_add_u32_e32 v10, s29, v1
	s_cmp_lg_u32 s19, 0
	v_add_u32_e32 v11, s23, v1
	s_waitcnt vmcnt(0) lgkmcnt(0)
	v_mov_b32_e32 v4, v12
	v_mov_b32_e32 v5, v8
	;; [unrolled: 1-line block ×3, first 2 shown]
	v_pk_mul_f32 v[6:7], s[20:21], v[8:9]
	v_pk_mul_f32 v[8:9], s[6:7], v[8:9]
	v_pk_fma_f32 v[6:7], s[6:7], v[4:5], v[6:7] neg_lo:[0,0,1] neg_hi:[0,0,1]
	v_pk_fma_f32 v[4:5], s[20:21], v[4:5], v[8:9]
	ds_write_b32 v10, v6
	ds_write_b32 v11, v7
	ds_write_b32 v10, v4 offset:4
	ds_write_b32 v11, v5 offset:4
	s_cbranch_scc1 .LBB158_18
; %bb.19:
	s_cmp_lg_u32 s26, s28
	s_cselect_b64 s[6:7], -1, 0
.LBB158_20:
	s_and_b64 vcc, exec, s[6:7]
	s_cbranch_vccz .LBB158_23
; %bb.21:
	s_ashr_i32 s19, s18, 31
	v_lshlrev_b32_e32 v2, 3, v0
	v_mov_b32_e32 v3, 0
	s_sub_i32 s20, s26, s28
	v_lshl_add_u64 v[4:5], s[18:19], 3, v[2:3]
	s_lshl_b32 s18, s28, 3
	s_add_u32 s14, s14, s18
	s_addc_u32 s15, s15, 0
	s_add_u32 s14, s14, s16
	s_addc_u32 s15, s15, s17
	v_mov_b64_e32 v[2:3], s[14:15]
	v_mad_u64_u32 v[2:3], s[14:15], v4, s27, v[2:3]
	v_mul_lo_u32 v1, v4, s5
	v_mul_lo_u32 v4, v5, s27
	s_mul_i32 s5, s28, 0xc0
	v_add3_u32 v3, v4, v3, v1
	v_lshl_add_u32 v1, v0, 3, s5
	s_mov_b32 s6, s13
	s_mov_b32 s7, s12
	v_add_u32_e32 v1, 0x1200, v1
.LBB158_22:                             ; =>This Inner Loop Header: Depth=1
	flat_load_dwordx2 v[4:5], v[2:3]
	s_add_i32 s20, s20, -1
	v_lshl_add_u64 v[2:3], v[2:3], 0, 8
	s_cmp_lg_u32 s20, 0
	s_waitcnt vmcnt(0) lgkmcnt(0)
	v_pk_mul_f32 v[6:7], s[6:7], v[4:5] op_sel:[0,1]
	s_nop 0
	v_pk_fma_f32 v[8:9], s[12:13], v[4:5], v[6:7] neg_lo:[0,0,1] neg_hi:[0,0,1]
	v_pk_fma_f32 v[4:5], s[12:13], v[4:5], v[6:7] op_sel_hi:[1,0,1]
	s_nop 0
	v_mov_b32_e32 v9, v5
	ds_write_b64 v1, v[8:9]
	v_add_u32_e32 v1, 0xc0, v1
	s_cbranch_scc1 .LBB158_22
.LBB158_23:
	s_or_b64 exec, exec, s[10:11]
	v_mov_b32_e32 v1, 0x1200
	s_cmpk_eq_i32 s4, 0x6f
	v_lshl_or_b32 v1, v0, 3, v1
	s_mov_b64 s[4:5], -1
	s_waitcnt lgkmcnt(0)
	; wave barrier
	s_cbranch_scc1 .LBB158_52
; %bb.24:
	s_mov_b32 s5, 0
	s_mov_b32 s4, s5
	;; [unrolled: 1-line block ×3, first 2 shown]
	s_branch .LBB158_26
.LBB158_25:                             ;   in Loop: Header=BB158_26 Depth=1
	s_cmp_ge_i32 s16, s26
	s_cselect_b64 s[6:7], -1, 0
	s_add_i32 s4, s4, 1
	s_cmp_eq_u32 s4, 3
	s_cselect_b64 s[10:11], -1, 0
	s_or_b64 s[6:7], s[6:7], s[10:11]
	s_andn2_b64 vcc, exec, s[6:7]
	s_cbranch_vccz .LBB158_51
.LBB158_26:                             ; =>This Loop Header: Depth=1
                                        ;     Child Loop BB158_29 Depth 2
                                        ;       Child Loop BB158_30 Depth 3
                                        ;       Child Loop BB158_34 Depth 3
                                        ;         Child Loop BB158_36 Depth 4
                                        ;         Child Loop BB158_42 Depth 4
                                        ;       Child Loop BB158_45 Depth 3
                                        ;         Child Loop BB158_47 Depth 4
	s_lshl_b64 s[6:7], s[4:5], 2
	s_getpc_b64 s[10:11]
	s_add_u32 s10, s10, __const._ZL38rocblas_trsm_small_left_device_sharedBILi24ELi24ELb0E19rocblas_complex_numIfES1_PKPKS1_PKPS1_Ev13rocblas_fill_18rocblas_operation_17rocblas_diagonal_iiT3_T4_lilT5_lili.step_sizes@rel32@lo+4
	s_addc_u32 s11, s11, __const._ZL38rocblas_trsm_small_left_device_sharedBILi24ELi24ELb0E19rocblas_complex_numIfES1_PKPKS1_PKPS1_Ev13rocblas_fill_18rocblas_operation_17rocblas_diagonal_iiT3_T4_lilT5_lili.step_sizes@rel32@hi+12
	s_add_u32 s6, s10, s6
	s_addc_u32 s7, s11, s7
	s_load_dword s17, s[6:7], 0x0
	s_waitcnt lgkmcnt(0)
	s_add_i32 s18, s17, -1
	s_add_i32 s6, s18, s16
	s_cmp_ge_i32 s6, s26
	s_cbranch_scc1 .LBB158_25
; %bb.27:                               ;   in Loop: Header=BB158_26 Depth=1
	s_max_i32 s19, s17, 1
	s_cmp_lg_u32 s4, 2
	s_cselect_b64 s[6:7], -1, 0
	s_and_b32 s20, s19, 0x7ffffffe
	s_cmp_lg_u32 s19, s20
	s_mul_i32 s12, s16, 0xc0
	s_cselect_b64 s[10:11], -1, 0
	v_add_u32_e32 v10, s12, v1
	s_mul_i32 s21, s17, 0xc0
	s_mul_i32 s22, s16, 0xc8
	;; [unrolled: 1-line block ×3, first 2 shown]
	s_branch .LBB158_29
.LBB158_28:                             ;   in Loop: Header=BB158_29 Depth=2
	s_add_i32 s16, s16, s17
	s_add_i32 s12, s18, s16
	s_add_i32 s22, s22, s23
	s_cmp_ge_i32 s12, s26
	v_add_u32_e32 v10, s21, v10
	s_cbranch_scc1 .LBB158_25
.LBB158_29:                             ;   Parent Loop BB158_26 Depth=1
                                        ; =>  This Loop Header: Depth=2
                                        ;       Child Loop BB158_30 Depth 3
                                        ;       Child Loop BB158_34 Depth 3
                                        ;         Child Loop BB158_36 Depth 4
                                        ;         Child Loop BB158_42 Depth 4
                                        ;       Child Loop BB158_45 Depth 3
                                        ;         Child Loop BB158_47 Depth 4
	s_mov_b32 s12, 0
	v_mov_b32_e32 v2, v10
	s_mov_b32 s13, s19
.LBB158_30:                             ;   Parent Loop BB158_26 Depth=1
                                        ;     Parent Loop BB158_29 Depth=2
                                        ; =>    This Inner Loop Header: Depth=3
	ds_read_b64 v[4:5], v2
	s_add_i32 s13, s13, -1
	v_add_u32_e32 v2, 0xc0, v2
	s_waitcnt lgkmcnt(0)
	scratch_store_dwordx2 off, v[4:5], s12
	s_add_i32 s12, s12, 8
	s_cmp_eq_u32 s13, 0
	s_cbranch_scc0 .LBB158_30
; %bb.31:                               ;   in Loop: Header=BB158_29 Depth=2
	s_cmp_lt_i32 s16, 1
	s_cbranch_scc1 .LBB158_43
; %bb.32:                               ;   in Loop: Header=BB158_29 Depth=2
	s_mov_b32 s24, s16
	s_mov_b32 s25, 0
	;; [unrolled: 1-line block ×3, first 2 shown]
	s_branch .LBB158_34
.LBB158_33:                             ;   in Loop: Header=BB158_34 Depth=3
	s_add_i32 s28, s28, 1
	s_add_i32 s25, s25, 8
	s_cmp_eq_u32 s28, s16
	s_cbranch_scc1 .LBB158_43
.LBB158_34:                             ;   Parent Loop BB158_26 Depth=1
                                        ;     Parent Loop BB158_29 Depth=2
                                        ; =>    This Loop Header: Depth=3
                                        ;         Child Loop BB158_36 Depth 4
                                        ;         Child Loop BB158_42 Depth 4
	s_mul_i32 s12, s28, 0xc0
	v_add_u32_e32 v2, s12, v1
	ds_read_b64 v[2:3], v2
	s_and_b64 vcc, exec, s[6:7]
	s_cbranch_vccz .LBB158_38
; %bb.35:                               ;   in Loop: Header=BB158_34 Depth=3
	s_lshl_b32 s12, s28, 3
	s_waitcnt lgkmcnt(0)
	v_mov_b32_e32 v6, v2
	v_mov_b32_e32 v7, v2
	;; [unrolled: 1-line block ×3, first 2 shown]
	s_mov_b32 s13, 0
	v_mov_b32_e32 v8, v3
	v_mov_b32_e32 v9, v3
	s_mov_b32 s14, 1
	s_mov_b32 s15, 0
	;; [unrolled: 1-line block ×3, first 2 shown]
.LBB158_36:                             ;   Parent Loop BB158_26 Depth=1
                                        ;     Parent Loop BB158_29 Depth=2
                                        ;       Parent Loop BB158_34 Depth=3
                                        ; =>      This Inner Loop Header: Depth=4
	scratch_load_dwordx4 v[12:15], off, s13
	s_add_i32 s30, s15, s16
	s_add_i32 s31, s14, s24
	s_mulk_i32 s30, 0xc0
	s_mulk_i32 s31, 0xc0
	s_add_i32 s30, s12, s30
	s_add_i32 s31, s12, s31
	v_mov_b32_e32 v5, s30
	v_mov_b32_e32 v11, s31
	ds_read_b64 v[20:21], v5
	ds_read_b64 v[16:17], v11
	s_add_i32 s15, s15, 2
	s_add_i32 s14, s14, 2
	s_add_i32 s29, s29, -2
	s_waitcnt lgkmcnt(1)
	v_mov_b32_e32 v18, v20
	s_waitcnt lgkmcnt(0)
	v_mov_b32_e32 v19, v16
	v_mov_b32_e32 v16, v21
	v_pk_mul_f32 v[20:21], v[16:17], v[8:9]
	v_pk_mul_f32 v[16:17], v[16:17], v[6:7]
	v_pk_fma_f32 v[20:21], v[18:19], v[6:7], v[20:21] neg_lo:[0,0,1] neg_hi:[0,0,1]
	v_pk_fma_f32 v[16:17], v[18:19], v[8:9], v[16:17]
	s_waitcnt vmcnt(0)
	v_mov_b32_e32 v18, v12
	v_mov_b32_e32 v19, v14
	;; [unrolled: 1-line block ×3, first 2 shown]
	v_pk_add_f32 v[18:19], v[18:19], v[20:21] neg_lo:[0,1] neg_hi:[0,1]
	v_pk_add_f32 v[14:15], v[14:15], v[16:17] neg_lo:[0,1] neg_hi:[0,1]
	v_mov_b32_e32 v12, v18
	v_mov_b32_e32 v13, v14
	;; [unrolled: 1-line block ×3, first 2 shown]
	scratch_store_dwordx4 off, v[12:15], s13
	s_add_i32 s13, s13, 16
	s_cmp_lg_u32 s29, 0
	s_cbranch_scc1 .LBB158_36
; %bb.37:                               ;   in Loop: Header=BB158_34 Depth=3
	s_mov_b64 s[12:13], s[10:11]
	s_mov_b32 s14, s20
	s_branch .LBB158_40
.LBB158_38:                             ;   in Loop: Header=BB158_34 Depth=3
	s_waitcnt lgkmcnt(0)
	v_mov_b32_e32 v4, v3
	s_mov_b64 s[12:13], 0
	s_mov_b32 s14, s20
	s_cbranch_execz .LBB158_40
; %bb.39:                               ;   in Loop: Header=BB158_34 Depth=3
	s_mov_b64 s[12:13], -1
	s_mov_b32 s14, 0
.LBB158_40:                             ;   in Loop: Header=BB158_34 Depth=3
	s_andn2_b64 vcc, exec, s[12:13]
	s_cbranch_vccnz .LBB158_33
; %bb.41:                               ;   in Loop: Header=BB158_34 Depth=3
	s_add_i32 s13, s16, s14
	s_mulk_i32 s13, 0xc0
	v_mov_b32_e32 v5, v3
	v_mov_b32_e32 v3, v2
	s_sub_i32 s12, s19, s14
	s_add_i32 s13, s25, s13
	s_lshl_b32 s14, s14, 3
.LBB158_42:                             ;   Parent Loop BB158_26 Depth=1
                                        ;     Parent Loop BB158_29 Depth=2
                                        ;       Parent Loop BB158_34 Depth=3
                                        ; =>      This Inner Loop Header: Depth=4
	scratch_load_dwordx2 v[6:7], off, s14
	v_mov_b32_e32 v8, s13
	ds_read_b64 v[8:9], v8
	s_add_i32 s12, s12, -1
	s_addk_i32 s13, 0xc0
	s_waitcnt lgkmcnt(0)
	v_pk_mul_f32 v[12:13], v[8:9], v[4:5] op_sel:[1,0] op_sel_hi:[0,1]
	v_pk_fma_f32 v[14:15], v[8:9], v[2:3], v[12:13] neg_lo:[0,0,1] neg_hi:[0,0,1]
	v_pk_fma_f32 v[8:9], v[8:9], v[2:3], v[12:13]
	s_nop 0
	v_mov_b32_e32 v15, v9
	s_waitcnt vmcnt(0)
	v_pk_add_f32 v[6:7], v[6:7], v[14:15] neg_lo:[0,1] neg_hi:[0,1]
	scratch_store_dwordx2 off, v[6:7], s14
	s_add_i32 s14, s14, 8
	s_cmp_eq_u32 s12, 0
	s_cbranch_scc0 .LBB158_42
	s_branch .LBB158_33
.LBB158_43:                             ;   in Loop: Header=BB158_29 Depth=2
	s_mul_i32 s14, s16, 0xc0
	s_mov_b32 s15, 0
	s_mov_b32 s24, s22
	s_branch .LBB158_45
.LBB158_44:                             ;   in Loop: Header=BB158_45 Depth=3
	s_mul_i32 s12, s28, 0xc8
	v_mov_b32_e32 v3, s12
	ds_read_b64 v[6:7], v3
	s_lshl_b32 s12, s15, 3
	s_add_i32 s15, s15, 1
	s_addk_i32 s24, 0xc0
	v_add_u32_e32 v11, s25, v1
	s_waitcnt lgkmcnt(0)
	v_pk_mul_f32 v[4:5], v[6:7], v[4:5] op_sel:[1,0] op_sel_hi:[0,0]
	v_pk_fma_f32 v[8:9], v[6:7], v[2:3], v[4:5] neg_lo:[0,0,1] neg_hi:[0,0,1]
	v_pk_fma_f32 v[2:3], v[6:7], v[2:3], v[4:5] op_sel_hi:[1,0,1]
	s_cmp_eq_u32 s15, s19
	v_mov_b32_e32 v9, v3
	scratch_store_dwordx2 off, v[8:9], s12
	ds_write_b64 v11, v[8:9]
	s_cbranch_scc1 .LBB158_28
.LBB158_45:                             ;   Parent Loop BB158_26 Depth=1
                                        ;     Parent Loop BB158_29 Depth=2
                                        ; =>    This Loop Header: Depth=3
                                        ;         Child Loop BB158_47 Depth 4
	s_cmp_lg_u32 s15, 0
	s_cbranch_scc0 .LBB158_49
; %bb.46:                               ;   in Loop: Header=BB158_45 Depth=3
	s_lshl_b32 s12, s15, 3
	scratch_load_dwordx2 v[2:3], off, s12
	s_mov_b32 s13, 0
	s_mov_b32 s25, s24
	;; [unrolled: 1-line block ×3, first 2 shown]
.LBB158_47:                             ;   Parent Loop BB158_26 Depth=1
                                        ;     Parent Loop BB158_29 Depth=2
                                        ;       Parent Loop BB158_45 Depth=3
                                        ; =>      This Inner Loop Header: Depth=4
	scratch_load_dwordx2 v[4:5], off, s13
	v_mov_b32_e32 v6, s25
	ds_read_b64 v[6:7], v6
	s_add_i32 s28, s28, -1
	s_add_i32 s13, s13, 8
	s_add_i32 s25, s25, 8
	s_cmp_eq_u32 s28, 0
	s_waitcnt vmcnt(0) lgkmcnt(0)
	v_pk_mul_f32 v[8:9], v[6:7], v[4:5] op_sel:[1,1] op_sel_hi:[0,1]
	v_pk_fma_f32 v[12:13], v[6:7], v[4:5], v[8:9] neg_lo:[0,0,1] neg_hi:[0,0,1]
	v_pk_fma_f32 v[4:5], v[6:7], v[4:5], v[8:9] op_sel_hi:[1,0,1]
	s_nop 0
	v_mov_b32_e32 v13, v5
	v_pk_add_f32 v[2:3], v[2:3], v[12:13] neg_lo:[0,1] neg_hi:[0,1]
	scratch_store_dwordx2 off, v[2:3], s12
	s_cbranch_scc0 .LBB158_47
; %bb.48:                               ;   in Loop: Header=BB158_45 Depth=3
	s_add_i32 s28, s15, s16
	s_mul_i32 s25, s28, 0xc0
	v_mov_b32_e32 v4, v3
	s_branch .LBB158_44
.LBB158_49:                             ;   in Loop: Header=BB158_45 Depth=3
                                        ; implicit-def: $vgpr2
                                        ; implicit-def: $vgpr4
                                        ; implicit-def: $sgpr28
                                        ; implicit-def: $sgpr25
	s_cbranch_execz .LBB158_44
; %bb.50:                               ;   in Loop: Header=BB158_45 Depth=3
	scratch_load_dwordx2 v[2:3], off, off
	s_mov_b32 s25, s14
	s_mov_b32 s28, s16
	s_waitcnt vmcnt(0)
	v_mov_b32_e32 v4, v3
	s_branch .LBB158_44
.LBB158_51:
	s_mov_b64 s[4:5], 0
.LBB158_52:
	s_and_b64 vcc, exec, s[4:5]
	s_cbranch_vccz .LBB158_80
; %bb.53:
	s_add_i32 s16, s26, -1
	v_mov_b32_e32 v2, 0x1200
	s_mul_i32 s17, s26, 0xc0
	s_mov_b32 s5, 0
	v_lshl_or_b32 v10, v0, 3, v2
	s_addk_i32 s17, 0xff40
	s_mov_b32 s4, s5
	s_mov_b32 s18, s16
	s_branch .LBB158_55
.LBB158_54:                             ;   in Loop: Header=BB158_55 Depth=1
	s_cmp_lt_i32 s18, 0
	s_cselect_b64 s[6:7], -1, 0
	s_add_i32 s4, s4, 1
	s_cmp_eq_u32 s4, 3
	s_cselect_b64 s[10:11], -1, 0
	s_or_b64 s[6:7], s[6:7], s[10:11]
	s_and_b64 vcc, exec, s[6:7]
	s_cbranch_vccnz .LBB158_80
.LBB158_55:                             ; =>This Loop Header: Depth=1
                                        ;     Child Loop BB158_58 Depth 2
                                        ;       Child Loop BB158_59 Depth 3
                                        ;       Child Loop BB158_63 Depth 3
                                        ;         Child Loop BB158_65 Depth 4
                                        ;         Child Loop BB158_71 Depth 4
                                        ;       Child Loop BB158_74 Depth 3
                                        ;         Child Loop BB158_76 Depth 4
	s_lshl_b64 s[6:7], s[4:5], 2
	s_getpc_b64 s[10:11]
	s_add_u32 s10, s10, __const._ZL38rocblas_trsm_small_left_device_sharedBILi24ELi24ELb0E19rocblas_complex_numIfES1_PKPKS1_PKPS1_Ev13rocblas_fill_18rocblas_operation_17rocblas_diagonal_iiT3_T4_lilT5_lili.step_sizes@rel32@lo+4
	s_addc_u32 s11, s11, __const._ZL38rocblas_trsm_small_left_device_sharedBILi24ELi24ELb0E19rocblas_complex_numIfES1_PKPKS1_PKPS1_Ev13rocblas_fill_18rocblas_operation_17rocblas_diagonal_iiT3_T4_lilT5_lili.step_sizes@rel32@hi+12
	s_add_u32 s6, s10, s6
	s_addc_u32 s7, s11, s7
	s_load_dword s19, s[6:7], 0x0
	s_waitcnt lgkmcnt(0)
	s_add_i32 s20, s19, -1
	s_cmp_lt_i32 s18, s20
	s_cbranch_scc1 .LBB158_54
; %bb.56:                               ;   in Loop: Header=BB158_55 Depth=1
	s_max_i32 s21, s19, 1
	s_cmp_lg_u32 s4, 2
	s_cselect_b64 s[6:7], -1, 0
	s_and_b32 s22, s21, 0x7ffffffe
	s_cmp_lg_u32 s21, s22
	s_mul_i32 s12, s18, 0xc0
	s_cselect_b64 s[10:11], -1, 0
	v_add_u32_e32 v11, s12, v10
	s_lshl_b32 s12, s18, 3
	s_add_i32 s24, s17, s12
	s_lshl_b32 s12, s19, 3
	s_mul_i32 s23, s19, 0xffffff40
	s_sub_i32 s25, 0, s12
	s_mul_i32 s28, s18, 0xc8
	s_mul_i32 s29, s19, 0xffffff38
	s_branch .LBB158_58
.LBB158_57:                             ;   in Loop: Header=BB158_58 Depth=2
	s_sub_i32 s18, s18, s19
	s_add_i32 s24, s24, s25
	s_add_i32 s28, s28, s29
	s_cmp_lt_i32 s18, s20
	v_add_u32_e32 v11, s23, v11
	s_cbranch_scc1 .LBB158_54
.LBB158_58:                             ;   Parent Loop BB158_55 Depth=1
                                        ; =>  This Loop Header: Depth=2
                                        ;       Child Loop BB158_59 Depth 3
                                        ;       Child Loop BB158_63 Depth 3
                                        ;         Child Loop BB158_65 Depth 4
                                        ;         Child Loop BB158_71 Depth 4
                                        ;       Child Loop BB158_74 Depth 3
                                        ;         Child Loop BB158_76 Depth 4
	s_mov_b32 s12, 0
	v_mov_b32_e32 v2, v11
	s_mov_b32 s13, s21
.LBB158_59:                             ;   Parent Loop BB158_55 Depth=1
                                        ;     Parent Loop BB158_58 Depth=2
                                        ; =>    This Inner Loop Header: Depth=3
	ds_read_b64 v[4:5], v2
	s_add_i32 s13, s13, -1
	v_add_u32_e32 v2, 0xffffff40, v2
	s_waitcnt lgkmcnt(0)
	scratch_store_dwordx2 off, v[4:5], s12
	s_add_i32 s12, s12, 8
	s_cmp_eq_u32 s13, 0
	s_cbranch_scc0 .LBB158_59
; %bb.60:                               ;   in Loop: Header=BB158_58 Depth=2
	s_cmp_le_i32 s16, s18
	s_cbranch_scc1 .LBB158_72
; %bb.61:                               ;   in Loop: Header=BB158_58 Depth=2
	s_mov_b32 s30, s18
	s_mov_b32 s31, s24
	;; [unrolled: 1-line block ×3, first 2 shown]
	s_branch .LBB158_63
.LBB158_62:                             ;   in Loop: Header=BB158_63 Depth=3
	s_add_i32 s33, s33, -1
	s_addk_i32 s31, 0xff40
	s_cmp_le_i32 s33, s18
	s_cbranch_scc1 .LBB158_72
.LBB158_63:                             ;   Parent Loop BB158_55 Depth=1
                                        ;     Parent Loop BB158_58 Depth=2
                                        ; =>    This Loop Header: Depth=3
                                        ;         Child Loop BB158_65 Depth 4
                                        ;         Child Loop BB158_71 Depth 4
	s_mul_i32 s12, s33, 24
	v_lshl_add_u32 v2, s12, 3, v1
	ds_read_b64 v[2:3], v2
	s_and_b64 vcc, exec, s[6:7]
	s_cbranch_vccz .LBB158_67
; %bb.64:                               ;   in Loop: Header=BB158_63 Depth=3
	s_lshl_b32 s12, s12, 3
	s_waitcnt lgkmcnt(0)
	v_mov_b32_e32 v6, v2
	v_mov_b32_e32 v7, v2
	;; [unrolled: 1-line block ×3, first 2 shown]
	s_mov_b32 s13, 0
	v_mov_b32_e32 v8, v3
	v_mov_b32_e32 v9, v3
	s_mov_b32 s14, 1
	s_mov_b32 s15, 0
	;; [unrolled: 1-line block ×3, first 2 shown]
.LBB158_65:                             ;   Parent Loop BB158_55 Depth=1
                                        ;     Parent Loop BB158_58 Depth=2
                                        ;       Parent Loop BB158_63 Depth=3
                                        ; =>      This Inner Loop Header: Depth=4
	scratch_load_dwordx4 v[12:15], off, s13
	s_sub_i32 s35, s30, s14
	s_sub_i32 s36, s18, s15
	s_lshl_b32 s36, s36, 3
	s_lshl_b32 s35, s35, 3
	s_add_i32 s36, s12, s36
	s_add_i32 s35, s12, s35
	v_mov_b32_e32 v5, s36
	v_mov_b32_e32 v16, s35
	ds_read_b64 v[20:21], v5
	ds_read_b64 v[16:17], v16
	s_add_i32 s15, s15, 2
	s_add_i32 s14, s14, 2
	s_add_i32 s34, s34, -2
	s_waitcnt lgkmcnt(1)
	v_mov_b32_e32 v18, v20
	s_waitcnt lgkmcnt(0)
	v_mov_b32_e32 v19, v16
	v_mov_b32_e32 v16, v21
	v_pk_mul_f32 v[20:21], v[16:17], v[8:9]
	v_pk_mul_f32 v[16:17], v[16:17], v[6:7]
	v_pk_fma_f32 v[20:21], v[18:19], v[6:7], v[20:21] neg_lo:[0,0,1] neg_hi:[0,0,1]
	v_pk_fma_f32 v[16:17], v[18:19], v[8:9], v[16:17]
	s_waitcnt vmcnt(0)
	v_mov_b32_e32 v18, v12
	v_mov_b32_e32 v19, v14
	;; [unrolled: 1-line block ×3, first 2 shown]
	v_pk_add_f32 v[18:19], v[18:19], v[20:21] neg_lo:[0,1] neg_hi:[0,1]
	v_pk_add_f32 v[14:15], v[14:15], v[16:17] neg_lo:[0,1] neg_hi:[0,1]
	v_mov_b32_e32 v12, v18
	v_mov_b32_e32 v13, v14
	;; [unrolled: 1-line block ×3, first 2 shown]
	scratch_store_dwordx4 off, v[12:15], s13
	s_add_i32 s13, s13, 16
	s_cmp_lg_u32 s34, 0
	s_cbranch_scc1 .LBB158_65
; %bb.66:                               ;   in Loop: Header=BB158_63 Depth=3
	s_mov_b64 s[12:13], s[10:11]
	s_mov_b32 s14, s22
	s_branch .LBB158_69
.LBB158_67:                             ;   in Loop: Header=BB158_63 Depth=3
	s_waitcnt lgkmcnt(0)
	v_mov_b32_e32 v4, v3
	s_mov_b64 s[12:13], 0
	s_mov_b32 s14, s22
	s_cbranch_execz .LBB158_69
; %bb.68:                               ;   in Loop: Header=BB158_63 Depth=3
	s_mov_b64 s[12:13], -1
	s_mov_b32 s14, 0
.LBB158_69:                             ;   in Loop: Header=BB158_63 Depth=3
	s_andn2_b64 vcc, exec, s[12:13]
	s_cbranch_vccnz .LBB158_62
; %bb.70:                               ;   in Loop: Header=BB158_63 Depth=3
	s_sub_i32 s12, s21, s14
	s_lshl_b32 s14, s14, 3
	v_mov_b32_e32 v5, v3
	v_mov_b32_e32 v3, v2
	s_sub_i32 s13, s31, s14
.LBB158_71:                             ;   Parent Loop BB158_55 Depth=1
                                        ;     Parent Loop BB158_58 Depth=2
                                        ;       Parent Loop BB158_63 Depth=3
                                        ; =>      This Inner Loop Header: Depth=4
	scratch_load_dwordx2 v[6:7], off, s14
	v_mov_b32_e32 v8, s13
	ds_read_b64 v[8:9], v8
	s_add_i32 s12, s12, -1
	s_add_i32 s13, s13, -8
	s_waitcnt lgkmcnt(0)
	v_pk_mul_f32 v[12:13], v[8:9], v[4:5] op_sel:[1,0] op_sel_hi:[0,1]
	v_pk_fma_f32 v[14:15], v[8:9], v[2:3], v[12:13] neg_lo:[0,0,1] neg_hi:[0,0,1]
	v_pk_fma_f32 v[8:9], v[8:9], v[2:3], v[12:13]
	s_nop 0
	v_mov_b32_e32 v15, v9
	s_waitcnt vmcnt(0)
	v_pk_add_f32 v[6:7], v[6:7], v[14:15] neg_lo:[0,1] neg_hi:[0,1]
	scratch_store_dwordx2 off, v[6:7], s14
	s_add_i32 s14, s14, 8
	s_cmp_eq_u32 s12, 0
	s_cbranch_scc0 .LBB158_71
	s_branch .LBB158_62
.LBB158_72:                             ;   in Loop: Header=BB158_58 Depth=2
	s_mov_b32 s14, 0
	s_mov_b32 s15, s28
	s_branch .LBB158_74
.LBB158_73:                             ;   in Loop: Header=BB158_74 Depth=3
	s_mul_i32 s12, s30, 0xc8
	v_mov_b32_e32 v3, s12
	ds_read_b64 v[6:7], v3
	s_lshl_b32 s12, s14, 3
	s_mul_i32 s13, s30, 0xc0
	s_add_i32 s14, s14, 1
	s_add_i32 s15, s15, -8
	s_waitcnt lgkmcnt(0)
	v_pk_mul_f32 v[4:5], v[6:7], v[4:5] op_sel:[1,0] op_sel_hi:[0,0]
	v_pk_fma_f32 v[8:9], v[6:7], v[2:3], v[4:5] neg_lo:[0,0,1] neg_hi:[0,0,1]
	v_pk_fma_f32 v[2:3], v[6:7], v[2:3], v[4:5] op_sel_hi:[1,0,1]
	s_cmp_eq_u32 s14, s21
	v_mov_b32_e32 v9, v3
	v_add_u32_e32 v2, s13, v1
	scratch_store_dwordx2 off, v[8:9], s12
	ds_write_b64 v2, v[8:9]
	s_cbranch_scc1 .LBB158_57
.LBB158_74:                             ;   Parent Loop BB158_55 Depth=1
                                        ;     Parent Loop BB158_58 Depth=2
                                        ; =>    This Loop Header: Depth=3
                                        ;         Child Loop BB158_76 Depth 4
	s_cmp_lg_u32 s14, 0
	s_cbranch_scc0 .LBB158_78
; %bb.75:                               ;   in Loop: Header=BB158_74 Depth=3
	s_lshl_b32 s12, s14, 3
	scratch_load_dwordx2 v[2:3], off, s12
	s_mov_b32 s13, 0
	s_mov_b32 s30, s15
	;; [unrolled: 1-line block ×3, first 2 shown]
.LBB158_76:                             ;   Parent Loop BB158_55 Depth=1
                                        ;     Parent Loop BB158_58 Depth=2
                                        ;       Parent Loop BB158_74 Depth=3
                                        ; =>      This Inner Loop Header: Depth=4
	scratch_load_dwordx2 v[4:5], off, s13
	v_mov_b32_e32 v6, s30
	ds_read_b64 v[6:7], v6
	s_add_i32 s31, s31, -1
	s_addk_i32 s30, 0xff40
	s_add_i32 s13, s13, 8
	s_cmp_eq_u32 s31, 0
	s_waitcnt vmcnt(0) lgkmcnt(0)
	v_pk_mul_f32 v[8:9], v[6:7], v[4:5] op_sel:[1,1] op_sel_hi:[0,1]
	v_pk_fma_f32 v[12:13], v[6:7], v[4:5], v[8:9] neg_lo:[0,0,1] neg_hi:[0,0,1]
	v_pk_fma_f32 v[4:5], v[6:7], v[4:5], v[8:9] op_sel_hi:[1,0,1]
	s_nop 0
	v_mov_b32_e32 v13, v5
	v_pk_add_f32 v[2:3], v[2:3], v[12:13] neg_lo:[0,1] neg_hi:[0,1]
	scratch_store_dwordx2 off, v[2:3], s12
	s_cbranch_scc0 .LBB158_76
; %bb.77:                               ;   in Loop: Header=BB158_74 Depth=3
	s_sub_i32 s30, s18, s14
	v_mov_b32_e32 v4, v3
	s_branch .LBB158_73
.LBB158_78:                             ;   in Loop: Header=BB158_74 Depth=3
                                        ; implicit-def: $vgpr2
                                        ; implicit-def: $vgpr4
                                        ; implicit-def: $sgpr30
	s_cbranch_execz .LBB158_73
; %bb.79:                               ;   in Loop: Header=BB158_74 Depth=3
	scratch_load_dwordx2 v[2:3], off, off
	s_mov_b32 s30, s18
	s_waitcnt vmcnt(0)
	v_mov_b32_e32 v4, v3
	s_branch .LBB158_73
.LBB158_80:
	s_waitcnt lgkmcnt(0)
	; wave barrier
	s_and_saveexec_b64 s[4:5], s[0:1]
	s_cbranch_execz .LBB158_84
; %bb.81:
	s_andn2_b64 vcc, exec, s[8:9]
	s_cbranch_vccnz .LBB158_84
; %bb.82:
	v_mad_i64_i32 v[2:3], s[0:1], s27, v0, 0
	v_mov_b32_e32 v1, 0x1200
	v_lshl_add_u64 v[2:3], v[2:3], 3, s[2:3]
	v_lshl_or_b32 v0, v0, 3, v1
.LBB158_83:                             ; =>This Inner Loop Header: Depth=1
	ds_read_b64 v[4:5], v0
	s_add_i32 s26, s26, -1
	v_add_u32_e32 v0, 0xc0, v0
	s_cmp_lg_u32 s26, 0
	s_waitcnt lgkmcnt(0)
	flat_store_dwordx2 v[2:3], v[4:5]
	v_lshl_add_u64 v[2:3], v[2:3], 0, 8
	s_cbranch_scc1 .LBB158_83
.LBB158_84:
	s_endpgm
	.section	.rodata,"a",@progbits
	.p2align	6, 0x0
	.amdhsa_kernel _ZL38rocblas_trsm_small_left_device_sharedBILi24ELi24ELb0E19rocblas_complex_numIfES1_PKPKS1_PKPS1_Ev13rocblas_fill_18rocblas_operation_17rocblas_diagonal_iiT3_T4_lilT5_lili
		.amdhsa_group_segment_fixed_size 9216
		.amdhsa_private_segment_fixed_size 208
		.amdhsa_kernarg_size 360
		.amdhsa_user_sgpr_count 2
		.amdhsa_user_sgpr_dispatch_ptr 0
		.amdhsa_user_sgpr_queue_ptr 0
		.amdhsa_user_sgpr_kernarg_segment_ptr 1
		.amdhsa_user_sgpr_dispatch_id 0
		.amdhsa_user_sgpr_kernarg_preload_length 0
		.amdhsa_user_sgpr_kernarg_preload_offset 0
		.amdhsa_user_sgpr_private_segment_size 0
		.amdhsa_uses_dynamic_stack 0
		.amdhsa_enable_private_segment 1
		.amdhsa_system_sgpr_workgroup_id_x 1
		.amdhsa_system_sgpr_workgroup_id_y 0
		.amdhsa_system_sgpr_workgroup_id_z 1
		.amdhsa_system_sgpr_workgroup_info 0
		.amdhsa_system_vgpr_workitem_id 0
		.amdhsa_next_free_vgpr 81
		.amdhsa_next_free_sgpr 96
		.amdhsa_accum_offset 24
		.amdhsa_reserve_vcc 1
		.amdhsa_float_round_mode_32 0
		.amdhsa_float_round_mode_16_64 0
		.amdhsa_float_denorm_mode_32 3
		.amdhsa_float_denorm_mode_16_64 3
		.amdhsa_dx10_clamp 1
		.amdhsa_ieee_mode 1
		.amdhsa_fp16_overflow 0
		.amdhsa_tg_split 0
		.amdhsa_exception_fp_ieee_invalid_op 0
		.amdhsa_exception_fp_denorm_src 0
		.amdhsa_exception_fp_ieee_div_zero 0
		.amdhsa_exception_fp_ieee_overflow 0
		.amdhsa_exception_fp_ieee_underflow 0
		.amdhsa_exception_fp_ieee_inexact 0
		.amdhsa_exception_int_div_zero 0
	.end_amdhsa_kernel
	.section	.text._ZL38rocblas_trsm_small_left_device_sharedBILi24ELi24ELb0E19rocblas_complex_numIfES1_PKPKS1_PKPS1_Ev13rocblas_fill_18rocblas_operation_17rocblas_diagonal_iiT3_T4_lilT5_lili,"axG",@progbits,_ZL38rocblas_trsm_small_left_device_sharedBILi24ELi24ELb0E19rocblas_complex_numIfES1_PKPKS1_PKPS1_Ev13rocblas_fill_18rocblas_operation_17rocblas_diagonal_iiT3_T4_lilT5_lili,comdat
.Lfunc_end158:
	.size	_ZL38rocblas_trsm_small_left_device_sharedBILi24ELi24ELb0E19rocblas_complex_numIfES1_PKPKS1_PKPS1_Ev13rocblas_fill_18rocblas_operation_17rocblas_diagonal_iiT3_T4_lilT5_lili, .Lfunc_end158-_ZL38rocblas_trsm_small_left_device_sharedBILi24ELi24ELb0E19rocblas_complex_numIfES1_PKPKS1_PKPS1_Ev13rocblas_fill_18rocblas_operation_17rocblas_diagonal_iiT3_T4_lilT5_lili
                                        ; -- End function
	.set _ZL38rocblas_trsm_small_left_device_sharedBILi24ELi24ELb0E19rocblas_complex_numIfES1_PKPKS1_PKPS1_Ev13rocblas_fill_18rocblas_operation_17rocblas_diagonal_iiT3_T4_lilT5_lili.num_vgpr, 22
	.set _ZL38rocblas_trsm_small_left_device_sharedBILi24ELi24ELb0E19rocblas_complex_numIfES1_PKPKS1_PKPS1_Ev13rocblas_fill_18rocblas_operation_17rocblas_diagonal_iiT3_T4_lilT5_lili.num_agpr, 0
	.set _ZL38rocblas_trsm_small_left_device_sharedBILi24ELi24ELb0E19rocblas_complex_numIfES1_PKPKS1_PKPS1_Ev13rocblas_fill_18rocblas_operation_17rocblas_diagonal_iiT3_T4_lilT5_lili.numbered_sgpr, 37
	.set _ZL38rocblas_trsm_small_left_device_sharedBILi24ELi24ELb0E19rocblas_complex_numIfES1_PKPKS1_PKPS1_Ev13rocblas_fill_18rocblas_operation_17rocblas_diagonal_iiT3_T4_lilT5_lili.num_named_barrier, 0
	.set _ZL38rocblas_trsm_small_left_device_sharedBILi24ELi24ELb0E19rocblas_complex_numIfES1_PKPKS1_PKPS1_Ev13rocblas_fill_18rocblas_operation_17rocblas_diagonal_iiT3_T4_lilT5_lili.private_seg_size, 208
	.set _ZL38rocblas_trsm_small_left_device_sharedBILi24ELi24ELb0E19rocblas_complex_numIfES1_PKPKS1_PKPS1_Ev13rocblas_fill_18rocblas_operation_17rocblas_diagonal_iiT3_T4_lilT5_lili.uses_vcc, 1
	.set _ZL38rocblas_trsm_small_left_device_sharedBILi24ELi24ELb0E19rocblas_complex_numIfES1_PKPKS1_PKPS1_Ev13rocblas_fill_18rocblas_operation_17rocblas_diagonal_iiT3_T4_lilT5_lili.uses_flat_scratch, 0
	.set _ZL38rocblas_trsm_small_left_device_sharedBILi24ELi24ELb0E19rocblas_complex_numIfES1_PKPKS1_PKPS1_Ev13rocblas_fill_18rocblas_operation_17rocblas_diagonal_iiT3_T4_lilT5_lili.has_dyn_sized_stack, 0
	.set _ZL38rocblas_trsm_small_left_device_sharedBILi24ELi24ELb0E19rocblas_complex_numIfES1_PKPKS1_PKPS1_Ev13rocblas_fill_18rocblas_operation_17rocblas_diagonal_iiT3_T4_lilT5_lili.has_recursion, 0
	.set _ZL38rocblas_trsm_small_left_device_sharedBILi24ELi24ELb0E19rocblas_complex_numIfES1_PKPKS1_PKPS1_Ev13rocblas_fill_18rocblas_operation_17rocblas_diagonal_iiT3_T4_lilT5_lili.has_indirect_call, 0
	.section	.AMDGPU.csdata,"",@progbits
; Kernel info:
; codeLenInByte = 3508
; TotalNumSgprs: 43
; NumVgprs: 22
; NumAgprs: 0
; TotalNumVgprs: 22
; ScratchSize: 208
; MemoryBound: 0
; FloatMode: 240
; IeeeMode: 1
; LDSByteSize: 9216 bytes/workgroup (compile time only)
; SGPRBlocks: 12
; VGPRBlocks: 10
; NumSGPRsForWavesPerEU: 102
; NumVGPRsForWavesPerEU: 81
; AccumOffset: 24
; Occupancy: 5
; WaveLimiterHint : 1
; COMPUTE_PGM_RSRC2:SCRATCH_EN: 1
; COMPUTE_PGM_RSRC2:USER_SGPR: 2
; COMPUTE_PGM_RSRC2:TRAP_HANDLER: 0
; COMPUTE_PGM_RSRC2:TGID_X_EN: 1
; COMPUTE_PGM_RSRC2:TGID_Y_EN: 0
; COMPUTE_PGM_RSRC2:TGID_Z_EN: 1
; COMPUTE_PGM_RSRC2:TIDIG_COMP_CNT: 0
; COMPUTE_PGM_RSRC3_GFX90A:ACCUM_OFFSET: 5
; COMPUTE_PGM_RSRC3_GFX90A:TG_SPLIT: 0
	.section	.text._ZL30rocblas_trsm_small_left_deviceILi24ELi24ELb0E19rocblas_complex_numIfES1_PKPKS1_PKPS1_Ev13rocblas_fill_18rocblas_operation_17rocblas_diagonal_iiT3_T4_lilT5_lili,"axG",@progbits,_ZL30rocblas_trsm_small_left_deviceILi24ELi24ELb0E19rocblas_complex_numIfES1_PKPKS1_PKPS1_Ev13rocblas_fill_18rocblas_operation_17rocblas_diagonal_iiT3_T4_lilT5_lili,comdat
	.globl	_ZL30rocblas_trsm_small_left_deviceILi24ELi24ELb0E19rocblas_complex_numIfES1_PKPKS1_PKPS1_Ev13rocblas_fill_18rocblas_operation_17rocblas_diagonal_iiT3_T4_lilT5_lili ; -- Begin function _ZL30rocblas_trsm_small_left_deviceILi24ELi24ELb0E19rocblas_complex_numIfES1_PKPKS1_PKPS1_Ev13rocblas_fill_18rocblas_operation_17rocblas_diagonal_iiT3_T4_lilT5_lili
	.p2align	8
	.type	_ZL30rocblas_trsm_small_left_deviceILi24ELi24ELb0E19rocblas_complex_numIfES1_PKPKS1_PKPS1_Ev13rocblas_fill_18rocblas_operation_17rocblas_diagonal_iiT3_T4_lilT5_lili,@function
_ZL30rocblas_trsm_small_left_deviceILi24ELi24ELb0E19rocblas_complex_numIfES1_PKPKS1_PKPS1_Ev13rocblas_fill_18rocblas_operation_17rocblas_diagonal_iiT3_T4_lilT5_lili: ; @_ZL30rocblas_trsm_small_left_deviceILi24ELi24ELb0E19rocblas_complex_numIfES1_PKPKS1_PKPS1_Ev13rocblas_fill_18rocblas_operation_17rocblas_diagonal_iiT3_T4_lilT5_lili
; %bb.0:
	s_load_dwordx4 s[8:11], s[0:1], 0x40
	s_load_dwordx4 s[4:7], s[0:1], 0x4
	s_load_dwordx2 s[12:13], s[0:1], 0x14
	s_mov_b32 s14, s3
	s_mov_b32 s15, 0
	s_lshl_b64 s[18:19], s[14:15], 3
	s_waitcnt lgkmcnt(0)
	s_add_u32 s8, s8, s18
	s_addc_u32 s9, s9, s19
	s_load_dword s3, s[0:1], 0x68
	s_min_i32 s26, s6, 24
	s_load_dwordx2 s[8:9], s[8:9], 0x0
	v_cmp_gt_i32_e32 vcc, s26, v0
	s_and_saveexec_b64 s[14:15], vcc
	s_cbranch_execz .LBB159_15
; %bb.1:
	s_load_dword s24, s[0:1], 0x30
	s_load_dwordx4 s[20:23], s[0:1], 0x20
	v_lshlrev_b32_e32 v2, 3, v0
	v_mov_b32_e32 v3, 0
	v_mov_b32_e32 v1, v2
	s_waitcnt lgkmcnt(0)
	s_ashr_i32 s25, s24, 31
	s_cmpk_lg_i32 s4, 0x71
	s_cselect_b64 s[16:17], -1, 0
	s_add_u32 s18, s20, s18
	s_addc_u32 s19, s21, s19
	s_load_dwordx2 s[18:19], s[18:19], 0x0
	s_lshl_b64 s[20:21], s[22:23], 3
	s_mov_b32 s6, s26
	s_waitcnt lgkmcnt(0)
	s_add_u32 s20, s18, s20
	s_addc_u32 s21, s19, s21
	s_lshl_b64 s[18:19], s[24:25], 3
	v_lshl_add_u64 v[4:5], s[20:21], 0, v[2:3]
	s_branch .LBB159_3
.LBB159_2:                              ;   in Loop: Header=BB159_3 Depth=1
	flat_load_dword v6, v[4:5]
	s_add_i32 s6, s6, -1
	v_lshl_add_u64 v[4:5], v[4:5], 0, s[18:19]
	s_cmp_eq_u32 s6, 0
	s_waitcnt vmcnt(0) lgkmcnt(0)
	ds_write_b64 v1, v[6:7]
	v_add_u32_e32 v1, 0xc0, v1
	s_cbranch_scc1 .LBB159_7
.LBB159_3:                              ; =>This Inner Loop Header: Depth=1
	s_mov_b64 s[20:21], -1
	s_and_b64 vcc, exec, s[16:17]
                                        ; implicit-def: $vgpr7
	s_cbranch_vccz .LBB159_5
; %bb.4:                                ;   in Loop: Header=BB159_3 Depth=1
	flat_load_dword v7, v[4:5] offset:4
	s_mov_b64 s[20:21], 0
.LBB159_5:                              ;   in Loop: Header=BB159_3 Depth=1
	s_andn2_b64 vcc, exec, s[20:21]
	s_cbranch_vccnz .LBB159_2
; %bb.6:                                ;   in Loop: Header=BB159_3 Depth=1
	flat_load_dword v3, v[4:5] offset:4
	s_waitcnt vmcnt(0) lgkmcnt(0)
	v_xor_b32_e32 v7, 0x80000000, v3
	s_branch .LBB159_2
.LBB159_7:
	s_cmpk_lg_i32 s5, 0x84
	v_mul_u32_u24_e32 v1, 0xc0, v0
	s_mov_b64 s[16:17], -1
	s_cbranch_scc0 .LBB159_13
; %bb.8:
	v_add_u32_e32 v3, v2, v1
	ds_read_b64 v[4:5], v3
                                        ; implicit-def: $vgpr6_vgpr7
	s_waitcnt lgkmcnt(0)
	v_cmp_ngt_f32_e64 s[16:17], |v4|, |v5|
	s_and_saveexec_b64 s[18:19], s[16:17]
	s_xor_b64 s[16:17], exec, s[18:19]
	s_cbranch_execz .LBB159_10
; %bb.9:
	v_div_scale_f32 v6, s[18:19], v5, v5, v4
	v_rcp_f32_e32 v7, v6
	v_div_scale_f32 v8, vcc, v4, v5, v4
	v_fma_f32 v9, -v6, v7, 1.0
	v_fmac_f32_e32 v7, v9, v7
	v_mul_f32_e32 v9, v8, v7
	v_fma_f32 v10, -v6, v9, v8
	v_fmac_f32_e32 v9, v10, v7
	v_fma_f32 v6, -v6, v9, v8
	v_div_fmas_f32 v6, v6, v7, v9
	v_div_fixup_f32 v6, v6, v5, v4
	v_fmac_f32_e32 v5, v4, v6
	v_div_scale_f32 v4, s[18:19], v5, v5, 1.0
	v_rcp_f32_e32 v7, v4
	s_mov_b32 s18, 0
	s_mov_b32 s19, -1.0
	v_fma_f32 v8, -v4, v7, 1.0
	v_fmac_f32_e32 v7, v8, v7
	v_div_scale_f32 v8, vcc, 1.0, v5, 1.0
	v_mul_f32_e32 v9, v8, v7
	v_fma_f32 v10, -v4, v9, v8
	v_fmac_f32_e32 v9, v10, v7
	v_fma_f32 v4, -v4, v9, v8
	v_div_fmas_f32 v4, v4, v7, v9
	v_mul_f32_e32 v7, 0, v6
	v_div_fixup_f32 v4, v4, v5, 1.0
	v_pk_add_f32 v[6:7], v[6:7], s[18:19]
	s_nop 0
	v_pk_mul_f32 v[6:7], v[6:7], v[4:5] op_sel_hi:[1,0]
                                        ; implicit-def: $vgpr4_vgpr5
.LBB159_10:
	s_andn2_saveexec_b64 s[16:17], s[16:17]
	s_cbranch_execz .LBB159_12
; %bb.11:
	v_div_scale_f32 v6, s[18:19], v4, v4, v5
	v_rcp_f32_e32 v7, v6
	v_div_scale_f32 v8, vcc, v5, v4, v5
	v_fma_f32 v9, -v6, v7, 1.0
	v_fmac_f32_e32 v7, v9, v7
	v_mul_f32_e32 v9, v8, v7
	v_fma_f32 v10, -v6, v9, v8
	v_fmac_f32_e32 v9, v10, v7
	v_fma_f32 v6, -v6, v9, v8
	v_div_fmas_f32 v6, v6, v7, v9
	v_div_fixup_f32 v7, v6, v4, v5
	v_fmac_f32_e32 v4, v5, v7
	v_div_scale_f32 v5, s[18:19], v4, v4, 1.0
	v_rcp_f32_e32 v6, v5
	s_nop 0
	v_fma_f32 v8, -v5, v6, 1.0
	v_fmac_f32_e32 v6, v8, v6
	v_div_scale_f32 v8, vcc, 1.0, v4, 1.0
	v_mul_f32_e32 v9, v8, v6
	v_fma_f32 v10, -v5, v9, v8
	v_fmac_f32_e32 v9, v10, v6
	v_fma_f32 v5, -v5, v9, v8
	v_div_fmas_f32 v5, v5, v6, v9
	v_div_fixup_f32 v4, v5, v4, 1.0
	v_mul_f32_e32 v5, 0, v7
	v_add_f32_e32 v6, 1.0, v5
	v_sub_f32_e32 v7, 0, v7
	v_pk_mul_f32 v[6:7], v[6:7], v[4:5] op_sel_hi:[1,0]
.LBB159_12:
	s_or_b64 exec, exec, s[16:17]
	s_mov_b64 s[16:17], 0
	ds_write_b64 v3, v[6:7]
.LBB159_13:
	s_and_b64 vcc, exec, s[16:17]
	s_cbranch_vccz .LBB159_15
; %bb.14:
	v_add_u32_e32 v1, v2, v1
	v_mov_b32_e32 v2, 1.0
	v_mov_b32_e32 v3, 0
	ds_write_b64 v1, v[2:3]
.LBB159_15:
	s_or_b64 exec, exec, s[14:15]
	s_mul_i32 s5, s2, 0xffffffe8
	s_waitcnt lgkmcnt(0)
	s_add_i32 s3, s3, -1
	s_add_i32 s5, s7, s5
	s_cmp_ge_u32 s2, s3
	s_cselect_b32 s3, s5, 24
	v_cmp_gt_i32_e32 vcc, s3, v0
	; wave barrier
	s_and_saveexec_b64 s[6:7], vcc
	s_cbranch_execz .LBB159_83
; %bb.16:
	s_load_dword s5, s[0:1], 0x50
	s_lshl_b64 s[6:7], s[10:11], 3
	s_add_u32 s0, s8, s6
	v_mad_u64_u32 v[0:1], s[2:3], s2, 24, v[0:1]
	s_addc_u32 s1, s9, s7
	s_waitcnt lgkmcnt(0)
	v_mad_i64_i32 v[2:3], s[2:3], s5, v0, 0
	v_lshl_add_u64 v[0:1], v[2:3], 3, s[0:1]
	s_cmpk_eq_i32 s4, 0x6f
	s_mov_b64 s[0:1], -1
	s_cbranch_scc1 .LBB159_50
; %bb.17:
	s_add_u32 s0, s8, s6
	s_addc_u32 s1, s9, s7
	s_mov_b32 s15, 0
	s_mov_b32 s2, s12
	;; [unrolled: 1-line block ×7, first 2 shown]
	v_lshl_add_u64 v[4:5], v[2:3], 3, s[0:1]
	s_mov_b32 s16, s15
	s_mov_b32 s27, s15
	s_branch .LBB159_19
.LBB159_18:                             ;   in Loop: Header=BB159_19 Depth=1
	s_cmp_ge_i32 s27, s26
	s_cselect_b64 s[0:1], -1, 0
	s_add_i32 s16, s16, 1
	s_cmp_eq_u32 s16, 3
	s_cselect_b64 s[18:19], -1, 0
	s_or_b64 s[0:1], s[0:1], s[18:19]
	s_andn2_b64 vcc, exec, s[0:1]
	s_cbranch_vccz .LBB159_49
.LBB159_19:                             ; =>This Loop Header: Depth=1
                                        ;     Child Loop BB159_22 Depth 2
                                        ;       Child Loop BB159_24 Depth 3
                                        ;       Child Loop BB159_28 Depth 3
                                        ;       Child Loop BB159_32 Depth 3
                                        ;         Child Loop BB159_34 Depth 4
                                        ;         Child Loop BB159_40 Depth 4
                                        ;       Child Loop BB159_43 Depth 3
                                        ;         Child Loop BB159_45 Depth 4
	s_mov_b32 s17, s15
	s_lshl_b64 s[0:1], s[16:17], 2
	s_getpc_b64 s[18:19]
	s_add_u32 s18, s18, __const._ZL30rocblas_trsm_small_left_deviceILi24ELi24ELb0E19rocblas_complex_numIfES1_PKPKS1_PKPS1_Ev13rocblas_fill_18rocblas_operation_17rocblas_diagonal_iiT3_T4_lilT5_lili.step_sizes@rel32@lo+4
	s_addc_u32 s19, s19, __const._ZL30rocblas_trsm_small_left_deviceILi24ELi24ELb0E19rocblas_complex_numIfES1_PKPKS1_PKPS1_Ev13rocblas_fill_18rocblas_operation_17rocblas_diagonal_iiT3_T4_lilT5_lili.step_sizes@rel32@hi+12
	s_add_u32 s0, s18, s0
	s_addc_u32 s1, s19, s1
	s_load_dword s17, s[0:1], 0x0
	s_waitcnt lgkmcnt(0)
	s_add_i32 s28, s17, -1
	s_add_i32 s0, s28, s27
	s_cmp_ge_i32 s0, s26
	s_cbranch_scc1 .LBB159_18
; %bb.20:                               ;   in Loop: Header=BB159_19 Depth=1
	s_max_i32 s29, s17, 1
	s_cmp_lg_u32 s16, 2
	s_cselect_b64 s[18:19], -1, 0
	s_and_b32 s30, s29, 0x7ffffffe
	s_cmp_lg_u32 s29, s30
	v_cndmask_b32_e64 v6, 0, 1, s[18:19]
	s_cselect_b64 s[20:21], -1, 0
	s_ashr_i32 s31, s27, 31
	s_ashr_i32 s33, s17, 31
	s_mul_i32 s34, s27, 0xc8
	s_mul_i32 s35, s17, 0xc8
	v_cmp_ne_u32_e64 s[0:1], 1, v6
	s_branch .LBB159_22
.LBB159_21:                             ;   in Loop: Header=BB159_22 Depth=2
	s_add_u32 s27, s27, s17
	s_addc_u32 s31, s31, s33
	s_add_i32 s14, s28, s27
	s_add_i32 s34, s34, s35
	s_cmp_ge_i32 s14, s26
	s_cbranch_scc1 .LBB159_18
.LBB159_22:                             ;   Parent Loop BB159_19 Depth=1
                                        ; =>  This Loop Header: Depth=2
                                        ;       Child Loop BB159_24 Depth 3
                                        ;       Child Loop BB159_28 Depth 3
	;; [unrolled: 1-line block ×3, first 2 shown]
                                        ;         Child Loop BB159_34 Depth 4
                                        ;         Child Loop BB159_40 Depth 4
                                        ;       Child Loop BB159_43 Depth 3
                                        ;         Child Loop BB159_45 Depth 4
	s_and_b64 vcc, exec, s[0:1]
	s_cbranch_vccnz .LBB159_26
; %bb.23:                               ;   in Loop: Header=BB159_22 Depth=2
	s_mov_b32 s14, 0
	s_mov_b32 s24, s27
	;; [unrolled: 1-line block ×6, first 2 shown]
.LBB159_24:                             ;   Parent Loop BB159_19 Depth=1
                                        ;     Parent Loop BB159_22 Depth=2
                                        ; =>    This Inner Loop Header: Depth=3
	s_add_i32 s22, s37, s24
	s_add_i32 s40, s36, s25
	s_ashr_i32 s23, s22, 31
	s_ashr_i32 s41, s40, 31
	v_lshl_add_u64 v[6:7], s[22:23], 3, v[0:1]
	v_lshl_add_u64 v[8:9], s[40:41], 3, v[0:1]
	flat_load_dwordx2 v[12:13], v[6:7]
	flat_load_dwordx2 v[10:11], v[8:9]
	s_add_i32 s37, s37, 2
	s_add_i32 s36, s36, 2
	s_add_i32 s38, s38, -2
	s_mov_b32 s39, s30
	s_mov_b64 s[22:23], s[20:21]
	s_waitcnt vmcnt(0) lgkmcnt(0)
	v_mov_b32_e32 v6, v12
	v_mov_b32_e32 v7, v10
	;; [unrolled: 1-line block ×3, first 2 shown]
	v_pk_mul_f32 v[8:9], v[10:11], s[4:5]
	v_pk_mul_f32 v[10:11], v[10:11], s[2:3]
	v_pk_fma_f32 v[12:13], v[6:7], s[2:3], v[8:9] neg_lo:[0,0,1] neg_hi:[0,0,1]
	v_pk_fma_f32 v[8:9], v[6:7], s[4:5], v[10:11]
	v_mov_b32_e32 v6, v12
	v_mov_b32_e32 v7, v8
	;; [unrolled: 1-line block ×3, first 2 shown]
	scratch_store_dwordx4 off, v[6:9], s14
	s_add_i32 s14, s14, 16
	s_cmp_lg_u32 s38, 0
	s_cbranch_scc1 .LBB159_24
; %bb.25:                               ;   in Loop: Header=BB159_22 Depth=2
	s_and_b64 vcc, exec, s[22:23]
	s_cbranch_vccnz .LBB159_27
	s_branch .LBB159_29
.LBB159_26:                             ;   in Loop: Header=BB159_22 Depth=2
	s_mov_b32 s39, 0
	s_cbranch_execz .LBB159_29
.LBB159_27:                             ;   in Loop: Header=BB159_22 Depth=2
	s_sub_i32 s14, s29, s39
	s_add_u32 s22, s27, s39
	s_addc_u32 s23, s31, 0
	v_lshl_add_u64 v[6:7], s[22:23], 3, v[4:5]
	s_lshl_b32 s22, s39, 3
.LBB159_28:                             ;   Parent Loop BB159_19 Depth=1
                                        ;     Parent Loop BB159_22 Depth=2
                                        ; =>    This Inner Loop Header: Depth=3
	flat_load_dwordx2 v[8:9], v[6:7]
	s_add_i32 s14, s14, -1
	v_lshl_add_u64 v[6:7], v[6:7], 0, 8
	s_waitcnt vmcnt(0) lgkmcnt(0)
	v_pk_mul_f32 v[10:11], v[8:9], s[10:11] op_sel:[1,0]
	s_nop 0
	v_pk_fma_f32 v[12:13], v[8:9], s[12:13], v[10:11] neg_lo:[0,0,1] neg_hi:[0,0,1]
	v_pk_fma_f32 v[8:9], v[8:9], s[12:13], v[10:11] op_sel_hi:[0,1,1]
	v_mov_b32_e32 v13, v9
	scratch_store_dwordx2 off, v[12:13], s22
	s_add_i32 s22, s22, 8
	s_cmp_eq_u32 s14, 0
	s_cbranch_scc0 .LBB159_28
.LBB159_29:                             ;   in Loop: Header=BB159_22 Depth=2
	s_cmp_lt_i32 s27, 1
	s_cbranch_scc1 .LBB159_41
; %bb.30:                               ;   in Loop: Header=BB159_22 Depth=2
	s_mov_b32 s38, 0
	s_mov_b32 s36, s27
	;; [unrolled: 1-line block ×4, first 2 shown]
	s_branch .LBB159_32
.LBB159_31:                             ;   in Loop: Header=BB159_32 Depth=3
	s_add_i32 s14, s14, 1
	s_add_i32 s38, s38, 8
	s_cmp_eq_u32 s14, s27
	s_cbranch_scc1 .LBB159_41
.LBB159_32:                             ;   Parent Loop BB159_19 Depth=1
                                        ;     Parent Loop BB159_22 Depth=2
                                        ; =>    This Loop Header: Depth=3
                                        ;         Child Loop BB159_34 Depth 4
                                        ;         Child Loop BB159_40 Depth 4
	v_lshl_add_u64 v[6:7], s[14:15], 3, v[0:1]
	flat_load_dwordx2 v[6:7], v[6:7]
	s_and_b64 vcc, exec, s[18:19]
	s_cbranch_vccz .LBB159_36
; %bb.33:                               ;   in Loop: Header=BB159_32 Depth=3
	s_lshl_b32 s22, s14, 3
	s_waitcnt vmcnt(0) lgkmcnt(0)
	v_mov_b32_e32 v10, v6
	v_mov_b32_e32 v11, v6
	;; [unrolled: 1-line block ×3, first 2 shown]
	s_mov_b32 s23, 0
	v_mov_b32_e32 v12, v7
	v_mov_b32_e32 v13, v7
	s_mov_b32 s24, 1
	s_mov_b32 s25, 0
	;; [unrolled: 1-line block ×3, first 2 shown]
.LBB159_34:                             ;   Parent Loop BB159_19 Depth=1
                                        ;     Parent Loop BB159_22 Depth=2
                                        ;       Parent Loop BB159_32 Depth=3
                                        ; =>      This Inner Loop Header: Depth=4
	scratch_load_dwordx4 v[14:17], off, s23
	s_add_i32 s40, s25, s36
	s_add_i32 s41, s24, s37
	s_mulk_i32 s41, 0xc0
	s_mulk_i32 s40, 0xc0
	s_add_i32 s40, s22, s40
	s_add_i32 s41, s22, s41
	v_mov_b32_e32 v9, s40
	v_mov_b32_e32 v18, s41
	ds_read_b64 v[22:23], v9
	ds_read_b64 v[18:19], v18
	s_add_i32 s25, s25, 2
	s_add_i32 s24, s24, 2
	s_add_i32 s39, s39, -2
	s_waitcnt lgkmcnt(1)
	v_mov_b32_e32 v20, v22
	s_waitcnt lgkmcnt(0)
	v_mov_b32_e32 v21, v18
	v_mov_b32_e32 v18, v23
	v_pk_mul_f32 v[22:23], v[18:19], v[12:13]
	v_pk_mul_f32 v[18:19], v[18:19], v[10:11]
	v_pk_fma_f32 v[22:23], v[20:21], v[10:11], v[22:23] neg_lo:[0,0,1] neg_hi:[0,0,1]
	v_pk_fma_f32 v[18:19], v[20:21], v[12:13], v[18:19]
	s_waitcnt vmcnt(0)
	v_mov_b32_e32 v20, v14
	v_mov_b32_e32 v21, v16
	;; [unrolled: 1-line block ×3, first 2 shown]
	v_pk_add_f32 v[20:21], v[20:21], v[22:23] neg_lo:[0,1] neg_hi:[0,1]
	v_pk_add_f32 v[16:17], v[16:17], v[18:19] neg_lo:[0,1] neg_hi:[0,1]
	v_mov_b32_e32 v14, v20
	v_mov_b32_e32 v15, v16
	;; [unrolled: 1-line block ×3, first 2 shown]
	scratch_store_dwordx4 off, v[14:17], s23
	s_add_i32 s23, s23, 16
	s_cmp_lg_u32 s39, 0
	s_cbranch_scc1 .LBB159_34
; %bb.35:                               ;   in Loop: Header=BB159_32 Depth=3
	s_mov_b64 s[22:23], s[20:21]
	s_mov_b32 s24, s30
	s_branch .LBB159_38
.LBB159_36:                             ;   in Loop: Header=BB159_32 Depth=3
	s_waitcnt vmcnt(0) lgkmcnt(0)
	v_mov_b32_e32 v8, v7
	s_mov_b64 s[22:23], 0
	s_mov_b32 s24, s30
	s_cbranch_execz .LBB159_38
; %bb.37:                               ;   in Loop: Header=BB159_32 Depth=3
	s_mov_b64 s[22:23], -1
	s_mov_b32 s24, 0
.LBB159_38:                             ;   in Loop: Header=BB159_32 Depth=3
	s_andn2_b64 vcc, exec, s[22:23]
	s_cbranch_vccnz .LBB159_31
; %bb.39:                               ;   in Loop: Header=BB159_32 Depth=3
	s_add_i32 s23, s27, s24
	s_mulk_i32 s23, 0xc0
	v_mov_b32_e32 v9, v7
	v_mov_b32_e32 v7, v6
	s_sub_i32 s22, s29, s24
	s_add_i32 s23, s38, s23
	s_lshl_b32 s24, s24, 3
.LBB159_40:                             ;   Parent Loop BB159_19 Depth=1
                                        ;     Parent Loop BB159_22 Depth=2
                                        ;       Parent Loop BB159_32 Depth=3
                                        ; =>      This Inner Loop Header: Depth=4
	scratch_load_dwordx2 v[10:11], off, s24
	v_mov_b32_e32 v12, s23
	ds_read_b64 v[12:13], v12
	s_add_i32 s22, s22, -1
	s_addk_i32 s23, 0xc0
	s_waitcnt lgkmcnt(0)
	v_pk_mul_f32 v[14:15], v[12:13], v[8:9] op_sel:[1,0] op_sel_hi:[0,1]
	v_pk_fma_f32 v[16:17], v[12:13], v[6:7], v[14:15] neg_lo:[0,0,1] neg_hi:[0,0,1]
	v_pk_fma_f32 v[12:13], v[12:13], v[6:7], v[14:15]
	s_nop 0
	v_mov_b32_e32 v17, v13
	s_waitcnt vmcnt(0)
	v_pk_add_f32 v[10:11], v[10:11], v[16:17] neg_lo:[0,1] neg_hi:[0,1]
	scratch_store_dwordx2 off, v[10:11], s24
	s_add_i32 s24, s24, 8
	s_cmp_eq_u32 s22, 0
	s_cbranch_scc0 .LBB159_40
	s_branch .LBB159_31
.LBB159_41:                             ;   in Loop: Header=BB159_22 Depth=2
	s_mov_b32 s14, 0
	s_mov_b32 s36, s34
	s_branch .LBB159_43
.LBB159_42:                             ;   in Loop: Header=BB159_43 Depth=3
	s_mul_i32 s23, s22, 0xc8
	v_mov_b32_e32 v7, s23
	ds_read_b64 v[10:11], v7
	s_lshl_b32 s24, s14, 3
	s_ashr_i32 s23, s22, 31
	s_add_i32 s14, s14, 1
	s_addk_i32 s36, 0xc0
	s_waitcnt lgkmcnt(0)
	v_pk_mul_f32 v[8:9], v[10:11], v[8:9] op_sel:[1,0] op_sel_hi:[0,0]
	v_pk_fma_f32 v[12:13], v[10:11], v[6:7], v[8:9] neg_lo:[0,0,1] neg_hi:[0,0,1]
	v_pk_fma_f32 v[6:7], v[10:11], v[6:7], v[8:9] op_sel_hi:[1,0,1]
	s_cmp_eq_u32 s14, s29
	v_mov_b32_e32 v13, v7
	v_lshl_add_u64 v[6:7], s[22:23], 3, v[0:1]
	scratch_store_dwordx2 off, v[12:13], s24
	flat_store_dwordx2 v[6:7], v[12:13]
	s_cbranch_scc1 .LBB159_21
.LBB159_43:                             ;   Parent Loop BB159_19 Depth=1
                                        ;     Parent Loop BB159_22 Depth=2
                                        ; =>    This Loop Header: Depth=3
                                        ;         Child Loop BB159_45 Depth 4
	s_cmp_lg_u32 s14, 0
	s_cbranch_scc0 .LBB159_47
; %bb.44:                               ;   in Loop: Header=BB159_43 Depth=3
	s_lshl_b32 s22, s14, 3
	scratch_load_dwordx2 v[6:7], off, s22
	s_mov_b32 s23, 0
	s_mov_b32 s24, s36
	s_mov_b32 s25, s14
.LBB159_45:                             ;   Parent Loop BB159_19 Depth=1
                                        ;     Parent Loop BB159_22 Depth=2
                                        ;       Parent Loop BB159_43 Depth=3
                                        ; =>      This Inner Loop Header: Depth=4
	scratch_load_dwordx2 v[8:9], off, s23
	v_mov_b32_e32 v10, s24
	ds_read_b64 v[10:11], v10
	s_add_i32 s25, s25, -1
	s_add_i32 s23, s23, 8
	s_add_i32 s24, s24, 8
	s_cmp_eq_u32 s25, 0
	s_waitcnt vmcnt(0) lgkmcnt(0)
	v_pk_mul_f32 v[12:13], v[10:11], v[8:9] op_sel:[1,1] op_sel_hi:[0,1]
	v_pk_fma_f32 v[14:15], v[10:11], v[8:9], v[12:13] neg_lo:[0,0,1] neg_hi:[0,0,1]
	v_pk_fma_f32 v[8:9], v[10:11], v[8:9], v[12:13] op_sel_hi:[1,0,1]
	s_nop 0
	v_mov_b32_e32 v15, v9
	v_pk_add_f32 v[6:7], v[6:7], v[14:15] neg_lo:[0,1] neg_hi:[0,1]
	scratch_store_dwordx2 off, v[6:7], s22
	s_cbranch_scc0 .LBB159_45
; %bb.46:                               ;   in Loop: Header=BB159_43 Depth=3
	s_add_i32 s22, s14, s27
	v_mov_b32_e32 v8, v7
	s_branch .LBB159_42
.LBB159_47:                             ;   in Loop: Header=BB159_43 Depth=3
                                        ; implicit-def: $vgpr6
                                        ; implicit-def: $vgpr8
                                        ; implicit-def: $sgpr22
	s_cbranch_execz .LBB159_42
; %bb.48:                               ;   in Loop: Header=BB159_43 Depth=3
	scratch_load_dwordx2 v[6:7], off, off
	s_mov_b32 s22, s27
	s_waitcnt vmcnt(0)
	v_mov_b32_e32 v8, v7
	s_branch .LBB159_42
.LBB159_49:
	s_mov_b64 s[0:1], 0
.LBB159_50:
	s_and_b64 vcc, exec, s[0:1]
	s_cbranch_vccz .LBB159_83
; %bb.51:
	s_add_i32 s27, s26, -1
	s_add_u32 s0, s8, s6
	s_addc_u32 s1, s9, s7
	s_mulk_i32 s26, 0xc0
	s_mov_b32 s7, 0
	s_mov_b32 s2, s12
	;; [unrolled: 1-line block ×7, first 2 shown]
	v_lshl_add_u64 v[2:3], v[2:3], 3, s[0:1]
	s_addk_i32 s26, 0xff40
	s_mov_b32 s8, s27
	s_mov_b32 s14, s7
	s_branch .LBB159_53
.LBB159_52:                             ;   in Loop: Header=BB159_53 Depth=1
	s_cmp_lt_i32 s8, 0
	s_cselect_b64 s[0:1], -1, 0
	s_add_i32 s14, s14, 1
	s_cmp_eq_u32 s14, 3
	s_cselect_b64 s[16:17], -1, 0
	s_or_b64 s[0:1], s[0:1], s[16:17]
	s_and_b64 vcc, exec, s[0:1]
	s_cbranch_vccnz .LBB159_83
.LBB159_53:                             ; =>This Loop Header: Depth=1
                                        ;     Child Loop BB159_56 Depth 2
                                        ;       Child Loop BB159_58 Depth 3
                                        ;       Child Loop BB159_62 Depth 3
	;; [unrolled: 1-line block ×3, first 2 shown]
                                        ;         Child Loop BB159_68 Depth 4
                                        ;         Child Loop BB159_74 Depth 4
                                        ;       Child Loop BB159_77 Depth 3
                                        ;         Child Loop BB159_79 Depth 4
	s_mov_b32 s15, s7
	s_lshl_b64 s[0:1], s[14:15], 2
	s_getpc_b64 s[16:17]
	s_add_u32 s16, s16, __const._ZL30rocblas_trsm_small_left_deviceILi24ELi24ELb0E19rocblas_complex_numIfES1_PKPKS1_PKPS1_Ev13rocblas_fill_18rocblas_operation_17rocblas_diagonal_iiT3_T4_lilT5_lili.step_sizes@rel32@lo+4
	s_addc_u32 s17, s17, __const._ZL30rocblas_trsm_small_left_deviceILi24ELi24ELb0E19rocblas_complex_numIfES1_PKPKS1_PKPS1_Ev13rocblas_fill_18rocblas_operation_17rocblas_diagonal_iiT3_T4_lilT5_lili.step_sizes@rel32@hi+12
	s_add_u32 s0, s16, s0
	s_addc_u32 s1, s17, s1
	s_load_dword s15, s[0:1], 0x0
	s_waitcnt lgkmcnt(0)
	s_add_i32 s28, s15, -1
	s_cmp_lt_i32 s8, s28
	s_cbranch_scc1 .LBB159_52
; %bb.54:                               ;   in Loop: Header=BB159_53 Depth=1
	s_max_i32 s29, s15, 1
	s_cmp_lg_u32 s14, 2
	s_cselect_b64 s[16:17], -1, 0
	s_and_b32 s30, s29, 0x7ffffffe
	s_cmp_lg_u32 s29, s30
	s_cselect_b64 s[18:19], -1, 0
	s_lshl_b32 s0, s8, 3
	s_add_i32 s31, s26, s0
	s_lshl_b32 s0, s15, 3
	v_cndmask_b32_e64 v4, 0, 1, s[16:17]
	s_sub_i32 s33, 0, s0
	s_mul_i32 s34, s8, 0xc8
	s_mul_i32 s35, s15, 0xffffff38
	v_cmp_ne_u32_e64 s[0:1], 1, v4
	s_branch .LBB159_56
.LBB159_55:                             ;   in Loop: Header=BB159_56 Depth=2
	s_sub_i32 s8, s8, s15
	s_add_i32 s31, s31, s33
	s_add_i32 s34, s34, s35
	s_cmp_lt_i32 s8, s28
	s_cbranch_scc1 .LBB159_52
.LBB159_56:                             ;   Parent Loop BB159_53 Depth=1
                                        ; =>  This Loop Header: Depth=2
                                        ;       Child Loop BB159_58 Depth 3
                                        ;       Child Loop BB159_62 Depth 3
	;; [unrolled: 1-line block ×3, first 2 shown]
                                        ;         Child Loop BB159_68 Depth 4
                                        ;         Child Loop BB159_74 Depth 4
                                        ;       Child Loop BB159_77 Depth 3
                                        ;         Child Loop BB159_79 Depth 4
	s_and_b64 vcc, exec, s[0:1]
	s_cbranch_vccnz .LBB159_60
; %bb.57:                               ;   in Loop: Header=BB159_56 Depth=2
	s_mov_b32 s9, 0
	s_mov_b32 s22, s8
	;; [unrolled: 1-line block ×5, first 2 shown]
.LBB159_58:                             ;   Parent Loop BB159_53 Depth=1
                                        ;     Parent Loop BB159_56 Depth=2
                                        ; =>    This Inner Loop Header: Depth=3
	s_sub_i32 s20, s8, s24
	s_sub_i32 s36, s22, s23
	s_ashr_i32 s21, s20, 31
	s_ashr_i32 s37, s36, 31
	v_lshl_add_u64 v[4:5], s[20:21], 3, v[0:1]
	v_lshl_add_u64 v[6:7], s[36:37], 3, v[0:1]
	flat_load_dwordx2 v[10:11], v[4:5]
	flat_load_dwordx2 v[8:9], v[6:7]
	s_add_i32 s24, s24, 2
	s_add_i32 s23, s23, 2
	s_add_i32 s25, s25, -2
	s_mov_b32 s6, s30
	s_mov_b64 s[20:21], s[18:19]
	s_waitcnt vmcnt(0) lgkmcnt(0)
	v_mov_b32_e32 v4, v10
	v_mov_b32_e32 v5, v8
	;; [unrolled: 1-line block ×3, first 2 shown]
	v_pk_mul_f32 v[6:7], v[8:9], s[4:5]
	v_pk_mul_f32 v[8:9], v[8:9], s[2:3]
	v_pk_fma_f32 v[10:11], v[4:5], s[2:3], v[6:7] neg_lo:[0,0,1] neg_hi:[0,0,1]
	v_pk_fma_f32 v[6:7], v[4:5], s[4:5], v[8:9]
	v_mov_b32_e32 v4, v10
	v_mov_b32_e32 v5, v6
	;; [unrolled: 1-line block ×3, first 2 shown]
	scratch_store_dwordx4 off, v[4:7], s9
	s_add_i32 s9, s9, 16
	s_cmp_lg_u32 s25, 0
	s_cbranch_scc1 .LBB159_58
; %bb.59:                               ;   in Loop: Header=BB159_56 Depth=2
	s_ashr_i32 s9, s8, 31
	s_and_b64 vcc, exec, s[20:21]
	s_cbranch_vccnz .LBB159_61
	s_branch .LBB159_63
.LBB159_60:                             ;   in Loop: Header=BB159_56 Depth=2
	s_mov_b32 s6, 0
	s_ashr_i32 s9, s8, 31
	s_cbranch_execz .LBB159_63
.LBB159_61:                             ;   in Loop: Header=BB159_56 Depth=2
	s_lshl_b64 s[22:23], s[8:9], 3
	s_sub_i32 s20, s29, s6
	s_lshl_b64 s[24:25], s[6:7], 3
	s_sub_u32 s22, s22, s24
	s_subb_u32 s23, s23, s25
	v_lshl_add_u64 v[4:5], v[2:3], 0, s[22:23]
	s_lshl_b32 s6, s6, 3
.LBB159_62:                             ;   Parent Loop BB159_53 Depth=1
                                        ;     Parent Loop BB159_56 Depth=2
                                        ; =>    This Inner Loop Header: Depth=3
	flat_load_dwordx2 v[6:7], v[4:5]
	s_add_i32 s20, s20, -1
	v_lshl_add_u64 v[4:5], v[4:5], 0, -8
	s_waitcnt vmcnt(0) lgkmcnt(0)
	v_pk_mul_f32 v[8:9], v[6:7], s[10:11] op_sel:[1,0]
	s_nop 0
	v_pk_fma_f32 v[10:11], v[6:7], s[12:13], v[8:9] neg_lo:[0,0,1] neg_hi:[0,0,1]
	v_pk_fma_f32 v[6:7], v[6:7], s[12:13], v[8:9] op_sel_hi:[0,1,1]
	v_mov_b32_e32 v11, v7
	scratch_store_dwordx2 off, v[10:11], s6
	s_add_i32 s6, s6, 8
	s_cmp_eq_u32 s20, 0
	s_cbranch_scc0 .LBB159_62
.LBB159_63:                             ;   in Loop: Header=BB159_56 Depth=2
	s_cmp_le_i32 s27, s8
	s_cbranch_scc1 .LBB159_75
; %bb.64:                               ;   in Loop: Header=BB159_56 Depth=2
	s_mov_b32 s6, s8
	s_mov_b32 s36, s8
	;; [unrolled: 1-line block ×4, first 2 shown]
	s_branch .LBB159_66
.LBB159_65:                             ;   in Loop: Header=BB159_66 Depth=3
	s_add_i32 s20, s20, -1
	s_addk_i32 s37, 0xff40
	s_cmp_le_i32 s20, s8
	s_cbranch_scc1 .LBB159_75
.LBB159_66:                             ;   Parent Loop BB159_53 Depth=1
                                        ;     Parent Loop BB159_56 Depth=2
                                        ; =>    This Loop Header: Depth=3
                                        ;         Child Loop BB159_68 Depth 4
                                        ;         Child Loop BB159_74 Depth 4
	s_ashr_i32 s21, s20, 31
	v_lshl_add_u64 v[4:5], s[20:21], 3, v[0:1]
	flat_load_dwordx2 v[4:5], v[4:5]
	s_and_b64 vcc, exec, s[16:17]
	s_cbranch_vccz .LBB159_70
; %bb.67:                               ;   in Loop: Header=BB159_66 Depth=3
	s_mul_i32 s21, s20, 0xc0
	s_waitcnt vmcnt(0) lgkmcnt(0)
	v_mov_b32_e32 v8, v4
	v_mov_b32_e32 v9, v4
	;; [unrolled: 1-line block ×3, first 2 shown]
	s_mov_b32 s22, 0
	v_mov_b32_e32 v10, v5
	v_mov_b32_e32 v11, v5
	s_mov_b32 s23, 1
	s_mov_b32 s24, 0
	;; [unrolled: 1-line block ×3, first 2 shown]
.LBB159_68:                             ;   Parent Loop BB159_53 Depth=1
                                        ;     Parent Loop BB159_56 Depth=2
                                        ;       Parent Loop BB159_66 Depth=3
                                        ; =>      This Inner Loop Header: Depth=4
	scratch_load_dwordx4 v[12:15], off, s22
	s_sub_i32 s38, s36, s23
	s_sub_i32 s39, s6, s24
	s_lshl_b32 s39, s39, 3
	s_lshl_b32 s38, s38, 3
	s_add_i32 s39, s21, s39
	s_add_i32 s38, s21, s38
	v_mov_b32_e32 v7, s39
	v_mov_b32_e32 v16, s38
	ds_read_b64 v[20:21], v7
	ds_read_b64 v[16:17], v16
	s_add_i32 s24, s24, 2
	s_add_i32 s23, s23, 2
	s_add_i32 s25, s25, -2
	s_waitcnt lgkmcnt(1)
	v_mov_b32_e32 v18, v20
	s_waitcnt lgkmcnt(0)
	v_mov_b32_e32 v19, v16
	v_mov_b32_e32 v16, v21
	v_pk_mul_f32 v[20:21], v[16:17], v[10:11]
	v_pk_mul_f32 v[16:17], v[16:17], v[8:9]
	v_pk_fma_f32 v[20:21], v[18:19], v[8:9], v[20:21] neg_lo:[0,0,1] neg_hi:[0,0,1]
	v_pk_fma_f32 v[16:17], v[18:19], v[10:11], v[16:17]
	s_waitcnt vmcnt(0)
	v_mov_b32_e32 v18, v12
	v_mov_b32_e32 v19, v14
	;; [unrolled: 1-line block ×3, first 2 shown]
	v_pk_add_f32 v[18:19], v[18:19], v[20:21] neg_lo:[0,1] neg_hi:[0,1]
	v_pk_add_f32 v[14:15], v[14:15], v[16:17] neg_lo:[0,1] neg_hi:[0,1]
	v_mov_b32_e32 v12, v18
	v_mov_b32_e32 v13, v14
	;; [unrolled: 1-line block ×3, first 2 shown]
	scratch_store_dwordx4 off, v[12:15], s22
	s_add_i32 s22, s22, 16
	s_cmp_lg_u32 s25, 0
	s_cbranch_scc1 .LBB159_68
; %bb.69:                               ;   in Loop: Header=BB159_66 Depth=3
	s_mov_b64 s[22:23], s[18:19]
	s_mov_b32 s24, s30
	s_branch .LBB159_72
.LBB159_70:                             ;   in Loop: Header=BB159_66 Depth=3
	s_waitcnt vmcnt(0) lgkmcnt(0)
	v_mov_b32_e32 v6, v5
	s_mov_b64 s[22:23], 0
	s_mov_b32 s24, s30
	s_cbranch_execz .LBB159_72
; %bb.71:                               ;   in Loop: Header=BB159_66 Depth=3
	s_mov_b64 s[22:23], -1
	s_mov_b32 s24, 0
.LBB159_72:                             ;   in Loop: Header=BB159_66 Depth=3
	s_andn2_b64 vcc, exec, s[22:23]
	s_cbranch_vccnz .LBB159_65
; %bb.73:                               ;   in Loop: Header=BB159_66 Depth=3
	s_lshl_b32 s23, s24, 3
	v_mov_b32_e32 v7, v5
	v_mov_b32_e32 v5, v4
	s_sub_i32 s21, s29, s24
	s_sub_i32 s22, s37, s23
.LBB159_74:                             ;   Parent Loop BB159_53 Depth=1
                                        ;     Parent Loop BB159_56 Depth=2
                                        ;       Parent Loop BB159_66 Depth=3
                                        ; =>      This Inner Loop Header: Depth=4
	scratch_load_dwordx2 v[8:9], off, s23
	v_mov_b32_e32 v10, s22
	ds_read_b64 v[10:11], v10
	s_add_i32 s21, s21, -1
	s_add_i32 s22, s22, -8
	s_waitcnt lgkmcnt(0)
	v_pk_mul_f32 v[12:13], v[10:11], v[6:7] op_sel:[1,0] op_sel_hi:[0,1]
	v_pk_fma_f32 v[14:15], v[10:11], v[4:5], v[12:13] neg_lo:[0,0,1] neg_hi:[0,0,1]
	v_pk_fma_f32 v[10:11], v[10:11], v[4:5], v[12:13]
	s_nop 0
	v_mov_b32_e32 v15, v11
	s_waitcnt vmcnt(0)
	v_pk_add_f32 v[8:9], v[8:9], v[14:15] neg_lo:[0,1] neg_hi:[0,1]
	scratch_store_dwordx2 off, v[8:9], s23
	s_add_i32 s23, s23, 8
	s_cmp_eq_u32 s21, 0
	s_cbranch_scc0 .LBB159_74
	s_branch .LBB159_65
.LBB159_75:                             ;   in Loop: Header=BB159_56 Depth=2
	s_mov_b32 s6, 0
	s_mov_b32 s36, s34
	s_branch .LBB159_77
.LBB159_76:                             ;   in Loop: Header=BB159_77 Depth=3
	s_mulk_i32 s22, 0xc8
	v_mov_b32_e32 v5, s22
	ds_read_b64 v[8:9], v5
	s_lshl_b32 s22, s6, 3
	s_add_i32 s6, s6, 1
	s_add_i32 s36, s36, -8
	v_lshl_add_u64 v[10:11], s[20:21], 3, v[0:1]
	s_waitcnt lgkmcnt(0)
	v_pk_mul_f32 v[6:7], v[8:9], v[6:7] op_sel:[1,0] op_sel_hi:[0,0]
	v_pk_fma_f32 v[12:13], v[8:9], v[4:5], v[6:7] neg_lo:[0,0,1] neg_hi:[0,0,1]
	v_pk_fma_f32 v[4:5], v[8:9], v[4:5], v[6:7] op_sel_hi:[1,0,1]
	s_cmp_eq_u32 s6, s29
	v_mov_b32_e32 v13, v5
	scratch_store_dwordx2 off, v[12:13], s22
	flat_store_dwordx2 v[10:11], v[12:13]
	s_cbranch_scc1 .LBB159_55
.LBB159_77:                             ;   Parent Loop BB159_53 Depth=1
                                        ;     Parent Loop BB159_56 Depth=2
                                        ; =>    This Loop Header: Depth=3
                                        ;         Child Loop BB159_79 Depth 4
	s_cmp_lg_u32 s6, 0
	s_cbranch_scc0 .LBB159_81
; %bb.78:                               ;   in Loop: Header=BB159_77 Depth=3
	s_lshl_b32 s20, s6, 3
	scratch_load_dwordx2 v[4:5], off, s20
	s_mov_b32 s21, 0
	s_mov_b32 s22, s36
	;; [unrolled: 1-line block ×3, first 2 shown]
.LBB159_79:                             ;   Parent Loop BB159_53 Depth=1
                                        ;     Parent Loop BB159_56 Depth=2
                                        ;       Parent Loop BB159_77 Depth=3
                                        ; =>      This Inner Loop Header: Depth=4
	scratch_load_dwordx2 v[6:7], off, s21
	v_mov_b32_e32 v8, s22
	ds_read_b64 v[8:9], v8
	s_add_i32 s23, s23, -1
	s_addk_i32 s22, 0xff40
	s_add_i32 s21, s21, 8
	s_cmp_eq_u32 s23, 0
	s_waitcnt vmcnt(0) lgkmcnt(0)
	v_pk_mul_f32 v[10:11], v[8:9], v[6:7] op_sel:[1,1] op_sel_hi:[0,1]
	v_pk_fma_f32 v[12:13], v[8:9], v[6:7], v[10:11] neg_lo:[0,0,1] neg_hi:[0,0,1]
	v_pk_fma_f32 v[6:7], v[8:9], v[6:7], v[10:11] op_sel_hi:[1,0,1]
	s_nop 0
	v_mov_b32_e32 v13, v7
	v_pk_add_f32 v[4:5], v[4:5], v[12:13] neg_lo:[0,1] neg_hi:[0,1]
	scratch_store_dwordx2 off, v[4:5], s20
	s_cbranch_scc0 .LBB159_79
; %bb.80:                               ;   in Loop: Header=BB159_77 Depth=3
	s_sub_i32 s22, s8, s6
	s_ashr_i32 s23, s22, 31
	v_mov_b32_e32 v6, v5
	s_mov_b64 s[20:21], s[22:23]
	s_branch .LBB159_76
.LBB159_81:                             ;   in Loop: Header=BB159_77 Depth=3
                                        ; implicit-def: $vgpr4
                                        ; implicit-def: $vgpr6
                                        ; implicit-def: $sgpr22
                                        ; implicit-def: $sgpr20_sgpr21
	s_cbranch_execz .LBB159_76
; %bb.82:                               ;   in Loop: Header=BB159_77 Depth=3
	scratch_load_dwordx2 v[4:5], off, off
	s_mov_b64 s[20:21], s[8:9]
	s_mov_b32 s22, s8
	s_waitcnt vmcnt(0)
	v_mov_b32_e32 v6, v5
	s_branch .LBB159_76
.LBB159_83:
	s_endpgm
	.section	.rodata,"a",@progbits
	.p2align	6, 0x0
	.amdhsa_kernel _ZL30rocblas_trsm_small_left_deviceILi24ELi24ELb0E19rocblas_complex_numIfES1_PKPKS1_PKPS1_Ev13rocblas_fill_18rocblas_operation_17rocblas_diagonal_iiT3_T4_lilT5_lili
		.amdhsa_group_segment_fixed_size 4608
		.amdhsa_private_segment_fixed_size 208
		.amdhsa_kernarg_size 360
		.amdhsa_user_sgpr_count 2
		.amdhsa_user_sgpr_dispatch_ptr 0
		.amdhsa_user_sgpr_queue_ptr 0
		.amdhsa_user_sgpr_kernarg_segment_ptr 1
		.amdhsa_user_sgpr_dispatch_id 0
		.amdhsa_user_sgpr_kernarg_preload_length 0
		.amdhsa_user_sgpr_kernarg_preload_offset 0
		.amdhsa_user_sgpr_private_segment_size 0
		.amdhsa_uses_dynamic_stack 0
		.amdhsa_enable_private_segment 1
		.amdhsa_system_sgpr_workgroup_id_x 1
		.amdhsa_system_sgpr_workgroup_id_y 0
		.amdhsa_system_sgpr_workgroup_id_z 1
		.amdhsa_system_sgpr_workgroup_info 0
		.amdhsa_system_vgpr_workitem_id 0
		.amdhsa_next_free_vgpr 24
		.amdhsa_next_free_sgpr 42
		.amdhsa_accum_offset 24
		.amdhsa_reserve_vcc 1
		.amdhsa_float_round_mode_32 0
		.amdhsa_float_round_mode_16_64 0
		.amdhsa_float_denorm_mode_32 3
		.amdhsa_float_denorm_mode_16_64 3
		.amdhsa_dx10_clamp 1
		.amdhsa_ieee_mode 1
		.amdhsa_fp16_overflow 0
		.amdhsa_tg_split 0
		.amdhsa_exception_fp_ieee_invalid_op 0
		.amdhsa_exception_fp_denorm_src 0
		.amdhsa_exception_fp_ieee_div_zero 0
		.amdhsa_exception_fp_ieee_overflow 0
		.amdhsa_exception_fp_ieee_underflow 0
		.amdhsa_exception_fp_ieee_inexact 0
		.amdhsa_exception_int_div_zero 0
	.end_amdhsa_kernel
	.section	.text._ZL30rocblas_trsm_small_left_deviceILi24ELi24ELb0E19rocblas_complex_numIfES1_PKPKS1_PKPS1_Ev13rocblas_fill_18rocblas_operation_17rocblas_diagonal_iiT3_T4_lilT5_lili,"axG",@progbits,_ZL30rocblas_trsm_small_left_deviceILi24ELi24ELb0E19rocblas_complex_numIfES1_PKPKS1_PKPS1_Ev13rocblas_fill_18rocblas_operation_17rocblas_diagonal_iiT3_T4_lilT5_lili,comdat
.Lfunc_end159:
	.size	_ZL30rocblas_trsm_small_left_deviceILi24ELi24ELb0E19rocblas_complex_numIfES1_PKPKS1_PKPS1_Ev13rocblas_fill_18rocblas_operation_17rocblas_diagonal_iiT3_T4_lilT5_lili, .Lfunc_end159-_ZL30rocblas_trsm_small_left_deviceILi24ELi24ELb0E19rocblas_complex_numIfES1_PKPKS1_PKPS1_Ev13rocblas_fill_18rocblas_operation_17rocblas_diagonal_iiT3_T4_lilT5_lili
                                        ; -- End function
	.set _ZL30rocblas_trsm_small_left_deviceILi24ELi24ELb0E19rocblas_complex_numIfES1_PKPKS1_PKPS1_Ev13rocblas_fill_18rocblas_operation_17rocblas_diagonal_iiT3_T4_lilT5_lili.num_vgpr, 24
	.set _ZL30rocblas_trsm_small_left_deviceILi24ELi24ELb0E19rocblas_complex_numIfES1_PKPKS1_PKPS1_Ev13rocblas_fill_18rocblas_operation_17rocblas_diagonal_iiT3_T4_lilT5_lili.num_agpr, 0
	.set _ZL30rocblas_trsm_small_left_deviceILi24ELi24ELb0E19rocblas_complex_numIfES1_PKPKS1_PKPS1_Ev13rocblas_fill_18rocblas_operation_17rocblas_diagonal_iiT3_T4_lilT5_lili.numbered_sgpr, 42
	.set _ZL30rocblas_trsm_small_left_deviceILi24ELi24ELb0E19rocblas_complex_numIfES1_PKPKS1_PKPS1_Ev13rocblas_fill_18rocblas_operation_17rocblas_diagonal_iiT3_T4_lilT5_lili.num_named_barrier, 0
	.set _ZL30rocblas_trsm_small_left_deviceILi24ELi24ELb0E19rocblas_complex_numIfES1_PKPKS1_PKPS1_Ev13rocblas_fill_18rocblas_operation_17rocblas_diagonal_iiT3_T4_lilT5_lili.private_seg_size, 208
	.set _ZL30rocblas_trsm_small_left_deviceILi24ELi24ELb0E19rocblas_complex_numIfES1_PKPKS1_PKPS1_Ev13rocblas_fill_18rocblas_operation_17rocblas_diagonal_iiT3_T4_lilT5_lili.uses_vcc, 1
	.set _ZL30rocblas_trsm_small_left_deviceILi24ELi24ELb0E19rocblas_complex_numIfES1_PKPKS1_PKPS1_Ev13rocblas_fill_18rocblas_operation_17rocblas_diagonal_iiT3_T4_lilT5_lili.uses_flat_scratch, 0
	.set _ZL30rocblas_trsm_small_left_deviceILi24ELi24ELb0E19rocblas_complex_numIfES1_PKPKS1_PKPS1_Ev13rocblas_fill_18rocblas_operation_17rocblas_diagonal_iiT3_T4_lilT5_lili.has_dyn_sized_stack, 0
	.set _ZL30rocblas_trsm_small_left_deviceILi24ELi24ELb0E19rocblas_complex_numIfES1_PKPKS1_PKPS1_Ev13rocblas_fill_18rocblas_operation_17rocblas_diagonal_iiT3_T4_lilT5_lili.has_recursion, 0
	.set _ZL30rocblas_trsm_small_left_deviceILi24ELi24ELb0E19rocblas_complex_numIfES1_PKPKS1_PKPS1_Ev13rocblas_fill_18rocblas_operation_17rocblas_diagonal_iiT3_T4_lilT5_lili.has_indirect_call, 0
	.section	.AMDGPU.csdata,"",@progbits
; Kernel info:
; codeLenInByte = 3480
; TotalNumSgprs: 48
; NumVgprs: 24
; NumAgprs: 0
; TotalNumVgprs: 24
; ScratchSize: 208
; MemoryBound: 0
; FloatMode: 240
; IeeeMode: 1
; LDSByteSize: 4608 bytes/workgroup (compile time only)
; SGPRBlocks: 5
; VGPRBlocks: 2
; NumSGPRsForWavesPerEU: 48
; NumVGPRsForWavesPerEU: 24
; AccumOffset: 24
; Occupancy: 8
; WaveLimiterHint : 1
; COMPUTE_PGM_RSRC2:SCRATCH_EN: 1
; COMPUTE_PGM_RSRC2:USER_SGPR: 2
; COMPUTE_PGM_RSRC2:TRAP_HANDLER: 0
; COMPUTE_PGM_RSRC2:TGID_X_EN: 1
; COMPUTE_PGM_RSRC2:TGID_Y_EN: 0
; COMPUTE_PGM_RSRC2:TGID_Z_EN: 1
; COMPUTE_PGM_RSRC2:TIDIG_COMP_CNT: 0
; COMPUTE_PGM_RSRC3_GFX90A:ACCUM_OFFSET: 5
; COMPUTE_PGM_RSRC3_GFX90A:TG_SPLIT: 0
	.section	.text._ZL38rocblas_trsm_small_left_device_sharedBILi24ELi24ELb1E19rocblas_complex_numIfES1_PKPKS1_PKPS1_Ev13rocblas_fill_18rocblas_operation_17rocblas_diagonal_iiT3_T4_lilT5_lili,"axG",@progbits,_ZL38rocblas_trsm_small_left_device_sharedBILi24ELi24ELb1E19rocblas_complex_numIfES1_PKPKS1_PKPS1_Ev13rocblas_fill_18rocblas_operation_17rocblas_diagonal_iiT3_T4_lilT5_lili,comdat
	.globl	_ZL38rocblas_trsm_small_left_device_sharedBILi24ELi24ELb1E19rocblas_complex_numIfES1_PKPKS1_PKPS1_Ev13rocblas_fill_18rocblas_operation_17rocblas_diagonal_iiT3_T4_lilT5_lili ; -- Begin function _ZL38rocblas_trsm_small_left_device_sharedBILi24ELi24ELb1E19rocblas_complex_numIfES1_PKPKS1_PKPS1_Ev13rocblas_fill_18rocblas_operation_17rocblas_diagonal_iiT3_T4_lilT5_lili
	.p2align	8
	.type	_ZL38rocblas_trsm_small_left_device_sharedBILi24ELi24ELb1E19rocblas_complex_numIfES1_PKPKS1_PKPS1_Ev13rocblas_fill_18rocblas_operation_17rocblas_diagonal_iiT3_T4_lilT5_lili,@function
_ZL38rocblas_trsm_small_left_device_sharedBILi24ELi24ELb1E19rocblas_complex_numIfES1_PKPKS1_PKPS1_Ev13rocblas_fill_18rocblas_operation_17rocblas_diagonal_iiT3_T4_lilT5_lili: ; @_ZL38rocblas_trsm_small_left_device_sharedBILi24ELi24ELb1E19rocblas_complex_numIfES1_PKPKS1_PKPS1_Ev13rocblas_fill_18rocblas_operation_17rocblas_diagonal_iiT3_T4_lilT5_lili
; %bb.0:
	s_load_dwordx4 s[8:11], s[0:1], 0x40
	s_load_dwordx4 s[4:7], s[0:1], 0x4
	s_load_dwordx2 s[12:13], s[0:1], 0x14
	s_mov_b32 s14, s3
	s_mov_b32 s15, 0
	s_lshl_b64 s[18:19], s[14:15], 3
	s_waitcnt lgkmcnt(0)
	s_add_u32 s8, s8, s18
	s_addc_u32 s9, s9, s19
	s_load_dword s3, s[0:1], 0x68
	s_load_dwordx2 s[14:15], s[8:9], 0x0
	s_min_i32 s26, s6, 24
	v_cmp_gt_i32_e32 vcc, s26, v0
	s_and_saveexec_b64 s[8:9], vcc
	s_cbranch_execz .LBB160_15
; %bb.1:
	s_load_dword s24, s[0:1], 0x30
	s_load_dwordx4 s[20:23], s[0:1], 0x20
	v_lshlrev_b32_e32 v2, 3, v0
	v_mov_b32_e32 v3, 0
	v_mov_b32_e32 v1, v2
	s_waitcnt lgkmcnt(0)
	s_ashr_i32 s25, s24, 31
	s_cmpk_lg_i32 s4, 0x71
	s_cselect_b64 s[16:17], -1, 0
	s_add_u32 s18, s20, s18
	s_addc_u32 s19, s21, s19
	s_load_dwordx2 s[18:19], s[18:19], 0x0
	s_lshl_b64 s[20:21], s[22:23], 3
	s_mov_b32 s22, s26
	s_waitcnt lgkmcnt(0)
	s_add_u32 s20, s18, s20
	s_addc_u32 s21, s19, s21
	s_lshl_b64 s[18:19], s[24:25], 3
	v_lshl_add_u64 v[4:5], s[20:21], 0, v[2:3]
	s_branch .LBB160_3
.LBB160_2:                              ;   in Loop: Header=BB160_3 Depth=1
	flat_load_dword v6, v[4:5]
	s_add_i32 s22, s22, -1
	v_lshl_add_u64 v[4:5], v[4:5], 0, s[18:19]
	s_cmp_eq_u32 s22, 0
	s_waitcnt vmcnt(0) lgkmcnt(0)
	ds_write_b64 v1, v[6:7]
	v_add_u32_e32 v1, 0xc0, v1
	s_cbranch_scc1 .LBB160_7
.LBB160_3:                              ; =>This Inner Loop Header: Depth=1
	s_mov_b64 s[20:21], -1
	s_and_b64 vcc, exec, s[16:17]
                                        ; implicit-def: $vgpr7
	s_cbranch_vccz .LBB160_5
; %bb.4:                                ;   in Loop: Header=BB160_3 Depth=1
	flat_load_dword v7, v[4:5] offset:4
	s_mov_b64 s[20:21], 0
.LBB160_5:                              ;   in Loop: Header=BB160_3 Depth=1
	s_andn2_b64 vcc, exec, s[20:21]
	s_cbranch_vccnz .LBB160_2
; %bb.6:                                ;   in Loop: Header=BB160_3 Depth=1
	flat_load_dword v3, v[4:5] offset:4
	s_waitcnt vmcnt(0) lgkmcnt(0)
	v_xor_b32_e32 v7, 0x80000000, v3
	s_branch .LBB160_2
.LBB160_7:
	v_mul_u32_u24_e32 v1, 0xc0, v0
	s_cmpk_lg_i32 s5, 0x84
	s_mov_b64 s[16:17], -1
	v_add_u32_e32 v1, v2, v1
	s_cbranch_scc0 .LBB160_13
; %bb.8:
	ds_read_b64 v[2:3], v1
                                        ; implicit-def: $vgpr4_vgpr5
	s_waitcnt lgkmcnt(0)
	v_cmp_ngt_f32_e64 s[16:17], |v2|, |v3|
	s_and_saveexec_b64 s[18:19], s[16:17]
	s_xor_b64 s[16:17], exec, s[18:19]
	s_cbranch_execz .LBB160_10
; %bb.9:
	v_div_scale_f32 v4, s[18:19], v3, v3, v2
	v_rcp_f32_e32 v5, v4
	v_div_scale_f32 v6, vcc, v2, v3, v2
	v_fma_f32 v7, -v4, v5, 1.0
	v_fmac_f32_e32 v5, v7, v5
	v_mul_f32_e32 v7, v6, v5
	v_fma_f32 v8, -v4, v7, v6
	v_fmac_f32_e32 v7, v8, v5
	v_fma_f32 v4, -v4, v7, v6
	v_div_fmas_f32 v4, v4, v5, v7
	v_div_fixup_f32 v4, v4, v3, v2
	v_fmac_f32_e32 v3, v2, v4
	v_div_scale_f32 v2, s[18:19], v3, v3, 1.0
	v_rcp_f32_e32 v5, v2
	s_mov_b32 s18, 0
	s_mov_b32 s19, -1.0
	v_fma_f32 v6, -v2, v5, 1.0
	v_fmac_f32_e32 v5, v6, v5
	v_div_scale_f32 v6, vcc, 1.0, v3, 1.0
	v_mul_f32_e32 v7, v6, v5
	v_fma_f32 v8, -v2, v7, v6
	v_fmac_f32_e32 v7, v8, v5
	v_fma_f32 v2, -v2, v7, v6
	v_div_fmas_f32 v2, v2, v5, v7
	v_mul_f32_e32 v5, 0, v4
	v_div_fixup_f32 v2, v2, v3, 1.0
	v_pk_add_f32 v[4:5], v[4:5], s[18:19]
	s_nop 0
	v_pk_mul_f32 v[4:5], v[4:5], v[2:3] op_sel_hi:[1,0]
                                        ; implicit-def: $vgpr2_vgpr3
.LBB160_10:
	s_andn2_saveexec_b64 s[16:17], s[16:17]
	s_cbranch_execz .LBB160_12
; %bb.11:
	v_div_scale_f32 v4, s[18:19], v2, v2, v3
	v_rcp_f32_e32 v5, v4
	v_div_scale_f32 v6, vcc, v3, v2, v3
	v_fma_f32 v7, -v4, v5, 1.0
	v_fmac_f32_e32 v5, v7, v5
	v_mul_f32_e32 v7, v6, v5
	v_fma_f32 v8, -v4, v7, v6
	v_fmac_f32_e32 v7, v8, v5
	v_fma_f32 v4, -v4, v7, v6
	v_div_fmas_f32 v4, v4, v5, v7
	v_div_fixup_f32 v5, v4, v2, v3
	v_fmac_f32_e32 v2, v3, v5
	v_div_scale_f32 v3, s[18:19], v2, v2, 1.0
	v_rcp_f32_e32 v4, v3
	s_nop 0
	v_fma_f32 v6, -v3, v4, 1.0
	v_fmac_f32_e32 v4, v6, v4
	v_div_scale_f32 v6, vcc, 1.0, v2, 1.0
	v_mul_f32_e32 v7, v6, v4
	v_fma_f32 v8, -v3, v7, v6
	v_fmac_f32_e32 v7, v8, v4
	v_fma_f32 v3, -v3, v7, v6
	v_div_fmas_f32 v3, v3, v4, v7
	v_div_fixup_f32 v2, v3, v2, 1.0
	v_mul_f32_e32 v3, 0, v5
	v_add_f32_e32 v4, 1.0, v3
	v_sub_f32_e32 v5, 0, v5
	v_pk_mul_f32 v[4:5], v[4:5], v[2:3] op_sel_hi:[1,0]
.LBB160_12:
	s_or_b64 exec, exec, s[16:17]
	s_mov_b64 s[16:17], 0
	ds_write_b64 v1, v[4:5]
.LBB160_13:
	s_and_b64 vcc, exec, s[16:17]
	s_cbranch_vccz .LBB160_15
; %bb.14:
	v_mov_b32_e32 v2, 1.0
	v_mov_b32_e32 v3, 0
	ds_write_b64 v1, v[2:3]
.LBB160_15:
	s_or_b64 exec, exec, s[8:9]
	s_load_dword s27, s[0:1], 0x50
	s_lshl_b64 s[16:17], s[10:11], 3
	s_mul_i32 s0, s2, 0xffffffe8
	s_mul_i32 s18, s2, 24
	s_mov_b32 s28, 0
	s_waitcnt lgkmcnt(0)
	s_ashr_i32 s5, s27, 31
	s_add_u32 s8, s14, s16
	s_addc_u32 s9, s15, s17
	s_add_i32 s3, s3, -1
	s_add_i32 s0, s7, s0
	s_cmp_ge_u32 s2, s3
	s_cselect_b32 s7, s0, 24
	s_mul_hi_i32 s1, s27, s18
	s_mul_i32 s0, s27, s18
	s_lshl_b64 s[0:1], s[0:1], 3
	s_add_u32 s2, s8, s0
	s_addc_u32 s3, s9, s1
	s_cmp_gt_i32 s6, 0
	v_cmp_gt_i32_e64 s[0:1], s7, v0
	s_cselect_b64 s[8:9], -1, 0
	s_and_b64 s[20:21], s[0:1], s[8:9]
	s_and_saveexec_b64 s[10:11], s[20:21]
	s_cbranch_execz .LBB160_23
; %bb.16:
	s_cmp_lt_i32 s6, 2
	s_mov_b64 s[6:7], -1
	s_cbranch_scc1 .LBB160_20
; %bb.17:
	v_mad_i64_i32 v[2:3], s[6:7], s27, v0, 0
	v_mov_b32_e32 v1, 0x1200
	s_and_b32 s28, s26, 30
	s_mov_b32 s25, 0
	v_lshl_add_u64 v[2:3], v[2:3], 3, s[2:3]
	v_lshl_or_b32 v1, v0, 3, v1
	s_mov_b32 s6, s12
	s_mov_b32 s7, s12
	;; [unrolled: 1-line block ×7, first 2 shown]
.LBB160_18:                             ; =>This Inner Loop Header: Depth=1
	v_lshl_add_u64 v[4:5], s[24:25], 3, v[2:3]
	s_mov_b32 s23, s25
	v_lshl_add_u64 v[6:7], s[22:23], 3, v[2:3]
	flat_load_dwordx2 v[12:13], v[4:5]
	flat_load_dwordx2 v[8:9], v[6:7]
	s_mul_i32 s23, s22, 0xc0
	s_mul_i32 s29, s24, 0xc0
	s_add_i32 s24, s24, 2
	s_add_i32 s19, s19, -2
	s_add_i32 s22, s22, 2
	v_add_u32_e32 v10, s29, v1
	s_cmp_lg_u32 s19, 0
	v_add_u32_e32 v11, s23, v1
	s_waitcnt vmcnt(0) lgkmcnt(0)
	v_mov_b32_e32 v4, v12
	v_mov_b32_e32 v5, v8
	;; [unrolled: 1-line block ×3, first 2 shown]
	v_pk_mul_f32 v[6:7], s[20:21], v[8:9]
	v_pk_mul_f32 v[8:9], s[6:7], v[8:9]
	v_pk_fma_f32 v[6:7], s[6:7], v[4:5], v[6:7] neg_lo:[0,0,1] neg_hi:[0,0,1]
	v_pk_fma_f32 v[4:5], s[20:21], v[4:5], v[8:9]
	ds_write_b32 v10, v6
	ds_write_b32 v11, v7
	ds_write_b32 v10, v4 offset:4
	ds_write_b32 v11, v5 offset:4
	s_cbranch_scc1 .LBB160_18
; %bb.19:
	s_cmp_lg_u32 s26, s28
	s_cselect_b64 s[6:7], -1, 0
.LBB160_20:
	s_and_b64 vcc, exec, s[6:7]
	s_cbranch_vccz .LBB160_23
; %bb.21:
	s_ashr_i32 s19, s18, 31
	v_lshlrev_b32_e32 v2, 3, v0
	v_mov_b32_e32 v3, 0
	s_sub_i32 s20, s26, s28
	v_lshl_add_u64 v[4:5], s[18:19], 3, v[2:3]
	s_lshl_b32 s18, s28, 3
	s_add_u32 s14, s14, s18
	s_addc_u32 s15, s15, 0
	s_add_u32 s14, s14, s16
	s_addc_u32 s15, s15, s17
	v_mov_b64_e32 v[2:3], s[14:15]
	v_mad_u64_u32 v[2:3], s[14:15], v4, s27, v[2:3]
	v_mul_lo_u32 v1, v4, s5
	v_mul_lo_u32 v4, v5, s27
	s_mul_i32 s5, s28, 0xc0
	v_add3_u32 v3, v4, v3, v1
	v_lshl_add_u32 v1, v0, 3, s5
	s_mov_b32 s6, s13
	s_mov_b32 s7, s12
	v_add_u32_e32 v1, 0x1200, v1
.LBB160_22:                             ; =>This Inner Loop Header: Depth=1
	flat_load_dwordx2 v[4:5], v[2:3]
	s_add_i32 s20, s20, -1
	v_lshl_add_u64 v[2:3], v[2:3], 0, 8
	s_cmp_lg_u32 s20, 0
	s_waitcnt vmcnt(0) lgkmcnt(0)
	v_pk_mul_f32 v[6:7], s[6:7], v[4:5] op_sel:[0,1]
	s_nop 0
	v_pk_fma_f32 v[8:9], s[12:13], v[4:5], v[6:7] neg_lo:[0,0,1] neg_hi:[0,0,1]
	v_pk_fma_f32 v[4:5], s[12:13], v[4:5], v[6:7] op_sel_hi:[1,0,1]
	s_nop 0
	v_mov_b32_e32 v9, v5
	ds_write_b64 v1, v[8:9]
	v_add_u32_e32 v1, 0xc0, v1
	s_cbranch_scc1 .LBB160_22
.LBB160_23:
	s_or_b64 exec, exec, s[10:11]
	v_mov_b32_e32 v1, 0x1200
	s_cmpk_eq_i32 s4, 0x6f
	v_lshl_or_b32 v1, v0, 3, v1
	s_mov_b64 s[4:5], -1
	s_waitcnt lgkmcnt(0)
	; wave barrier
	s_cbranch_scc1 .LBB160_52
; %bb.24:
	s_add_i32 s16, s26, -1
	s_lshl_b32 s17, s26, 3
	s_mov_b32 s5, 0
	s_add_i32 s17, s17, -8
	s_mov_b32 s4, s5
	s_mov_b32 s18, s16
	s_branch .LBB160_26
.LBB160_25:                             ;   in Loop: Header=BB160_26 Depth=1
	s_cmp_lt_i32 s18, 0
	s_cselect_b64 s[6:7], -1, 0
	s_add_i32 s4, s4, 1
	s_cmp_eq_u32 s4, 3
	s_cselect_b64 s[10:11], -1, 0
	s_or_b64 s[6:7], s[6:7], s[10:11]
	s_andn2_b64 vcc, exec, s[6:7]
	s_cbranch_vccz .LBB160_51
.LBB160_26:                             ; =>This Loop Header: Depth=1
                                        ;     Child Loop BB160_29 Depth 2
                                        ;       Child Loop BB160_30 Depth 3
                                        ;       Child Loop BB160_34 Depth 3
                                        ;         Child Loop BB160_36 Depth 4
                                        ;         Child Loop BB160_42 Depth 4
                                        ;       Child Loop BB160_45 Depth 3
                                        ;         Child Loop BB160_47 Depth 4
	s_lshl_b64 s[6:7], s[4:5], 2
	s_getpc_b64 s[10:11]
	s_add_u32 s10, s10, __const._ZL38rocblas_trsm_small_left_device_sharedBILi24ELi24ELb1E19rocblas_complex_numIfES1_PKPKS1_PKPS1_Ev13rocblas_fill_18rocblas_operation_17rocblas_diagonal_iiT3_T4_lilT5_lili.step_sizes@rel32@lo+4
	s_addc_u32 s11, s11, __const._ZL38rocblas_trsm_small_left_device_sharedBILi24ELi24ELb1E19rocblas_complex_numIfES1_PKPKS1_PKPS1_Ev13rocblas_fill_18rocblas_operation_17rocblas_diagonal_iiT3_T4_lilT5_lili.step_sizes@rel32@hi+12
	s_add_u32 s6, s10, s6
	s_addc_u32 s7, s11, s7
	s_load_dword s19, s[6:7], 0x0
	s_waitcnt lgkmcnt(0)
	s_add_i32 s20, s19, -1
	s_cmp_lt_i32 s18, s20
	s_cbranch_scc1 .LBB160_25
; %bb.27:                               ;   in Loop: Header=BB160_26 Depth=1
	s_max_i32 s21, s19, 1
	s_cmp_lg_u32 s4, 2
	s_cselect_b64 s[6:7], -1, 0
	s_and_b32 s22, s21, 0x7ffffffe
	s_cmp_lg_u32 s21, s22
	s_mul_i32 s12, s18, 0xc0
	s_cselect_b64 s[10:11], -1, 0
	v_add_u32_e32 v10, s12, v1
	s_mul_i32 s23, s19, 0xffffff40
	s_add_i32 s24, s17, s12
	s_mul_i32 s25, s18, 0xc8
	s_mul_i32 s28, s19, 0xffffff38
	s_branch .LBB160_29
.LBB160_28:                             ;   in Loop: Header=BB160_29 Depth=2
	s_sub_i32 s18, s18, s19
	s_add_i32 s24, s24, s23
	s_add_i32 s25, s25, s28
	s_cmp_lt_i32 s18, s20
	v_add_u32_e32 v10, s23, v10
	s_cbranch_scc1 .LBB160_25
.LBB160_29:                             ;   Parent Loop BB160_26 Depth=1
                                        ; =>  This Loop Header: Depth=2
                                        ;       Child Loop BB160_30 Depth 3
                                        ;       Child Loop BB160_34 Depth 3
                                        ;         Child Loop BB160_36 Depth 4
                                        ;         Child Loop BB160_42 Depth 4
                                        ;       Child Loop BB160_45 Depth 3
                                        ;         Child Loop BB160_47 Depth 4
	s_mov_b32 s12, 0
	v_mov_b32_e32 v2, v10
	s_mov_b32 s13, s21
.LBB160_30:                             ;   Parent Loop BB160_26 Depth=1
                                        ;     Parent Loop BB160_29 Depth=2
                                        ; =>    This Inner Loop Header: Depth=3
	ds_read_b64 v[4:5], v2
	s_add_i32 s13, s13, -1
	v_add_u32_e32 v2, 0xffffff40, v2
	s_waitcnt lgkmcnt(0)
	scratch_store_dwordx2 off, v[4:5], s12
	s_add_i32 s12, s12, 8
	s_cmp_eq_u32 s13, 0
	s_cbranch_scc0 .LBB160_30
; %bb.31:                               ;   in Loop: Header=BB160_29 Depth=2
	s_cmp_le_i32 s16, s18
	s_cbranch_scc1 .LBB160_43
; %bb.32:                               ;   in Loop: Header=BB160_29 Depth=2
	s_mov_b32 s29, s18
	s_mov_b32 s30, s24
	;; [unrolled: 1-line block ×3, first 2 shown]
	s_branch .LBB160_34
.LBB160_33:                             ;   in Loop: Header=BB160_34 Depth=3
	s_add_i32 s31, s31, -1
	s_add_i32 s30, s30, -8
	s_cmp_le_i32 s31, s18
	s_cbranch_scc1 .LBB160_43
.LBB160_34:                             ;   Parent Loop BB160_26 Depth=1
                                        ;     Parent Loop BB160_29 Depth=2
                                        ; =>    This Loop Header: Depth=3
                                        ;         Child Loop BB160_36 Depth 4
                                        ;         Child Loop BB160_42 Depth 4
	s_mul_i32 s12, s31, 0xc0
	v_add_u32_e32 v2, s12, v1
	ds_read_b64 v[2:3], v2
	s_and_b64 vcc, exec, s[6:7]
	s_cbranch_vccz .LBB160_38
; %bb.35:                               ;   in Loop: Header=BB160_34 Depth=3
	s_lshl_b32 s12, s31, 3
	s_waitcnt lgkmcnt(0)
	v_mov_b32_e32 v6, v2
	v_mov_b32_e32 v7, v2
	;; [unrolled: 1-line block ×3, first 2 shown]
	s_mov_b32 s13, 0
	v_mov_b32_e32 v8, v3
	v_mov_b32_e32 v9, v3
	s_mov_b32 s14, 1
	s_mov_b32 s15, 0
	;; [unrolled: 1-line block ×3, first 2 shown]
.LBB160_36:                             ;   Parent Loop BB160_26 Depth=1
                                        ;     Parent Loop BB160_29 Depth=2
                                        ;       Parent Loop BB160_34 Depth=3
                                        ; =>      This Inner Loop Header: Depth=4
	scratch_load_dwordx4 v[12:15], off, s13
	s_sub_i32 s34, s18, s15
	s_sub_i32 s35, s29, s14
	s_mulk_i32 s34, 0xc0
	s_mulk_i32 s35, 0xc0
	s_add_i32 s34, s12, s34
	s_add_i32 s35, s12, s35
	v_mov_b32_e32 v5, s34
	v_mov_b32_e32 v11, s35
	ds_read_b64 v[20:21], v5
	ds_read_b64 v[16:17], v11
	s_add_i32 s15, s15, 2
	s_add_i32 s14, s14, 2
	s_add_i32 s33, s33, -2
	s_waitcnt lgkmcnt(1)
	v_mov_b32_e32 v18, v20
	s_waitcnt lgkmcnt(0)
	v_mov_b32_e32 v19, v16
	v_mov_b32_e32 v16, v21
	v_pk_mul_f32 v[20:21], v[16:17], v[8:9]
	v_pk_mul_f32 v[16:17], v[16:17], v[6:7]
	v_pk_fma_f32 v[20:21], v[18:19], v[6:7], v[20:21] neg_lo:[0,0,1] neg_hi:[0,0,1]
	v_pk_fma_f32 v[16:17], v[18:19], v[8:9], v[16:17]
	s_waitcnt vmcnt(0)
	v_mov_b32_e32 v18, v12
	v_mov_b32_e32 v19, v14
	;; [unrolled: 1-line block ×3, first 2 shown]
	v_pk_add_f32 v[18:19], v[18:19], v[20:21] neg_lo:[0,1] neg_hi:[0,1]
	v_pk_add_f32 v[14:15], v[14:15], v[16:17] neg_lo:[0,1] neg_hi:[0,1]
	v_mov_b32_e32 v12, v18
	v_mov_b32_e32 v13, v14
	;; [unrolled: 1-line block ×3, first 2 shown]
	scratch_store_dwordx4 off, v[12:15], s13
	s_add_i32 s13, s13, 16
	s_cmp_lg_u32 s33, 0
	s_cbranch_scc1 .LBB160_36
; %bb.37:                               ;   in Loop: Header=BB160_34 Depth=3
	s_mov_b64 s[12:13], s[10:11]
	s_mov_b32 s14, s22
	s_branch .LBB160_40
.LBB160_38:                             ;   in Loop: Header=BB160_34 Depth=3
	s_waitcnt lgkmcnt(0)
	v_mov_b32_e32 v4, v3
	s_mov_b64 s[12:13], 0
	s_mov_b32 s14, s22
	s_cbranch_execz .LBB160_40
; %bb.39:                               ;   in Loop: Header=BB160_34 Depth=3
	s_mov_b64 s[12:13], -1
	s_mov_b32 s14, 0
.LBB160_40:                             ;   in Loop: Header=BB160_34 Depth=3
	s_andn2_b64 vcc, exec, s[12:13]
	s_cbranch_vccnz .LBB160_33
; %bb.41:                               ;   in Loop: Header=BB160_34 Depth=3
	s_mul_i32 s13, s14, 0xffffff40
	v_mov_b32_e32 v5, v3
	v_mov_b32_e32 v3, v2
	s_sub_i32 s12, s21, s14
	s_add_i32 s13, s30, s13
	s_lshl_b32 s14, s14, 3
.LBB160_42:                             ;   Parent Loop BB160_26 Depth=1
                                        ;     Parent Loop BB160_29 Depth=2
                                        ;       Parent Loop BB160_34 Depth=3
                                        ; =>      This Inner Loop Header: Depth=4
	scratch_load_dwordx2 v[6:7], off, s14
	v_mov_b32_e32 v8, s13
	ds_read_b64 v[8:9], v8
	s_add_i32 s12, s12, -1
	s_addk_i32 s13, 0xff40
	s_waitcnt lgkmcnt(0)
	v_pk_mul_f32 v[12:13], v[8:9], v[4:5] op_sel:[1,0] op_sel_hi:[0,1]
	v_pk_fma_f32 v[14:15], v[8:9], v[2:3], v[12:13] neg_lo:[0,0,1] neg_hi:[0,0,1]
	v_pk_fma_f32 v[8:9], v[8:9], v[2:3], v[12:13]
	s_nop 0
	v_mov_b32_e32 v15, v9
	s_waitcnt vmcnt(0)
	v_pk_add_f32 v[6:7], v[6:7], v[14:15] neg_lo:[0,1] neg_hi:[0,1]
	scratch_store_dwordx2 off, v[6:7], s14
	s_add_i32 s14, s14, 8
	s_cmp_eq_u32 s12, 0
	s_cbranch_scc0 .LBB160_42
	s_branch .LBB160_33
.LBB160_43:                             ;   in Loop: Header=BB160_29 Depth=2
	s_mul_i32 s14, s18, 0xc0
	s_mov_b32 s15, 0
	s_mov_b32 s29, s25
	s_branch .LBB160_45
.LBB160_44:                             ;   in Loop: Header=BB160_45 Depth=3
	s_mul_i32 s12, s31, 0xc8
	v_mov_b32_e32 v3, s12
	ds_read_b64 v[6:7], v3
	s_lshl_b32 s12, s15, 3
	s_add_i32 s15, s15, 1
	s_addk_i32 s29, 0xff40
	v_add_u32_e32 v11, s30, v1
	s_waitcnt lgkmcnt(0)
	v_pk_mul_f32 v[4:5], v[6:7], v[4:5] op_sel:[1,0] op_sel_hi:[0,0]
	v_pk_fma_f32 v[8:9], v[6:7], v[2:3], v[4:5] neg_lo:[0,0,1] neg_hi:[0,0,1]
	v_pk_fma_f32 v[2:3], v[6:7], v[2:3], v[4:5] op_sel_hi:[1,0,1]
	s_cmp_eq_u32 s15, s21
	v_mov_b32_e32 v9, v3
	scratch_store_dwordx2 off, v[8:9], s12
	ds_write_b64 v11, v[8:9]
	s_cbranch_scc1 .LBB160_28
.LBB160_45:                             ;   Parent Loop BB160_26 Depth=1
                                        ;     Parent Loop BB160_29 Depth=2
                                        ; =>    This Loop Header: Depth=3
                                        ;         Child Loop BB160_47 Depth 4
	s_cmp_lg_u32 s15, 0
	s_cbranch_scc0 .LBB160_49
; %bb.46:                               ;   in Loop: Header=BB160_45 Depth=3
	s_lshl_b32 s12, s15, 3
	scratch_load_dwordx2 v[2:3], off, s12
	s_mov_b32 s13, 0
	s_mov_b32 s30, s29
	;; [unrolled: 1-line block ×3, first 2 shown]
.LBB160_47:                             ;   Parent Loop BB160_26 Depth=1
                                        ;     Parent Loop BB160_29 Depth=2
                                        ;       Parent Loop BB160_45 Depth=3
                                        ; =>      This Inner Loop Header: Depth=4
	scratch_load_dwordx2 v[4:5], off, s13
	v_mov_b32_e32 v6, s30
	ds_read_b64 v[6:7], v6
	s_add_i32 s31, s31, -1
	s_add_i32 s30, s30, -8
	s_add_i32 s13, s13, 8
	s_cmp_eq_u32 s31, 0
	s_waitcnt vmcnt(0) lgkmcnt(0)
	v_pk_mul_f32 v[8:9], v[6:7], v[4:5] op_sel:[1,1] op_sel_hi:[0,1]
	v_pk_fma_f32 v[12:13], v[6:7], v[4:5], v[8:9] neg_lo:[0,0,1] neg_hi:[0,0,1]
	v_pk_fma_f32 v[4:5], v[6:7], v[4:5], v[8:9] op_sel_hi:[1,0,1]
	s_nop 0
	v_mov_b32_e32 v13, v5
	v_pk_add_f32 v[2:3], v[2:3], v[12:13] neg_lo:[0,1] neg_hi:[0,1]
	scratch_store_dwordx2 off, v[2:3], s12
	s_cbranch_scc0 .LBB160_47
; %bb.48:                               ;   in Loop: Header=BB160_45 Depth=3
	s_sub_i32 s31, s18, s15
	s_mul_i32 s30, s31, 0xc0
	v_mov_b32_e32 v4, v3
	s_branch .LBB160_44
.LBB160_49:                             ;   in Loop: Header=BB160_45 Depth=3
                                        ; implicit-def: $vgpr2
                                        ; implicit-def: $vgpr4
                                        ; implicit-def: $sgpr31
                                        ; implicit-def: $sgpr30
	s_cbranch_execz .LBB160_44
; %bb.50:                               ;   in Loop: Header=BB160_45 Depth=3
	scratch_load_dwordx2 v[2:3], off, off
	s_mov_b32 s30, s14
	s_mov_b32 s31, s18
	s_waitcnt vmcnt(0)
	v_mov_b32_e32 v4, v3
	s_branch .LBB160_44
.LBB160_51:
	s_mov_b64 s[4:5], 0
.LBB160_52:
	s_and_b64 vcc, exec, s[4:5]
	s_cbranch_vccz .LBB160_80
; %bb.53:
	v_mov_b32_e32 v2, 0x1200
	s_mov_b32 s5, 0
	v_lshl_or_b32 v10, v0, 3, v2
	s_mov_b32 s4, s5
	s_mov_b32 s16, s5
	s_branch .LBB160_55
.LBB160_54:                             ;   in Loop: Header=BB160_55 Depth=1
	s_cmp_ge_i32 s16, s26
	s_cselect_b64 s[6:7], -1, 0
	s_add_i32 s4, s4, 1
	s_cmp_eq_u32 s4, 3
	s_cselect_b64 s[10:11], -1, 0
	s_or_b64 s[6:7], s[6:7], s[10:11]
	s_and_b64 vcc, exec, s[6:7]
	s_cbranch_vccnz .LBB160_80
.LBB160_55:                             ; =>This Loop Header: Depth=1
                                        ;     Child Loop BB160_58 Depth 2
                                        ;       Child Loop BB160_59 Depth 3
                                        ;       Child Loop BB160_63 Depth 3
                                        ;         Child Loop BB160_65 Depth 4
                                        ;         Child Loop BB160_71 Depth 4
                                        ;       Child Loop BB160_74 Depth 3
                                        ;         Child Loop BB160_76 Depth 4
	s_lshl_b64 s[6:7], s[4:5], 2
	s_getpc_b64 s[10:11]
	s_add_u32 s10, s10, __const._ZL38rocblas_trsm_small_left_device_sharedBILi24ELi24ELb1E19rocblas_complex_numIfES1_PKPKS1_PKPS1_Ev13rocblas_fill_18rocblas_operation_17rocblas_diagonal_iiT3_T4_lilT5_lili.step_sizes@rel32@lo+4
	s_addc_u32 s11, s11, __const._ZL38rocblas_trsm_small_left_device_sharedBILi24ELi24ELb1E19rocblas_complex_numIfES1_PKPKS1_PKPS1_Ev13rocblas_fill_18rocblas_operation_17rocblas_diagonal_iiT3_T4_lilT5_lili.step_sizes@rel32@hi+12
	s_add_u32 s6, s10, s6
	s_addc_u32 s7, s11, s7
	s_load_dword s17, s[6:7], 0x0
	s_waitcnt lgkmcnt(0)
	s_add_i32 s18, s17, -1
	s_add_i32 s6, s18, s16
	s_cmp_ge_i32 s6, s26
	s_cbranch_scc1 .LBB160_54
; %bb.56:                               ;   in Loop: Header=BB160_55 Depth=1
	s_max_i32 s19, s17, 1
	s_cmp_lg_u32 s4, 2
	s_cselect_b64 s[6:7], -1, 0
	s_and_b32 s20, s19, 0x7ffffffe
	s_cmp_lg_u32 s19, s20
	s_mul_i32 s12, s16, 0xc0
	s_cselect_b64 s[10:11], -1, 0
	v_add_u32_e32 v11, s12, v10
	s_mul_i32 s21, s17, 0xc0
	s_lshl_b32 s22, s16, 3
	s_lshl_b32 s23, s17, 3
	s_mul_i32 s24, s16, 0xc8
	s_mul_i32 s25, s17, 0xc8
	s_branch .LBB160_58
.LBB160_57:                             ;   in Loop: Header=BB160_58 Depth=2
	s_add_i32 s16, s16, s17
	s_add_i32 s12, s18, s16
	;; [unrolled: 1-line block ×4, first 2 shown]
	s_cmp_ge_i32 s12, s26
	v_add_u32_e32 v11, s21, v11
	s_cbranch_scc1 .LBB160_54
.LBB160_58:                             ;   Parent Loop BB160_55 Depth=1
                                        ; =>  This Loop Header: Depth=2
                                        ;       Child Loop BB160_59 Depth 3
                                        ;       Child Loop BB160_63 Depth 3
                                        ;         Child Loop BB160_65 Depth 4
                                        ;         Child Loop BB160_71 Depth 4
                                        ;       Child Loop BB160_74 Depth 3
                                        ;         Child Loop BB160_76 Depth 4
	s_mov_b32 s12, 0
	v_mov_b32_e32 v2, v11
	s_mov_b32 s13, s19
.LBB160_59:                             ;   Parent Loop BB160_55 Depth=1
                                        ;     Parent Loop BB160_58 Depth=2
                                        ; =>    This Inner Loop Header: Depth=3
	ds_read_b64 v[4:5], v2
	s_add_i32 s13, s13, -1
	v_add_u32_e32 v2, 0xc0, v2
	s_waitcnt lgkmcnt(0)
	scratch_store_dwordx2 off, v[4:5], s12
	s_add_i32 s12, s12, 8
	s_cmp_eq_u32 s13, 0
	s_cbranch_scc0 .LBB160_59
; %bb.60:                               ;   in Loop: Header=BB160_58 Depth=2
	s_cmp_lt_i32 s16, 1
	s_cbranch_scc1 .LBB160_72
; %bb.61:                               ;   in Loop: Header=BB160_58 Depth=2
	s_mov_b32 s28, 0
	s_mov_b32 s29, s22
	s_branch .LBB160_63
.LBB160_62:                             ;   in Loop: Header=BB160_63 Depth=3
	s_add_i32 s28, s28, 1
	s_addk_i32 s29, 0xc0
	s_cmp_eq_u32 s28, s16
	s_cbranch_scc1 .LBB160_72
.LBB160_63:                             ;   Parent Loop BB160_55 Depth=1
                                        ;     Parent Loop BB160_58 Depth=2
                                        ; =>    This Loop Header: Depth=3
                                        ;         Child Loop BB160_65 Depth 4
                                        ;         Child Loop BB160_71 Depth 4
	s_mul_i32 s12, s28, 0xc0
	v_add_u32_e32 v2, s12, v1
	ds_read_b64 v[2:3], v2
	s_and_b64 vcc, exec, s[6:7]
	s_cbranch_vccz .LBB160_67
; %bb.64:                               ;   in Loop: Header=BB160_63 Depth=3
	s_waitcnt lgkmcnt(0)
	v_mov_b32_e32 v6, v2
	v_mov_b32_e32 v7, v2
	;; [unrolled: 1-line block ×3, first 2 shown]
	s_mov_b32 s12, 0
	v_mov_b32_e32 v8, v3
	v_mov_b32_e32 v9, v3
	s_mov_b32 s13, s20
	s_mov_b32 s14, s29
.LBB160_65:                             ;   Parent Loop BB160_55 Depth=1
                                        ;     Parent Loop BB160_58 Depth=2
                                        ;       Parent Loop BB160_63 Depth=3
                                        ; =>      This Inner Loop Header: Depth=4
	scratch_load_dwordx4 v[12:15], off, s12
	v_mov_b32_e32 v5, s14
	ds_read2_b64 v[16:19], v5 offset1:1
	s_add_i32 s14, s14, 16
	s_add_i32 s13, s13, -2
	s_waitcnt lgkmcnt(0)
	v_mov_b32_e32 v21, v18
	v_mov_b32_e32 v18, v17
	;; [unrolled: 1-line block ×3, first 2 shown]
	v_pk_mul_f32 v[16:17], v[18:19], v[8:9]
	v_pk_mul_f32 v[18:19], v[18:19], v[6:7]
	v_pk_fma_f32 v[16:17], v[20:21], v[6:7], v[16:17] neg_lo:[0,0,1] neg_hi:[0,0,1]
	v_pk_fma_f32 v[18:19], v[20:21], v[8:9], v[18:19]
	s_waitcnt vmcnt(0)
	v_mov_b32_e32 v20, v12
	v_mov_b32_e32 v21, v14
	;; [unrolled: 1-line block ×3, first 2 shown]
	v_pk_add_f32 v[16:17], v[20:21], v[16:17] neg_lo:[0,1] neg_hi:[0,1]
	v_pk_add_f32 v[14:15], v[14:15], v[18:19] neg_lo:[0,1] neg_hi:[0,1]
	v_mov_b32_e32 v12, v16
	v_mov_b32_e32 v13, v14
	v_mov_b32_e32 v14, v17
	scratch_store_dwordx4 off, v[12:15], s12
	s_add_i32 s12, s12, 16
	s_cmp_lg_u32 s13, 0
	s_cbranch_scc1 .LBB160_65
; %bb.66:                               ;   in Loop: Header=BB160_63 Depth=3
	s_mov_b64 s[12:13], s[10:11]
	s_mov_b32 s14, s20
	s_branch .LBB160_69
.LBB160_67:                             ;   in Loop: Header=BB160_63 Depth=3
	s_waitcnt lgkmcnt(0)
	v_mov_b32_e32 v4, v3
	s_mov_b64 s[12:13], 0
	s_mov_b32 s14, s20
	s_cbranch_execz .LBB160_69
; %bb.68:                               ;   in Loop: Header=BB160_63 Depth=3
	s_mov_b64 s[12:13], -1
	s_mov_b32 s14, 0
.LBB160_69:                             ;   in Loop: Header=BB160_63 Depth=3
	s_andn2_b64 vcc, exec, s[12:13]
	s_cbranch_vccnz .LBB160_62
; %bb.70:                               ;   in Loop: Header=BB160_63 Depth=3
	v_mov_b32_e32 v5, v3
	v_mov_b32_e32 v3, v2
	s_sub_i32 s12, s19, s14
	s_lshl_b32 s13, s14, 3
.LBB160_71:                             ;   Parent Loop BB160_55 Depth=1
                                        ;     Parent Loop BB160_58 Depth=2
                                        ;       Parent Loop BB160_63 Depth=3
                                        ; =>      This Inner Loop Header: Depth=4
	scratch_load_dwordx2 v[6:7], off, s13
	s_add_i32 s15, s29, s13
	v_mov_b32_e32 v8, s15
	ds_read_b64 v[8:9], v8
	s_mov_b32 s14, s13
	s_add_i32 s12, s12, -1
	s_add_i32 s13, s13, 8
	s_cmp_eq_u32 s12, 0
	s_waitcnt lgkmcnt(0)
	v_pk_mul_f32 v[12:13], v[8:9], v[4:5] op_sel:[1,0] op_sel_hi:[0,1]
	v_pk_fma_f32 v[14:15], v[8:9], v[2:3], v[12:13] neg_lo:[0,0,1] neg_hi:[0,0,1]
	v_pk_fma_f32 v[8:9], v[8:9], v[2:3], v[12:13]
	s_nop 0
	v_mov_b32_e32 v15, v9
	s_waitcnt vmcnt(0)
	v_pk_add_f32 v[6:7], v[6:7], v[14:15] neg_lo:[0,1] neg_hi:[0,1]
	scratch_store_dwordx2 off, v[6:7], s14
	s_cbranch_scc0 .LBB160_71
	s_branch .LBB160_62
.LBB160_72:                             ;   in Loop: Header=BB160_58 Depth=2
	s_mov_b32 s14, 0
	s_mov_b32 s15, s24
	s_branch .LBB160_74
.LBB160_73:                             ;   in Loop: Header=BB160_74 Depth=3
	s_add_i32 s12, s14, s16
	s_mul_i32 s13, s12, 0xc8
	v_mov_b32_e32 v3, s13
	ds_read_b64 v[6:7], v3
	s_lshl_b32 s13, s14, 3
	s_mulk_i32 s12, 0xc0
	s_add_i32 s14, s14, 1
	s_add_i32 s15, s15, 8
	s_waitcnt lgkmcnt(0)
	v_pk_mul_f32 v[4:5], v[6:7], v[4:5] op_sel:[1,0] op_sel_hi:[0,0]
	v_pk_fma_f32 v[8:9], v[6:7], v[2:3], v[4:5] neg_lo:[0,0,1] neg_hi:[0,0,1]
	v_pk_fma_f32 v[2:3], v[6:7], v[2:3], v[4:5] op_sel_hi:[1,0,1]
	s_cmp_eq_u32 s14, s19
	v_mov_b32_e32 v9, v3
	v_add_u32_e32 v2, s12, v1
	scratch_store_dwordx2 off, v[8:9], s13
	ds_write_b64 v2, v[8:9]
	s_cbranch_scc1 .LBB160_57
.LBB160_74:                             ;   Parent Loop BB160_55 Depth=1
                                        ;     Parent Loop BB160_58 Depth=2
                                        ; =>    This Loop Header: Depth=3
                                        ;         Child Loop BB160_76 Depth 4
	s_cmp_lg_u32 s14, 0
	s_cbranch_scc0 .LBB160_78
; %bb.75:                               ;   in Loop: Header=BB160_74 Depth=3
	s_lshl_b32 s12, s14, 3
	scratch_load_dwordx2 v[2:3], off, s12
	s_mov_b32 s13, 0
	s_mov_b32 s28, s15
	;; [unrolled: 1-line block ×3, first 2 shown]
.LBB160_76:                             ;   Parent Loop BB160_55 Depth=1
                                        ;     Parent Loop BB160_58 Depth=2
                                        ;       Parent Loop BB160_74 Depth=3
                                        ; =>      This Inner Loop Header: Depth=4
	scratch_load_dwordx2 v[4:5], off, s13
	v_mov_b32_e32 v6, s28
	ds_read_b64 v[6:7], v6
	s_add_i32 s29, s29, -1
	s_addk_i32 s28, 0xc0
	s_add_i32 s13, s13, 8
	s_cmp_eq_u32 s29, 0
	s_waitcnt vmcnt(0) lgkmcnt(0)
	v_pk_mul_f32 v[8:9], v[6:7], v[4:5] op_sel:[1,1] op_sel_hi:[0,1]
	v_pk_fma_f32 v[12:13], v[6:7], v[4:5], v[8:9] neg_lo:[0,0,1] neg_hi:[0,0,1]
	v_pk_fma_f32 v[4:5], v[6:7], v[4:5], v[8:9] op_sel_hi:[1,0,1]
	s_nop 0
	v_mov_b32_e32 v13, v5
	v_pk_add_f32 v[2:3], v[2:3], v[12:13] neg_lo:[0,1] neg_hi:[0,1]
	scratch_store_dwordx2 off, v[2:3], s12
	s_cbranch_scc0 .LBB160_76
; %bb.77:                               ;   in Loop: Header=BB160_74 Depth=3
	v_mov_b32_e32 v4, v3
	s_branch .LBB160_73
.LBB160_78:                             ;   in Loop: Header=BB160_74 Depth=3
                                        ; implicit-def: $vgpr2
                                        ; implicit-def: $vgpr4
	s_cbranch_execz .LBB160_73
; %bb.79:                               ;   in Loop: Header=BB160_74 Depth=3
	scratch_load_dwordx2 v[2:3], off, off
	s_waitcnt vmcnt(0)
	v_mov_b32_e32 v4, v3
	s_branch .LBB160_73
.LBB160_80:
	s_waitcnt lgkmcnt(0)
	; wave barrier
	s_and_saveexec_b64 s[4:5], s[0:1]
	s_cbranch_execz .LBB160_84
; %bb.81:
	s_andn2_b64 vcc, exec, s[8:9]
	s_cbranch_vccnz .LBB160_84
; %bb.82:
	v_mad_i64_i32 v[2:3], s[0:1], s27, v0, 0
	v_mov_b32_e32 v1, 0x1200
	v_lshl_add_u64 v[2:3], v[2:3], 3, s[2:3]
	v_lshl_or_b32 v0, v0, 3, v1
.LBB160_83:                             ; =>This Inner Loop Header: Depth=1
	ds_read_b64 v[4:5], v0
	s_add_i32 s26, s26, -1
	v_add_u32_e32 v0, 0xc0, v0
	s_cmp_lg_u32 s26, 0
	s_waitcnt lgkmcnt(0)
	flat_store_dwordx2 v[2:3], v[4:5]
	v_lshl_add_u64 v[2:3], v[2:3], 0, 8
	s_cbranch_scc1 .LBB160_83
.LBB160_84:
	s_endpgm
	.section	.rodata,"a",@progbits
	.p2align	6, 0x0
	.amdhsa_kernel _ZL38rocblas_trsm_small_left_device_sharedBILi24ELi24ELb1E19rocblas_complex_numIfES1_PKPKS1_PKPS1_Ev13rocblas_fill_18rocblas_operation_17rocblas_diagonal_iiT3_T4_lilT5_lili
		.amdhsa_group_segment_fixed_size 9216
		.amdhsa_private_segment_fixed_size 208
		.amdhsa_kernarg_size 360
		.amdhsa_user_sgpr_count 2
		.amdhsa_user_sgpr_dispatch_ptr 0
		.amdhsa_user_sgpr_queue_ptr 0
		.amdhsa_user_sgpr_kernarg_segment_ptr 1
		.amdhsa_user_sgpr_dispatch_id 0
		.amdhsa_user_sgpr_kernarg_preload_length 0
		.amdhsa_user_sgpr_kernarg_preload_offset 0
		.amdhsa_user_sgpr_private_segment_size 0
		.amdhsa_uses_dynamic_stack 0
		.amdhsa_enable_private_segment 1
		.amdhsa_system_sgpr_workgroup_id_x 1
		.amdhsa_system_sgpr_workgroup_id_y 0
		.amdhsa_system_sgpr_workgroup_id_z 1
		.amdhsa_system_sgpr_workgroup_info 0
		.amdhsa_system_vgpr_workitem_id 0
		.amdhsa_next_free_vgpr 81
		.amdhsa_next_free_sgpr 96
		.amdhsa_accum_offset 24
		.amdhsa_reserve_vcc 1
		.amdhsa_float_round_mode_32 0
		.amdhsa_float_round_mode_16_64 0
		.amdhsa_float_denorm_mode_32 3
		.amdhsa_float_denorm_mode_16_64 3
		.amdhsa_dx10_clamp 1
		.amdhsa_ieee_mode 1
		.amdhsa_fp16_overflow 0
		.amdhsa_tg_split 0
		.amdhsa_exception_fp_ieee_invalid_op 0
		.amdhsa_exception_fp_denorm_src 0
		.amdhsa_exception_fp_ieee_div_zero 0
		.amdhsa_exception_fp_ieee_overflow 0
		.amdhsa_exception_fp_ieee_underflow 0
		.amdhsa_exception_fp_ieee_inexact 0
		.amdhsa_exception_int_div_zero 0
	.end_amdhsa_kernel
	.section	.text._ZL38rocblas_trsm_small_left_device_sharedBILi24ELi24ELb1E19rocblas_complex_numIfES1_PKPKS1_PKPS1_Ev13rocblas_fill_18rocblas_operation_17rocblas_diagonal_iiT3_T4_lilT5_lili,"axG",@progbits,_ZL38rocblas_trsm_small_left_device_sharedBILi24ELi24ELb1E19rocblas_complex_numIfES1_PKPKS1_PKPS1_Ev13rocblas_fill_18rocblas_operation_17rocblas_diagonal_iiT3_T4_lilT5_lili,comdat
.Lfunc_end160:
	.size	_ZL38rocblas_trsm_small_left_device_sharedBILi24ELi24ELb1E19rocblas_complex_numIfES1_PKPKS1_PKPS1_Ev13rocblas_fill_18rocblas_operation_17rocblas_diagonal_iiT3_T4_lilT5_lili, .Lfunc_end160-_ZL38rocblas_trsm_small_left_device_sharedBILi24ELi24ELb1E19rocblas_complex_numIfES1_PKPKS1_PKPS1_Ev13rocblas_fill_18rocblas_operation_17rocblas_diagonal_iiT3_T4_lilT5_lili
                                        ; -- End function
	.set _ZL38rocblas_trsm_small_left_device_sharedBILi24ELi24ELb1E19rocblas_complex_numIfES1_PKPKS1_PKPS1_Ev13rocblas_fill_18rocblas_operation_17rocblas_diagonal_iiT3_T4_lilT5_lili.num_vgpr, 22
	.set _ZL38rocblas_trsm_small_left_device_sharedBILi24ELi24ELb1E19rocblas_complex_numIfES1_PKPKS1_PKPS1_Ev13rocblas_fill_18rocblas_operation_17rocblas_diagonal_iiT3_T4_lilT5_lili.num_agpr, 0
	.set _ZL38rocblas_trsm_small_left_device_sharedBILi24ELi24ELb1E19rocblas_complex_numIfES1_PKPKS1_PKPS1_Ev13rocblas_fill_18rocblas_operation_17rocblas_diagonal_iiT3_T4_lilT5_lili.numbered_sgpr, 36
	.set _ZL38rocblas_trsm_small_left_device_sharedBILi24ELi24ELb1E19rocblas_complex_numIfES1_PKPKS1_PKPS1_Ev13rocblas_fill_18rocblas_operation_17rocblas_diagonal_iiT3_T4_lilT5_lili.num_named_barrier, 0
	.set _ZL38rocblas_trsm_small_left_device_sharedBILi24ELi24ELb1E19rocblas_complex_numIfES1_PKPKS1_PKPS1_Ev13rocblas_fill_18rocblas_operation_17rocblas_diagonal_iiT3_T4_lilT5_lili.private_seg_size, 208
	.set _ZL38rocblas_trsm_small_left_device_sharedBILi24ELi24ELb1E19rocblas_complex_numIfES1_PKPKS1_PKPS1_Ev13rocblas_fill_18rocblas_operation_17rocblas_diagonal_iiT3_T4_lilT5_lili.uses_vcc, 1
	.set _ZL38rocblas_trsm_small_left_device_sharedBILi24ELi24ELb1E19rocblas_complex_numIfES1_PKPKS1_PKPS1_Ev13rocblas_fill_18rocblas_operation_17rocblas_diagonal_iiT3_T4_lilT5_lili.uses_flat_scratch, 0
	.set _ZL38rocblas_trsm_small_left_device_sharedBILi24ELi24ELb1E19rocblas_complex_numIfES1_PKPKS1_PKPS1_Ev13rocblas_fill_18rocblas_operation_17rocblas_diagonal_iiT3_T4_lilT5_lili.has_dyn_sized_stack, 0
	.set _ZL38rocblas_trsm_small_left_device_sharedBILi24ELi24ELb1E19rocblas_complex_numIfES1_PKPKS1_PKPS1_Ev13rocblas_fill_18rocblas_operation_17rocblas_diagonal_iiT3_T4_lilT5_lili.has_recursion, 0
	.set _ZL38rocblas_trsm_small_left_device_sharedBILi24ELi24ELb1E19rocblas_complex_numIfES1_PKPKS1_PKPS1_Ev13rocblas_fill_18rocblas_operation_17rocblas_diagonal_iiT3_T4_lilT5_lili.has_indirect_call, 0
	.section	.AMDGPU.csdata,"",@progbits
; Kernel info:
; codeLenInByte = 3440
; TotalNumSgprs: 42
; NumVgprs: 22
; NumAgprs: 0
; TotalNumVgprs: 22
; ScratchSize: 208
; MemoryBound: 0
; FloatMode: 240
; IeeeMode: 1
; LDSByteSize: 9216 bytes/workgroup (compile time only)
; SGPRBlocks: 12
; VGPRBlocks: 10
; NumSGPRsForWavesPerEU: 102
; NumVGPRsForWavesPerEU: 81
; AccumOffset: 24
; Occupancy: 5
; WaveLimiterHint : 1
; COMPUTE_PGM_RSRC2:SCRATCH_EN: 1
; COMPUTE_PGM_RSRC2:USER_SGPR: 2
; COMPUTE_PGM_RSRC2:TRAP_HANDLER: 0
; COMPUTE_PGM_RSRC2:TGID_X_EN: 1
; COMPUTE_PGM_RSRC2:TGID_Y_EN: 0
; COMPUTE_PGM_RSRC2:TGID_Z_EN: 1
; COMPUTE_PGM_RSRC2:TIDIG_COMP_CNT: 0
; COMPUTE_PGM_RSRC3_GFX90A:ACCUM_OFFSET: 5
; COMPUTE_PGM_RSRC3_GFX90A:TG_SPLIT: 0
	.section	.text._ZL30rocblas_trsm_small_left_deviceILi24ELi24ELb1E19rocblas_complex_numIfES1_PKPKS1_PKPS1_Ev13rocblas_fill_18rocblas_operation_17rocblas_diagonal_iiT3_T4_lilT5_lili,"axG",@progbits,_ZL30rocblas_trsm_small_left_deviceILi24ELi24ELb1E19rocblas_complex_numIfES1_PKPKS1_PKPS1_Ev13rocblas_fill_18rocblas_operation_17rocblas_diagonal_iiT3_T4_lilT5_lili,comdat
	.globl	_ZL30rocblas_trsm_small_left_deviceILi24ELi24ELb1E19rocblas_complex_numIfES1_PKPKS1_PKPS1_Ev13rocblas_fill_18rocblas_operation_17rocblas_diagonal_iiT3_T4_lilT5_lili ; -- Begin function _ZL30rocblas_trsm_small_left_deviceILi24ELi24ELb1E19rocblas_complex_numIfES1_PKPKS1_PKPS1_Ev13rocblas_fill_18rocblas_operation_17rocblas_diagonal_iiT3_T4_lilT5_lili
	.p2align	8
	.type	_ZL30rocblas_trsm_small_left_deviceILi24ELi24ELb1E19rocblas_complex_numIfES1_PKPKS1_PKPS1_Ev13rocblas_fill_18rocblas_operation_17rocblas_diagonal_iiT3_T4_lilT5_lili,@function
_ZL30rocblas_trsm_small_left_deviceILi24ELi24ELb1E19rocblas_complex_numIfES1_PKPKS1_PKPS1_Ev13rocblas_fill_18rocblas_operation_17rocblas_diagonal_iiT3_T4_lilT5_lili: ; @_ZL30rocblas_trsm_small_left_deviceILi24ELi24ELb1E19rocblas_complex_numIfES1_PKPKS1_PKPS1_Ev13rocblas_fill_18rocblas_operation_17rocblas_diagonal_iiT3_T4_lilT5_lili
; %bb.0:
	s_load_dwordx4 s[8:11], s[0:1], 0x40
	s_load_dwordx4 s[4:7], s[0:1], 0x4
	s_load_dwordx2 s[12:13], s[0:1], 0x14
	s_mov_b32 s14, s3
	s_mov_b32 s15, 0
	s_lshl_b64 s[18:19], s[14:15], 3
	s_waitcnt lgkmcnt(0)
	s_add_u32 s8, s8, s18
	s_addc_u32 s9, s9, s19
	s_load_dword s3, s[0:1], 0x68
	s_min_i32 s30, s6, 24
	s_load_dwordx2 s[8:9], s[8:9], 0x0
	v_cmp_gt_i32_e32 vcc, s30, v0
	s_and_saveexec_b64 s[14:15], vcc
	s_cbranch_execz .LBB161_15
; %bb.1:
	s_load_dword s24, s[0:1], 0x30
	s_load_dwordx4 s[20:23], s[0:1], 0x20
	v_lshlrev_b32_e32 v2, 3, v0
	v_mov_b32_e32 v3, 0
	v_mov_b32_e32 v1, v2
	s_waitcnt lgkmcnt(0)
	s_ashr_i32 s25, s24, 31
	s_cmpk_lg_i32 s4, 0x71
	s_cselect_b64 s[16:17], -1, 0
	s_add_u32 s18, s20, s18
	s_addc_u32 s19, s21, s19
	s_load_dwordx2 s[18:19], s[18:19], 0x0
	s_lshl_b64 s[20:21], s[22:23], 3
	s_mov_b32 s6, s30
	s_waitcnt lgkmcnt(0)
	s_add_u32 s20, s18, s20
	s_addc_u32 s21, s19, s21
	s_lshl_b64 s[18:19], s[24:25], 3
	v_lshl_add_u64 v[4:5], s[20:21], 0, v[2:3]
	s_branch .LBB161_3
.LBB161_2:                              ;   in Loop: Header=BB161_3 Depth=1
	flat_load_dword v6, v[4:5]
	s_add_i32 s6, s6, -1
	v_lshl_add_u64 v[4:5], v[4:5], 0, s[18:19]
	s_cmp_eq_u32 s6, 0
	s_waitcnt vmcnt(0) lgkmcnt(0)
	ds_write_b64 v1, v[6:7]
	v_add_u32_e32 v1, 0xc0, v1
	s_cbranch_scc1 .LBB161_7
.LBB161_3:                              ; =>This Inner Loop Header: Depth=1
	s_mov_b64 s[20:21], -1
	s_and_b64 vcc, exec, s[16:17]
                                        ; implicit-def: $vgpr7
	s_cbranch_vccz .LBB161_5
; %bb.4:                                ;   in Loop: Header=BB161_3 Depth=1
	flat_load_dword v7, v[4:5] offset:4
	s_mov_b64 s[20:21], 0
.LBB161_5:                              ;   in Loop: Header=BB161_3 Depth=1
	s_andn2_b64 vcc, exec, s[20:21]
	s_cbranch_vccnz .LBB161_2
; %bb.6:                                ;   in Loop: Header=BB161_3 Depth=1
	flat_load_dword v3, v[4:5] offset:4
	s_waitcnt vmcnt(0) lgkmcnt(0)
	v_xor_b32_e32 v7, 0x80000000, v3
	s_branch .LBB161_2
.LBB161_7:
	s_cmpk_lg_i32 s5, 0x84
	v_mul_u32_u24_e32 v1, 0xc0, v0
	s_mov_b64 s[16:17], -1
	s_cbranch_scc0 .LBB161_13
; %bb.8:
	v_add_u32_e32 v3, v2, v1
	ds_read_b64 v[4:5], v3
                                        ; implicit-def: $vgpr6_vgpr7
	s_waitcnt lgkmcnt(0)
	v_cmp_ngt_f32_e64 s[16:17], |v4|, |v5|
	s_and_saveexec_b64 s[18:19], s[16:17]
	s_xor_b64 s[16:17], exec, s[18:19]
	s_cbranch_execz .LBB161_10
; %bb.9:
	v_div_scale_f32 v6, s[18:19], v5, v5, v4
	v_rcp_f32_e32 v7, v6
	v_div_scale_f32 v8, vcc, v4, v5, v4
	v_fma_f32 v9, -v6, v7, 1.0
	v_fmac_f32_e32 v7, v9, v7
	v_mul_f32_e32 v9, v8, v7
	v_fma_f32 v10, -v6, v9, v8
	v_fmac_f32_e32 v9, v10, v7
	v_fma_f32 v6, -v6, v9, v8
	v_div_fmas_f32 v6, v6, v7, v9
	v_div_fixup_f32 v6, v6, v5, v4
	v_fmac_f32_e32 v5, v4, v6
	v_div_scale_f32 v4, s[18:19], v5, v5, 1.0
	v_rcp_f32_e32 v7, v4
	s_mov_b32 s18, 0
	s_mov_b32 s19, -1.0
	v_fma_f32 v8, -v4, v7, 1.0
	v_fmac_f32_e32 v7, v8, v7
	v_div_scale_f32 v8, vcc, 1.0, v5, 1.0
	v_mul_f32_e32 v9, v8, v7
	v_fma_f32 v10, -v4, v9, v8
	v_fmac_f32_e32 v9, v10, v7
	v_fma_f32 v4, -v4, v9, v8
	v_div_fmas_f32 v4, v4, v7, v9
	v_mul_f32_e32 v7, 0, v6
	v_div_fixup_f32 v4, v4, v5, 1.0
	v_pk_add_f32 v[6:7], v[6:7], s[18:19]
	s_nop 0
	v_pk_mul_f32 v[6:7], v[6:7], v[4:5] op_sel_hi:[1,0]
                                        ; implicit-def: $vgpr4_vgpr5
.LBB161_10:
	s_andn2_saveexec_b64 s[16:17], s[16:17]
	s_cbranch_execz .LBB161_12
; %bb.11:
	v_div_scale_f32 v6, s[18:19], v4, v4, v5
	v_rcp_f32_e32 v7, v6
	v_div_scale_f32 v8, vcc, v5, v4, v5
	v_fma_f32 v9, -v6, v7, 1.0
	v_fmac_f32_e32 v7, v9, v7
	v_mul_f32_e32 v9, v8, v7
	v_fma_f32 v10, -v6, v9, v8
	v_fmac_f32_e32 v9, v10, v7
	v_fma_f32 v6, -v6, v9, v8
	v_div_fmas_f32 v6, v6, v7, v9
	v_div_fixup_f32 v7, v6, v4, v5
	v_fmac_f32_e32 v4, v5, v7
	v_div_scale_f32 v5, s[18:19], v4, v4, 1.0
	v_rcp_f32_e32 v6, v5
	s_nop 0
	v_fma_f32 v8, -v5, v6, 1.0
	v_fmac_f32_e32 v6, v8, v6
	v_div_scale_f32 v8, vcc, 1.0, v4, 1.0
	v_mul_f32_e32 v9, v8, v6
	v_fma_f32 v10, -v5, v9, v8
	v_fmac_f32_e32 v9, v10, v6
	v_fma_f32 v5, -v5, v9, v8
	v_div_fmas_f32 v5, v5, v6, v9
	v_div_fixup_f32 v4, v5, v4, 1.0
	v_mul_f32_e32 v5, 0, v7
	v_add_f32_e32 v6, 1.0, v5
	v_sub_f32_e32 v7, 0, v7
	v_pk_mul_f32 v[6:7], v[6:7], v[4:5] op_sel_hi:[1,0]
.LBB161_12:
	s_or_b64 exec, exec, s[16:17]
	s_mov_b64 s[16:17], 0
	ds_write_b64 v3, v[6:7]
.LBB161_13:
	s_and_b64 vcc, exec, s[16:17]
	s_cbranch_vccz .LBB161_15
; %bb.14:
	v_add_u32_e32 v1, v2, v1
	v_mov_b32_e32 v2, 1.0
	v_mov_b32_e32 v3, 0
	ds_write_b64 v1, v[2:3]
.LBB161_15:
	s_or_b64 exec, exec, s[14:15]
	s_mul_i32 s5, s2, 0xffffffe8
	s_waitcnt lgkmcnt(0)
	s_add_i32 s3, s3, -1
	s_add_i32 s5, s7, s5
	s_cmp_ge_u32 s2, s3
	s_cselect_b32 s3, s5, 24
	v_cmp_gt_i32_e32 vcc, s3, v0
	; wave barrier
	s_and_saveexec_b64 s[6:7], vcc
	s_cbranch_execz .LBB161_83
; %bb.16:
	s_load_dword s5, s[0:1], 0x50
	s_lshl_b64 s[6:7], s[10:11], 3
	s_add_u32 s0, s8, s6
	v_mad_u64_u32 v[0:1], s[2:3], s2, 24, v[0:1]
	s_addc_u32 s1, s9, s7
	s_waitcnt lgkmcnt(0)
	v_mad_i64_i32 v[2:3], s[2:3], s5, v0, 0
	v_lshl_add_u64 v[0:1], v[2:3], 3, s[0:1]
	s_cmpk_eq_i32 s4, 0x6f
	s_mov_b64 s[0:1], -1
	s_cbranch_scc1 .LBB161_50
; %bb.17:
	s_add_i32 s31, s30, -1
	s_add_u32 s0, s8, s6
	s_addc_u32 s1, s9, s7
	s_lshl_b32 s33, s30, 3
	s_mov_b32 s15, 0
	s_mov_b32 s2, s12
	;; [unrolled: 1-line block ×7, first 2 shown]
	v_lshl_add_u64 v[4:5], v[2:3], 3, s[0:1]
	s_add_i32 s33, s33, -8
	s_mov_b32 s16, s15
	s_mov_b32 s18, s31
	s_branch .LBB161_19
.LBB161_18:                             ;   in Loop: Header=BB161_19 Depth=1
	s_cmp_lt_i32 s18, 0
	s_cselect_b64 s[0:1], -1, 0
	s_add_i32 s16, s16, 1
	s_cmp_eq_u32 s16, 3
	s_cselect_b64 s[20:21], -1, 0
	s_or_b64 s[0:1], s[0:1], s[20:21]
	s_andn2_b64 vcc, exec, s[0:1]
	s_cbranch_vccz .LBB161_49
.LBB161_19:                             ; =>This Loop Header: Depth=1
                                        ;     Child Loop BB161_22 Depth 2
                                        ;       Child Loop BB161_24 Depth 3
                                        ;       Child Loop BB161_28 Depth 3
	;; [unrolled: 1-line block ×3, first 2 shown]
                                        ;         Child Loop BB161_34 Depth 4
                                        ;         Child Loop BB161_40 Depth 4
                                        ;       Child Loop BB161_43 Depth 3
                                        ;         Child Loop BB161_45 Depth 4
	s_mov_b32 s17, s15
	s_lshl_b64 s[0:1], s[16:17], 2
	s_getpc_b64 s[20:21]
	s_add_u32 s20, s20, __const._ZL30rocblas_trsm_small_left_deviceILi24ELi24ELb1E19rocblas_complex_numIfES1_PKPKS1_PKPS1_Ev13rocblas_fill_18rocblas_operation_17rocblas_diagonal_iiT3_T4_lilT5_lili.step_sizes@rel32@lo+4
	s_addc_u32 s21, s21, __const._ZL30rocblas_trsm_small_left_deviceILi24ELi24ELb1E19rocblas_complex_numIfES1_PKPKS1_PKPS1_Ev13rocblas_fill_18rocblas_operation_17rocblas_diagonal_iiT3_T4_lilT5_lili.step_sizes@rel32@hi+12
	s_add_u32 s0, s20, s0
	s_addc_u32 s1, s21, s1
	s_load_dword s17, s[0:1], 0x0
	s_waitcnt lgkmcnt(0)
	s_add_i32 s34, s17, -1
	s_cmp_lt_i32 s18, s34
	s_cbranch_scc1 .LBB161_18
; %bb.20:                               ;   in Loop: Header=BB161_19 Depth=1
	s_max_i32 s35, s17, 1
	s_cmp_lg_u32 s16, 2
	s_cselect_b64 s[20:21], -1, 0
	s_and_b32 s36, s35, 0x7ffffffe
	s_cmp_lg_u32 s35, s36
	s_mul_i32 s0, s18, 0xc0
	v_cndmask_b32_e64 v6, 0, 1, s[20:21]
	s_cselect_b64 s[22:23], -1, 0
	s_add_i32 s37, s33, s0
	s_mul_i32 s38, s17, 0xffffff40
	s_mul_i32 s39, s18, 0xc8
	s_mul_i32 s40, s17, 0xffffff38
	v_cmp_ne_u32_e64 s[0:1], 1, v6
	s_branch .LBB161_22
.LBB161_21:                             ;   in Loop: Header=BB161_22 Depth=2
	s_sub_i32 s18, s18, s17
	s_add_i32 s37, s37, s38
	s_add_i32 s39, s39, s40
	s_cmp_lt_i32 s18, s34
	s_cbranch_scc1 .LBB161_18
.LBB161_22:                             ;   Parent Loop BB161_19 Depth=1
                                        ; =>  This Loop Header: Depth=2
                                        ;       Child Loop BB161_24 Depth 3
                                        ;       Child Loop BB161_28 Depth 3
	;; [unrolled: 1-line block ×3, first 2 shown]
                                        ;         Child Loop BB161_34 Depth 4
                                        ;         Child Loop BB161_40 Depth 4
                                        ;       Child Loop BB161_43 Depth 3
                                        ;         Child Loop BB161_45 Depth 4
	s_and_b64 vcc, exec, s[0:1]
	s_cbranch_vccnz .LBB161_26
; %bb.23:                               ;   in Loop: Header=BB161_22 Depth=2
	s_mov_b32 s19, 0
	s_mov_b32 s26, s18
	s_mov_b32 s27, 1
	s_mov_b32 s28, 0
	s_mov_b32 s29, s36
.LBB161_24:                             ;   Parent Loop BB161_19 Depth=1
                                        ;     Parent Loop BB161_22 Depth=2
                                        ; =>    This Inner Loop Header: Depth=3
	s_sub_i32 s24, s18, s28
	s_sub_i32 s42, s26, s27
	s_ashr_i32 s25, s24, 31
	s_ashr_i32 s43, s42, 31
	v_lshl_add_u64 v[6:7], s[24:25], 3, v[0:1]
	v_lshl_add_u64 v[8:9], s[42:43], 3, v[0:1]
	flat_load_dwordx2 v[12:13], v[6:7]
	flat_load_dwordx2 v[10:11], v[8:9]
	s_add_i32 s28, s28, 2
	s_add_i32 s27, s27, 2
	s_add_i32 s29, s29, -2
	s_mov_b32 s14, s36
	s_mov_b64 s[24:25], s[22:23]
	s_waitcnt vmcnt(0) lgkmcnt(0)
	v_mov_b32_e32 v6, v12
	v_mov_b32_e32 v7, v10
	;; [unrolled: 1-line block ×3, first 2 shown]
	v_pk_mul_f32 v[8:9], v[10:11], s[4:5]
	v_pk_mul_f32 v[10:11], v[10:11], s[2:3]
	v_pk_fma_f32 v[12:13], v[6:7], s[2:3], v[8:9] neg_lo:[0,0,1] neg_hi:[0,0,1]
	v_pk_fma_f32 v[8:9], v[6:7], s[4:5], v[10:11]
	v_mov_b32_e32 v6, v12
	v_mov_b32_e32 v7, v8
	;; [unrolled: 1-line block ×3, first 2 shown]
	scratch_store_dwordx4 off, v[6:9], s19
	s_add_i32 s19, s19, 16
	s_cmp_lg_u32 s29, 0
	s_cbranch_scc1 .LBB161_24
; %bb.25:                               ;   in Loop: Header=BB161_22 Depth=2
	s_ashr_i32 s19, s18, 31
	s_and_b64 vcc, exec, s[24:25]
	s_cbranch_vccnz .LBB161_27
	s_branch .LBB161_29
.LBB161_26:                             ;   in Loop: Header=BB161_22 Depth=2
	s_mov_b32 s14, 0
	s_ashr_i32 s19, s18, 31
	s_cbranch_execz .LBB161_29
.LBB161_27:                             ;   in Loop: Header=BB161_22 Depth=2
	s_lshl_b64 s[26:27], s[18:19], 3
	s_sub_i32 s24, s35, s14
	s_lshl_b64 s[28:29], s[14:15], 3
	s_sub_u32 s26, s26, s28
	s_subb_u32 s27, s27, s29
	v_lshl_add_u64 v[6:7], v[4:5], 0, s[26:27]
	s_lshl_b32 s14, s14, 3
.LBB161_28:                             ;   Parent Loop BB161_19 Depth=1
                                        ;     Parent Loop BB161_22 Depth=2
                                        ; =>    This Inner Loop Header: Depth=3
	flat_load_dwordx2 v[8:9], v[6:7]
	s_add_i32 s24, s24, -1
	v_lshl_add_u64 v[6:7], v[6:7], 0, -8
	s_waitcnt vmcnt(0) lgkmcnt(0)
	v_pk_mul_f32 v[10:11], v[8:9], s[10:11] op_sel:[1,0]
	s_nop 0
	v_pk_fma_f32 v[12:13], v[8:9], s[12:13], v[10:11] neg_lo:[0,0,1] neg_hi:[0,0,1]
	v_pk_fma_f32 v[8:9], v[8:9], s[12:13], v[10:11] op_sel_hi:[0,1,1]
	v_mov_b32_e32 v13, v9
	scratch_store_dwordx2 off, v[12:13], s14
	s_add_i32 s14, s14, 8
	s_cmp_eq_u32 s24, 0
	s_cbranch_scc0 .LBB161_28
.LBB161_29:                             ;   in Loop: Header=BB161_22 Depth=2
	s_cmp_le_i32 s31, s18
	s_cbranch_scc1 .LBB161_41
; %bb.30:                               ;   in Loop: Header=BB161_22 Depth=2
	s_mov_b32 s14, s18
	s_mov_b32 s41, s18
	;; [unrolled: 1-line block ×4, first 2 shown]
	s_branch .LBB161_32
.LBB161_31:                             ;   in Loop: Header=BB161_32 Depth=3
	s_add_i32 s24, s24, -1
	s_add_i32 s42, s42, -8
	s_cmp_le_i32 s24, s18
	s_cbranch_scc1 .LBB161_41
.LBB161_32:                             ;   Parent Loop BB161_19 Depth=1
                                        ;     Parent Loop BB161_22 Depth=2
                                        ; =>    This Loop Header: Depth=3
                                        ;         Child Loop BB161_34 Depth 4
                                        ;         Child Loop BB161_40 Depth 4
	s_ashr_i32 s25, s24, 31
	v_lshl_add_u64 v[6:7], s[24:25], 3, v[0:1]
	flat_load_dwordx2 v[6:7], v[6:7]
	s_and_b64 vcc, exec, s[20:21]
	s_cbranch_vccz .LBB161_36
; %bb.33:                               ;   in Loop: Header=BB161_32 Depth=3
	s_lshl_b32 s25, s24, 3
	s_waitcnt vmcnt(0) lgkmcnt(0)
	v_mov_b32_e32 v10, v6
	v_mov_b32_e32 v11, v6
	;; [unrolled: 1-line block ×3, first 2 shown]
	s_mov_b32 s26, 0
	v_mov_b32_e32 v12, v7
	v_mov_b32_e32 v13, v7
	s_mov_b32 s27, 1
	s_mov_b32 s28, 0
	;; [unrolled: 1-line block ×3, first 2 shown]
.LBB161_34:                             ;   Parent Loop BB161_19 Depth=1
                                        ;     Parent Loop BB161_22 Depth=2
                                        ;       Parent Loop BB161_32 Depth=3
                                        ; =>      This Inner Loop Header: Depth=4
	scratch_load_dwordx4 v[14:17], off, s26
	s_sub_i32 s43, s14, s28
	s_sub_i32 s44, s41, s27
	s_mulk_i32 s44, 0xc0
	s_mulk_i32 s43, 0xc0
	s_add_i32 s43, s25, s43
	s_add_i32 s44, s25, s44
	v_mov_b32_e32 v9, s43
	v_mov_b32_e32 v18, s44
	ds_read_b64 v[22:23], v9
	ds_read_b64 v[18:19], v18
	s_add_i32 s28, s28, 2
	s_add_i32 s27, s27, 2
	s_add_i32 s29, s29, -2
	s_waitcnt lgkmcnt(1)
	v_mov_b32_e32 v20, v22
	s_waitcnt lgkmcnt(0)
	v_mov_b32_e32 v21, v18
	v_mov_b32_e32 v18, v23
	v_pk_mul_f32 v[22:23], v[18:19], v[12:13]
	v_pk_mul_f32 v[18:19], v[18:19], v[10:11]
	v_pk_fma_f32 v[22:23], v[20:21], v[10:11], v[22:23] neg_lo:[0,0,1] neg_hi:[0,0,1]
	v_pk_fma_f32 v[18:19], v[20:21], v[12:13], v[18:19]
	s_waitcnt vmcnt(0)
	v_mov_b32_e32 v20, v14
	v_mov_b32_e32 v21, v16
	;; [unrolled: 1-line block ×3, first 2 shown]
	v_pk_add_f32 v[20:21], v[20:21], v[22:23] neg_lo:[0,1] neg_hi:[0,1]
	v_pk_add_f32 v[16:17], v[16:17], v[18:19] neg_lo:[0,1] neg_hi:[0,1]
	v_mov_b32_e32 v14, v20
	v_mov_b32_e32 v15, v16
	;; [unrolled: 1-line block ×3, first 2 shown]
	scratch_store_dwordx4 off, v[14:17], s26
	s_add_i32 s26, s26, 16
	s_cmp_lg_u32 s29, 0
	s_cbranch_scc1 .LBB161_34
; %bb.35:                               ;   in Loop: Header=BB161_32 Depth=3
	s_mov_b64 s[26:27], s[22:23]
	s_mov_b32 s28, s36
	s_branch .LBB161_38
.LBB161_36:                             ;   in Loop: Header=BB161_32 Depth=3
	s_waitcnt vmcnt(0) lgkmcnt(0)
	v_mov_b32_e32 v8, v7
	s_mov_b64 s[26:27], 0
	s_mov_b32 s28, s36
	s_cbranch_execz .LBB161_38
; %bb.37:                               ;   in Loop: Header=BB161_32 Depth=3
	s_mov_b64 s[26:27], -1
	s_mov_b32 s28, 0
.LBB161_38:                             ;   in Loop: Header=BB161_32 Depth=3
	s_andn2_b64 vcc, exec, s[26:27]
	s_cbranch_vccnz .LBB161_31
; %bb.39:                               ;   in Loop: Header=BB161_32 Depth=3
	s_mul_i32 s26, s28, 0xffffff40
	v_mov_b32_e32 v9, v7
	v_mov_b32_e32 v7, v6
	s_sub_i32 s25, s35, s28
	s_add_i32 s26, s42, s26
	s_lshl_b32 s27, s28, 3
.LBB161_40:                             ;   Parent Loop BB161_19 Depth=1
                                        ;     Parent Loop BB161_22 Depth=2
                                        ;       Parent Loop BB161_32 Depth=3
                                        ; =>      This Inner Loop Header: Depth=4
	scratch_load_dwordx2 v[10:11], off, s27
	v_mov_b32_e32 v12, s26
	ds_read_b64 v[12:13], v12
	s_add_i32 s25, s25, -1
	s_addk_i32 s26, 0xff40
	s_waitcnt lgkmcnt(0)
	v_pk_mul_f32 v[14:15], v[12:13], v[8:9] op_sel:[1,0] op_sel_hi:[0,1]
	v_pk_fma_f32 v[16:17], v[12:13], v[6:7], v[14:15] neg_lo:[0,0,1] neg_hi:[0,0,1]
	v_pk_fma_f32 v[12:13], v[12:13], v[6:7], v[14:15]
	s_nop 0
	v_mov_b32_e32 v17, v13
	s_waitcnt vmcnt(0)
	v_pk_add_f32 v[10:11], v[10:11], v[16:17] neg_lo:[0,1] neg_hi:[0,1]
	scratch_store_dwordx2 off, v[10:11], s27
	s_add_i32 s27, s27, 8
	s_cmp_eq_u32 s25, 0
	s_cbranch_scc0 .LBB161_40
	s_branch .LBB161_31
.LBB161_41:                             ;   in Loop: Header=BB161_22 Depth=2
	s_mov_b32 s14, 0
	s_mov_b32 s41, s39
	s_branch .LBB161_43
.LBB161_42:                             ;   in Loop: Header=BB161_43 Depth=3
	s_mulk_i32 s26, 0xc8
	v_mov_b32_e32 v7, s26
	ds_read_b64 v[10:11], v7
	s_lshl_b32 s26, s14, 3
	s_add_i32 s14, s14, 1
	s_addk_i32 s41, 0xff40
	v_lshl_add_u64 v[12:13], s[24:25], 3, v[0:1]
	s_waitcnt lgkmcnt(0)
	v_pk_mul_f32 v[8:9], v[10:11], v[8:9] op_sel:[1,0] op_sel_hi:[0,0]
	v_pk_fma_f32 v[14:15], v[10:11], v[6:7], v[8:9] neg_lo:[0,0,1] neg_hi:[0,0,1]
	v_pk_fma_f32 v[6:7], v[10:11], v[6:7], v[8:9] op_sel_hi:[1,0,1]
	s_cmp_eq_u32 s14, s35
	v_mov_b32_e32 v15, v7
	scratch_store_dwordx2 off, v[14:15], s26
	flat_store_dwordx2 v[12:13], v[14:15]
	s_cbranch_scc1 .LBB161_21
.LBB161_43:                             ;   Parent Loop BB161_19 Depth=1
                                        ;     Parent Loop BB161_22 Depth=2
                                        ; =>    This Loop Header: Depth=3
                                        ;         Child Loop BB161_45 Depth 4
	s_cmp_lg_u32 s14, 0
	s_cbranch_scc0 .LBB161_47
; %bb.44:                               ;   in Loop: Header=BB161_43 Depth=3
	s_lshl_b32 s24, s14, 3
	scratch_load_dwordx2 v[6:7], off, s24
	s_mov_b32 s25, 0
	s_mov_b32 s26, s41
	;; [unrolled: 1-line block ×3, first 2 shown]
.LBB161_45:                             ;   Parent Loop BB161_19 Depth=1
                                        ;     Parent Loop BB161_22 Depth=2
                                        ;       Parent Loop BB161_43 Depth=3
                                        ; =>      This Inner Loop Header: Depth=4
	scratch_load_dwordx2 v[8:9], off, s25
	v_mov_b32_e32 v10, s26
	ds_read_b64 v[10:11], v10
	s_add_i32 s27, s27, -1
	s_add_i32 s26, s26, -8
	s_add_i32 s25, s25, 8
	s_cmp_eq_u32 s27, 0
	s_waitcnt vmcnt(0) lgkmcnt(0)
	v_pk_mul_f32 v[12:13], v[10:11], v[8:9] op_sel:[1,1] op_sel_hi:[0,1]
	v_pk_fma_f32 v[14:15], v[10:11], v[8:9], v[12:13] neg_lo:[0,0,1] neg_hi:[0,0,1]
	v_pk_fma_f32 v[8:9], v[10:11], v[8:9], v[12:13] op_sel_hi:[1,0,1]
	s_nop 0
	v_mov_b32_e32 v15, v9
	v_pk_add_f32 v[6:7], v[6:7], v[14:15] neg_lo:[0,1] neg_hi:[0,1]
	scratch_store_dwordx2 off, v[6:7], s24
	s_cbranch_scc0 .LBB161_45
; %bb.46:                               ;   in Loop: Header=BB161_43 Depth=3
	s_sub_i32 s26, s18, s14
	s_ashr_i32 s27, s26, 31
	v_mov_b32_e32 v8, v7
	s_mov_b64 s[24:25], s[26:27]
	s_branch .LBB161_42
.LBB161_47:                             ;   in Loop: Header=BB161_43 Depth=3
                                        ; implicit-def: $vgpr6
                                        ; implicit-def: $vgpr8
                                        ; implicit-def: $sgpr26
                                        ; implicit-def: $sgpr24_sgpr25
	s_cbranch_execz .LBB161_42
; %bb.48:                               ;   in Loop: Header=BB161_43 Depth=3
	scratch_load_dwordx2 v[6:7], off, off
	s_mov_b64 s[24:25], s[18:19]
	s_mov_b32 s26, s18
	s_waitcnt vmcnt(0)
	v_mov_b32_e32 v8, v7
	s_branch .LBB161_42
.LBB161_49:
	s_mov_b64 s[0:1], 0
.LBB161_50:
	s_and_b64 vcc, exec, s[0:1]
	s_cbranch_vccz .LBB161_83
; %bb.51:
	s_add_u32 s0, s8, s6
	s_addc_u32 s1, s9, s7
	s_mov_b32 s7, 0
	s_mov_b32 s2, s12
	;; [unrolled: 1-line block ×7, first 2 shown]
	v_lshl_add_u64 v[2:3], v[2:3], 3, s[0:1]
	s_mov_b32 s22, s7
	s_mov_b32 s8, s7
	s_branch .LBB161_53
.LBB161_52:                             ;   in Loop: Header=BB161_53 Depth=1
	s_cmp_ge_i32 s22, s30
	s_cselect_b64 s[0:1], -1, 0
	s_add_i32 s8, s8, 1
	s_cmp_eq_u32 s8, 3
	s_cselect_b64 s[14:15], -1, 0
	s_or_b64 s[0:1], s[0:1], s[14:15]
	s_and_b64 vcc, exec, s[0:1]
	s_cbranch_vccnz .LBB161_83
.LBB161_53:                             ; =>This Loop Header: Depth=1
                                        ;     Child Loop BB161_56 Depth 2
                                        ;       Child Loop BB161_58 Depth 3
                                        ;       Child Loop BB161_62 Depth 3
	;; [unrolled: 1-line block ×3, first 2 shown]
                                        ;         Child Loop BB161_68 Depth 4
                                        ;         Child Loop BB161_74 Depth 4
                                        ;       Child Loop BB161_77 Depth 3
                                        ;         Child Loop BB161_79 Depth 4
	s_mov_b32 s9, s7
	s_lshl_b64 s[0:1], s[8:9], 2
	s_getpc_b64 s[14:15]
	s_add_u32 s14, s14, __const._ZL30rocblas_trsm_small_left_deviceILi24ELi24ELb1E19rocblas_complex_numIfES1_PKPKS1_PKPS1_Ev13rocblas_fill_18rocblas_operation_17rocblas_diagonal_iiT3_T4_lilT5_lili.step_sizes@rel32@lo+4
	s_addc_u32 s15, s15, __const._ZL30rocblas_trsm_small_left_deviceILi24ELi24ELb1E19rocblas_complex_numIfES1_PKPKS1_PKPS1_Ev13rocblas_fill_18rocblas_operation_17rocblas_diagonal_iiT3_T4_lilT5_lili.step_sizes@rel32@hi+12
	s_add_u32 s0, s14, s0
	s_addc_u32 s1, s15, s1
	s_load_dword s9, s[0:1], 0x0
	s_waitcnt lgkmcnt(0)
	s_add_i32 s23, s9, -1
	s_add_i32 s0, s23, s22
	s_cmp_ge_i32 s0, s30
	s_cbranch_scc1 .LBB161_52
; %bb.54:                               ;   in Loop: Header=BB161_53 Depth=1
	s_max_i32 s24, s9, 1
	s_cmp_lg_u32 s8, 2
	s_cselect_b64 s[14:15], -1, 0
	s_and_b32 s25, s24, 0x7ffffffe
	s_cmp_lg_u32 s24, s25
	v_cndmask_b32_e64 v4, 0, 1, s[14:15]
	s_cselect_b64 s[16:17], -1, 0
	s_ashr_i32 s26, s22, 31
	s_ashr_i32 s27, s9, 31
	s_lshl_b32 s28, s22, 3
	s_lshl_b32 s29, s9, 3
	s_mul_i32 s31, s22, 0xc8
	s_mul_i32 s33, s9, 0xc8
	v_cmp_ne_u32_e64 s[0:1], 1, v4
	s_branch .LBB161_56
.LBB161_55:                             ;   in Loop: Header=BB161_56 Depth=2
	s_add_u32 s22, s22, s9
	s_addc_u32 s26, s26, s27
	s_add_i32 s6, s23, s22
	s_add_i32 s28, s28, s29
	;; [unrolled: 1-line block ×3, first 2 shown]
	s_cmp_ge_i32 s6, s30
	s_cbranch_scc1 .LBB161_52
.LBB161_56:                             ;   Parent Loop BB161_53 Depth=1
                                        ; =>  This Loop Header: Depth=2
                                        ;       Child Loop BB161_58 Depth 3
                                        ;       Child Loop BB161_62 Depth 3
	;; [unrolled: 1-line block ×3, first 2 shown]
                                        ;         Child Loop BB161_68 Depth 4
                                        ;         Child Loop BB161_74 Depth 4
                                        ;       Child Loop BB161_77 Depth 3
                                        ;         Child Loop BB161_79 Depth 4
	s_and_b64 vcc, exec, s[0:1]
	s_cbranch_vccnz .LBB161_60
; %bb.57:                               ;   in Loop: Header=BB161_56 Depth=2
	s_mov_b32 s6, 0
	s_mov_b32 s20, s22
	;; [unrolled: 1-line block ×6, first 2 shown]
.LBB161_58:                             ;   Parent Loop BB161_53 Depth=1
                                        ;     Parent Loop BB161_56 Depth=2
                                        ; =>    This Inner Loop Header: Depth=3
	s_add_i32 s18, s35, s20
	s_add_i32 s38, s34, s21
	s_ashr_i32 s19, s18, 31
	s_ashr_i32 s39, s38, 31
	v_lshl_add_u64 v[4:5], s[18:19], 3, v[0:1]
	v_lshl_add_u64 v[6:7], s[38:39], 3, v[0:1]
	flat_load_dwordx2 v[10:11], v[4:5]
	flat_load_dwordx2 v[8:9], v[6:7]
	s_add_i32 s35, s35, 2
	s_add_i32 s34, s34, 2
	s_add_i32 s36, s36, -2
	s_mov_b32 s37, s25
	s_mov_b64 s[18:19], s[16:17]
	s_waitcnt vmcnt(0) lgkmcnt(0)
	v_mov_b32_e32 v4, v10
	v_mov_b32_e32 v5, v8
	;; [unrolled: 1-line block ×3, first 2 shown]
	v_pk_mul_f32 v[6:7], v[8:9], s[4:5]
	v_pk_mul_f32 v[8:9], v[8:9], s[2:3]
	v_pk_fma_f32 v[10:11], v[4:5], s[2:3], v[6:7] neg_lo:[0,0,1] neg_hi:[0,0,1]
	v_pk_fma_f32 v[6:7], v[4:5], s[4:5], v[8:9]
	v_mov_b32_e32 v4, v10
	v_mov_b32_e32 v5, v6
	;; [unrolled: 1-line block ×3, first 2 shown]
	scratch_store_dwordx4 off, v[4:7], s6
	s_add_i32 s6, s6, 16
	s_cmp_lg_u32 s36, 0
	s_cbranch_scc1 .LBB161_58
; %bb.59:                               ;   in Loop: Header=BB161_56 Depth=2
	s_and_b64 vcc, exec, s[18:19]
	s_cbranch_vccnz .LBB161_61
	s_branch .LBB161_63
.LBB161_60:                             ;   in Loop: Header=BB161_56 Depth=2
	s_mov_b32 s37, 0
	s_cbranch_execz .LBB161_63
.LBB161_61:                             ;   in Loop: Header=BB161_56 Depth=2
	s_sub_i32 s6, s24, s37
	s_add_u32 s18, s22, s37
	s_addc_u32 s19, s26, 0
	v_lshl_add_u64 v[4:5], s[18:19], 3, v[2:3]
	s_lshl_b32 s18, s37, 3
.LBB161_62:                             ;   Parent Loop BB161_53 Depth=1
                                        ;     Parent Loop BB161_56 Depth=2
                                        ; =>    This Inner Loop Header: Depth=3
	flat_load_dwordx2 v[6:7], v[4:5]
	s_add_i32 s6, s6, -1
	v_lshl_add_u64 v[4:5], v[4:5], 0, 8
	s_waitcnt vmcnt(0) lgkmcnt(0)
	v_pk_mul_f32 v[8:9], v[6:7], s[10:11] op_sel:[1,0]
	s_nop 0
	v_pk_fma_f32 v[10:11], v[6:7], s[12:13], v[8:9] neg_lo:[0,0,1] neg_hi:[0,0,1]
	v_pk_fma_f32 v[6:7], v[6:7], s[12:13], v[8:9] op_sel_hi:[0,1,1]
	v_mov_b32_e32 v11, v7
	scratch_store_dwordx2 off, v[10:11], s18
	s_add_i32 s18, s18, 8
	s_cmp_eq_u32 s6, 0
	s_cbranch_scc0 .LBB161_62
.LBB161_63:                             ;   in Loop: Header=BB161_56 Depth=2
	s_cmp_lt_i32 s22, 1
	s_cbranch_scc1 .LBB161_75
; %bb.64:                               ;   in Loop: Header=BB161_56 Depth=2
	s_mov_b32 s6, 0
	s_mov_b32 s34, s28
	s_branch .LBB161_66
.LBB161_65:                             ;   in Loop: Header=BB161_66 Depth=3
	s_add_i32 s6, s6, 1
	s_addk_i32 s34, 0xc0
	s_cmp_eq_u32 s6, s22
	s_cbranch_scc1 .LBB161_75
.LBB161_66:                             ;   Parent Loop BB161_53 Depth=1
                                        ;     Parent Loop BB161_56 Depth=2
                                        ; =>    This Loop Header: Depth=3
                                        ;         Child Loop BB161_68 Depth 4
                                        ;         Child Loop BB161_74 Depth 4
	v_lshl_add_u64 v[4:5], s[6:7], 3, v[0:1]
	flat_load_dwordx2 v[4:5], v[4:5]
	s_and_b64 vcc, exec, s[14:15]
	s_cbranch_vccz .LBB161_70
; %bb.67:                               ;   in Loop: Header=BB161_66 Depth=3
	s_waitcnt vmcnt(0) lgkmcnt(0)
	v_mov_b32_e32 v8, v4
	v_mov_b32_e32 v9, v4
	v_mov_b32_e32 v6, v5
	s_mov_b32 s18, 0
	v_mov_b32_e32 v10, v5
	v_mov_b32_e32 v11, v5
	s_mov_b32 s19, s25
	s_mov_b32 s20, s34
.LBB161_68:                             ;   Parent Loop BB161_53 Depth=1
                                        ;     Parent Loop BB161_56 Depth=2
                                        ;       Parent Loop BB161_66 Depth=3
                                        ; =>      This Inner Loop Header: Depth=4
	scratch_load_dwordx4 v[12:15], off, s18
	v_mov_b32_e32 v7, s20
	ds_read2_b64 v[16:19], v7 offset1:1
	s_add_i32 s20, s20, 16
	s_add_i32 s19, s19, -2
	s_waitcnt lgkmcnt(0)
	v_mov_b32_e32 v21, v18
	v_mov_b32_e32 v18, v17
	;; [unrolled: 1-line block ×3, first 2 shown]
	v_pk_mul_f32 v[16:17], v[18:19], v[10:11]
	v_pk_mul_f32 v[18:19], v[18:19], v[8:9]
	v_pk_fma_f32 v[16:17], v[20:21], v[8:9], v[16:17] neg_lo:[0,0,1] neg_hi:[0,0,1]
	v_pk_fma_f32 v[18:19], v[20:21], v[10:11], v[18:19]
	s_waitcnt vmcnt(0)
	v_mov_b32_e32 v20, v12
	v_mov_b32_e32 v21, v14
	;; [unrolled: 1-line block ×3, first 2 shown]
	v_pk_add_f32 v[16:17], v[20:21], v[16:17] neg_lo:[0,1] neg_hi:[0,1]
	v_pk_add_f32 v[14:15], v[14:15], v[18:19] neg_lo:[0,1] neg_hi:[0,1]
	v_mov_b32_e32 v12, v16
	v_mov_b32_e32 v13, v14
	;; [unrolled: 1-line block ×3, first 2 shown]
	scratch_store_dwordx4 off, v[12:15], s18
	s_add_i32 s18, s18, 16
	s_cmp_lg_u32 s19, 0
	s_cbranch_scc1 .LBB161_68
; %bb.69:                               ;   in Loop: Header=BB161_66 Depth=3
	s_mov_b64 s[18:19], s[16:17]
	s_mov_b32 s20, s25
	s_branch .LBB161_72
.LBB161_70:                             ;   in Loop: Header=BB161_66 Depth=3
	s_waitcnt vmcnt(0) lgkmcnt(0)
	v_mov_b32_e32 v6, v5
	s_mov_b64 s[18:19], 0
	s_mov_b32 s20, s25
	s_cbranch_execz .LBB161_72
; %bb.71:                               ;   in Loop: Header=BB161_66 Depth=3
	s_mov_b64 s[18:19], -1
	s_mov_b32 s20, 0
.LBB161_72:                             ;   in Loop: Header=BB161_66 Depth=3
	s_andn2_b64 vcc, exec, s[18:19]
	s_cbranch_vccnz .LBB161_65
; %bb.73:                               ;   in Loop: Header=BB161_66 Depth=3
	v_mov_b32_e32 v7, v5
	v_mov_b32_e32 v5, v4
	s_sub_i32 s18, s24, s20
	s_lshl_b32 s19, s20, 3
.LBB161_74:                             ;   Parent Loop BB161_53 Depth=1
                                        ;     Parent Loop BB161_56 Depth=2
                                        ;       Parent Loop BB161_66 Depth=3
                                        ; =>      This Inner Loop Header: Depth=4
	scratch_load_dwordx2 v[8:9], off, s19
	s_add_i32 s21, s34, s19
	v_mov_b32_e32 v10, s21
	ds_read_b64 v[10:11], v10
	s_mov_b32 s20, s19
	s_add_i32 s18, s18, -1
	s_add_i32 s19, s19, 8
	s_cmp_eq_u32 s18, 0
	s_waitcnt lgkmcnt(0)
	v_pk_mul_f32 v[12:13], v[10:11], v[6:7] op_sel:[1,0] op_sel_hi:[0,1]
	v_pk_fma_f32 v[14:15], v[10:11], v[4:5], v[12:13] neg_lo:[0,0,1] neg_hi:[0,0,1]
	v_pk_fma_f32 v[10:11], v[10:11], v[4:5], v[12:13]
	s_nop 0
	v_mov_b32_e32 v15, v11
	s_waitcnt vmcnt(0)
	v_pk_add_f32 v[8:9], v[8:9], v[14:15] neg_lo:[0,1] neg_hi:[0,1]
	scratch_store_dwordx2 off, v[8:9], s20
	s_cbranch_scc0 .LBB161_74
	s_branch .LBB161_65
.LBB161_75:                             ;   in Loop: Header=BB161_56 Depth=2
	s_mov_b32 s6, 0
	s_mov_b32 s20, s31
	s_branch .LBB161_77
.LBB161_76:                             ;   in Loop: Header=BB161_77 Depth=3
	s_add_i32 s18, s6, s22
	s_mul_i32 s19, s18, 0xc8
	v_mov_b32_e32 v5, s19
	ds_read_b64 v[8:9], v5
	s_lshl_b32 s21, s6, 3
	s_ashr_i32 s19, s18, 31
	s_add_i32 s6, s6, 1
	s_add_i32 s20, s20, 8
	s_waitcnt lgkmcnt(0)
	v_pk_mul_f32 v[6:7], v[8:9], v[6:7] op_sel:[1,0] op_sel_hi:[0,0]
	v_pk_fma_f32 v[10:11], v[8:9], v[4:5], v[6:7] neg_lo:[0,0,1] neg_hi:[0,0,1]
	v_pk_fma_f32 v[4:5], v[8:9], v[4:5], v[6:7] op_sel_hi:[1,0,1]
	s_cmp_eq_u32 s6, s24
	v_mov_b32_e32 v11, v5
	v_lshl_add_u64 v[4:5], s[18:19], 3, v[0:1]
	scratch_store_dwordx2 off, v[10:11], s21
	flat_store_dwordx2 v[4:5], v[10:11]
	s_cbranch_scc1 .LBB161_55
.LBB161_77:                             ;   Parent Loop BB161_53 Depth=1
                                        ;     Parent Loop BB161_56 Depth=2
                                        ; =>    This Loop Header: Depth=3
                                        ;         Child Loop BB161_79 Depth 4
	s_cmp_lg_u32 s6, 0
	s_cbranch_scc0 .LBB161_81
; %bb.78:                               ;   in Loop: Header=BB161_77 Depth=3
	s_lshl_b32 s18, s6, 3
	scratch_load_dwordx2 v[4:5], off, s18
	s_mov_b32 s19, 0
	s_mov_b32 s21, s20
	;; [unrolled: 1-line block ×3, first 2 shown]
.LBB161_79:                             ;   Parent Loop BB161_53 Depth=1
                                        ;     Parent Loop BB161_56 Depth=2
                                        ;       Parent Loop BB161_77 Depth=3
                                        ; =>      This Inner Loop Header: Depth=4
	scratch_load_dwordx2 v[6:7], off, s19
	v_mov_b32_e32 v8, s21
	ds_read_b64 v[8:9], v8
	s_add_i32 s34, s34, -1
	s_addk_i32 s21, 0xc0
	s_add_i32 s19, s19, 8
	s_cmp_eq_u32 s34, 0
	s_waitcnt vmcnt(0) lgkmcnt(0)
	v_pk_mul_f32 v[10:11], v[8:9], v[6:7] op_sel:[1,1] op_sel_hi:[0,1]
	v_pk_fma_f32 v[12:13], v[8:9], v[6:7], v[10:11] neg_lo:[0,0,1] neg_hi:[0,0,1]
	v_pk_fma_f32 v[6:7], v[8:9], v[6:7], v[10:11] op_sel_hi:[1,0,1]
	s_nop 0
	v_mov_b32_e32 v13, v7
	v_pk_add_f32 v[4:5], v[4:5], v[12:13] neg_lo:[0,1] neg_hi:[0,1]
	scratch_store_dwordx2 off, v[4:5], s18
	s_cbranch_scc0 .LBB161_79
; %bb.80:                               ;   in Loop: Header=BB161_77 Depth=3
	v_mov_b32_e32 v6, v5
	s_branch .LBB161_76
.LBB161_81:                             ;   in Loop: Header=BB161_77 Depth=3
                                        ; implicit-def: $vgpr4
                                        ; implicit-def: $vgpr6
	s_cbranch_execz .LBB161_76
; %bb.82:                               ;   in Loop: Header=BB161_77 Depth=3
	scratch_load_dwordx2 v[4:5], off, off
	s_waitcnt vmcnt(0)
	v_mov_b32_e32 v6, v5
	s_branch .LBB161_76
.LBB161_83:
	s_endpgm
	.section	.rodata,"a",@progbits
	.p2align	6, 0x0
	.amdhsa_kernel _ZL30rocblas_trsm_small_left_deviceILi24ELi24ELb1E19rocblas_complex_numIfES1_PKPKS1_PKPS1_Ev13rocblas_fill_18rocblas_operation_17rocblas_diagonal_iiT3_T4_lilT5_lili
		.amdhsa_group_segment_fixed_size 4608
		.amdhsa_private_segment_fixed_size 208
		.amdhsa_kernarg_size 360
		.amdhsa_user_sgpr_count 2
		.amdhsa_user_sgpr_dispatch_ptr 0
		.amdhsa_user_sgpr_queue_ptr 0
		.amdhsa_user_sgpr_kernarg_segment_ptr 1
		.amdhsa_user_sgpr_dispatch_id 0
		.amdhsa_user_sgpr_kernarg_preload_length 0
		.amdhsa_user_sgpr_kernarg_preload_offset 0
		.amdhsa_user_sgpr_private_segment_size 0
		.amdhsa_uses_dynamic_stack 0
		.amdhsa_enable_private_segment 1
		.amdhsa_system_sgpr_workgroup_id_x 1
		.amdhsa_system_sgpr_workgroup_id_y 0
		.amdhsa_system_sgpr_workgroup_id_z 1
		.amdhsa_system_sgpr_workgroup_info 0
		.amdhsa_system_vgpr_workitem_id 0
		.amdhsa_next_free_vgpr 24
		.amdhsa_next_free_sgpr 45
		.amdhsa_accum_offset 24
		.amdhsa_reserve_vcc 1
		.amdhsa_float_round_mode_32 0
		.amdhsa_float_round_mode_16_64 0
		.amdhsa_float_denorm_mode_32 3
		.amdhsa_float_denorm_mode_16_64 3
		.amdhsa_dx10_clamp 1
		.amdhsa_ieee_mode 1
		.amdhsa_fp16_overflow 0
		.amdhsa_tg_split 0
		.amdhsa_exception_fp_ieee_invalid_op 0
		.amdhsa_exception_fp_denorm_src 0
		.amdhsa_exception_fp_ieee_div_zero 0
		.amdhsa_exception_fp_ieee_overflow 0
		.amdhsa_exception_fp_ieee_underflow 0
		.amdhsa_exception_fp_ieee_inexact 0
		.amdhsa_exception_int_div_zero 0
	.end_amdhsa_kernel
	.section	.text._ZL30rocblas_trsm_small_left_deviceILi24ELi24ELb1E19rocblas_complex_numIfES1_PKPKS1_PKPS1_Ev13rocblas_fill_18rocblas_operation_17rocblas_diagonal_iiT3_T4_lilT5_lili,"axG",@progbits,_ZL30rocblas_trsm_small_left_deviceILi24ELi24ELb1E19rocblas_complex_numIfES1_PKPKS1_PKPS1_Ev13rocblas_fill_18rocblas_operation_17rocblas_diagonal_iiT3_T4_lilT5_lili,comdat
.Lfunc_end161:
	.size	_ZL30rocblas_trsm_small_left_deviceILi24ELi24ELb1E19rocblas_complex_numIfES1_PKPKS1_PKPS1_Ev13rocblas_fill_18rocblas_operation_17rocblas_diagonal_iiT3_T4_lilT5_lili, .Lfunc_end161-_ZL30rocblas_trsm_small_left_deviceILi24ELi24ELb1E19rocblas_complex_numIfES1_PKPKS1_PKPS1_Ev13rocblas_fill_18rocblas_operation_17rocblas_diagonal_iiT3_T4_lilT5_lili
                                        ; -- End function
	.set _ZL30rocblas_trsm_small_left_deviceILi24ELi24ELb1E19rocblas_complex_numIfES1_PKPKS1_PKPS1_Ev13rocblas_fill_18rocblas_operation_17rocblas_diagonal_iiT3_T4_lilT5_lili.num_vgpr, 24
	.set _ZL30rocblas_trsm_small_left_deviceILi24ELi24ELb1E19rocblas_complex_numIfES1_PKPKS1_PKPS1_Ev13rocblas_fill_18rocblas_operation_17rocblas_diagonal_iiT3_T4_lilT5_lili.num_agpr, 0
	.set _ZL30rocblas_trsm_small_left_deviceILi24ELi24ELb1E19rocblas_complex_numIfES1_PKPKS1_PKPS1_Ev13rocblas_fill_18rocblas_operation_17rocblas_diagonal_iiT3_T4_lilT5_lili.numbered_sgpr, 45
	.set _ZL30rocblas_trsm_small_left_deviceILi24ELi24ELb1E19rocblas_complex_numIfES1_PKPKS1_PKPS1_Ev13rocblas_fill_18rocblas_operation_17rocblas_diagonal_iiT3_T4_lilT5_lili.num_named_barrier, 0
	.set _ZL30rocblas_trsm_small_left_deviceILi24ELi24ELb1E19rocblas_complex_numIfES1_PKPKS1_PKPS1_Ev13rocblas_fill_18rocblas_operation_17rocblas_diagonal_iiT3_T4_lilT5_lili.private_seg_size, 208
	.set _ZL30rocblas_trsm_small_left_deviceILi24ELi24ELb1E19rocblas_complex_numIfES1_PKPKS1_PKPS1_Ev13rocblas_fill_18rocblas_operation_17rocblas_diagonal_iiT3_T4_lilT5_lili.uses_vcc, 1
	.set _ZL30rocblas_trsm_small_left_deviceILi24ELi24ELb1E19rocblas_complex_numIfES1_PKPKS1_PKPS1_Ev13rocblas_fill_18rocblas_operation_17rocblas_diagonal_iiT3_T4_lilT5_lili.uses_flat_scratch, 0
	.set _ZL30rocblas_trsm_small_left_deviceILi24ELi24ELb1E19rocblas_complex_numIfES1_PKPKS1_PKPS1_Ev13rocblas_fill_18rocblas_operation_17rocblas_diagonal_iiT3_T4_lilT5_lili.has_dyn_sized_stack, 0
	.set _ZL30rocblas_trsm_small_left_deviceILi24ELi24ELb1E19rocblas_complex_numIfES1_PKPKS1_PKPS1_Ev13rocblas_fill_18rocblas_operation_17rocblas_diagonal_iiT3_T4_lilT5_lili.has_recursion, 0
	.set _ZL30rocblas_trsm_small_left_deviceILi24ELi24ELb1E19rocblas_complex_numIfES1_PKPKS1_PKPS1_Ev13rocblas_fill_18rocblas_operation_17rocblas_diagonal_iiT3_T4_lilT5_lili.has_indirect_call, 0
	.section	.AMDGPU.csdata,"",@progbits
; Kernel info:
; codeLenInByte = 3428
; TotalNumSgprs: 51
; NumVgprs: 24
; NumAgprs: 0
; TotalNumVgprs: 24
; ScratchSize: 208
; MemoryBound: 0
; FloatMode: 240
; IeeeMode: 1
; LDSByteSize: 4608 bytes/workgroup (compile time only)
; SGPRBlocks: 6
; VGPRBlocks: 2
; NumSGPRsForWavesPerEU: 51
; NumVGPRsForWavesPerEU: 24
; AccumOffset: 24
; Occupancy: 8
; WaveLimiterHint : 1
; COMPUTE_PGM_RSRC2:SCRATCH_EN: 1
; COMPUTE_PGM_RSRC2:USER_SGPR: 2
; COMPUTE_PGM_RSRC2:TRAP_HANDLER: 0
; COMPUTE_PGM_RSRC2:TGID_X_EN: 1
; COMPUTE_PGM_RSRC2:TGID_Y_EN: 0
; COMPUTE_PGM_RSRC2:TGID_Z_EN: 1
; COMPUTE_PGM_RSRC2:TIDIG_COMP_CNT: 0
; COMPUTE_PGM_RSRC3_GFX90A:ACCUM_OFFSET: 5
; COMPUTE_PGM_RSRC3_GFX90A:TG_SPLIT: 0
	.section	.text._ZL31rocblas_trsm_small_right_deviceI19rocblas_complex_numIfES1_PKPKS1_PKPS1_Li24EEv13rocblas_fill_18rocblas_operation_17rocblas_diagonal_iiT0_T1_lilT2_lili,"axG",@progbits,_ZL31rocblas_trsm_small_right_deviceI19rocblas_complex_numIfES1_PKPKS1_PKPS1_Li24EEv13rocblas_fill_18rocblas_operation_17rocblas_diagonal_iiT0_T1_lilT2_lili,comdat
	.globl	_ZL31rocblas_trsm_small_right_deviceI19rocblas_complex_numIfES1_PKPKS1_PKPS1_Li24EEv13rocblas_fill_18rocblas_operation_17rocblas_diagonal_iiT0_T1_lilT2_lili ; -- Begin function _ZL31rocblas_trsm_small_right_deviceI19rocblas_complex_numIfES1_PKPKS1_PKPS1_Li24EEv13rocblas_fill_18rocblas_operation_17rocblas_diagonal_iiT0_T1_lilT2_lili
	.p2align	8
	.type	_ZL31rocblas_trsm_small_right_deviceI19rocblas_complex_numIfES1_PKPKS1_PKPS1_Li24EEv13rocblas_fill_18rocblas_operation_17rocblas_diagonal_iiT0_T1_lilT2_lili,@function
_ZL31rocblas_trsm_small_right_deviceI19rocblas_complex_numIfES1_PKPKS1_PKPS1_Li24EEv13rocblas_fill_18rocblas_operation_17rocblas_diagonal_iiT0_T1_lilT2_lili: ; @_ZL31rocblas_trsm_small_right_deviceI19rocblas_complex_numIfES1_PKPKS1_PKPS1_Li24EEv13rocblas_fill_18rocblas_operation_17rocblas_diagonal_iiT0_T1_lilT2_lili
; %bb.0:
	s_load_dwordx4 s[12:15], s[0:1], 0x40
	s_load_dwordx8 s[4:11], s[0:1], 0x0
	s_mov_b32 s16, s3
	s_mov_b32 s17, 0
	s_lshl_b64 s[20:21], s[16:17], 3
	s_waitcnt lgkmcnt(0)
	s_add_u32 s12, s12, s20
	s_addc_u32 s13, s13, s21
	s_load_dwordx2 s[12:13], s[12:13], 0x0
	s_min_i32 s26, s8, 24
	v_cmp_gt_i32_e32 vcc, s26, v0
	s_and_saveexec_b64 s[16:17], vcc
	s_cbranch_execz .LBB162_9
; %bb.1:
	s_load_dword s22, s[0:1], 0x30
	s_load_dwordx4 s[28:31], s[0:1], 0x20
	v_lshlrev_b32_e32 v2, 3, v0
	v_mov_b32_e32 v3, 0
	v_mov_b32_e32 v1, v2
	s_waitcnt lgkmcnt(0)
	s_ashr_i32 s23, s22, 31
	s_cmpk_lg_i32 s5, 0x71
	s_cselect_b64 s[18:19], -1, 0
	s_add_u32 s20, s28, s20
	s_addc_u32 s21, s29, s21
	s_load_dwordx2 s[20:21], s[20:21], 0x0
	s_lshl_b64 s[24:25], s[30:31], 3
	s_mov_b32 s3, s26
	s_waitcnt lgkmcnt(0)
	s_add_u32 s24, s20, s24
	s_addc_u32 s25, s21, s25
	s_lshl_b64 s[20:21], s[22:23], 3
	v_lshl_add_u64 v[4:5], s[24:25], 0, v[2:3]
	s_branch .LBB162_3
.LBB162_2:                              ;   in Loop: Header=BB162_3 Depth=1
	flat_load_dword v6, v[4:5]
	s_add_i32 s3, s3, -1
	v_lshl_add_u64 v[4:5], v[4:5], 0, s[20:21]
	s_cmp_eq_u32 s3, 0
	s_waitcnt vmcnt(0) lgkmcnt(0)
	ds_write_b64 v1, v[6:7]
	v_add_u32_e32 v1, 0xc0, v1
	s_cbranch_scc1 .LBB162_7
.LBB162_3:                              ; =>This Inner Loop Header: Depth=1
	s_mov_b64 s[22:23], -1
	s_and_b64 vcc, exec, s[18:19]
                                        ; implicit-def: $vgpr7
	s_cbranch_vccz .LBB162_5
; %bb.4:                                ;   in Loop: Header=BB162_3 Depth=1
	flat_load_dword v7, v[4:5] offset:4
	s_mov_b64 s[22:23], 0
.LBB162_5:                              ;   in Loop: Header=BB162_3 Depth=1
	s_andn2_b64 vcc, exec, s[22:23]
	s_cbranch_vccnz .LBB162_2
; %bb.6:                                ;   in Loop: Header=BB162_3 Depth=1
	flat_load_dword v3, v[4:5] offset:4
	s_waitcnt vmcnt(0) lgkmcnt(0)
	v_xor_b32_e32 v7, 0x80000000, v3
	s_branch .LBB162_2
.LBB162_7:
	s_cmpk_eq_i32 s6, 0x84
	s_cbranch_scc0 .LBB162_9
; %bb.8:
	s_movk_i32 s3, 0xc0
	v_mad_u32_u24 v1, v0, s3, v2
	v_mov_b32_e32 v2, 1.0
	v_mov_b32_e32 v3, 0
	ds_write_b64 v1, v[2:3]
.LBB162_9:
	s_or_b64 exec, exec, s[16:17]
	s_load_dword s3, s[0:1], 0x68
	s_load_dword s6, s[0:1], 0x50
	s_lshl_b64 s[18:19], s[14:15], 3
	s_waitcnt lgkmcnt(0)
	s_add_u32 s0, s12, s18
	s_mul_i32 s11, s2, 0xffffffe8
	s_addc_u32 s1, s13, s19
	s_add_i32 s3, s3, -1
	s_add_i32 s7, s7, s11
	s_cmp_ge_u32 s2, s3
	s_mul_i32 s28, s2, 0xc0
	s_cselect_b32 s7, s7, 24
	s_mul_hi_i32 s27, s2, 0xc0
	s_add_u32 s2, s0, s28
	s_addc_u32 s3, s1, s27
	v_cmp_gt_i32_e64 s[0:1], s7, v0
	s_and_saveexec_b64 s[14:15], s[0:1]
	s_cbranch_execz .LBB162_18
; %bb.10:
	s_cmp_lt_i32 s8, 1
	s_cbranch_scc1 .LBB162_18
; %bb.11:
	s_cmp_eq_u32 s8, 1
	s_cselect_b64 s[20:21], -1, 0
	s_cmp_lg_u32 s6, 1
	s_cselect_b64 s[22:23], -1, 0
	s_or_b64 s[20:21], s[20:21], s[22:23]
	s_mov_b32 s16, s9
	s_mov_b32 s17, s10
	v_mov_b32_e32 v3, 0
	s_and_b64 vcc, exec, s[20:21]
	s_cbranch_vccnz .LBB162_15
; %bb.12:
	v_lshlrev_b32_e32 v2, 3, v0
	v_mov_b32_e32 v1, 0x1200
	s_and_b32 s29, s8, 0x7ffffffe
	s_mov_b32 s25, 0
	v_lshl_add_u64 v[2:3], s[2:3], 0, v[2:3]
	v_lshl_or_b32 v1, v0, 3, v1
	s_mov_b32 s20, s16
	s_mov_b32 s21, s9
	;; [unrolled: 1-line block ×6, first 2 shown]
.LBB162_13:                             ; =>This Inner Loop Header: Depth=1
	v_lshl_add_u64 v[4:5], s[24:25], 3, v[2:3]
	s_mov_b32 s23, s25
	v_lshl_add_u64 v[6:7], s[22:23], 3, v[2:3]
	flat_load_dwordx2 v[12:13], v[4:5]
	flat_load_dwordx2 v[8:9], v[6:7]
	s_mul_i32 s23, s22, 0xc0
	s_mul_i32 s30, s24, 0xc0
	s_add_i32 s24, s24, 2
	s_add_i32 s7, s7, -2
	s_add_i32 s22, s22, 2
	v_add_u32_e32 v10, s30, v1
	s_cmp_lg_u32 s7, 0
	v_add_u32_e32 v11, s23, v1
	s_waitcnt vmcnt(0) lgkmcnt(0)
	v_mov_b32_e32 v4, v12
	v_mov_b32_e32 v5, v8
	;; [unrolled: 1-line block ×3, first 2 shown]
	v_pk_mul_f32 v[6:7], s[10:11], v[8:9]
	v_pk_mul_f32 v[8:9], s[20:21], v[8:9]
	v_pk_fma_f32 v[6:7], s[20:21], v[4:5], v[6:7] neg_lo:[0,0,1] neg_hi:[0,0,1]
	v_pk_fma_f32 v[4:5], s[10:11], v[4:5], v[8:9]
	ds_write_b32 v10, v6
	ds_write_b32 v11, v7
	ds_write_b32 v10, v4 offset:4
	ds_write_b32 v11, v5 offset:4
	s_cbranch_scc1 .LBB162_13
; %bb.14:
	s_cmp_lg_u32 s8, s29
	s_cselect_b64 s[20:21], -1, 0
	s_and_b64 vcc, exec, s[20:21]
	s_cbranch_vccnz .LBB162_16
	s_branch .LBB162_18
.LBB162_15:
	s_mov_b32 s29, 0
	s_cbranch_execz .LBB162_18
.LBB162_16:
	s_mul_hi_i32 s21, s6, s29
	s_mul_i32 s20, s6, s29
	s_ashr_i32 s7, s6, 31
	s_mov_b32 s11, s9
	s_sub_i32 s9, s8, s29
	s_lshl_b64 s[20:21], s[20:21], 3
	s_add_u32 s20, s20, s28
	s_addc_u32 s21, s21, s27
	s_add_u32 s18, s20, s18
	s_addc_u32 s19, s21, s19
	s_add_u32 s12, s12, s18
	v_lshlrev_b32_e32 v2, 3, v0
	v_mov_b32_e32 v3, 0
	s_addc_u32 s13, s13, s19
	v_lshl_add_u64 v[2:3], s[12:13], 0, v[2:3]
	s_lshl_b64 s[12:13], s[6:7], 3
	s_mul_i32 s7, s29, 0xc0
	v_lshl_add_u32 v1, v0, 3, s7
	v_add_u32_e32 v1, 0x1200, v1
.LBB162_17:                             ; =>This Inner Loop Header: Depth=1
	flat_load_dwordx2 v[4:5], v[2:3]
	s_add_i32 s9, s9, -1
	v_lshl_add_u64 v[2:3], v[2:3], 0, s[12:13]
	s_cmp_lg_u32 s9, 0
	s_waitcnt vmcnt(0) lgkmcnt(0)
	v_pk_mul_f32 v[6:7], s[10:11], v[4:5] op_sel:[0,1]
	s_nop 0
	v_pk_fma_f32 v[8:9], s[16:17], v[4:5], v[6:7] neg_lo:[0,0,1] neg_hi:[0,0,1]
	v_pk_fma_f32 v[4:5], s[16:17], v[4:5], v[6:7] op_sel_hi:[1,0,1]
	s_nop 0
	v_mov_b32_e32 v9, v5
	ds_write_b64 v1, v[8:9]
	v_add_u32_e32 v1, 0xc0, v1
	s_cbranch_scc1 .LBB162_17
.LBB162_18:
	s_or_b64 exec, exec, s[14:15]
	s_cmpk_eq_i32 s5, 0x6f
	s_cselect_b64 s[12:13], -1, 0
	s_cmpk_lg_i32 s4, 0x79
	s_cselect_b64 s[10:11], -1, 0
	s_cmpk_eq_i32 s4, 0x79
	s_cselect_b64 s[14:15], -1, 0
	s_and_b64 s[14:15], s[14:15], s[12:13]
	s_andn2_b64 vcc, exec, s[14:15]
	s_mov_b64 s[14:15], -1
	s_waitcnt lgkmcnt(0)
	; wave barrier
	s_cbranch_vccz .LBB162_119
; %bb.19:
	s_cmpk_lg_i32 s4, 0x7a
	s_cselect_b64 s[4:5], -1, 0
	s_xor_b64 s[12:13], s[12:13], -1
	s_add_i32 s7, s26, -1
	s_or_b64 s[12:13], s[4:5], s[12:13]
	v_mov_b32_e32 v1, 0x1200
	s_cmp_gt_i32 s8, 3
	v_lshl_or_b32 v1, v0, 3, v1
	s_cselect_b64 s[4:5], -1, 0
	s_and_b64 vcc, exec, s[12:13]
	s_cbranch_vccz .LBB162_86
; %bb.20:
	s_andn2_b64 vcc, exec, s[10:11]
	s_mov_b64 s[10:11], -1
	s_cbranch_vccnz .LBB162_53
; %bb.21:
	s_andn2_b64 vcc, exec, s[4:5]
	s_mov_b32 s13, 0
	s_cbranch_vccnz .LBB162_43
; %bb.22:
	v_mov_b32_e32 v2, 0x1200
	v_lshl_or_b32 v16, v0, 3, v2
	s_mov_b32 s9, 0
	s_mov_b32 s12, 0
.LBB162_23:                             ; =>This Loop Header: Depth=1
                                        ;     Child Loop BB162_24 Depth 2
	s_or_b32 s11, s12, 3
	s_mul_i32 s10, s12, 0xc0
	v_add_u32_e32 v18, s10, v1
	s_mulk_i32 s11, 0xc0
	ds_read2_b64 v[2:5], v18 offset1:24
	v_add_u32_e32 v17, s11, v1
	ds_read_b64 v[12:13], v18 offset:384
	ds_read_b64 v[10:11], v17
	s_cmp_eq_u32 s12, 0
	v_mov_b32_e32 v6, v16
	s_mov_b32 s11, s9
	s_mov_b32 s13, s12
	s_cbranch_scc1 .LBB162_25
.LBB162_24:                             ;   Parent Loop BB162_23 Depth=1
                                        ; =>  This Inner Loop Header: Depth=2
	v_mov_b32_e32 v7, s11
	ds_read_b64 v[8:9], v6
	ds_read_b128 v[20:23], v7
	ds_read_b128 v[24:27], v7 offset:16
	s_add_i32 s13, s13, -1
	s_addk_i32 s11, 0xc0
	v_add_u32_e32 v6, 0xc0, v6
	s_waitcnt lgkmcnt(1)
	v_mul_f32_e32 v7, v21, v9
	v_mul_f32_e32 v19, v20, v9
	;; [unrolled: 1-line block ×4, first 2 shown]
	s_waitcnt lgkmcnt(0)
	v_pk_mul_f32 v[14:15], v[24:25], v[8:9] op_sel:[0,1]
	v_pk_mul_f32 v[28:29], v[26:27], v[8:9] op_sel:[0,1]
	v_fma_f32 v7, v20, v8, -v7
	v_fmac_f32_e32 v19, v21, v8
	v_fma_f32 v30, v22, v8, -v30
	v_fmac_f32_e32 v31, v22, v9
	v_pk_fma_f32 v[20:21], v[24:25], v[8:9], v[14:15] op_sel:[0,0,1] op_sel_hi:[1,1,0] neg_lo:[0,0,1] neg_hi:[0,0,1]
	v_pk_fma_f32 v[14:15], v[24:25], v[8:9], v[14:15] op_sel:[0,0,1] op_sel_hi:[1,0,0]
	v_pk_fma_f32 v[22:23], v[26:27], v[8:9], v[28:29] op_sel:[0,0,1] op_sel_hi:[1,1,0] neg_lo:[0,0,1] neg_hi:[0,0,1]
	v_pk_fma_f32 v[8:9], v[26:27], v[8:9], v[28:29] op_sel:[0,0,1] op_sel_hi:[1,0,0]
	v_mov_b32_e32 v21, v15
	v_mov_b32_e32 v23, v9
	s_cmp_eq_u32 s13, 0
	v_sub_f32_e32 v2, v2, v7
	v_sub_f32_e32 v3, v3, v19
	;; [unrolled: 1-line block ×4, first 2 shown]
	v_pk_add_f32 v[12:13], v[12:13], v[20:21] neg_lo:[0,1] neg_hi:[0,1]
	v_pk_add_f32 v[10:11], v[10:11], v[22:23] neg_lo:[0,1] neg_hi:[0,1]
	s_cbranch_scc0 .LBB162_24
.LBB162_25:                             ;   in Loop: Header=BB162_23 Depth=1
	s_lshl_b32 s13, s12, 3
	s_add_i32 s14, s13, s10
	v_mov_b32_e32 v6, s14
	ds_read_b64 v[6:7], v6
	s_mov_b64 s[10:11], -1
                                        ; implicit-def: $vgpr15
	s_waitcnt lgkmcnt(0)
	v_cmp_ngt_f32_e64 s[16:17], |v6|, |v7|
	s_and_b64 vcc, exec, s[16:17]
	s_cbranch_vccz .LBB162_27
; %bb.26:                               ;   in Loop: Header=BB162_23 Depth=1
	v_div_scale_f32 v8, s[10:11], v7, v7, v6
	v_rcp_f32_e32 v9, v8
	v_div_scale_f32 v14, vcc, v6, v7, v6
	v_fma_f32 v15, -v8, v9, 1.0
	v_fmac_f32_e32 v9, v15, v9
	v_mul_f32_e32 v15, v14, v9
	v_fma_f32 v19, -v8, v15, v14
	v_fmac_f32_e32 v15, v19, v9
	v_fma_f32 v8, -v8, v15, v14
	v_div_fmas_f32 v8, v8, v9, v15
	v_div_fixup_f32 v8, v8, v7, v6
	v_fma_f32 v9, v6, v8, v7
	v_div_scale_f32 v14, s[10:11], v9, v9, 1.0
	v_rcp_f32_e32 v15, v14
	s_mov_b64 s[10:11], 0
	v_fma_f32 v19, -v14, v15, 1.0
	v_fmac_f32_e32 v15, v19, v15
	v_div_scale_f32 v19, vcc, 1.0, v9, 1.0
	v_mul_f32_e32 v20, v19, v15
	v_fma_f32 v21, -v14, v20, v19
	v_fmac_f32_e32 v20, v21, v15
	v_fma_f32 v14, -v14, v20, v19
	v_div_fmas_f32 v14, v14, v15, v20
	v_div_fixup_f32 v9, v14, v9, 1.0
	v_fma_f32 v14, v2, v8, v3
	v_fma_f32 v8, v3, v8, -v2
	v_mul_f32_e32 v14, v14, v9
	v_mul_f32_e32 v15, v8, v9
.LBB162_27:                             ;   in Loop: Header=BB162_23 Depth=1
	s_andn2_b64 vcc, exec, s[10:11]
	s_cbranch_vccnz .LBB162_29
; %bb.28:                               ;   in Loop: Header=BB162_23 Depth=1
	v_div_scale_f32 v8, s[10:11], v6, v6, v7
	v_rcp_f32_e32 v9, v8
	v_div_scale_f32 v14, vcc, v7, v6, v7
	v_fma_f32 v15, -v8, v9, 1.0
	v_fmac_f32_e32 v9, v15, v9
	v_mul_f32_e32 v15, v14, v9
	v_fma_f32 v19, -v8, v15, v14
	v_fmac_f32_e32 v15, v19, v9
	v_fma_f32 v8, -v8, v15, v14
	v_div_fmas_f32 v8, v8, v9, v15
	v_div_fixup_f32 v8, v8, v6, v7
	v_fmac_f32_e32 v6, v7, v8
	v_div_scale_f32 v7, s[10:11], v6, v6, 1.0
	v_rcp_f32_e32 v9, v7
	s_nop 0
	v_fma_f32 v14, -v7, v9, 1.0
	v_fmac_f32_e32 v9, v14, v9
	v_div_scale_f32 v14, vcc, 1.0, v6, 1.0
	v_mul_f32_e32 v15, v14, v9
	v_fma_f32 v19, -v7, v15, v14
	v_fmac_f32_e32 v15, v19, v9
	v_fma_f32 v7, -v7, v15, v14
	v_div_fmas_f32 v7, v7, v9, v15
	v_div_fixup_f32 v6, v7, v6, 1.0
	v_fma_f32 v7, v3, v8, v2
	v_fma_f32 v2, -v2, v8, v3
	v_mul_f32_e32 v14, v7, v6
	v_mul_f32_e32 v15, v2, v6
.LBB162_29:                             ;   in Loop: Header=BB162_23 Depth=1
	v_mov_b32_e32 v2, s14
	ds_read2_b64 v[6:9], v2 offset0:1 offset1:25
	s_mov_b64 s[10:11], -1
	ds_write_b64 v18, v[14:15]
	s_waitcnt lgkmcnt(1)
	v_mul_f32_e32 v2, v15, v7
	v_mul_f32_e32 v3, v14, v7
	v_fma_f32 v2, v14, v6, -v2
	v_fmac_f32_e32 v3, v15, v6
	v_cmp_ngt_f32_e64 s[16:17], |v8|, |v9|
	v_sub_f32_e32 v2, v4, v2
	v_sub_f32_e32 v3, v5, v3
	s_and_b64 vcc, exec, s[16:17]
                                        ; implicit-def: $vgpr7
	s_cbranch_vccz .LBB162_31
; %bb.30:                               ;   in Loop: Header=BB162_23 Depth=1
	v_div_scale_f32 v4, s[10:11], v9, v9, v8
	v_rcp_f32_e32 v5, v4
	v_div_scale_f32 v6, vcc, v8, v9, v8
	v_fma_f32 v7, -v4, v5, 1.0
	v_fmac_f32_e32 v5, v7, v5
	v_mul_f32_e32 v7, v6, v5
	v_fma_f32 v19, -v4, v7, v6
	v_fmac_f32_e32 v7, v19, v5
	v_fma_f32 v4, -v4, v7, v6
	v_div_fmas_f32 v4, v4, v5, v7
	v_div_fixup_f32 v4, v4, v9, v8
	v_fma_f32 v5, v8, v4, v9
	v_div_scale_f32 v6, s[10:11], v5, v5, 1.0
	v_rcp_f32_e32 v7, v6
	s_mov_b64 s[10:11], 0
	v_fma_f32 v19, -v6, v7, 1.0
	v_fmac_f32_e32 v7, v19, v7
	v_div_scale_f32 v19, vcc, 1.0, v5, 1.0
	v_mul_f32_e32 v20, v19, v7
	v_fma_f32 v21, -v6, v20, v19
	v_fmac_f32_e32 v20, v21, v7
	v_fma_f32 v6, -v6, v20, v19
	v_div_fmas_f32 v6, v6, v7, v20
	v_div_fixup_f32 v5, v6, v5, 1.0
	v_fma_f32 v6, v4, v2, v3
	v_fma_f32 v4, v4, v3, -v2
	v_mul_f32_e32 v6, v6, v5
	v_mul_f32_e32 v7, v4, v5
.LBB162_31:                             ;   in Loop: Header=BB162_23 Depth=1
	s_andn2_b64 vcc, exec, s[10:11]
	s_cbranch_vccnz .LBB162_33
; %bb.32:                               ;   in Loop: Header=BB162_23 Depth=1
	v_div_scale_f32 v4, s[10:11], v8, v8, v9
	v_rcp_f32_e32 v5, v4
	v_div_scale_f32 v6, vcc, v9, v8, v9
	v_fma_f32 v7, -v4, v5, 1.0
	v_fmac_f32_e32 v5, v7, v5
	v_mul_f32_e32 v7, v6, v5
	v_fma_f32 v19, -v4, v7, v6
	v_fmac_f32_e32 v7, v19, v5
	v_fma_f32 v4, -v4, v7, v6
	v_div_fmas_f32 v4, v4, v5, v7
	v_div_fixup_f32 v4, v4, v8, v9
	v_fmac_f32_e32 v8, v9, v4
	v_div_scale_f32 v5, s[10:11], v8, v8, 1.0
	v_rcp_f32_e32 v6, v5
	s_nop 0
	v_fma_f32 v7, -v5, v6, 1.0
	v_fmac_f32_e32 v6, v7, v6
	v_div_scale_f32 v7, vcc, 1.0, v8, 1.0
	v_mul_f32_e32 v9, v7, v6
	v_fma_f32 v19, -v5, v9, v7
	v_fmac_f32_e32 v9, v19, v6
	v_fma_f32 v5, -v5, v9, v7
	v_div_fmas_f32 v5, v5, v6, v9
	v_div_fixup_f32 v5, v5, v8, 1.0
	v_fma_f32 v6, v4, v3, v2
	v_fma_f32 v2, -v4, v2, v3
	v_mul_f32_e32 v6, v6, v5
	v_mul_f32_e32 v7, v2, v5
.LBB162_33:                             ;   in Loop: Header=BB162_23 Depth=1
	s_add_i32 s15, s14, 0xc8
	s_or_b32 s10, s13, 8
	v_mov_b32_e32 v2, s14
	s_sub_i32 s16, s15, s10
	ds_read2_b64 v[2:5], v2 offset0:2 offset1:50
	s_add_i32 s16, s16, s13
	v_mov_b32_e32 v19, s16
	ds_read_b64 v[22:23], v19 offset:16
	v_mov_b32_e32 v8, v15
	s_waitcnt lgkmcnt(1)
	v_pk_mul_f32 v[8:9], v[8:9], v[2:3] op_sel_hi:[0,1]
	v_pk_fma_f32 v[20:21], v[14:15], v[2:3], v[8:9] op_sel:[0,0,1] op_sel_hi:[1,1,0] neg_lo:[0,0,1] neg_hi:[0,0,1]
	v_pk_fma_f32 v[2:3], v[14:15], v[2:3], v[8:9] op_sel:[0,0,1] op_sel_hi:[0,1,0]
	v_mov_b32_e32 v8, v7
	v_mov_b32_e32 v21, v3
	s_waitcnt lgkmcnt(0)
	v_pk_mul_f32 v[8:9], v[8:9], v[22:23] op_sel_hi:[0,1]
	v_pk_add_f32 v[2:3], v[12:13], v[20:21] neg_lo:[0,1] neg_hi:[0,1]
	v_pk_fma_f32 v[12:13], v[6:7], v[22:23], v[8:9] op_sel:[0,0,1] op_sel_hi:[1,1,0] neg_lo:[0,0,1] neg_hi:[0,0,1]
	v_pk_fma_f32 v[8:9], v[6:7], v[22:23], v[8:9] op_sel:[0,0,1] op_sel_hi:[0,1,0]
	v_mov_b32_e32 v13, v9
	v_cmp_ngt_f32_e64 s[18:19], |v4|, |v5|
	v_pk_add_f32 v[2:3], v[2:3], v[12:13] neg_lo:[0,1] neg_hi:[0,1]
	s_mov_b64 s[10:11], -1
	s_and_b64 vcc, exec, s[18:19]
	ds_write_b64 v18, v[6:7] offset:192
                                        ; implicit-def: $vgpr8_vgpr9
	s_cbranch_vccz .LBB162_35
; %bb.34:                               ;   in Loop: Header=BB162_23 Depth=1
	v_div_scale_f32 v8, s[10:11], v5, v5, v4
	v_rcp_f32_e32 v9, v8
	v_div_scale_f32 v12, vcc, v4, v5, v4
	v_fma_f32 v13, -v8, v9, 1.0
	v_fmac_f32_e32 v9, v13, v9
	v_mul_f32_e32 v13, v12, v9
	v_fma_f32 v19, -v8, v13, v12
	v_fmac_f32_e32 v13, v19, v9
	v_fma_f32 v8, -v8, v13, v12
	v_div_fmas_f32 v8, v8, v9, v13
	v_div_fixup_f32 v8, v8, v5, v4
	v_fma_f32 v9, v4, v8, v5
	v_div_scale_f32 v19, s[10:11], v9, v9, 1.0
	v_rcp_f32_e32 v20, v19
	v_pk_fma_f32 v[12:13], v[8:9], v[2:3], v[2:3] op_sel:[0,0,1] op_sel_hi:[1,1,0]
	s_mov_b64 s[10:11], 0
	v_fma_f32 v13, -v19, v20, 1.0
	v_fmac_f32_e32 v20, v13, v20
	v_div_scale_f32 v13, vcc, 1.0, v9, 1.0
	v_mul_f32_e32 v21, v13, v20
	v_fma_f32 v22, -v19, v21, v13
	v_fmac_f32_e32 v21, v22, v20
	v_fma_f32 v13, -v19, v21, v13
	v_div_fmas_f32 v13, v13, v20, v21
	v_div_fixup_f32 v13, v13, v9, 1.0
	v_fma_f32 v9, v8, v3, -v2
	v_mov_b32_e32 v8, v13
	v_pk_mul_f32 v[8:9], v[12:13], v[8:9]
.LBB162_35:                             ;   in Loop: Header=BB162_23 Depth=1
	s_andn2_b64 vcc, exec, s[10:11]
	s_cbranch_vccnz .LBB162_37
; %bb.36:                               ;   in Loop: Header=BB162_23 Depth=1
	v_div_scale_f32 v8, s[10:11], v4, v4, v5
	v_rcp_f32_e32 v9, v8
	v_div_scale_f32 v12, vcc, v5, v4, v5
	v_fma_f32 v13, -v8, v9, 1.0
	v_fmac_f32_e32 v9, v13, v9
	v_mul_f32_e32 v13, v12, v9
	v_fma_f32 v19, -v8, v13, v12
	v_fmac_f32_e32 v13, v19, v9
	v_fma_f32 v8, -v8, v13, v12
	v_div_fmas_f32 v8, v8, v9, v13
	v_div_fixup_f32 v8, v8, v4, v5
	v_fma_f32 v4, v5, v8, v4
	v_div_scale_f32 v5, s[10:11], v4, v4, 1.0
	v_rcp_f32_e32 v9, v5
	s_nop 0
	v_fma_f32 v12, -v5, v9, 1.0
	v_fmac_f32_e32 v9, v12, v9
	v_div_scale_f32 v12, vcc, 1.0, v4, 1.0
	v_mul_f32_e32 v13, v12, v9
	v_fma_f32 v19, -v5, v13, v12
	v_fmac_f32_e32 v13, v19, v9
	v_fma_f32 v5, -v5, v13, v12
	v_div_fmas_f32 v5, v5, v9, v13
	v_pk_fma_f32 v[12:13], v[8:9], v[2:3], v[2:3] op_sel:[0,1,0] op_sel_hi:[1,0,1]
	v_pk_fma_f32 v[2:3], v[8:9], v[2:3], v[2:3] op_sel:[0,1,0] op_sel_hi:[0,0,1] neg_lo:[1,0,0] neg_hi:[1,0,0]
	v_div_fixup_f32 v4, v5, v4, 1.0
	v_mov_b32_e32 v13, v3
	v_pk_mul_f32 v[8:9], v[12:13], v[4:5] op_sel_hi:[1,0]
.LBB162_37:                             ;   in Loop: Header=BB162_23 Depth=1
	v_mov_b32_e32 v2, s14
	ds_read2_b64 v[2:5], v2 offset0:3 offset1:75
	v_mov_b32_e32 v12, v15
	v_mov_b32_e32 v13, v15
	;; [unrolled: 1-line block ×3, first 2 shown]
	s_or_b32 s10, s13, 16
	s_waitcnt lgkmcnt(0)
	v_pk_mul_f32 v[12:13], v[12:13], v[2:3]
	ds_write_b64 v18, v[8:9] offset:384
	v_pk_fma_f32 v[18:19], v[14:15], v[2:3], v[12:13] op_sel:[0,0,1] op_sel_hi:[1,1,0] neg_lo:[0,0,1] neg_hi:[0,0,1]
	v_pk_fma_f32 v[2:3], v[14:15], v[2:3], v[12:13] op_sel:[0,0,1] op_sel_hi:[1,1,0]
	s_sub_i32 s10, s15, s10
	v_mov_b32_e32 v2, s16
	s_add_i32 s10, s10, s13
	ds_read_b64 v[12:13], v2 offset:24
	v_mov_b32_e32 v19, v3
	v_pk_add_f32 v[2:3], v[10:11], v[18:19] neg_lo:[0,1] neg_hi:[0,1]
	v_mov_b32_e32 v10, s10
	ds_read_b64 v[10:11], v10 offset:224
	v_mov_b32_e32 v20, v7
	v_mov_b32_e32 v21, v7
	v_mov_b32_e32 v7, v6
	s_waitcnt lgkmcnt(1)
	v_pk_mul_f32 v[14:15], v[20:21], v[12:13]
	v_cmp_ngt_f32_e64 s[14:15], |v4|, |v5|
	v_pk_fma_f32 v[18:19], v[6:7], v[12:13], v[14:15] op_sel:[0,0,1] op_sel_hi:[1,1,0] neg_lo:[0,0,1] neg_hi:[0,0,1]
	v_pk_fma_f32 v[6:7], v[6:7], v[12:13], v[14:15] op_sel:[0,0,1] op_sel_hi:[1,1,0]
	s_mov_b64 s[10:11], -1
	v_mov_b32_e32 v19, v7
	s_waitcnt lgkmcnt(0)
	v_pk_mul_f32 v[6:7], v[8:9], v[10:11] op_sel:[1,1] op_sel_hi:[1,0]
	v_pk_add_f32 v[2:3], v[2:3], v[18:19] neg_lo:[0,1] neg_hi:[0,1]
	v_pk_fma_f32 v[12:13], v[8:9], v[10:11], v[6:7] neg_lo:[0,0,1] neg_hi:[0,0,1]
	v_pk_fma_f32 v[6:7], v[8:9], v[10:11], v[6:7] op_sel_hi:[0,1,1]
	v_mov_b32_e32 v13, v7
	v_pk_add_f32 v[2:3], v[2:3], v[12:13] neg_lo:[0,1] neg_hi:[0,1]
	s_and_b64 vcc, exec, s[14:15]
                                        ; implicit-def: $vgpr6_vgpr7
	s_cbranch_vccz .LBB162_39
; %bb.38:                               ;   in Loop: Header=BB162_23 Depth=1
	v_div_scale_f32 v6, s[10:11], v5, v5, v4
	v_rcp_f32_e32 v7, v6
	v_div_scale_f32 v8, vcc, v4, v5, v4
	v_fma_f32 v9, -v6, v7, 1.0
	v_fmac_f32_e32 v7, v9, v7
	v_mul_f32_e32 v9, v8, v7
	v_fma_f32 v10, -v6, v9, v8
	v_fmac_f32_e32 v9, v10, v7
	v_fma_f32 v6, -v6, v9, v8
	v_div_fmas_f32 v6, v6, v7, v9
	v_div_fixup_f32 v6, v6, v5, v4
	v_fma_f32 v7, v4, v6, v5
	v_div_scale_f32 v10, s[10:11], v7, v7, 1.0
	v_rcp_f32_e32 v11, v10
	v_pk_fma_f32 v[8:9], v[6:7], v[2:3], v[2:3] op_sel:[0,0,1] op_sel_hi:[1,1,0]
	s_mov_b64 s[10:11], 0
	v_fma_f32 v9, -v10, v11, 1.0
	v_fmac_f32_e32 v11, v9, v11
	v_div_scale_f32 v9, vcc, 1.0, v7, 1.0
	v_mul_f32_e32 v12, v9, v11
	v_fma_f32 v13, -v10, v12, v9
	v_fmac_f32_e32 v12, v13, v11
	v_fma_f32 v9, -v10, v12, v9
	v_div_fmas_f32 v9, v9, v11, v12
	v_div_fixup_f32 v9, v9, v7, 1.0
	v_fma_f32 v7, v6, v3, -v2
	v_mov_b32_e32 v6, v9
	v_pk_mul_f32 v[6:7], v[8:9], v[6:7]
.LBB162_39:                             ;   in Loop: Header=BB162_23 Depth=1
	s_andn2_b64 vcc, exec, s[10:11]
	s_cbranch_vccnz .LBB162_41
; %bb.40:                               ;   in Loop: Header=BB162_23 Depth=1
	v_div_scale_f32 v6, s[10:11], v4, v4, v5
	v_rcp_f32_e32 v7, v6
	v_div_scale_f32 v8, vcc, v5, v4, v5
	v_fma_f32 v9, -v6, v7, 1.0
	v_fmac_f32_e32 v7, v9, v7
	v_mul_f32_e32 v9, v8, v7
	v_fma_f32 v10, -v6, v9, v8
	v_fmac_f32_e32 v9, v10, v7
	v_fma_f32 v6, -v6, v9, v8
	v_div_fmas_f32 v6, v6, v7, v9
	v_div_fixup_f32 v6, v6, v4, v5
	v_fma_f32 v4, v5, v6, v4
	v_div_scale_f32 v5, s[10:11], v4, v4, 1.0
	v_rcp_f32_e32 v7, v5
	s_nop 0
	v_fma_f32 v8, -v5, v7, 1.0
	v_fmac_f32_e32 v7, v8, v7
	v_div_scale_f32 v8, vcc, 1.0, v4, 1.0
	v_mul_f32_e32 v9, v8, v7
	v_fma_f32 v10, -v5, v9, v8
	v_fmac_f32_e32 v9, v10, v7
	v_fma_f32 v5, -v5, v9, v8
	v_div_fmas_f32 v5, v5, v7, v9
	v_pk_fma_f32 v[8:9], v[6:7], v[2:3], v[2:3] op_sel:[0,1,0] op_sel_hi:[1,0,1]
	v_pk_fma_f32 v[2:3], v[6:7], v[2:3], v[2:3] op_sel:[0,1,0] op_sel_hi:[0,0,1] neg_lo:[1,0,0] neg_hi:[1,0,0]
	v_div_fixup_f32 v4, v5, v4, 1.0
	v_mov_b32_e32 v9, v3
	v_pk_mul_f32 v[6:7], v[8:9], v[4:5] op_sel_hi:[1,0]
.LBB162_41:                             ;   in Loop: Header=BB162_23 Depth=1
	s_add_i32 s13, s12, 4
	s_add_i32 s10, s12, 7
	;; [unrolled: 1-line block ×3, first 2 shown]
	s_cmp_ge_i32 s10, s26
	ds_write_b64 v17, v[6:7]
	s_cbranch_scc1 .LBB162_43
; %bb.42:                               ;   in Loop: Header=BB162_23 Depth=1
	s_mov_b32 s12, s13
	s_branch .LBB162_23
.LBB162_43:
	s_cmp_ge_i32 s13, s26
	s_cbranch_scc1 .LBB162_52
; %bb.44:
	v_mov_b32_e32 v2, 0x1200
	s_lshl_b32 s9, s13, 3
	v_lshl_or_b32 v8, v0, 3, v2
	s_branch .LBB162_46
.LBB162_45:                             ;   in Loop: Header=BB162_46 Depth=1
	s_add_i32 s13, s13, 1
	s_add_i32 s9, s9, 8
	s_cmp_ge_i32 s13, s26
	ds_write_b64 v9, v[6:7]
	s_cbranch_scc1 .LBB162_52
.LBB162_46:                             ; =>This Loop Header: Depth=1
                                        ;     Child Loop BB162_47 Depth 2
	s_mul_i32 s10, s13, 0xc0
	v_add_u32_e32 v9, s10, v1
	ds_read_b64 v[2:3], v9
	s_cmp_eq_u32 s13, 0
	v_mov_b32_e32 v4, v8
	s_mov_b32 s11, s9
	s_mov_b32 s12, s13
	s_cbranch_scc1 .LBB162_48
.LBB162_47:                             ;   Parent Loop BB162_46 Depth=1
                                        ; =>  This Inner Loop Header: Depth=2
	v_mov_b32_e32 v5, s11
	ds_read_b64 v[6:7], v4
	ds_read_b64 v[10:11], v5
	s_add_i32 s12, s12, -1
	s_addk_i32 s11, 0xc0
	v_add_u32_e32 v4, 0xc0, v4
	s_cmp_eq_u32 s12, 0
	s_waitcnt lgkmcnt(0)
	v_pk_mul_f32 v[12:13], v[10:11], v[6:7] op_sel:[1,1] op_sel_hi:[0,1]
	v_pk_fma_f32 v[14:15], v[10:11], v[6:7], v[12:13] op_sel_hi:[1,0,1]
	v_pk_fma_f32 v[6:7], v[10:11], v[6:7], v[12:13] op_sel_hi:[1,0,1] neg_lo:[0,0,1] neg_hi:[0,0,1]
	s_nop 0
	v_mov_b32_e32 v7, v15
	v_pk_add_f32 v[2:3], v[2:3], v[6:7] neg_lo:[0,1] neg_hi:[0,1]
	s_cbranch_scc0 .LBB162_47
.LBB162_48:                             ;   in Loop: Header=BB162_46 Depth=1
	s_lshl_b32 s11, s13, 3
	s_add_i32 s10, s11, s10
	v_mov_b32_e32 v4, s10
	ds_read_b64 v[4:5], v4
	s_mov_b64 s[10:11], -1
                                        ; implicit-def: $vgpr6_vgpr7
	s_waitcnt lgkmcnt(0)
	v_cmp_ngt_f32_e64 s[14:15], |v4|, |v5|
	s_and_b64 vcc, exec, s[14:15]
	s_cbranch_vccz .LBB162_50
; %bb.49:                               ;   in Loop: Header=BB162_46 Depth=1
	v_div_scale_f32 v6, s[10:11], v5, v5, v4
	v_rcp_f32_e32 v7, v6
	v_div_scale_f32 v10, vcc, v4, v5, v4
	v_fma_f32 v11, -v6, v7, 1.0
	v_fmac_f32_e32 v7, v11, v7
	v_mul_f32_e32 v11, v10, v7
	v_fma_f32 v12, -v6, v11, v10
	v_fmac_f32_e32 v11, v12, v7
	v_fma_f32 v6, -v6, v11, v10
	v_div_fmas_f32 v6, v6, v7, v11
	v_div_fixup_f32 v6, v6, v5, v4
	v_fma_f32 v7, v4, v6, v5
	v_div_scale_f32 v10, s[10:11], v7, v7, 1.0
	v_rcp_f32_e32 v11, v10
	s_mov_b64 s[10:11], 0
	v_fma_f32 v12, -v10, v11, 1.0
	v_fmac_f32_e32 v11, v12, v11
	v_div_scale_f32 v12, vcc, 1.0, v7, 1.0
	v_mul_f32_e32 v13, v12, v11
	v_fma_f32 v14, -v10, v13, v12
	v_fmac_f32_e32 v13, v14, v11
	v_fma_f32 v10, -v10, v13, v12
	v_div_fmas_f32 v10, v10, v11, v13
	v_div_fixup_f32 v10, v10, v7, 1.0
	v_pk_fma_f32 v[12:13], v[2:3], v[6:7], v[2:3] op_sel:[0,0,1] op_sel_hi:[1,0,0] neg_lo:[0,0,1] neg_hi:[0,0,1]
	v_pk_fma_f32 v[6:7], v[2:3], v[6:7], v[2:3] op_sel:[0,0,1] op_sel_hi:[1,0,0]
	s_nop 0
	v_mov_b32_e32 v7, v13
	v_pk_mul_f32 v[6:7], v[6:7], v[10:11] op_sel_hi:[1,0]
.LBB162_50:                             ;   in Loop: Header=BB162_46 Depth=1
	s_andn2_b64 vcc, exec, s[10:11]
	s_cbranch_vccnz .LBB162_45
; %bb.51:                               ;   in Loop: Header=BB162_46 Depth=1
	v_div_scale_f32 v6, s[10:11], v4, v4, v5
	v_rcp_f32_e32 v7, v6
	v_div_scale_f32 v10, vcc, v5, v4, v5
	v_fma_f32 v11, -v6, v7, 1.0
	v_fmac_f32_e32 v7, v11, v7
	v_mul_f32_e32 v11, v10, v7
	v_fma_f32 v12, -v6, v11, v10
	v_fmac_f32_e32 v11, v12, v7
	v_fma_f32 v6, -v6, v11, v10
	v_div_fmas_f32 v6, v6, v7, v11
	v_div_fixup_f32 v6, v6, v4, v5
	v_fmac_f32_e32 v4, v5, v6
	v_div_scale_f32 v5, s[10:11], v4, v4, 1.0
	v_rcp_f32_e32 v7, v5
	s_nop 0
	v_fma_f32 v10, -v5, v7, 1.0
	v_fmac_f32_e32 v7, v10, v7
	v_div_scale_f32 v10, vcc, 1.0, v4, 1.0
	v_mul_f32_e32 v11, v10, v7
	v_fma_f32 v12, -v5, v11, v10
	v_fmac_f32_e32 v11, v12, v7
	v_fma_f32 v5, -v5, v11, v10
	v_div_fmas_f32 v5, v5, v7, v11
	v_pk_fma_f32 v[10:11], v[2:3], v[6:7], v[2:3] op_sel:[1,0,0] op_sel_hi:[0,0,1] neg_lo:[1,0,0] neg_hi:[1,0,0]
	v_pk_fma_f32 v[2:3], v[2:3], v[6:7], v[2:3] op_sel:[1,0,0] op_sel_hi:[0,0,1]
	v_div_fixup_f32 v4, v5, v4, 1.0
	v_mov_b32_e32 v3, v11
	v_pk_mul_f32 v[6:7], v[2:3], v[4:5] op_sel_hi:[1,0]
	s_branch .LBB162_45
.LBB162_52:
	s_mov_b64 s[10:11], 0
.LBB162_53:
	s_and_b64 vcc, exec, s[10:11]
	s_cbranch_vccz .LBB162_85
; %bb.54:
	s_andn2_b64 vcc, exec, s[4:5]
	s_mov_b32 s13, s7
	s_cbranch_vccnz .LBB162_76
; %bb.55:
	s_mul_i32 s10, s26, 0xc0
	v_lshl_add_u32 v2, v0, 3, s10
	s_mul_i32 s9, s26, 0xc8
	v_add_u32_e32 v14, 0x1140, v2
	s_mov_b32 s12, s7
.LBB162_56:                             ; =>This Loop Header: Depth=1
                                        ;     Child Loop BB162_57 Depth 2
	s_mul_i32 s10, s12, 0xc0
	v_add_u32_e32 v18, s10, v1
	s_add_i32 s13, s10, 0xfffffdc0
	v_add_u32_e32 v17, 0xffffff40, v18
	v_add_u32_e32 v16, 0xfffffe80, v18
	;; [unrolled: 1-line block ×3, first 2 shown]
	ds_read_b64 v[10:11], v18
	ds_read_b64 v[8:9], v17
	;; [unrolled: 1-line block ×4, first 2 shown]
	s_cmp_le_i32 s7, s12
	v_mov_b32_e32 v6, v14
	s_mov_b32 s11, s9
	s_mov_b32 s14, s7
	s_cbranch_scc1 .LBB162_58
.LBB162_57:                             ;   Parent Loop BB162_56 Depth=1
                                        ; =>  This Inner Loop Header: Depth=2
	s_add_i32 s15, s11, 0xffffff30
	s_add_i32 s16, s11, 0xffffff20
	v_mov_b32_e32 v7, s15
	ds_read_b64 v[12:13], v6
	v_mov_b32_e32 v19, s16
	ds_read2_b64 v[20:23], v7 offset1:1
	ds_read2_b64 v[24:27], v19 offset1:1
	s_add_i32 s14, s14, -1
	s_addk_i32 s11, 0xff40
	v_add_u32_e32 v6, 0xffffff40, v6
	s_waitcnt lgkmcnt(1)
	v_mul_f32_e32 v7, v23, v13
	v_mul_f32_e32 v19, v22, v13
	;; [unrolled: 1-line block ×4, first 2 shown]
	s_waitcnt lgkmcnt(0)
	v_pk_mul_f32 v[28:29], v[26:27], v[12:13] op_sel:[0,1]
	v_pk_mul_f32 v[30:31], v[24:25], v[12:13] op_sel:[0,1]
	v_fma_f32 v7, v22, v12, -v7
	v_fmac_f32_e32 v19, v23, v12
	v_fma_f32 v32, v20, v12, -v32
	v_fmac_f32_e32 v33, v20, v13
	v_pk_fma_f32 v[20:21], v[26:27], v[12:13], v[28:29] op_sel:[0,0,1] op_sel_hi:[1,1,0] neg_lo:[0,0,1] neg_hi:[0,0,1]
	v_pk_fma_f32 v[22:23], v[26:27], v[12:13], v[28:29] op_sel:[0,0,1] op_sel_hi:[1,0,0]
	v_pk_fma_f32 v[26:27], v[24:25], v[12:13], v[30:31] op_sel:[0,0,1] op_sel_hi:[1,1,0] neg_lo:[0,0,1] neg_hi:[0,0,1]
	v_pk_fma_f32 v[12:13], v[24:25], v[12:13], v[30:31] op_sel:[0,0,1] op_sel_hi:[1,0,0]
	v_mov_b32_e32 v21, v23
	v_mov_b32_e32 v27, v13
	s_cmp_le_i32 s14, s12
	v_sub_f32_e32 v10, v10, v7
	v_sub_f32_e32 v11, v11, v19
	;; [unrolled: 1-line block ×4, first 2 shown]
	v_pk_add_f32 v[4:5], v[4:5], v[20:21] neg_lo:[0,1] neg_hi:[0,1]
	v_pk_add_f32 v[2:3], v[2:3], v[26:27] neg_lo:[0,1] neg_hi:[0,1]
	s_cbranch_scc0 .LBB162_57
.LBB162_58:                             ;   in Loop: Header=BB162_56 Depth=1
	s_lshl_b32 s16, s12, 3
	s_add_i32 s15, s16, s10
	v_mov_b32_e32 v6, s15
	ds_read_b64 v[12:13], v6
	s_add_i32 s14, s12, -3
	s_mov_b64 s[10:11], -1
                                        ; implicit-def: $vgpr7
	s_waitcnt lgkmcnt(0)
	v_cmp_ngt_f32_e64 s[18:19], |v12|, |v13|
	s_and_b64 vcc, exec, s[18:19]
	s_cbranch_vccz .LBB162_60
; %bb.59:                               ;   in Loop: Header=BB162_56 Depth=1
	v_div_scale_f32 v6, s[10:11], v13, v13, v12
	v_rcp_f32_e32 v7, v6
	v_div_scale_f32 v19, vcc, v12, v13, v12
	v_fma_f32 v20, -v6, v7, 1.0
	v_fmac_f32_e32 v7, v20, v7
	v_mul_f32_e32 v20, v19, v7
	v_fma_f32 v21, -v6, v20, v19
	v_fmac_f32_e32 v20, v21, v7
	v_fma_f32 v6, -v6, v20, v19
	v_div_fmas_f32 v6, v6, v7, v20
	v_div_fixup_f32 v7, v6, v13, v12
	v_fma_f32 v6, v12, v7, v13
	v_div_scale_f32 v19, s[10:11], v6, v6, 1.0
	v_rcp_f32_e32 v20, v19
	s_mov_b64 s[10:11], 0
	v_fma_f32 v21, -v19, v20, 1.0
	v_fmac_f32_e32 v20, v21, v20
	v_div_scale_f32 v21, vcc, 1.0, v6, 1.0
	v_mul_f32_e32 v22, v21, v20
	v_fma_f32 v23, -v19, v22, v21
	v_fmac_f32_e32 v22, v23, v20
	v_fma_f32 v19, -v19, v22, v21
	v_div_fmas_f32 v19, v19, v20, v22
	v_div_fixup_f32 v19, v19, v6, 1.0
	v_fma_f32 v6, v10, v7, v11
	v_fma_f32 v7, v11, v7, -v10
	v_mul_f32_e32 v6, v6, v19
	v_mul_f32_e32 v7, v7, v19
.LBB162_60:                             ;   in Loop: Header=BB162_56 Depth=1
	s_andn2_b64 vcc, exec, s[10:11]
	s_cbranch_vccnz .LBB162_62
; %bb.61:                               ;   in Loop: Header=BB162_56 Depth=1
	v_div_scale_f32 v6, s[10:11], v12, v12, v13
	v_rcp_f32_e32 v7, v6
	v_div_scale_f32 v19, vcc, v13, v12, v13
	v_fma_f32 v20, -v6, v7, 1.0
	v_fmac_f32_e32 v7, v20, v7
	v_mul_f32_e32 v20, v19, v7
	v_fma_f32 v21, -v6, v20, v19
	v_fmac_f32_e32 v20, v21, v7
	v_fma_f32 v6, -v6, v20, v19
	v_div_fmas_f32 v6, v6, v7, v20
	v_div_fixup_f32 v7, v6, v12, v13
	v_fmac_f32_e32 v12, v13, v7
	v_div_scale_f32 v6, s[10:11], v12, v12, 1.0
	v_rcp_f32_e32 v13, v6
	s_nop 0
	v_fma_f32 v19, -v6, v13, 1.0
	v_fmac_f32_e32 v13, v19, v13
	v_div_scale_f32 v19, vcc, 1.0, v12, 1.0
	v_mul_f32_e32 v20, v19, v13
	v_fma_f32 v21, -v6, v20, v19
	v_fmac_f32_e32 v20, v21, v13
	v_fma_f32 v6, -v6, v20, v19
	v_div_fmas_f32 v6, v6, v13, v20
	v_div_fixup_f32 v12, v6, v12, 1.0
	v_fma_f32 v6, v11, v7, v10
	v_fma_f32 v7, -v10, v7, v11
	v_mul_f32_e32 v6, v6, v12
	v_mul_f32_e32 v7, v7, v12
.LBB162_62:                             ;   in Loop: Header=BB162_56 Depth=1
	s_add_i32 s10, s15, -8
	v_mov_b32_e32 v10, s10
	s_add_i32 s17, s15, 0xffffff38
	ds_read_b64 v[12:13], v10
	v_mov_b32_e32 v10, s17
	ds_read_b64 v[10:11], v10
	ds_write_b64 v18, v[6:7]
	s_mov_b64 s[10:11], -1
	s_waitcnt lgkmcnt(2)
	v_mul_f32_e32 v18, v7, v13
	v_mul_f32_e32 v13, v6, v13
	v_fma_f32 v18, v6, v12, -v18
	v_fmac_f32_e32 v13, v7, v12
	s_waitcnt lgkmcnt(1)
	v_cmp_ngt_f32_e64 s[18:19], |v10|, |v11|
	v_sub_f32_e32 v12, v8, v18
	v_sub_f32_e32 v13, v9, v13
	s_and_b64 vcc, exec, s[18:19]
                                        ; implicit-def: $vgpr9
	s_cbranch_vccz .LBB162_64
; %bb.63:                               ;   in Loop: Header=BB162_56 Depth=1
	v_div_scale_f32 v8, s[10:11], v11, v11, v10
	v_rcp_f32_e32 v9, v8
	v_div_scale_f32 v18, vcc, v10, v11, v10
	v_fma_f32 v19, -v8, v9, 1.0
	v_fmac_f32_e32 v9, v19, v9
	v_mul_f32_e32 v19, v18, v9
	v_fma_f32 v20, -v8, v19, v18
	v_fmac_f32_e32 v19, v20, v9
	v_fma_f32 v8, -v8, v19, v18
	v_div_fmas_f32 v8, v8, v9, v19
	v_div_fixup_f32 v9, v8, v11, v10
	v_fma_f32 v8, v10, v9, v11
	v_div_scale_f32 v18, s[10:11], v8, v8, 1.0
	v_rcp_f32_e32 v19, v18
	s_mov_b64 s[10:11], 0
	v_fma_f32 v20, -v18, v19, 1.0
	v_fmac_f32_e32 v19, v20, v19
	v_div_scale_f32 v20, vcc, 1.0, v8, 1.0
	v_mul_f32_e32 v21, v20, v19
	v_fma_f32 v22, -v18, v21, v20
	v_fmac_f32_e32 v21, v22, v19
	v_fma_f32 v18, -v18, v21, v20
	v_div_fmas_f32 v18, v18, v19, v21
	v_div_fixup_f32 v18, v18, v8, 1.0
	v_fma_f32 v8, v9, v12, v13
	v_fma_f32 v9, v9, v13, -v12
	v_mul_f32_e32 v8, v8, v18
	v_mul_f32_e32 v9, v9, v18
.LBB162_64:                             ;   in Loop: Header=BB162_56 Depth=1
	s_andn2_b64 vcc, exec, s[10:11]
	s_cbranch_vccnz .LBB162_66
; %bb.65:                               ;   in Loop: Header=BB162_56 Depth=1
	v_div_scale_f32 v8, s[10:11], v10, v10, v11
	v_rcp_f32_e32 v9, v8
	v_div_scale_f32 v18, vcc, v11, v10, v11
	v_fma_f32 v19, -v8, v9, 1.0
	v_fmac_f32_e32 v9, v19, v9
	v_mul_f32_e32 v19, v18, v9
	v_fma_f32 v20, -v8, v19, v18
	v_fmac_f32_e32 v19, v20, v9
	v_fma_f32 v8, -v8, v19, v18
	v_div_fmas_f32 v8, v8, v9, v19
	v_div_fixup_f32 v9, v8, v10, v11
	v_fmac_f32_e32 v10, v11, v9
	v_div_scale_f32 v8, s[10:11], v10, v10, 1.0
	v_rcp_f32_e32 v11, v8
	s_nop 0
	v_fma_f32 v18, -v8, v11, 1.0
	v_fmac_f32_e32 v11, v18, v11
	v_div_scale_f32 v18, vcc, 1.0, v10, 1.0
	v_mul_f32_e32 v19, v18, v11
	v_fma_f32 v20, -v8, v19, v18
	v_fmac_f32_e32 v19, v20, v11
	v_fma_f32 v8, -v8, v19, v18
	v_div_fmas_f32 v8, v8, v11, v19
	v_div_fixup_f32 v10, v8, v10, 1.0
	v_fma_f32 v8, v9, v13, v12
	v_fma_f32 v9, -v9, v12, v13
	v_mul_f32_e32 v8, v8, v10
	v_mul_f32_e32 v9, v9, v10
.LBB162_66:                             ;   in Loop: Header=BB162_56 Depth=1
	s_add_i32 s19, s15, -16
	s_add_i32 s10, s12, -1
	v_mov_b32_e32 v10, s19
	s_add_i32 s11, s12, -2
	s_lshl_b32 s10, s10, 3
	ds_read_b64 v[12:13], v10
	s_sub_i32 s17, s17, s10
	s_lshl_b32 s18, s11, 3
	s_add_i32 s10, s17, s18
	s_add_i32 s19, s15, 0xfffffe70
	ds_write_b64 v17, v[8:9]
	v_mov_b32_e32 v10, s10
	v_mov_b32_e32 v11, s19
	;; [unrolled: 1-line block ×3, first 2 shown]
	ds_read_b64 v[20:21], v10
	ds_read_b64 v[10:11], v11
	s_waitcnt lgkmcnt(3)
	v_pk_mul_f32 v[18:19], v[18:19], v[12:13] op_sel_hi:[0,1]
	v_pk_fma_f32 v[22:23], v[6:7], v[12:13], v[18:19] op_sel:[0,0,1] op_sel_hi:[1,1,0] neg_lo:[0,0,1] neg_hi:[0,0,1]
	v_pk_fma_f32 v[12:13], v[6:7], v[12:13], v[18:19] op_sel:[0,0,1] op_sel_hi:[0,1,0]
	v_mov_b32_e32 v12, v9
	v_mov_b32_e32 v23, v13
	s_waitcnt lgkmcnt(1)
	v_pk_mul_f32 v[12:13], v[12:13], v[20:21] op_sel_hi:[0,1]
	v_pk_fma_f32 v[18:19], v[8:9], v[20:21], v[12:13] op_sel:[0,0,1] op_sel_hi:[1,1,0] neg_lo:[0,0,1] neg_hi:[0,0,1]
	v_pk_fma_f32 v[12:13], v[8:9], v[20:21], v[12:13] op_sel:[0,0,1] op_sel_hi:[0,1,0]
	v_pk_add_f32 v[4:5], v[4:5], v[22:23] neg_lo:[0,1] neg_hi:[0,1]
	v_mov_b32_e32 v19, v13
	s_waitcnt lgkmcnt(0)
	v_cmp_ngt_f32_e64 s[20:21], |v10|, |v11|
	v_pk_add_f32 v[4:5], v[4:5], v[18:19] neg_lo:[0,1] neg_hi:[0,1]
	s_mov_b64 s[10:11], -1
	s_and_b64 vcc, exec, s[20:21]
                                        ; implicit-def: $vgpr12_vgpr13
	s_cbranch_vccz .LBB162_68
; %bb.67:                               ;   in Loop: Header=BB162_56 Depth=1
	v_div_scale_f32 v12, s[10:11], v11, v11, v10
	v_rcp_f32_e32 v13, v12
	v_div_scale_f32 v17, vcc, v10, v11, v10
	v_fma_f32 v18, -v12, v13, 1.0
	v_fmac_f32_e32 v13, v18, v13
	v_mul_f32_e32 v18, v17, v13
	v_fma_f32 v19, -v12, v18, v17
	v_fmac_f32_e32 v18, v19, v13
	v_fma_f32 v12, -v12, v18, v17
	v_div_fmas_f32 v12, v12, v13, v18
	v_div_fixup_f32 v12, v12, v11, v10
	v_fma_f32 v13, v10, v12, v11
	v_div_scale_f32 v17, s[10:11], v13, v13, 1.0
	v_rcp_f32_e32 v20, v17
	v_pk_fma_f32 v[18:19], v[12:13], v[4:5], v[4:5] op_sel:[0,0,1] op_sel_hi:[1,1,0]
	s_mov_b64 s[10:11], 0
	v_fma_f32 v19, -v17, v20, 1.0
	v_fmac_f32_e32 v20, v19, v20
	v_div_scale_f32 v19, vcc, 1.0, v13, 1.0
	v_mul_f32_e32 v21, v19, v20
	v_fma_f32 v22, -v17, v21, v19
	v_fmac_f32_e32 v21, v22, v20
	v_fma_f32 v17, -v17, v21, v19
	v_div_fmas_f32 v17, v17, v20, v21
	v_div_fixup_f32 v19, v17, v13, 1.0
	v_fma_f32 v13, v12, v5, -v4
	v_mov_b32_e32 v12, v19
	v_pk_mul_f32 v[12:13], v[18:19], v[12:13]
.LBB162_68:                             ;   in Loop: Header=BB162_56 Depth=1
	s_andn2_b64 vcc, exec, s[10:11]
	s_cbranch_vccnz .LBB162_70
; %bb.69:                               ;   in Loop: Header=BB162_56 Depth=1
	v_div_scale_f32 v12, s[10:11], v10, v10, v11
	v_rcp_f32_e32 v13, v12
	v_div_scale_f32 v17, vcc, v11, v10, v11
	v_fma_f32 v18, -v12, v13, 1.0
	v_fmac_f32_e32 v13, v18, v13
	v_mul_f32_e32 v18, v17, v13
	v_fma_f32 v19, -v12, v18, v17
	v_fmac_f32_e32 v18, v19, v13
	v_fma_f32 v12, -v12, v18, v17
	v_div_fmas_f32 v12, v12, v13, v18
	v_div_fixup_f32 v12, v12, v10, v11
	v_fmac_f32_e32 v10, v11, v12
	v_div_scale_f32 v11, s[10:11], v10, v10, 1.0
	v_rcp_f32_e32 v13, v11
	s_nop 0
	v_fma_f32 v17, -v11, v13, 1.0
	v_fmac_f32_e32 v13, v17, v13
	v_div_scale_f32 v17, vcc, 1.0, v10, 1.0
	v_mul_f32_e32 v18, v17, v13
	v_fma_f32 v19, -v11, v18, v17
	v_fmac_f32_e32 v18, v19, v13
	v_fma_f32 v11, -v11, v18, v17
	v_div_fmas_f32 v11, v11, v13, v18
	v_pk_fma_f32 v[18:19], v[12:13], v[4:5], v[4:5] op_sel:[0,1,0] op_sel_hi:[1,0,1]
	v_pk_fma_f32 v[4:5], v[12:13], v[4:5], v[4:5] op_sel:[0,1,0] op_sel_hi:[0,0,1] neg_lo:[1,0,0] neg_hi:[1,0,0]
	v_div_fixup_f32 v10, v11, v10, 1.0
	v_mov_b32_e32 v19, v5
	v_pk_mul_f32 v[12:13], v[18:19], v[10:11] op_sel_hi:[1,0]
.LBB162_70:                             ;   in Loop: Header=BB162_56 Depth=1
	s_sub_i32 s10, s15, 24
	v_mov_b32_e32 v4, s10
	ds_write_b64 v16, v[12:13]
	ds_read_b64 v[16:17], v4
	s_lshl_b32 s11, s14, 3
	s_sub_i32 s14, s19, s18
	s_add_i32 s16, s16, s13
	s_add_i32 s13, s17, s11
	;; [unrolled: 1-line block ×3, first 2 shown]
	v_mov_b32_e32 v4, s13
	v_mov_b32_e32 v5, s11
	s_sub_i32 s10, s16, 24
	v_mov_b32_e32 v10, v7
	v_mov_b32_e32 v11, v7
	;; [unrolled: 1-line block ×3, first 2 shown]
	ds_read_b64 v[20:21], v4
	ds_read_b64 v[22:23], v5
	ds_read_b64 v[4:5], v24
	v_mov_b32_e32 v7, v6
	s_waitcnt lgkmcnt(3)
	v_pk_mul_f32 v[10:11], v[10:11], v[16:17]
	v_mov_b32_e32 v18, v9
	v_mov_b32_e32 v19, v9
	v_pk_fma_f32 v[24:25], v[6:7], v[16:17], v[10:11] op_sel:[0,0,1] op_sel_hi:[1,1,0] neg_lo:[0,0,1] neg_hi:[0,0,1]
	v_pk_fma_f32 v[6:7], v[6:7], v[16:17], v[10:11] op_sel:[0,0,1] op_sel_hi:[1,1,0]
	v_mov_b32_e32 v9, v8
	v_mov_b32_e32 v25, v7
	s_waitcnt lgkmcnt(2)
	v_pk_mul_f32 v[6:7], v[18:19], v[20:21]
	v_pk_add_f32 v[2:3], v[2:3], v[24:25] neg_lo:[0,1] neg_hi:[0,1]
	v_pk_fma_f32 v[10:11], v[8:9], v[20:21], v[6:7] op_sel:[0,0,1] op_sel_hi:[1,1,0] neg_lo:[0,0,1] neg_hi:[0,0,1]
	v_pk_fma_f32 v[6:7], v[8:9], v[20:21], v[6:7] op_sel:[0,0,1] op_sel_hi:[1,1,0]
	s_waitcnt lgkmcnt(0)
	v_cmp_ngt_f32_e64 s[14:15], |v4|, |v5|
	v_mov_b32_e32 v11, v7
	v_pk_mul_f32 v[6:7], v[12:13], v[22:23] op_sel:[1,1] op_sel_hi:[1,0]
	v_pk_add_f32 v[2:3], v[2:3], v[10:11] neg_lo:[0,1] neg_hi:[0,1]
	v_pk_fma_f32 v[8:9], v[12:13], v[22:23], v[6:7] neg_lo:[0,0,1] neg_hi:[0,0,1]
	v_pk_fma_f32 v[6:7], v[12:13], v[22:23], v[6:7] op_sel_hi:[0,1,1]
	v_mov_b32_e32 v9, v7
	v_pk_add_f32 v[2:3], v[2:3], v[8:9] neg_lo:[0,1] neg_hi:[0,1]
	s_mov_b64 s[10:11], -1
	s_and_b64 vcc, exec, s[14:15]
                                        ; implicit-def: $vgpr6_vgpr7
	s_cbranch_vccz .LBB162_72
; %bb.71:                               ;   in Loop: Header=BB162_56 Depth=1
	v_div_scale_f32 v6, s[10:11], v5, v5, v4
	v_rcp_f32_e32 v7, v6
	v_div_scale_f32 v8, vcc, v4, v5, v4
	v_fma_f32 v9, -v6, v7, 1.0
	v_fmac_f32_e32 v7, v9, v7
	v_mul_f32_e32 v9, v8, v7
	v_fma_f32 v10, -v6, v9, v8
	v_fmac_f32_e32 v9, v10, v7
	v_fma_f32 v6, -v6, v9, v8
	v_div_fmas_f32 v6, v6, v7, v9
	v_div_fixup_f32 v6, v6, v5, v4
	v_fma_f32 v7, v4, v6, v5
	v_div_scale_f32 v10, s[10:11], v7, v7, 1.0
	v_rcp_f32_e32 v11, v10
	v_pk_fma_f32 v[8:9], v[6:7], v[2:3], v[2:3] op_sel:[0,0,1] op_sel_hi:[1,1,0]
	s_mov_b64 s[10:11], 0
	v_fma_f32 v9, -v10, v11, 1.0
	v_fmac_f32_e32 v11, v9, v11
	v_div_scale_f32 v9, vcc, 1.0, v7, 1.0
	v_mul_f32_e32 v12, v9, v11
	v_fma_f32 v13, -v10, v12, v9
	v_fmac_f32_e32 v12, v13, v11
	v_fma_f32 v9, -v10, v12, v9
	v_div_fmas_f32 v9, v9, v11, v12
	v_div_fixup_f32 v9, v9, v7, 1.0
	v_fma_f32 v7, v6, v3, -v2
	v_mov_b32_e32 v6, v9
	v_pk_mul_f32 v[6:7], v[8:9], v[6:7]
.LBB162_72:                             ;   in Loop: Header=BB162_56 Depth=1
	s_andn2_b64 vcc, exec, s[10:11]
	s_cbranch_vccnz .LBB162_74
; %bb.73:                               ;   in Loop: Header=BB162_56 Depth=1
	v_div_scale_f32 v6, s[10:11], v4, v4, v5
	v_rcp_f32_e32 v7, v6
	v_div_scale_f32 v8, vcc, v5, v4, v5
	v_fma_f32 v9, -v6, v7, 1.0
	v_fmac_f32_e32 v7, v9, v7
	v_mul_f32_e32 v9, v8, v7
	v_fma_f32 v10, -v6, v9, v8
	v_fmac_f32_e32 v9, v10, v7
	v_fma_f32 v6, -v6, v9, v8
	v_div_fmas_f32 v6, v6, v7, v9
	v_div_fixup_f32 v6, v6, v4, v5
	v_fmac_f32_e32 v4, v5, v6
	v_div_scale_f32 v5, s[10:11], v4, v4, 1.0
	v_rcp_f32_e32 v7, v5
	s_nop 0
	v_fma_f32 v8, -v5, v7, 1.0
	v_fmac_f32_e32 v7, v8, v7
	v_div_scale_f32 v8, vcc, 1.0, v4, 1.0
	v_mul_f32_e32 v9, v8, v7
	v_fma_f32 v10, -v5, v9, v8
	v_fmac_f32_e32 v9, v10, v7
	v_fma_f32 v5, -v5, v9, v8
	v_div_fmas_f32 v5, v5, v7, v9
	v_pk_fma_f32 v[8:9], v[6:7], v[2:3], v[2:3] op_sel:[0,1,0] op_sel_hi:[1,0,1]
	v_pk_fma_f32 v[2:3], v[6:7], v[2:3], v[2:3] op_sel:[0,1,0] op_sel_hi:[0,0,1] neg_lo:[1,0,0] neg_hi:[1,0,0]
	v_div_fixup_f32 v4, v5, v4, 1.0
	v_mov_b32_e32 v9, v3
	v_pk_mul_f32 v[6:7], v[8:9], v[4:5] op_sel_hi:[1,0]
.LBB162_74:                             ;   in Loop: Header=BB162_56 Depth=1
	s_add_i32 s13, s12, -4
	s_sub_i32 s9, s9, 32
	s_cmp_lt_i32 s12, 7
	ds_write_b64 v15, v[6:7]
	s_cbranch_scc1 .LBB162_76
; %bb.75:                               ;   in Loop: Header=BB162_56 Depth=1
	s_mov_b32 s12, s13
	s_branch .LBB162_56
.LBB162_76:
	s_cmp_lt_i32 s13, 0
	s_cbranch_scc1 .LBB162_85
; %bb.77:
	s_mul_i32 s10, s26, 0xc0
	s_lshl_b32 s9, s13, 3
	s_add_i32 s9, s10, s9
	v_lshl_add_u32 v2, v0, 3, s10
	s_addk_i32 s9, 0xff40
	v_add_u32_e32 v8, 0x1140, v2
	s_branch .LBB162_79
.LBB162_78:                             ;   in Loop: Header=BB162_79 Depth=1
	v_sub_co_u32_e64 v2, s[10:11], s13, 1
	s_nop 0
	v_readfirstlane_b32 s13, v2
	s_add_i32 s9, s9, -8
	s_and_b64 vcc, exec, s[10:11]
	ds_write_b64 v9, v[6:7]
	s_cbranch_vccnz .LBB162_85
.LBB162_79:                             ; =>This Loop Header: Depth=1
                                        ;     Child Loop BB162_80 Depth 2
	s_mul_i32 s10, s13, 0xc0
	v_add_u32_e32 v9, s10, v1
	ds_read_b64 v[2:3], v9
	s_cmp_le_i32 s7, s13
	v_mov_b32_e32 v4, v8
	s_mov_b32 s11, s9
	s_mov_b32 s12, s7
	s_cbranch_scc1 .LBB162_81
.LBB162_80:                             ;   Parent Loop BB162_79 Depth=1
                                        ; =>  This Inner Loop Header: Depth=2
	v_mov_b32_e32 v5, s11
	ds_read_b64 v[6:7], v4
	ds_read_b64 v[10:11], v5
	s_add_i32 s12, s12, -1
	s_addk_i32 s11, 0xff40
	v_add_u32_e32 v4, 0xffffff40, v4
	s_cmp_le_u32 s12, s13
	s_waitcnt lgkmcnt(0)
	v_pk_mul_f32 v[12:13], v[10:11], v[6:7] op_sel:[1,1] op_sel_hi:[0,1]
	v_pk_fma_f32 v[14:15], v[10:11], v[6:7], v[12:13] op_sel_hi:[1,0,1]
	v_pk_fma_f32 v[6:7], v[10:11], v[6:7], v[12:13] op_sel_hi:[1,0,1] neg_lo:[0,0,1] neg_hi:[0,0,1]
	s_nop 0
	v_mov_b32_e32 v7, v15
	v_pk_add_f32 v[2:3], v[2:3], v[6:7] neg_lo:[0,1] neg_hi:[0,1]
	s_cbranch_scc0 .LBB162_80
.LBB162_81:                             ;   in Loop: Header=BB162_79 Depth=1
	s_lshl_b32 s11, s13, 3
	s_add_i32 s10, s11, s10
	v_mov_b32_e32 v4, s10
	ds_read_b64 v[4:5], v4
	s_mov_b64 s[10:11], -1
                                        ; implicit-def: $vgpr6_vgpr7
	s_waitcnt lgkmcnt(0)
	v_cmp_ngt_f32_e64 s[14:15], |v4|, |v5|
	s_and_b64 vcc, exec, s[14:15]
	s_cbranch_vccz .LBB162_83
; %bb.82:                               ;   in Loop: Header=BB162_79 Depth=1
	v_div_scale_f32 v6, s[10:11], v5, v5, v4
	v_rcp_f32_e32 v7, v6
	v_div_scale_f32 v10, vcc, v4, v5, v4
	v_fma_f32 v11, -v6, v7, 1.0
	v_fmac_f32_e32 v7, v11, v7
	v_mul_f32_e32 v11, v10, v7
	v_fma_f32 v12, -v6, v11, v10
	v_fmac_f32_e32 v11, v12, v7
	v_fma_f32 v6, -v6, v11, v10
	v_div_fmas_f32 v6, v6, v7, v11
	v_div_fixup_f32 v6, v6, v5, v4
	v_fma_f32 v7, v4, v6, v5
	v_div_scale_f32 v10, s[10:11], v7, v7, 1.0
	v_rcp_f32_e32 v11, v10
	s_mov_b64 s[10:11], 0
	v_fma_f32 v12, -v10, v11, 1.0
	v_fmac_f32_e32 v11, v12, v11
	v_div_scale_f32 v12, vcc, 1.0, v7, 1.0
	v_mul_f32_e32 v13, v12, v11
	v_fma_f32 v14, -v10, v13, v12
	v_fmac_f32_e32 v13, v14, v11
	v_fma_f32 v10, -v10, v13, v12
	v_div_fmas_f32 v10, v10, v11, v13
	v_div_fixup_f32 v10, v10, v7, 1.0
	v_pk_fma_f32 v[12:13], v[2:3], v[6:7], v[2:3] op_sel:[0,0,1] op_sel_hi:[1,0,0] neg_lo:[0,0,1] neg_hi:[0,0,1]
	v_pk_fma_f32 v[6:7], v[2:3], v[6:7], v[2:3] op_sel:[0,0,1] op_sel_hi:[1,0,0]
	s_nop 0
	v_mov_b32_e32 v7, v13
	v_pk_mul_f32 v[6:7], v[6:7], v[10:11] op_sel_hi:[1,0]
.LBB162_83:                             ;   in Loop: Header=BB162_79 Depth=1
	s_andn2_b64 vcc, exec, s[10:11]
	s_cbranch_vccnz .LBB162_78
; %bb.84:                               ;   in Loop: Header=BB162_79 Depth=1
	v_div_scale_f32 v6, s[10:11], v4, v4, v5
	v_rcp_f32_e32 v7, v6
	v_div_scale_f32 v10, vcc, v5, v4, v5
	v_fma_f32 v11, -v6, v7, 1.0
	v_fmac_f32_e32 v7, v11, v7
	v_mul_f32_e32 v11, v10, v7
	v_fma_f32 v12, -v6, v11, v10
	v_fmac_f32_e32 v11, v12, v7
	v_fma_f32 v6, -v6, v11, v10
	v_div_fmas_f32 v6, v6, v7, v11
	v_div_fixup_f32 v6, v6, v4, v5
	v_fmac_f32_e32 v4, v5, v6
	v_div_scale_f32 v5, s[10:11], v4, v4, 1.0
	v_rcp_f32_e32 v7, v5
	s_nop 0
	v_fma_f32 v10, -v5, v7, 1.0
	v_fmac_f32_e32 v7, v10, v7
	v_div_scale_f32 v10, vcc, 1.0, v4, 1.0
	v_mul_f32_e32 v11, v10, v7
	v_fma_f32 v12, -v5, v11, v10
	v_fmac_f32_e32 v11, v12, v7
	v_fma_f32 v5, -v5, v11, v10
	v_div_fmas_f32 v5, v5, v7, v11
	v_pk_fma_f32 v[10:11], v[2:3], v[6:7], v[2:3] op_sel:[1,0,0] op_sel_hi:[0,0,1] neg_lo:[1,0,0] neg_hi:[1,0,0]
	v_pk_fma_f32 v[2:3], v[2:3], v[6:7], v[2:3] op_sel:[1,0,0] op_sel_hi:[0,0,1]
	v_div_fixup_f32 v4, v5, v4, 1.0
	v_mov_b32_e32 v3, v11
	v_pk_mul_f32 v[6:7], v[2:3], v[4:5] op_sel_hi:[1,0]
	s_branch .LBB162_78
.LBB162_85:
	s_mov_b64 s[14:15], 0
.LBB162_86:
	s_andn2_b64 vcc, exec, s[14:15]
	s_cbranch_vccnz .LBB162_118
; %bb.87:
	s_andn2_b64 vcc, exec, s[4:5]
	s_mul_i32 s9, s26, 0xc0
	s_mov_b32 s12, s7
	s_cbranch_vccnz .LBB162_109
; %bb.88:
	v_lshl_add_u32 v2, v0, 3, s9
	s_mul_i32 s4, s26, 0xc8
	v_add_u32_e32 v14, 0x1140, v2
	s_add_i32 s10, s4, 0xfffffcf8
	s_mov_b32 s11, s7
.LBB162_89:                             ; =>This Loop Header: Depth=1
                                        ;     Child Loop BB162_90 Depth 2
	s_mul_i32 s12, s11, 24
	v_lshl_add_u32 v18, s12, 3, v1
	v_add_u32_e32 v17, 0xffffff40, v18
	v_add_u32_e32 v16, 0xfffffe80, v18
	;; [unrolled: 1-line block ×3, first 2 shown]
	ds_read_b64 v[2:3], v18
	ds_read_b64 v[12:13], v17
	;; [unrolled: 1-line block ×4, first 2 shown]
	s_cmp_le_i32 s7, s11
	s_mov_b32 s4, s10
	v_mov_b32_e32 v4, v14
	s_mov_b32 s5, s7
	s_cbranch_scc1 .LBB162_91
.LBB162_90:                             ;   Parent Loop BB162_89 Depth=1
                                        ; =>  This Inner Loop Header: Depth=2
	v_mov_b32_e32 v5, s4
	ds_read_b64 v[10:11], v4
	ds_read2_b64 v[20:23], v5 offset0:48 offset1:72
	ds_read2_b64 v[24:27], v5 offset1:24
	s_add_i32 s5, s5, -1
	s_add_i32 s4, s4, -8
	v_add_u32_e32 v4, 0xffffff40, v4
	s_waitcnt lgkmcnt(1)
	v_mul_f32_e32 v5, v23, v11
	v_mul_f32_e32 v19, v22, v11
	;; [unrolled: 1-line block ×4, first 2 shown]
	s_waitcnt lgkmcnt(0)
	v_pk_mul_f32 v[28:29], v[26:27], v[10:11] op_sel:[0,1]
	v_pk_mul_f32 v[30:31], v[24:25], v[10:11] op_sel:[0,1]
	v_fma_f32 v5, v22, v10, -v5
	v_fmac_f32_e32 v19, v23, v10
	v_fma_f32 v32, v20, v10, -v32
	v_fmac_f32_e32 v33, v20, v11
	v_pk_fma_f32 v[20:21], v[26:27], v[10:11], v[28:29] op_sel:[0,0,1] op_sel_hi:[1,1,0] neg_lo:[0,0,1] neg_hi:[0,0,1]
	v_pk_fma_f32 v[22:23], v[26:27], v[10:11], v[28:29] op_sel:[0,0,1] op_sel_hi:[1,0,0]
	v_pk_fma_f32 v[26:27], v[24:25], v[10:11], v[30:31] op_sel:[0,0,1] op_sel_hi:[1,1,0] neg_lo:[0,0,1] neg_hi:[0,0,1]
	v_pk_fma_f32 v[10:11], v[24:25], v[10:11], v[30:31] op_sel:[0,0,1] op_sel_hi:[1,0,0]
	v_mov_b32_e32 v21, v23
	v_mov_b32_e32 v27, v11
	s_cmp_le_i32 s5, s11
	v_sub_f32_e32 v2, v2, v5
	v_sub_f32_e32 v3, v3, v19
	;; [unrolled: 1-line block ×4, first 2 shown]
	v_pk_add_f32 v[8:9], v[8:9], v[20:21] neg_lo:[0,1] neg_hi:[0,1]
	v_pk_add_f32 v[6:7], v[6:7], v[26:27] neg_lo:[0,1] neg_hi:[0,1]
	s_cbranch_scc0 .LBB162_90
.LBB162_91:                             ;   in Loop: Header=BB162_89 Depth=1
	s_mul_i32 s4, s11, 0xc8
	v_mov_b32_e32 v4, s4
	ds_read_b64 v[4:5], v4
	s_mov_b64 s[4:5], -1
                                        ; implicit-def: $vgpr11
	s_waitcnt lgkmcnt(0)
	v_cmp_ngt_f32_e64 s[14:15], |v4|, |v5|
	s_and_b64 vcc, exec, s[14:15]
	s_cbranch_vccz .LBB162_93
; %bb.92:                               ;   in Loop: Header=BB162_89 Depth=1
	v_div_scale_f32 v10, s[4:5], v5, v5, v4
	v_rcp_f32_e32 v11, v10
	v_div_scale_f32 v19, vcc, v4, v5, v4
	v_fma_f32 v20, -v10, v11, 1.0
	v_fmac_f32_e32 v11, v20, v11
	v_mul_f32_e32 v20, v19, v11
	v_fma_f32 v21, -v10, v20, v19
	v_fmac_f32_e32 v20, v21, v11
	v_fma_f32 v10, -v10, v20, v19
	v_div_fmas_f32 v10, v10, v11, v20
	v_div_fixup_f32 v11, v10, v5, v4
	v_fma_f32 v10, v4, v11, v5
	v_div_scale_f32 v19, s[4:5], v10, v10, 1.0
	v_rcp_f32_e32 v20, v19
	s_mov_b64 s[4:5], 0
	v_fma_f32 v21, -v19, v20, 1.0
	v_fmac_f32_e32 v20, v21, v20
	v_div_scale_f32 v21, vcc, 1.0, v10, 1.0
	v_mul_f32_e32 v22, v21, v20
	v_fma_f32 v23, -v19, v22, v21
	v_fmac_f32_e32 v22, v23, v20
	v_fma_f32 v19, -v19, v22, v21
	v_div_fmas_f32 v19, v19, v20, v22
	v_div_fixup_f32 v19, v19, v10, 1.0
	v_fma_f32 v10, v2, v11, v3
	v_fma_f32 v11, v3, v11, -v2
	v_mul_f32_e32 v10, v10, v19
	v_mul_f32_e32 v11, v11, v19
.LBB162_93:                             ;   in Loop: Header=BB162_89 Depth=1
	s_andn2_b64 vcc, exec, s[4:5]
	s_cbranch_vccnz .LBB162_95
; %bb.94:                               ;   in Loop: Header=BB162_89 Depth=1
	v_div_scale_f32 v10, s[4:5], v4, v4, v5
	v_rcp_f32_e32 v11, v10
	v_div_scale_f32 v19, vcc, v5, v4, v5
	v_fma_f32 v20, -v10, v11, 1.0
	v_fmac_f32_e32 v11, v20, v11
	v_mul_f32_e32 v20, v19, v11
	v_fma_f32 v21, -v10, v20, v19
	v_fmac_f32_e32 v20, v21, v11
	v_fma_f32 v10, -v10, v20, v19
	v_div_fmas_f32 v10, v10, v11, v20
	v_div_fixup_f32 v11, v10, v4, v5
	v_fmac_f32_e32 v4, v5, v11
	v_div_scale_f32 v5, s[4:5], v4, v4, 1.0
	v_rcp_f32_e32 v10, v5
	s_nop 0
	v_fma_f32 v19, -v5, v10, 1.0
	v_fmac_f32_e32 v10, v19, v10
	v_div_scale_f32 v19, vcc, 1.0, v4, 1.0
	v_mul_f32_e32 v20, v19, v10
	v_fma_f32 v21, -v5, v20, v19
	v_fmac_f32_e32 v20, v21, v10
	v_fma_f32 v5, -v5, v20, v19
	v_div_fmas_f32 v5, v5, v10, v20
	v_div_fixup_f32 v4, v5, v4, 1.0
	v_fma_f32 v5, v3, v11, v2
	v_fma_f32 v2, -v2, v11, v3
	v_mul_f32_e32 v10, v5, v4
	v_mul_f32_e32 v11, v2, v4
.LBB162_95:                             ;   in Loop: Header=BB162_89 Depth=1
	s_lshl_b32 s12, s12, 3
	s_lshl_b32 s13, s11, 3
	s_addk_i32 s12, 0xff40
	s_add_i32 s4, s13, s12
	s_add_i32 s4, s4, -8
	v_mov_b32_e32 v2, s4
	ds_read2_b64 v[2:5], v2 offset1:1
	ds_write_b64 v18, v[10:11]
	s_mov_b64 s[4:5], -1
	s_waitcnt lgkmcnt(1)
	v_mul_f32_e32 v18, v11, v5
	v_mul_f32_e32 v5, v10, v5
	v_fma_f32 v18, v10, v4, -v18
	v_fmac_f32_e32 v5, v11, v4
	v_cmp_ngt_f32_e64 s[14:15], |v2|, |v3|
	v_sub_f32_e32 v4, v12, v18
	v_sub_f32_e32 v5, v13, v5
	s_and_b64 vcc, exec, s[14:15]
                                        ; implicit-def: $vgpr13
	s_cbranch_vccz .LBB162_97
; %bb.96:                               ;   in Loop: Header=BB162_89 Depth=1
	v_div_scale_f32 v12, s[4:5], v3, v3, v2
	v_rcp_f32_e32 v13, v12
	v_div_scale_f32 v18, vcc, v2, v3, v2
	v_fma_f32 v19, -v12, v13, 1.0
	v_fmac_f32_e32 v13, v19, v13
	v_mul_f32_e32 v19, v18, v13
	v_fma_f32 v20, -v12, v19, v18
	v_fmac_f32_e32 v19, v20, v13
	v_fma_f32 v12, -v12, v19, v18
	v_div_fmas_f32 v12, v12, v13, v19
	v_div_fixup_f32 v13, v12, v3, v2
	v_fma_f32 v12, v2, v13, v3
	v_div_scale_f32 v18, s[4:5], v12, v12, 1.0
	v_rcp_f32_e32 v19, v18
	s_mov_b64 s[4:5], 0
	v_fma_f32 v20, -v18, v19, 1.0
	v_fmac_f32_e32 v19, v20, v19
	v_div_scale_f32 v20, vcc, 1.0, v12, 1.0
	v_mul_f32_e32 v21, v20, v19
	v_fma_f32 v22, -v18, v21, v20
	v_fmac_f32_e32 v21, v22, v19
	v_fma_f32 v18, -v18, v21, v20
	v_div_fmas_f32 v18, v18, v19, v21
	v_div_fixup_f32 v18, v18, v12, 1.0
	v_fma_f32 v12, v13, v4, v5
	v_fma_f32 v13, v13, v5, -v4
	v_mul_f32_e32 v12, v12, v18
	v_mul_f32_e32 v13, v13, v18
.LBB162_97:                             ;   in Loop: Header=BB162_89 Depth=1
	s_andn2_b64 vcc, exec, s[4:5]
	s_cbranch_vccnz .LBB162_99
; %bb.98:                               ;   in Loop: Header=BB162_89 Depth=1
	v_div_scale_f32 v12, s[4:5], v2, v2, v3
	v_rcp_f32_e32 v13, v12
	v_div_scale_f32 v18, vcc, v3, v2, v3
	v_fma_f32 v19, -v12, v13, 1.0
	v_fmac_f32_e32 v13, v19, v13
	v_mul_f32_e32 v19, v18, v13
	v_fma_f32 v20, -v12, v19, v18
	v_fmac_f32_e32 v19, v20, v13
	v_fma_f32 v12, -v12, v19, v18
	v_div_fmas_f32 v12, v12, v13, v19
	v_div_fixup_f32 v13, v12, v2, v3
	v_fmac_f32_e32 v2, v3, v13
	v_div_scale_f32 v3, s[4:5], v2, v2, 1.0
	v_rcp_f32_e32 v12, v3
	s_nop 0
	v_fma_f32 v18, -v3, v12, 1.0
	v_fmac_f32_e32 v12, v18, v12
	v_div_scale_f32 v18, vcc, 1.0, v2, 1.0
	v_mul_f32_e32 v19, v18, v12
	v_fma_f32 v20, -v3, v19, v18
	v_fmac_f32_e32 v19, v20, v12
	v_fma_f32 v3, -v3, v19, v18
	v_div_fmas_f32 v3, v3, v12, v19
	v_div_fixup_f32 v2, v3, v2, 1.0
	v_fma_f32 v3, v13, v5, v4
	v_mul_f32_e32 v12, v3, v2
	v_fma_f32 v3, -v13, v4, v5
	v_mul_f32_e32 v13, v3, v2
.LBB162_99:                             ;   in Loop: Header=BB162_89 Depth=1
	s_addk_i32 s12, 0xff40
	s_add_i32 s12, s12, s13
	v_mov_b32_e32 v2, s12
	ds_read_b64 v[18:19], v2
	s_add_i32 s4, s12, -16
	v_mov_b32_e32 v2, s4
	ds_read2_b64 v[2:5], v2 offset1:1
	v_mov_b32_e32 v20, v11
	s_waitcnt lgkmcnt(1)
	v_pk_mul_f32 v[20:21], v[20:21], v[18:19] op_sel_hi:[0,1]
	v_pk_fma_f32 v[22:23], v[10:11], v[18:19], v[20:21] op_sel:[0,0,1] op_sel_hi:[1,1,0] neg_lo:[0,0,1] neg_hi:[0,0,1]
	v_pk_fma_f32 v[18:19], v[10:11], v[18:19], v[20:21] op_sel:[0,0,1] op_sel_hi:[0,1,0]
	v_mov_b32_e32 v18, v13
	v_mov_b32_e32 v23, v19
	s_waitcnt lgkmcnt(0)
	v_pk_mul_f32 v[18:19], v[18:19], v[4:5] op_sel_hi:[0,1]
	v_pk_fma_f32 v[20:21], v[12:13], v[4:5], v[18:19] op_sel:[0,0,1] op_sel_hi:[1,1,0] neg_lo:[0,0,1] neg_hi:[0,0,1]
	v_pk_fma_f32 v[4:5], v[12:13], v[4:5], v[18:19] op_sel:[0,0,1] op_sel_hi:[0,1,0]
	v_pk_add_f32 v[8:9], v[8:9], v[22:23] neg_lo:[0,1] neg_hi:[0,1]
	v_mov_b32_e32 v21, v5
	v_cmp_ngt_f32_e64 s[14:15], |v2|, |v3|
	v_pk_add_f32 v[4:5], v[8:9], v[20:21] neg_lo:[0,1] neg_hi:[0,1]
	s_mov_b64 s[4:5], -1
	s_and_b64 vcc, exec, s[14:15]
	ds_write_b64 v17, v[12:13]
                                        ; implicit-def: $vgpr8_vgpr9
	s_cbranch_vccz .LBB162_101
; %bb.100:                              ;   in Loop: Header=BB162_89 Depth=1
	v_div_scale_f32 v8, s[4:5], v3, v3, v2
	v_rcp_f32_e32 v9, v8
	v_div_scale_f32 v17, vcc, v2, v3, v2
	v_fma_f32 v18, -v8, v9, 1.0
	v_fmac_f32_e32 v9, v18, v9
	v_mul_f32_e32 v18, v17, v9
	v_fma_f32 v19, -v8, v18, v17
	v_fmac_f32_e32 v18, v19, v9
	v_fma_f32 v8, -v8, v18, v17
	v_div_fmas_f32 v8, v8, v9, v18
	v_div_fixup_f32 v8, v8, v3, v2
	v_fma_f32 v9, v2, v8, v3
	v_div_scale_f32 v17, s[4:5], v9, v9, 1.0
	v_rcp_f32_e32 v20, v17
	v_pk_fma_f32 v[18:19], v[8:9], v[4:5], v[4:5] op_sel:[0,0,1] op_sel_hi:[1,1,0]
	s_mov_b64 s[4:5], 0
	v_fma_f32 v19, -v17, v20, 1.0
	v_fmac_f32_e32 v20, v19, v20
	v_div_scale_f32 v19, vcc, 1.0, v9, 1.0
	v_mul_f32_e32 v21, v19, v20
	v_fma_f32 v22, -v17, v21, v19
	v_fmac_f32_e32 v21, v22, v20
	v_fma_f32 v17, -v17, v21, v19
	v_div_fmas_f32 v17, v17, v20, v21
	v_div_fixup_f32 v19, v17, v9, 1.0
	v_fma_f32 v9, v8, v5, -v4
	v_mov_b32_e32 v8, v19
	v_pk_mul_f32 v[8:9], v[18:19], v[8:9]
.LBB162_101:                            ;   in Loop: Header=BB162_89 Depth=1
	s_andn2_b64 vcc, exec, s[4:5]
	s_cbranch_vccnz .LBB162_103
; %bb.102:                              ;   in Loop: Header=BB162_89 Depth=1
	v_div_scale_f32 v8, s[4:5], v2, v2, v3
	v_rcp_f32_e32 v9, v8
	v_div_scale_f32 v17, vcc, v3, v2, v3
	v_fma_f32 v18, -v8, v9, 1.0
	v_fmac_f32_e32 v9, v18, v9
	v_mul_f32_e32 v18, v17, v9
	v_fma_f32 v19, -v8, v18, v17
	v_fmac_f32_e32 v18, v19, v9
	v_fma_f32 v8, -v8, v18, v17
	v_div_fmas_f32 v8, v8, v9, v18
	v_div_fixup_f32 v8, v8, v2, v3
	v_fmac_f32_e32 v2, v3, v8
	v_div_scale_f32 v3, s[4:5], v2, v2, 1.0
	v_rcp_f32_e32 v9, v3
	s_nop 0
	v_fma_f32 v17, -v3, v9, 1.0
	v_fmac_f32_e32 v9, v17, v9
	v_div_scale_f32 v17, vcc, 1.0, v2, 1.0
	v_mul_f32_e32 v18, v17, v9
	v_fma_f32 v19, -v3, v18, v17
	v_fmac_f32_e32 v18, v19, v9
	v_fma_f32 v3, -v3, v18, v17
	v_div_fmas_f32 v3, v3, v9, v18
	v_pk_fma_f32 v[18:19], v[8:9], v[4:5], v[4:5] op_sel:[0,1,0] op_sel_hi:[1,0,1]
	v_pk_fma_f32 v[4:5], v[8:9], v[4:5], v[4:5] op_sel:[0,1,0] op_sel_hi:[0,0,1] neg_lo:[1,0,0] neg_hi:[1,0,0]
	v_div_fixup_f32 v2, v3, v2, 1.0
	v_mov_b32_e32 v19, v5
	v_pk_mul_f32 v[8:9], v[18:19], v[2:3] op_sel_hi:[1,0]
.LBB162_103:                            ;   in Loop: Header=BB162_89 Depth=1
	s_add_i32 s4, s12, 0xffffff38
	v_mov_b32_e32 v2, s4
	ds_read2_b64 v[18:21], v2 offset1:1
	s_add_i32 s4, s12, 0xffffff28
	v_mov_b32_e32 v2, s4
	v_mov_b32_e32 v22, v11
	;; [unrolled: 1-line block ×3, first 2 shown]
	ds_read2_b64 v[2:5], v2 offset1:1
	v_mov_b32_e32 v11, v10
	ds_write_b64 v16, v[8:9]
	s_waitcnt lgkmcnt(2)
	v_pk_mul_f32 v[16:17], v[22:23], v[20:21]
	v_mov_b32_e32 v24, v13
	v_mov_b32_e32 v25, v13
	v_pk_fma_f32 v[22:23], v[10:11], v[20:21], v[16:17] op_sel:[0,0,1] op_sel_hi:[1,1,0] neg_lo:[0,0,1] neg_hi:[0,0,1]
	v_pk_fma_f32 v[10:11], v[10:11], v[20:21], v[16:17] op_sel:[0,0,1] op_sel_hi:[1,1,0]
	v_mov_b32_e32 v13, v12
	v_mov_b32_e32 v23, v11
	v_pk_mul_f32 v[10:11], v[24:25], v[18:19]
	v_pk_add_f32 v[6:7], v[6:7], v[22:23] neg_lo:[0,1] neg_hi:[0,1]
	v_pk_fma_f32 v[16:17], v[12:13], v[18:19], v[10:11] op_sel:[0,0,1] op_sel_hi:[1,1,0] neg_lo:[0,0,1] neg_hi:[0,0,1]
	v_pk_fma_f32 v[10:11], v[12:13], v[18:19], v[10:11] op_sel:[0,0,1] op_sel_hi:[1,1,0]
	s_waitcnt lgkmcnt(1)
	v_cmp_ngt_f32_e64 s[12:13], |v2|, |v3|
	v_mov_b32_e32 v17, v11
	v_pk_mul_f32 v[10:11], v[8:9], v[4:5] op_sel:[1,1] op_sel_hi:[1,0]
	v_pk_add_f32 v[6:7], v[6:7], v[16:17] neg_lo:[0,1] neg_hi:[0,1]
	v_pk_fma_f32 v[12:13], v[8:9], v[4:5], v[10:11] neg_lo:[0,0,1] neg_hi:[0,0,1]
	v_pk_fma_f32 v[4:5], v[8:9], v[4:5], v[10:11] op_sel_hi:[0,1,1]
	v_mov_b32_e32 v13, v5
	v_pk_add_f32 v[4:5], v[6:7], v[12:13] neg_lo:[0,1] neg_hi:[0,1]
	s_mov_b64 s[4:5], -1
	s_and_b64 vcc, exec, s[12:13]
                                        ; implicit-def: $vgpr6_vgpr7
	s_cbranch_vccz .LBB162_105
; %bb.104:                              ;   in Loop: Header=BB162_89 Depth=1
	v_div_scale_f32 v6, s[4:5], v3, v3, v2
	v_rcp_f32_e32 v7, v6
	v_div_scale_f32 v8, vcc, v2, v3, v2
	v_fma_f32 v9, -v6, v7, 1.0
	v_fmac_f32_e32 v7, v9, v7
	v_mul_f32_e32 v9, v8, v7
	v_fma_f32 v10, -v6, v9, v8
	v_fmac_f32_e32 v9, v10, v7
	v_fma_f32 v6, -v6, v9, v8
	v_div_fmas_f32 v6, v6, v7, v9
	v_div_fixup_f32 v6, v6, v3, v2
	v_fma_f32 v7, v2, v6, v3
	v_div_scale_f32 v10, s[4:5], v7, v7, 1.0
	v_rcp_f32_e32 v11, v10
	v_pk_fma_f32 v[8:9], v[6:7], v[4:5], v[4:5] op_sel:[0,0,1] op_sel_hi:[1,1,0]
	s_mov_b64 s[4:5], 0
	v_fma_f32 v9, -v10, v11, 1.0
	v_fmac_f32_e32 v11, v9, v11
	v_div_scale_f32 v9, vcc, 1.0, v7, 1.0
	v_mul_f32_e32 v12, v9, v11
	v_fma_f32 v13, -v10, v12, v9
	v_fmac_f32_e32 v12, v13, v11
	v_fma_f32 v9, -v10, v12, v9
	v_div_fmas_f32 v9, v9, v11, v12
	v_div_fixup_f32 v9, v9, v7, 1.0
	v_fma_f32 v7, v6, v5, -v4
	v_mov_b32_e32 v6, v9
	v_pk_mul_f32 v[6:7], v[8:9], v[6:7]
.LBB162_105:                            ;   in Loop: Header=BB162_89 Depth=1
	s_andn2_b64 vcc, exec, s[4:5]
	s_cbranch_vccnz .LBB162_107
; %bb.106:                              ;   in Loop: Header=BB162_89 Depth=1
	v_div_scale_f32 v6, s[4:5], v2, v2, v3
	v_rcp_f32_e32 v7, v6
	v_div_scale_f32 v8, vcc, v3, v2, v3
	v_fma_f32 v9, -v6, v7, 1.0
	v_fmac_f32_e32 v7, v9, v7
	v_mul_f32_e32 v9, v8, v7
	v_fma_f32 v10, -v6, v9, v8
	v_fmac_f32_e32 v9, v10, v7
	v_fma_f32 v6, -v6, v9, v8
	v_div_fmas_f32 v6, v6, v7, v9
	v_div_fixup_f32 v6, v6, v2, v3
	v_fmac_f32_e32 v2, v3, v6
	v_div_scale_f32 v3, s[4:5], v2, v2, 1.0
	v_rcp_f32_e32 v7, v3
	s_nop 0
	v_fma_f32 v8, -v3, v7, 1.0
	v_fmac_f32_e32 v7, v8, v7
	v_div_scale_f32 v8, vcc, 1.0, v2, 1.0
	v_mul_f32_e32 v9, v8, v7
	v_fma_f32 v10, -v3, v9, v8
	v_fmac_f32_e32 v9, v10, v7
	v_fma_f32 v3, -v3, v9, v8
	v_div_fmas_f32 v3, v3, v7, v9
	v_pk_fma_f32 v[8:9], v[6:7], v[4:5], v[4:5] op_sel:[0,1,0] op_sel_hi:[1,0,1]
	v_pk_fma_f32 v[4:5], v[6:7], v[4:5], v[4:5] op_sel:[0,1,0] op_sel_hi:[0,0,1] neg_lo:[1,0,0] neg_hi:[1,0,0]
	v_div_fixup_f32 v2, v3, v2, 1.0
	v_mov_b32_e32 v9, v5
	v_pk_mul_f32 v[6:7], v[8:9], v[2:3] op_sel_hi:[1,0]
.LBB162_107:                            ;   in Loop: Header=BB162_89 Depth=1
	s_add_i32 s12, s11, -4
	s_addk_i32 s10, 0xfd00
	s_cmp_lt_i32 s11, 7
	ds_write_b64 v15, v[6:7]
	s_cbranch_scc1 .LBB162_109
; %bb.108:                              ;   in Loop: Header=BB162_89 Depth=1
	s_mov_b32 s11, s12
	s_branch .LBB162_89
.LBB162_109:
	s_cmp_lt_i32 s12, 0
	s_cbranch_scc1 .LBB162_118
; %bb.110:
	s_mul_i32 s4, s12, 0xc0
	s_lshl_b32 s5, s26, 3
	v_lshl_add_u32 v2, v0, 3, s9
	s_add_i32 s4, s4, s5
	v_add_u32_e32 v8, 0x1140, v2
	s_add_i32 s9, s4, -8
	s_branch .LBB162_112
.LBB162_111:                            ;   in Loop: Header=BB162_112 Depth=1
	v_sub_co_u32_e64 v2, s[4:5], s12, 1
	s_nop 0
	v_readfirstlane_b32 s12, v2
	s_addk_i32 s9, 0xff40
	s_and_b64 vcc, exec, s[4:5]
	ds_write_b64 v9, v[6:7]
	s_cbranch_vccnz .LBB162_118
.LBB162_112:                            ; =>This Loop Header: Depth=1
                                        ;     Child Loop BB162_113 Depth 2
	s_mul_i32 s4, s12, 0xc0
	v_add_u32_e32 v9, s4, v1
	ds_read_b64 v[2:3], v9
	s_cmp_le_i32 s7, s12
	s_mov_b32 s4, s9
	v_mov_b32_e32 v4, v8
	s_mov_b32 s5, s7
	s_cbranch_scc1 .LBB162_114
.LBB162_113:                            ;   Parent Loop BB162_112 Depth=1
                                        ; =>  This Inner Loop Header: Depth=2
	v_mov_b32_e32 v5, s4
	ds_read_b64 v[6:7], v4
	ds_read_b64 v[10:11], v5
	s_add_i32 s5, s5, -1
	s_add_i32 s4, s4, -8
	v_add_u32_e32 v4, 0xffffff40, v4
	s_cmp_le_u32 s5, s12
	s_waitcnt lgkmcnt(0)
	v_pk_mul_f32 v[12:13], v[10:11], v[6:7] op_sel:[1,1] op_sel_hi:[0,1]
	v_pk_fma_f32 v[14:15], v[10:11], v[6:7], v[12:13] op_sel_hi:[1,0,1]
	v_pk_fma_f32 v[6:7], v[10:11], v[6:7], v[12:13] op_sel_hi:[1,0,1] neg_lo:[0,0,1] neg_hi:[0,0,1]
	s_nop 0
	v_mov_b32_e32 v7, v15
	v_pk_add_f32 v[2:3], v[2:3], v[6:7] neg_lo:[0,1] neg_hi:[0,1]
	s_cbranch_scc0 .LBB162_113
.LBB162_114:                            ;   in Loop: Header=BB162_112 Depth=1
	s_mul_i32 s4, s12, 0xc8
	v_mov_b32_e32 v4, s4
	ds_read_b64 v[4:5], v4
	s_mov_b64 s[4:5], -1
                                        ; implicit-def: $vgpr6_vgpr7
	s_waitcnt lgkmcnt(0)
	v_cmp_ngt_f32_e64 s[10:11], |v4|, |v5|
	s_and_b64 vcc, exec, s[10:11]
	s_cbranch_vccz .LBB162_116
; %bb.115:                              ;   in Loop: Header=BB162_112 Depth=1
	v_div_scale_f32 v6, s[4:5], v5, v5, v4
	v_rcp_f32_e32 v7, v6
	v_div_scale_f32 v10, vcc, v4, v5, v4
	v_fma_f32 v11, -v6, v7, 1.0
	v_fmac_f32_e32 v7, v11, v7
	v_mul_f32_e32 v11, v10, v7
	v_fma_f32 v12, -v6, v11, v10
	v_fmac_f32_e32 v11, v12, v7
	v_fma_f32 v6, -v6, v11, v10
	v_div_fmas_f32 v6, v6, v7, v11
	v_div_fixup_f32 v6, v6, v5, v4
	v_fma_f32 v7, v4, v6, v5
	v_div_scale_f32 v10, s[4:5], v7, v7, 1.0
	v_rcp_f32_e32 v11, v10
	s_mov_b64 s[4:5], 0
	v_fma_f32 v12, -v10, v11, 1.0
	v_fmac_f32_e32 v11, v12, v11
	v_div_scale_f32 v12, vcc, 1.0, v7, 1.0
	v_mul_f32_e32 v13, v12, v11
	v_fma_f32 v14, -v10, v13, v12
	v_fmac_f32_e32 v13, v14, v11
	v_fma_f32 v10, -v10, v13, v12
	v_div_fmas_f32 v10, v10, v11, v13
	v_div_fixup_f32 v10, v10, v7, 1.0
	v_pk_fma_f32 v[12:13], v[2:3], v[6:7], v[2:3] op_sel:[0,0,1] op_sel_hi:[1,0,0] neg_lo:[0,0,1] neg_hi:[0,0,1]
	v_pk_fma_f32 v[6:7], v[2:3], v[6:7], v[2:3] op_sel:[0,0,1] op_sel_hi:[1,0,0]
	s_nop 0
	v_mov_b32_e32 v7, v13
	v_pk_mul_f32 v[6:7], v[6:7], v[10:11] op_sel_hi:[1,0]
.LBB162_116:                            ;   in Loop: Header=BB162_112 Depth=1
	s_andn2_b64 vcc, exec, s[4:5]
	s_cbranch_vccnz .LBB162_111
; %bb.117:                              ;   in Loop: Header=BB162_112 Depth=1
	v_div_scale_f32 v6, s[4:5], v4, v4, v5
	v_rcp_f32_e32 v7, v6
	v_div_scale_f32 v10, vcc, v5, v4, v5
	v_fma_f32 v11, -v6, v7, 1.0
	v_fmac_f32_e32 v7, v11, v7
	v_mul_f32_e32 v11, v10, v7
	v_fma_f32 v12, -v6, v11, v10
	v_fmac_f32_e32 v11, v12, v7
	v_fma_f32 v6, -v6, v11, v10
	v_div_fmas_f32 v6, v6, v7, v11
	v_div_fixup_f32 v6, v6, v4, v5
	v_fmac_f32_e32 v4, v5, v6
	v_div_scale_f32 v5, s[4:5], v4, v4, 1.0
	v_rcp_f32_e32 v7, v5
	s_nop 0
	v_fma_f32 v10, -v5, v7, 1.0
	v_fmac_f32_e32 v7, v10, v7
	v_div_scale_f32 v10, vcc, 1.0, v4, 1.0
	v_mul_f32_e32 v11, v10, v7
	v_fma_f32 v12, -v5, v11, v10
	v_fmac_f32_e32 v11, v12, v7
	v_fma_f32 v5, -v5, v11, v10
	v_div_fmas_f32 v5, v5, v7, v11
	v_pk_fma_f32 v[10:11], v[2:3], v[6:7], v[2:3] op_sel:[1,0,0] op_sel_hi:[0,0,1] neg_lo:[1,0,0] neg_hi:[1,0,0]
	v_pk_fma_f32 v[2:3], v[2:3], v[6:7], v[2:3] op_sel:[1,0,0] op_sel_hi:[0,0,1]
	v_div_fixup_f32 v4, v5, v4, 1.0
	v_mov_b32_e32 v3, v11
	v_pk_mul_f32 v[6:7], v[2:3], v[4:5] op_sel_hi:[1,0]
	s_branch .LBB162_111
.LBB162_118:
	s_mov_b64 s[14:15], 0
.LBB162_119:
	s_andn2_b64 vcc, exec, s[14:15]
	s_cbranch_vccnz .LBB162_151
; %bb.120:
	v_mov_b32_e32 v1, 0x1200
	v_lshl_or_b32 v1, v0, 3, v1
	s_cmp_lt_i32 s8, 4
	s_mov_b32 s10, 0
	s_cbranch_scc1 .LBB162_142
; %bb.121:
	s_mov_b32 s7, 0
	s_mov_b32 s9, 0
.LBB162_122:                            ; =>This Loop Header: Depth=1
                                        ;     Child Loop BB162_123 Depth 2
	s_mul_i32 s10, s9, 24
	v_lshl_add_u32 v16, s10, 3, v1
	ds_read2_b64 v[6:9], v16 offset1:24
	ds_read2_b64 v[2:5], v16 offset0:48 offset1:72
	s_cmp_eq_u32 s9, 0
	s_mov_b32 s4, s7
	v_mov_b32_e32 v10, v1
	s_mov_b32 s5, s9
	s_cbranch_scc1 .LBB162_124
.LBB162_123:                            ;   Parent Loop BB162_122 Depth=1
                                        ; =>  This Inner Loop Header: Depth=2
	v_mov_b32_e32 v11, s4
	ds_read_b64 v[22:23], v10
	ds_read2_b64 v[12:15], v11 offset1:24
	ds_read2_b64 v[18:21], v11 offset0:48 offset1:72
	s_add_i32 s5, s5, -1
	s_add_i32 s4, s4, 8
	v_add_u32_e32 v10, 0xc0, v10
	s_waitcnt lgkmcnt(1)
	v_mul_f32_e32 v11, v13, v23
	v_mul_f32_e32 v17, v12, v23
	;; [unrolled: 1-line block ×4, first 2 shown]
	s_waitcnt lgkmcnt(0)
	v_pk_mul_f32 v[24:25], v[18:19], v[22:23] op_sel:[0,1]
	v_pk_mul_f32 v[26:27], v[20:21], v[22:23] op_sel:[0,1]
	v_fma_f32 v11, v12, v22, -v11
	v_fmac_f32_e32 v17, v13, v22
	v_fma_f32 v28, v14, v22, -v28
	v_fmac_f32_e32 v29, v14, v23
	v_pk_fma_f32 v[12:13], v[18:19], v[22:23], v[24:25] op_sel:[0,0,1] op_sel_hi:[1,1,0] neg_lo:[0,0,1] neg_hi:[0,0,1]
	v_pk_fma_f32 v[14:15], v[18:19], v[22:23], v[24:25] op_sel:[0,0,1] op_sel_hi:[1,0,0]
	v_pk_fma_f32 v[18:19], v[20:21], v[22:23], v[26:27] op_sel:[0,0,1] op_sel_hi:[1,1,0] neg_lo:[0,0,1] neg_hi:[0,0,1]
	v_pk_fma_f32 v[20:21], v[20:21], v[22:23], v[26:27] op_sel:[0,0,1] op_sel_hi:[1,0,0]
	v_mov_b32_e32 v13, v15
	v_mov_b32_e32 v19, v21
	s_cmp_eq_u32 s5, 0
	v_sub_f32_e32 v6, v6, v11
	v_sub_f32_e32 v7, v7, v17
	;; [unrolled: 1-line block ×4, first 2 shown]
	v_pk_add_f32 v[2:3], v[2:3], v[12:13] neg_lo:[0,1] neg_hi:[0,1]
	v_pk_add_f32 v[4:5], v[4:5], v[18:19] neg_lo:[0,1] neg_hi:[0,1]
	s_cbranch_scc0 .LBB162_123
.LBB162_124:                            ;   in Loop: Header=BB162_122 Depth=1
	s_mul_i32 s4, s9, 0xc8
	v_mov_b32_e32 v10, s4
	ds_read_b64 v[10:11], v10
	s_mov_b64 s[4:5], -1
                                        ; implicit-def: $vgpr15
	s_waitcnt lgkmcnt(0)
	v_cmp_ngt_f32_e64 s[12:13], |v10|, |v11|
	s_and_b64 vcc, exec, s[12:13]
	s_cbranch_vccz .LBB162_126
; %bb.125:                              ;   in Loop: Header=BB162_122 Depth=1
	v_div_scale_f32 v12, s[4:5], v11, v11, v10
	v_rcp_f32_e32 v13, v12
	v_div_scale_f32 v14, vcc, v10, v11, v10
	v_fma_f32 v15, -v12, v13, 1.0
	v_fmac_f32_e32 v13, v15, v13
	v_mul_f32_e32 v15, v14, v13
	v_fma_f32 v17, -v12, v15, v14
	v_fmac_f32_e32 v15, v17, v13
	v_fma_f32 v12, -v12, v15, v14
	v_div_fmas_f32 v12, v12, v13, v15
	v_div_fixup_f32 v12, v12, v11, v10
	v_fma_f32 v13, v10, v12, v11
	v_div_scale_f32 v14, s[4:5], v13, v13, 1.0
	v_rcp_f32_e32 v15, v14
	s_mov_b64 s[4:5], 0
	v_fma_f32 v17, -v14, v15, 1.0
	v_fmac_f32_e32 v15, v17, v15
	v_div_scale_f32 v17, vcc, 1.0, v13, 1.0
	v_mul_f32_e32 v18, v17, v15
	v_fma_f32 v19, -v14, v18, v17
	v_fmac_f32_e32 v18, v19, v15
	v_fma_f32 v14, -v14, v18, v17
	v_div_fmas_f32 v14, v14, v15, v18
	v_div_fixup_f32 v13, v14, v13, 1.0
	v_fma_f32 v14, v6, v12, v7
	v_fma_f32 v12, v7, v12, -v6
	v_mul_f32_e32 v14, v14, v13
	v_mul_f32_e32 v15, v12, v13
.LBB162_126:                            ;   in Loop: Header=BB162_122 Depth=1
	s_andn2_b64 vcc, exec, s[4:5]
	s_cbranch_vccnz .LBB162_128
; %bb.127:                              ;   in Loop: Header=BB162_122 Depth=1
	v_div_scale_f32 v12, s[4:5], v10, v10, v11
	v_rcp_f32_e32 v13, v12
	v_div_scale_f32 v14, vcc, v11, v10, v11
	v_fma_f32 v15, -v12, v13, 1.0
	v_fmac_f32_e32 v13, v15, v13
	v_mul_f32_e32 v15, v14, v13
	v_fma_f32 v17, -v12, v15, v14
	v_fmac_f32_e32 v15, v17, v13
	v_fma_f32 v12, -v12, v15, v14
	v_div_fmas_f32 v12, v12, v13, v15
	v_div_fixup_f32 v12, v12, v10, v11
	v_fmac_f32_e32 v10, v11, v12
	v_div_scale_f32 v11, s[4:5], v10, v10, 1.0
	v_rcp_f32_e32 v13, v11
	s_nop 0
	v_fma_f32 v14, -v11, v13, 1.0
	v_fmac_f32_e32 v13, v14, v13
	v_div_scale_f32 v14, vcc, 1.0, v10, 1.0
	v_mul_f32_e32 v15, v14, v13
	v_fma_f32 v17, -v11, v15, v14
	v_fmac_f32_e32 v15, v17, v13
	v_fma_f32 v11, -v11, v15, v14
	v_div_fmas_f32 v11, v11, v13, v15
	v_div_fixup_f32 v10, v11, v10, 1.0
	v_fma_f32 v11, v7, v12, v6
	v_fma_f32 v6, -v6, v12, v7
	v_mul_f32_e32 v14, v11, v10
	v_mul_f32_e32 v15, v6, v10
.LBB162_128:                            ;   in Loop: Header=BB162_122 Depth=1
	s_lshl_b32 s10, s10, 3
	s_addk_i32 s10, 0xc0
	s_lshl_b32 s11, s9, 3
	s_add_i32 s4, s10, s11
	v_mov_b32_e32 v6, s4
	ds_read_b128 v[10:13], v6
	s_mov_b64 s[4:5], -1
	ds_write_b64 v16, v[14:15]
	s_waitcnt lgkmcnt(1)
	v_mul_f32_e32 v6, v15, v11
	v_mul_f32_e32 v7, v14, v11
	v_fma_f32 v6, v14, v10, -v6
	v_fmac_f32_e32 v7, v15, v10
	v_cmp_ngt_f32_e64 s[12:13], |v12|, |v13|
	v_sub_f32_e32 v6, v8, v6
	v_sub_f32_e32 v7, v9, v7
	s_and_b64 vcc, exec, s[12:13]
                                        ; implicit-def: $vgpr11
	s_cbranch_vccz .LBB162_130
; %bb.129:                              ;   in Loop: Header=BB162_122 Depth=1
	v_div_scale_f32 v8, s[4:5], v13, v13, v12
	v_rcp_f32_e32 v9, v8
	v_div_scale_f32 v10, vcc, v12, v13, v12
	v_fma_f32 v11, -v8, v9, 1.0
	v_fmac_f32_e32 v9, v11, v9
	v_mul_f32_e32 v11, v10, v9
	v_fma_f32 v17, -v8, v11, v10
	v_fmac_f32_e32 v11, v17, v9
	v_fma_f32 v8, -v8, v11, v10
	v_div_fmas_f32 v8, v8, v9, v11
	v_div_fixup_f32 v8, v8, v13, v12
	v_fma_f32 v9, v12, v8, v13
	v_div_scale_f32 v10, s[4:5], v9, v9, 1.0
	v_rcp_f32_e32 v11, v10
	s_mov_b64 s[4:5], 0
	v_fma_f32 v17, -v10, v11, 1.0
	v_fmac_f32_e32 v11, v17, v11
	v_div_scale_f32 v17, vcc, 1.0, v9, 1.0
	v_mul_f32_e32 v18, v17, v11
	v_fma_f32 v19, -v10, v18, v17
	v_fmac_f32_e32 v18, v19, v11
	v_fma_f32 v10, -v10, v18, v17
	v_div_fmas_f32 v10, v10, v11, v18
	v_div_fixup_f32 v9, v10, v9, 1.0
	v_fma_f32 v10, v8, v6, v7
	v_fma_f32 v8, v8, v7, -v6
	v_mul_f32_e32 v10, v10, v9
	v_mul_f32_e32 v11, v8, v9
.LBB162_130:                            ;   in Loop: Header=BB162_122 Depth=1
	s_andn2_b64 vcc, exec, s[4:5]
	s_cbranch_vccnz .LBB162_132
; %bb.131:                              ;   in Loop: Header=BB162_122 Depth=1
	v_div_scale_f32 v8, s[4:5], v12, v12, v13
	v_rcp_f32_e32 v9, v8
	v_div_scale_f32 v10, vcc, v13, v12, v13
	v_fma_f32 v11, -v8, v9, 1.0
	v_fmac_f32_e32 v9, v11, v9
	v_mul_f32_e32 v11, v10, v9
	v_fma_f32 v17, -v8, v11, v10
	v_fmac_f32_e32 v11, v17, v9
	v_fma_f32 v8, -v8, v11, v10
	v_div_fmas_f32 v8, v8, v9, v11
	v_div_fixup_f32 v8, v8, v12, v13
	v_fmac_f32_e32 v12, v13, v8
	v_div_scale_f32 v9, s[4:5], v12, v12, 1.0
	v_rcp_f32_e32 v10, v9
	s_nop 0
	v_fma_f32 v11, -v9, v10, 1.0
	v_fmac_f32_e32 v10, v11, v10
	v_div_scale_f32 v11, vcc, 1.0, v12, 1.0
	v_mul_f32_e32 v13, v11, v10
	v_fma_f32 v17, -v9, v13, v11
	v_fmac_f32_e32 v13, v17, v10
	v_fma_f32 v9, -v9, v13, v11
	v_div_fmas_f32 v9, v9, v10, v13
	v_div_fixup_f32 v9, v9, v12, 1.0
	v_fma_f32 v10, v8, v7, v6
	v_fma_f32 v6, -v8, v6, v7
	v_mul_f32_e32 v10, v10, v9
	v_mul_f32_e32 v11, v6, v9
.LBB162_132:                            ;   in Loop: Header=BB162_122 Depth=1
	s_addk_i32 s10, 0xc0
	s_add_i32 s10, s10, s11
	v_mov_b32_e32 v6, s10
	ds_read_b128 v[18:21], v6
	v_mov_b32_e32 v8, v15
	ds_read_b64 v[6:7], v6 offset:16
	s_mov_b64 s[4:5], -1
	ds_write_b64 v16, v[10:11] offset:192
	s_waitcnt lgkmcnt(2)
	v_pk_mul_f32 v[8:9], v[8:9], v[18:19] op_sel_hi:[0,1]
	v_pk_fma_f32 v[12:13], v[14:15], v[18:19], v[8:9] op_sel:[0,0,1] op_sel_hi:[1,1,0] neg_lo:[0,0,1] neg_hi:[0,0,1]
	v_pk_fma_f32 v[8:9], v[14:15], v[18:19], v[8:9] op_sel:[0,0,1] op_sel_hi:[0,1,0]
	v_mov_b32_e32 v8, v11
	v_mov_b32_e32 v13, v9
	v_pk_mul_f32 v[8:9], v[8:9], v[20:21] op_sel_hi:[0,1]
	v_pk_add_f32 v[2:3], v[2:3], v[12:13] neg_lo:[0,1] neg_hi:[0,1]
	v_pk_fma_f32 v[12:13], v[10:11], v[20:21], v[8:9] op_sel:[0,0,1] op_sel_hi:[1,1,0] neg_lo:[0,0,1] neg_hi:[0,0,1]
	v_pk_fma_f32 v[8:9], v[10:11], v[20:21], v[8:9] op_sel:[0,0,1] op_sel_hi:[0,1,0]
	v_mov_b32_e32 v13, v9
	s_waitcnt lgkmcnt(1)
	v_cmp_ngt_f32_e64 s[12:13], |v6|, |v7|
	v_pk_add_f32 v[2:3], v[2:3], v[12:13] neg_lo:[0,1] neg_hi:[0,1]
	s_and_b64 vcc, exec, s[12:13]
                                        ; implicit-def: $vgpr12_vgpr13
	s_cbranch_vccz .LBB162_134
; %bb.133:                              ;   in Loop: Header=BB162_122 Depth=1
	v_div_scale_f32 v8, s[4:5], v7, v7, v6
	v_rcp_f32_e32 v9, v8
	v_div_scale_f32 v12, vcc, v6, v7, v6
	v_fma_f32 v13, -v8, v9, 1.0
	v_fmac_f32_e32 v9, v13, v9
	v_mul_f32_e32 v13, v12, v9
	v_fma_f32 v17, -v8, v13, v12
	v_fmac_f32_e32 v13, v17, v9
	v_fma_f32 v8, -v8, v13, v12
	v_div_fmas_f32 v8, v8, v9, v13
	v_div_fixup_f32 v8, v8, v7, v6
	v_fma_f32 v9, v6, v8, v7
	v_div_scale_f32 v17, s[4:5], v9, v9, 1.0
	v_rcp_f32_e32 v18, v17
	v_pk_fma_f32 v[12:13], v[8:9], v[2:3], v[2:3] op_sel:[0,0,1] op_sel_hi:[1,1,0]
	s_mov_b64 s[4:5], 0
	v_fma_f32 v13, -v17, v18, 1.0
	v_fmac_f32_e32 v18, v13, v18
	v_div_scale_f32 v13, vcc, 1.0, v9, 1.0
	v_mul_f32_e32 v19, v13, v18
	v_fma_f32 v20, -v17, v19, v13
	v_fmac_f32_e32 v19, v20, v18
	v_fma_f32 v13, -v17, v19, v13
	v_div_fmas_f32 v13, v13, v18, v19
	v_div_fixup_f32 v13, v13, v9, 1.0
	v_fma_f32 v9, v8, v3, -v2
	v_mov_b32_e32 v8, v13
	v_pk_mul_f32 v[12:13], v[12:13], v[8:9]
.LBB162_134:                            ;   in Loop: Header=BB162_122 Depth=1
	s_andn2_b64 vcc, exec, s[4:5]
	s_cbranch_vccnz .LBB162_136
; %bb.135:                              ;   in Loop: Header=BB162_122 Depth=1
	v_div_scale_f32 v8, s[4:5], v6, v6, v7
	v_rcp_f32_e32 v9, v8
	v_div_scale_f32 v12, vcc, v7, v6, v7
	v_fma_f32 v13, -v8, v9, 1.0
	v_fmac_f32_e32 v9, v13, v9
	v_mul_f32_e32 v13, v12, v9
	v_fma_f32 v17, -v8, v13, v12
	v_fmac_f32_e32 v13, v17, v9
	v_fma_f32 v8, -v8, v13, v12
	v_div_fmas_f32 v8, v8, v9, v13
	v_div_fixup_f32 v8, v8, v6, v7
	v_fmac_f32_e32 v6, v7, v8
	v_div_scale_f32 v7, s[4:5], v6, v6, 1.0
	v_rcp_f32_e32 v9, v7
	s_nop 0
	v_fma_f32 v12, -v7, v9, 1.0
	v_fmac_f32_e32 v9, v12, v9
	v_div_scale_f32 v12, vcc, 1.0, v6, 1.0
	v_mul_f32_e32 v13, v12, v9
	v_fma_f32 v17, -v7, v13, v12
	v_fmac_f32_e32 v13, v17, v9
	v_fma_f32 v7, -v7, v13, v12
	v_div_fmas_f32 v7, v7, v9, v13
	v_pk_fma_f32 v[12:13], v[8:9], v[2:3], v[2:3] op_sel:[0,1,0] op_sel_hi:[1,0,1]
	v_pk_fma_f32 v[2:3], v[8:9], v[2:3], v[2:3] op_sel:[0,1,0] op_sel_hi:[0,0,1] neg_lo:[1,0,0] neg_hi:[1,0,0]
	v_div_fixup_f32 v6, v7, v6, 1.0
	v_mov_b32_e32 v13, v3
	v_pk_mul_f32 v[12:13], v[12:13], v[6:7] op_sel_hi:[1,0]
.LBB162_136:                            ;   in Loop: Header=BB162_122 Depth=1
	v_mov_b32_e32 v6, s10
	ds_read_b128 v[18:21], v6 offset:192
	v_mov_b32_e32 v2, v15
	v_mov_b32_e32 v3, v15
	;; [unrolled: 1-line block ×3, first 2 shown]
	ds_read_b128 v[6:9], v6 offset:208
	s_waitcnt lgkmcnt(1)
	v_pk_mul_f32 v[2:3], v[2:3], v[18:19]
	v_mov_b32_e32 v22, v11
	v_pk_fma_f32 v[24:25], v[14:15], v[18:19], v[2:3] op_sel:[0,0,1] op_sel_hi:[1,1,0] neg_lo:[0,0,1] neg_hi:[0,0,1]
	v_pk_fma_f32 v[2:3], v[14:15], v[18:19], v[2:3] op_sel:[0,0,1] op_sel_hi:[1,1,0]
	v_mov_b32_e32 v23, v11
	v_mov_b32_e32 v25, v3
	;; [unrolled: 1-line block ×3, first 2 shown]
	v_pk_add_f32 v[2:3], v[4:5], v[24:25] neg_lo:[0,1] neg_hi:[0,1]
	v_pk_mul_f32 v[4:5], v[22:23], v[20:21]
	s_waitcnt lgkmcnt(0)
	v_cmp_ngt_f32_e64 s[10:11], |v8|, |v9|
	v_pk_fma_f32 v[14:15], v[10:11], v[20:21], v[4:5] op_sel:[0,0,1] op_sel_hi:[1,1,0] neg_lo:[0,0,1] neg_hi:[0,0,1]
	v_pk_fma_f32 v[4:5], v[10:11], v[20:21], v[4:5] op_sel:[0,0,1] op_sel_hi:[1,1,0]
	s_mov_b64 s[4:5], -1
	v_mov_b32_e32 v15, v5
	v_pk_mul_f32 v[4:5], v[12:13], v[6:7] op_sel:[1,1] op_sel_hi:[1,0]
	v_pk_add_f32 v[2:3], v[2:3], v[14:15] neg_lo:[0,1] neg_hi:[0,1]
	v_pk_fma_f32 v[10:11], v[12:13], v[6:7], v[4:5] neg_lo:[0,0,1] neg_hi:[0,0,1]
	v_pk_fma_f32 v[4:5], v[12:13], v[6:7], v[4:5] op_sel_hi:[0,1,1]
	v_mov_b32_e32 v11, v5
	v_pk_add_f32 v[2:3], v[2:3], v[10:11] neg_lo:[0,1] neg_hi:[0,1]
	s_and_b64 vcc, exec, s[10:11]
	ds_write_b64 v16, v[12:13] offset:384
                                        ; implicit-def: $vgpr4_vgpr5
	s_cbranch_vccz .LBB162_138
; %bb.137:                              ;   in Loop: Header=BB162_122 Depth=1
	v_div_scale_f32 v4, s[4:5], v9, v9, v8
	v_rcp_f32_e32 v5, v4
	v_div_scale_f32 v6, vcc, v8, v9, v8
	v_fma_f32 v7, -v4, v5, 1.0
	v_fmac_f32_e32 v5, v7, v5
	v_mul_f32_e32 v7, v6, v5
	v_fma_f32 v10, -v4, v7, v6
	v_fmac_f32_e32 v7, v10, v5
	v_fma_f32 v4, -v4, v7, v6
	v_div_fmas_f32 v4, v4, v5, v7
	v_div_fixup_f32 v4, v4, v9, v8
	v_fma_f32 v5, v8, v4, v9
	v_div_scale_f32 v10, s[4:5], v5, v5, 1.0
	v_rcp_f32_e32 v11, v10
	v_pk_fma_f32 v[6:7], v[4:5], v[2:3], v[2:3] op_sel:[0,0,1] op_sel_hi:[1,1,0]
	s_mov_b64 s[4:5], 0
	v_fma_f32 v7, -v10, v11, 1.0
	v_fmac_f32_e32 v11, v7, v11
	v_div_scale_f32 v7, vcc, 1.0, v5, 1.0
	v_mul_f32_e32 v12, v7, v11
	v_fma_f32 v13, -v10, v12, v7
	v_fmac_f32_e32 v12, v13, v11
	v_fma_f32 v7, -v10, v12, v7
	v_div_fmas_f32 v7, v7, v11, v12
	v_div_fixup_f32 v7, v7, v5, 1.0
	v_fma_f32 v5, v4, v3, -v2
	v_mov_b32_e32 v4, v7
	v_pk_mul_f32 v[4:5], v[6:7], v[4:5]
.LBB162_138:                            ;   in Loop: Header=BB162_122 Depth=1
	s_andn2_b64 vcc, exec, s[4:5]
	s_cbranch_vccnz .LBB162_140
; %bb.139:                              ;   in Loop: Header=BB162_122 Depth=1
	v_div_scale_f32 v4, s[4:5], v8, v8, v9
	v_rcp_f32_e32 v5, v4
	v_div_scale_f32 v6, vcc, v9, v8, v9
	v_fma_f32 v7, -v4, v5, 1.0
	v_fmac_f32_e32 v5, v7, v5
	v_mul_f32_e32 v7, v6, v5
	v_fma_f32 v10, -v4, v7, v6
	v_fmac_f32_e32 v7, v10, v5
	v_fma_f32 v4, -v4, v7, v6
	v_div_fmas_f32 v4, v4, v5, v7
	v_div_fixup_f32 v4, v4, v8, v9
	v_fmac_f32_e32 v8, v9, v4
	v_div_scale_f32 v5, s[4:5], v8, v8, 1.0
	v_rcp_f32_e32 v6, v5
	s_nop 0
	v_fma_f32 v7, -v5, v6, 1.0
	v_fmac_f32_e32 v6, v7, v6
	v_div_scale_f32 v7, vcc, 1.0, v8, 1.0
	v_mul_f32_e32 v9, v7, v6
	v_fma_f32 v10, -v5, v9, v7
	v_fmac_f32_e32 v9, v10, v6
	v_fma_f32 v5, -v5, v9, v7
	v_div_fmas_f32 v5, v5, v6, v9
	v_div_fixup_f32 v6, v5, v8, 1.0
	v_pk_fma_f32 v[8:9], v[4:5], v[2:3], v[2:3] op_sel:[0,1,0] op_sel_hi:[1,0,1]
	v_pk_fma_f32 v[2:3], v[4:5], v[2:3], v[2:3] op_sel:[0,1,0] op_sel_hi:[0,0,1] neg_lo:[1,0,0] neg_hi:[1,0,0]
	v_mov_b32_e32 v9, v3
	v_pk_mul_f32 v[4:5], v[8:9], v[6:7] op_sel_hi:[1,0]
.LBB162_140:                            ;   in Loop: Header=BB162_122 Depth=1
	s_add_i32 s10, s9, 4
	s_add_i32 s4, s9, 7
	s_addk_i32 s7, 0x300
	s_cmp_ge_i32 s4, s26
	ds_write_b64 v16, v[4:5] offset:576
	s_cbranch_scc1 .LBB162_142
; %bb.141:                              ;   in Loop: Header=BB162_122 Depth=1
	s_mov_b32 s9, s10
	s_branch .LBB162_122
.LBB162_142:
	s_cmp_ge_i32 s10, s26
	s_cbranch_scc1 .LBB162_151
; %bb.143:
	v_mov_b32_e32 v2, 0x1200
	v_lshl_or_b32 v8, v0, 3, v2
	s_mul_i32 s7, s10, 0xc0
	s_branch .LBB162_145
.LBB162_144:                            ;   in Loop: Header=BB162_145 Depth=1
	s_add_i32 s10, s10, 1
	s_addk_i32 s7, 0xc0
	s_cmp_ge_i32 s10, s26
	ds_write_b64 v9, v[6:7]
	s_cbranch_scc1 .LBB162_151
.LBB162_145:                            ; =>This Loop Header: Depth=1
                                        ;     Child Loop BB162_146 Depth 2
	s_mul_i32 s4, s10, 0xc0
	v_add_u32_e32 v9, s4, v1
	ds_read_b64 v[2:3], v9
	s_cmp_eq_u32 s10, 0
	s_mov_b32 s4, s7
	v_mov_b32_e32 v4, v8
	s_mov_b32 s5, s10
	s_cbranch_scc1 .LBB162_147
.LBB162_146:                            ;   Parent Loop BB162_145 Depth=1
                                        ; =>  This Inner Loop Header: Depth=2
	v_mov_b32_e32 v5, s4
	ds_read_b64 v[6:7], v4
	ds_read_b64 v[10:11], v5
	s_add_i32 s5, s5, -1
	s_add_i32 s4, s4, 8
	v_add_u32_e32 v4, 0xc0, v4
	s_cmp_eq_u32 s5, 0
	s_waitcnt lgkmcnt(0)
	v_pk_mul_f32 v[12:13], v[10:11], v[6:7] op_sel:[1,1] op_sel_hi:[0,1]
	v_pk_fma_f32 v[14:15], v[10:11], v[6:7], v[12:13] op_sel_hi:[1,0,1]
	v_pk_fma_f32 v[6:7], v[10:11], v[6:7], v[12:13] op_sel_hi:[1,0,1] neg_lo:[0,0,1] neg_hi:[0,0,1]
	s_nop 0
	v_mov_b32_e32 v7, v15
	v_pk_add_f32 v[2:3], v[2:3], v[6:7] neg_lo:[0,1] neg_hi:[0,1]
	s_cbranch_scc0 .LBB162_146
.LBB162_147:                            ;   in Loop: Header=BB162_145 Depth=1
	s_mul_i32 s4, s10, 0xc8
	v_mov_b32_e32 v4, s4
	ds_read_b64 v[4:5], v4
	s_mov_b64 s[4:5], -1
                                        ; implicit-def: $vgpr6_vgpr7
	s_waitcnt lgkmcnt(0)
	v_cmp_ngt_f32_e64 s[12:13], |v4|, |v5|
	s_and_b64 vcc, exec, s[12:13]
	s_cbranch_vccz .LBB162_149
; %bb.148:                              ;   in Loop: Header=BB162_145 Depth=1
	v_div_scale_f32 v6, s[4:5], v5, v5, v4
	v_rcp_f32_e32 v7, v6
	v_div_scale_f32 v10, vcc, v4, v5, v4
	v_fma_f32 v11, -v6, v7, 1.0
	v_fmac_f32_e32 v7, v11, v7
	v_mul_f32_e32 v11, v10, v7
	v_fma_f32 v12, -v6, v11, v10
	v_fmac_f32_e32 v11, v12, v7
	v_fma_f32 v6, -v6, v11, v10
	v_div_fmas_f32 v6, v6, v7, v11
	v_div_fixup_f32 v6, v6, v5, v4
	v_fma_f32 v7, v4, v6, v5
	v_div_scale_f32 v10, s[4:5], v7, v7, 1.0
	v_rcp_f32_e32 v11, v10
	s_mov_b64 s[4:5], 0
	v_fma_f32 v12, -v10, v11, 1.0
	v_fmac_f32_e32 v11, v12, v11
	v_div_scale_f32 v12, vcc, 1.0, v7, 1.0
	v_mul_f32_e32 v13, v12, v11
	v_fma_f32 v14, -v10, v13, v12
	v_fmac_f32_e32 v13, v14, v11
	v_fma_f32 v10, -v10, v13, v12
	v_div_fmas_f32 v10, v10, v11, v13
	v_div_fixup_f32 v10, v10, v7, 1.0
	v_pk_fma_f32 v[12:13], v[2:3], v[6:7], v[2:3] op_sel:[0,0,1] op_sel_hi:[1,0,0] neg_lo:[0,0,1] neg_hi:[0,0,1]
	v_pk_fma_f32 v[6:7], v[2:3], v[6:7], v[2:3] op_sel:[0,0,1] op_sel_hi:[1,0,0]
	s_nop 0
	v_mov_b32_e32 v7, v13
	v_pk_mul_f32 v[6:7], v[6:7], v[10:11] op_sel_hi:[1,0]
.LBB162_149:                            ;   in Loop: Header=BB162_145 Depth=1
	s_andn2_b64 vcc, exec, s[4:5]
	s_cbranch_vccnz .LBB162_144
; %bb.150:                              ;   in Loop: Header=BB162_145 Depth=1
	v_div_scale_f32 v6, s[4:5], v4, v4, v5
	v_rcp_f32_e32 v7, v6
	v_div_scale_f32 v10, vcc, v5, v4, v5
	v_fma_f32 v11, -v6, v7, 1.0
	v_fmac_f32_e32 v7, v11, v7
	v_mul_f32_e32 v11, v10, v7
	v_fma_f32 v12, -v6, v11, v10
	v_fmac_f32_e32 v11, v12, v7
	v_fma_f32 v6, -v6, v11, v10
	v_div_fmas_f32 v6, v6, v7, v11
	v_div_fixup_f32 v6, v6, v4, v5
	v_fmac_f32_e32 v4, v5, v6
	v_div_scale_f32 v5, s[4:5], v4, v4, 1.0
	v_rcp_f32_e32 v7, v5
	s_nop 0
	v_fma_f32 v10, -v5, v7, 1.0
	v_fmac_f32_e32 v7, v10, v7
	v_div_scale_f32 v10, vcc, 1.0, v4, 1.0
	v_mul_f32_e32 v11, v10, v7
	v_fma_f32 v12, -v5, v11, v10
	v_fmac_f32_e32 v11, v12, v7
	v_fma_f32 v5, -v5, v11, v10
	v_div_fmas_f32 v5, v5, v7, v11
	v_pk_fma_f32 v[10:11], v[2:3], v[6:7], v[2:3] op_sel:[1,0,0] op_sel_hi:[0,0,1] neg_lo:[1,0,0] neg_hi:[1,0,0]
	v_pk_fma_f32 v[2:3], v[2:3], v[6:7], v[2:3] op_sel:[1,0,0] op_sel_hi:[0,0,1]
	v_div_fixup_f32 v4, v5, v4, 1.0
	v_mov_b32_e32 v3, v11
	v_pk_mul_f32 v[6:7], v[2:3], v[4:5] op_sel_hi:[1,0]
	s_branch .LBB162_144
.LBB162_151:
	s_and_saveexec_b64 s[4:5], s[0:1]
	s_cbranch_execz .LBB162_155
; %bb.152:
	s_cmp_lt_i32 s8, 1
	s_cbranch_scc1 .LBB162_155
; %bb.153:
	s_ashr_i32 s7, s6, 31
	v_lshlrev_b32_e32 v2, 3, v0
	v_mov_b32_e32 v3, 0
	v_lshl_add_u64 v[0:1], s[2:3], 0, v[2:3]
	s_lshl_b64 s[0:1], s[6:7], 3
	v_or_b32_e32 v2, 0x1200, v2
.LBB162_154:                            ; =>This Inner Loop Header: Depth=1
	ds_read_b64 v[4:5], v2
	s_add_i32 s8, s8, -1
	v_add_u32_e32 v2, 0xc0, v2
	s_cmp_lg_u32 s8, 0
	s_waitcnt lgkmcnt(0)
	flat_store_dwordx2 v[0:1], v[4:5]
	v_lshl_add_u64 v[0:1], v[0:1], 0, s[0:1]
	s_cbranch_scc1 .LBB162_154
.LBB162_155:
	s_endpgm
	.section	.rodata,"a",@progbits
	.p2align	6, 0x0
	.amdhsa_kernel _ZL31rocblas_trsm_small_right_deviceI19rocblas_complex_numIfES1_PKPKS1_PKPS1_Li24EEv13rocblas_fill_18rocblas_operation_17rocblas_diagonal_iiT0_T1_lilT2_lili
		.amdhsa_group_segment_fixed_size 9216
		.amdhsa_private_segment_fixed_size 0
		.amdhsa_kernarg_size 360
		.amdhsa_user_sgpr_count 2
		.amdhsa_user_sgpr_dispatch_ptr 0
		.amdhsa_user_sgpr_queue_ptr 0
		.amdhsa_user_sgpr_kernarg_segment_ptr 1
		.amdhsa_user_sgpr_dispatch_id 0
		.amdhsa_user_sgpr_kernarg_preload_length 0
		.amdhsa_user_sgpr_kernarg_preload_offset 0
		.amdhsa_user_sgpr_private_segment_size 0
		.amdhsa_uses_dynamic_stack 0
		.amdhsa_enable_private_segment 0
		.amdhsa_system_sgpr_workgroup_id_x 1
		.amdhsa_system_sgpr_workgroup_id_y 0
		.amdhsa_system_sgpr_workgroup_id_z 1
		.amdhsa_system_sgpr_workgroup_info 0
		.amdhsa_system_vgpr_workitem_id 0
		.amdhsa_next_free_vgpr 81
		.amdhsa_next_free_sgpr 96
		.amdhsa_accum_offset 36
		.amdhsa_reserve_vcc 1
		.amdhsa_float_round_mode_32 0
		.amdhsa_float_round_mode_16_64 0
		.amdhsa_float_denorm_mode_32 3
		.amdhsa_float_denorm_mode_16_64 3
		.amdhsa_dx10_clamp 1
		.amdhsa_ieee_mode 1
		.amdhsa_fp16_overflow 0
		.amdhsa_tg_split 0
		.amdhsa_exception_fp_ieee_invalid_op 0
		.amdhsa_exception_fp_denorm_src 0
		.amdhsa_exception_fp_ieee_div_zero 0
		.amdhsa_exception_fp_ieee_overflow 0
		.amdhsa_exception_fp_ieee_underflow 0
		.amdhsa_exception_fp_ieee_inexact 0
		.amdhsa_exception_int_div_zero 0
	.end_amdhsa_kernel
	.section	.text._ZL31rocblas_trsm_small_right_deviceI19rocblas_complex_numIfES1_PKPKS1_PKPS1_Li24EEv13rocblas_fill_18rocblas_operation_17rocblas_diagonal_iiT0_T1_lilT2_lili,"axG",@progbits,_ZL31rocblas_trsm_small_right_deviceI19rocblas_complex_numIfES1_PKPKS1_PKPS1_Li24EEv13rocblas_fill_18rocblas_operation_17rocblas_diagonal_iiT0_T1_lilT2_lili,comdat
.Lfunc_end162:
	.size	_ZL31rocblas_trsm_small_right_deviceI19rocblas_complex_numIfES1_PKPKS1_PKPS1_Li24EEv13rocblas_fill_18rocblas_operation_17rocblas_diagonal_iiT0_T1_lilT2_lili, .Lfunc_end162-_ZL31rocblas_trsm_small_right_deviceI19rocblas_complex_numIfES1_PKPKS1_PKPS1_Li24EEv13rocblas_fill_18rocblas_operation_17rocblas_diagonal_iiT0_T1_lilT2_lili
                                        ; -- End function
	.set _ZL31rocblas_trsm_small_right_deviceI19rocblas_complex_numIfES1_PKPKS1_PKPS1_Li24EEv13rocblas_fill_18rocblas_operation_17rocblas_diagonal_iiT0_T1_lilT2_lili.num_vgpr, 34
	.set _ZL31rocblas_trsm_small_right_deviceI19rocblas_complex_numIfES1_PKPKS1_PKPS1_Li24EEv13rocblas_fill_18rocblas_operation_17rocblas_diagonal_iiT0_T1_lilT2_lili.num_agpr, 0
	.set _ZL31rocblas_trsm_small_right_deviceI19rocblas_complex_numIfES1_PKPKS1_PKPS1_Li24EEv13rocblas_fill_18rocblas_operation_17rocblas_diagonal_iiT0_T1_lilT2_lili.numbered_sgpr, 32
	.set _ZL31rocblas_trsm_small_right_deviceI19rocblas_complex_numIfES1_PKPKS1_PKPS1_Li24EEv13rocblas_fill_18rocblas_operation_17rocblas_diagonal_iiT0_T1_lilT2_lili.num_named_barrier, 0
	.set _ZL31rocblas_trsm_small_right_deviceI19rocblas_complex_numIfES1_PKPKS1_PKPS1_Li24EEv13rocblas_fill_18rocblas_operation_17rocblas_diagonal_iiT0_T1_lilT2_lili.private_seg_size, 0
	.set _ZL31rocblas_trsm_small_right_deviceI19rocblas_complex_numIfES1_PKPKS1_PKPS1_Li24EEv13rocblas_fill_18rocblas_operation_17rocblas_diagonal_iiT0_T1_lilT2_lili.uses_vcc, 1
	.set _ZL31rocblas_trsm_small_right_deviceI19rocblas_complex_numIfES1_PKPKS1_PKPS1_Li24EEv13rocblas_fill_18rocblas_operation_17rocblas_diagonal_iiT0_T1_lilT2_lili.uses_flat_scratch, 0
	.set _ZL31rocblas_trsm_small_right_deviceI19rocblas_complex_numIfES1_PKPKS1_PKPS1_Li24EEv13rocblas_fill_18rocblas_operation_17rocblas_diagonal_iiT0_T1_lilT2_lili.has_dyn_sized_stack, 0
	.set _ZL31rocblas_trsm_small_right_deviceI19rocblas_complex_numIfES1_PKPKS1_PKPS1_Li24EEv13rocblas_fill_18rocblas_operation_17rocblas_diagonal_iiT0_T1_lilT2_lili.has_recursion, 0
	.set _ZL31rocblas_trsm_small_right_deviceI19rocblas_complex_numIfES1_PKPKS1_PKPS1_Li24EEv13rocblas_fill_18rocblas_operation_17rocblas_diagonal_iiT0_T1_lilT2_lili.has_indirect_call, 0
	.section	.AMDGPU.csdata,"",@progbits
; Kernel info:
; codeLenInByte = 12936
; TotalNumSgprs: 38
; NumVgprs: 34
; NumAgprs: 0
; TotalNumVgprs: 34
; ScratchSize: 0
; MemoryBound: 0
; FloatMode: 240
; IeeeMode: 1
; LDSByteSize: 9216 bytes/workgroup (compile time only)
; SGPRBlocks: 12
; VGPRBlocks: 10
; NumSGPRsForWavesPerEU: 102
; NumVGPRsForWavesPerEU: 81
; AccumOffset: 36
; Occupancy: 5
; WaveLimiterHint : 1
; COMPUTE_PGM_RSRC2:SCRATCH_EN: 0
; COMPUTE_PGM_RSRC2:USER_SGPR: 2
; COMPUTE_PGM_RSRC2:TRAP_HANDLER: 0
; COMPUTE_PGM_RSRC2:TGID_X_EN: 1
; COMPUTE_PGM_RSRC2:TGID_Y_EN: 0
; COMPUTE_PGM_RSRC2:TGID_Z_EN: 1
; COMPUTE_PGM_RSRC2:TIDIG_COMP_CNT: 0
; COMPUTE_PGM_RSRC3_GFX90A:ACCUM_OFFSET: 8
; COMPUTE_PGM_RSRC3_GFX90A:TG_SPLIT: 0
	.section	.text._ZL38rocblas_trsm_small_left_device_sharedBILi28ELi28ELb0E19rocblas_complex_numIfES1_PKPKS1_PKPS1_Ev13rocblas_fill_18rocblas_operation_17rocblas_diagonal_iiT3_T4_lilT5_lili,"axG",@progbits,_ZL38rocblas_trsm_small_left_device_sharedBILi28ELi28ELb0E19rocblas_complex_numIfES1_PKPKS1_PKPS1_Ev13rocblas_fill_18rocblas_operation_17rocblas_diagonal_iiT3_T4_lilT5_lili,comdat
	.globl	_ZL38rocblas_trsm_small_left_device_sharedBILi28ELi28ELb0E19rocblas_complex_numIfES1_PKPKS1_PKPS1_Ev13rocblas_fill_18rocblas_operation_17rocblas_diagonal_iiT3_T4_lilT5_lili ; -- Begin function _ZL38rocblas_trsm_small_left_device_sharedBILi28ELi28ELb0E19rocblas_complex_numIfES1_PKPKS1_PKPS1_Ev13rocblas_fill_18rocblas_operation_17rocblas_diagonal_iiT3_T4_lilT5_lili
	.p2align	8
	.type	_ZL38rocblas_trsm_small_left_device_sharedBILi28ELi28ELb0E19rocblas_complex_numIfES1_PKPKS1_PKPS1_Ev13rocblas_fill_18rocblas_operation_17rocblas_diagonal_iiT3_T4_lilT5_lili,@function
_ZL38rocblas_trsm_small_left_device_sharedBILi28ELi28ELb0E19rocblas_complex_numIfES1_PKPKS1_PKPS1_Ev13rocblas_fill_18rocblas_operation_17rocblas_diagonal_iiT3_T4_lilT5_lili: ; @_ZL38rocblas_trsm_small_left_device_sharedBILi28ELi28ELb0E19rocblas_complex_numIfES1_PKPKS1_PKPS1_Ev13rocblas_fill_18rocblas_operation_17rocblas_diagonal_iiT3_T4_lilT5_lili
; %bb.0:
	s_load_dwordx4 s[8:11], s[0:1], 0x40
	s_load_dwordx4 s[4:7], s[0:1], 0x4
	s_load_dwordx2 s[12:13], s[0:1], 0x14
	s_mov_b32 s14, s3
	s_mov_b32 s15, 0
	s_lshl_b64 s[18:19], s[14:15], 3
	s_waitcnt lgkmcnt(0)
	s_add_u32 s8, s8, s18
	s_addc_u32 s9, s9, s19
	s_load_dword s3, s[0:1], 0x68
	s_load_dwordx2 s[14:15], s[8:9], 0x0
	s_min_i32 s26, s6, 28
	v_cmp_gt_i32_e32 vcc, s26, v0
	s_and_saveexec_b64 s[8:9], vcc
	s_cbranch_execz .LBB163_15
; %bb.1:
	s_load_dword s24, s[0:1], 0x30
	s_load_dwordx4 s[20:23], s[0:1], 0x20
	v_lshlrev_b32_e32 v2, 3, v0
	v_mov_b32_e32 v3, 0
	v_mov_b32_e32 v1, v2
	s_waitcnt lgkmcnt(0)
	s_ashr_i32 s25, s24, 31
	s_cmpk_lg_i32 s4, 0x71
	s_cselect_b64 s[16:17], -1, 0
	s_add_u32 s18, s20, s18
	s_addc_u32 s19, s21, s19
	s_load_dwordx2 s[18:19], s[18:19], 0x0
	s_lshl_b64 s[20:21], s[22:23], 3
	s_mov_b32 s22, s26
	s_waitcnt lgkmcnt(0)
	s_add_u32 s20, s18, s20
	s_addc_u32 s21, s19, s21
	s_lshl_b64 s[18:19], s[24:25], 3
	v_lshl_add_u64 v[4:5], s[20:21], 0, v[2:3]
	s_branch .LBB163_3
.LBB163_2:                              ;   in Loop: Header=BB163_3 Depth=1
	flat_load_dword v6, v[4:5]
	s_add_i32 s22, s22, -1
	v_lshl_add_u64 v[4:5], v[4:5], 0, s[18:19]
	s_cmp_eq_u32 s22, 0
	s_waitcnt vmcnt(0) lgkmcnt(0)
	ds_write_b64 v1, v[6:7]
	v_add_u32_e32 v1, 0xe0, v1
	s_cbranch_scc1 .LBB163_7
.LBB163_3:                              ; =>This Inner Loop Header: Depth=1
	s_mov_b64 s[20:21], -1
	s_and_b64 vcc, exec, s[16:17]
                                        ; implicit-def: $vgpr7
	s_cbranch_vccz .LBB163_5
; %bb.4:                                ;   in Loop: Header=BB163_3 Depth=1
	flat_load_dword v7, v[4:5] offset:4
	s_mov_b64 s[20:21], 0
.LBB163_5:                              ;   in Loop: Header=BB163_3 Depth=1
	s_andn2_b64 vcc, exec, s[20:21]
	s_cbranch_vccnz .LBB163_2
; %bb.6:                                ;   in Loop: Header=BB163_3 Depth=1
	flat_load_dword v3, v[4:5] offset:4
	s_waitcnt vmcnt(0) lgkmcnt(0)
	v_xor_b32_e32 v7, 0x80000000, v3
	s_branch .LBB163_2
.LBB163_7:
	v_mul_u32_u24_e32 v1, 0xe0, v0
	s_cmpk_lg_i32 s5, 0x84
	s_mov_b64 s[16:17], -1
	v_add_u32_e32 v1, v2, v1
	s_cbranch_scc0 .LBB163_13
; %bb.8:
	ds_read_b64 v[2:3], v1
                                        ; implicit-def: $vgpr4_vgpr5
	s_waitcnt lgkmcnt(0)
	v_cmp_ngt_f32_e64 s[16:17], |v2|, |v3|
	s_and_saveexec_b64 s[18:19], s[16:17]
	s_xor_b64 s[16:17], exec, s[18:19]
	s_cbranch_execz .LBB163_10
; %bb.9:
	v_div_scale_f32 v4, s[18:19], v3, v3, v2
	v_rcp_f32_e32 v5, v4
	v_div_scale_f32 v6, vcc, v2, v3, v2
	v_fma_f32 v7, -v4, v5, 1.0
	v_fmac_f32_e32 v5, v7, v5
	v_mul_f32_e32 v7, v6, v5
	v_fma_f32 v8, -v4, v7, v6
	v_fmac_f32_e32 v7, v8, v5
	v_fma_f32 v4, -v4, v7, v6
	v_div_fmas_f32 v4, v4, v5, v7
	v_div_fixup_f32 v4, v4, v3, v2
	v_fmac_f32_e32 v3, v2, v4
	v_div_scale_f32 v2, s[18:19], v3, v3, 1.0
	v_rcp_f32_e32 v5, v2
	s_mov_b32 s18, 0
	s_mov_b32 s19, -1.0
	v_fma_f32 v6, -v2, v5, 1.0
	v_fmac_f32_e32 v5, v6, v5
	v_div_scale_f32 v6, vcc, 1.0, v3, 1.0
	v_mul_f32_e32 v7, v6, v5
	v_fma_f32 v8, -v2, v7, v6
	v_fmac_f32_e32 v7, v8, v5
	v_fma_f32 v2, -v2, v7, v6
	v_div_fmas_f32 v2, v2, v5, v7
	v_mul_f32_e32 v5, 0, v4
	v_div_fixup_f32 v2, v2, v3, 1.0
	v_pk_add_f32 v[4:5], v[4:5], s[18:19]
	s_nop 0
	v_pk_mul_f32 v[4:5], v[4:5], v[2:3] op_sel_hi:[1,0]
                                        ; implicit-def: $vgpr2_vgpr3
.LBB163_10:
	s_andn2_saveexec_b64 s[16:17], s[16:17]
	s_cbranch_execz .LBB163_12
; %bb.11:
	v_div_scale_f32 v4, s[18:19], v2, v2, v3
	v_rcp_f32_e32 v5, v4
	v_div_scale_f32 v6, vcc, v3, v2, v3
	v_fma_f32 v7, -v4, v5, 1.0
	v_fmac_f32_e32 v5, v7, v5
	v_mul_f32_e32 v7, v6, v5
	v_fma_f32 v8, -v4, v7, v6
	v_fmac_f32_e32 v7, v8, v5
	v_fma_f32 v4, -v4, v7, v6
	v_div_fmas_f32 v4, v4, v5, v7
	v_div_fixup_f32 v5, v4, v2, v3
	v_fmac_f32_e32 v2, v3, v5
	v_div_scale_f32 v3, s[18:19], v2, v2, 1.0
	v_rcp_f32_e32 v4, v3
	s_nop 0
	v_fma_f32 v6, -v3, v4, 1.0
	v_fmac_f32_e32 v4, v6, v4
	v_div_scale_f32 v6, vcc, 1.0, v2, 1.0
	v_mul_f32_e32 v7, v6, v4
	v_fma_f32 v8, -v3, v7, v6
	v_fmac_f32_e32 v7, v8, v4
	v_fma_f32 v3, -v3, v7, v6
	v_div_fmas_f32 v3, v3, v4, v7
	v_div_fixup_f32 v2, v3, v2, 1.0
	v_mul_f32_e32 v3, 0, v5
	v_add_f32_e32 v4, 1.0, v3
	v_sub_f32_e32 v5, 0, v5
	v_pk_mul_f32 v[4:5], v[4:5], v[2:3] op_sel_hi:[1,0]
.LBB163_12:
	s_or_b64 exec, exec, s[16:17]
	s_mov_b64 s[16:17], 0
	ds_write_b64 v1, v[4:5]
.LBB163_13:
	s_and_b64 vcc, exec, s[16:17]
	s_cbranch_vccz .LBB163_15
; %bb.14:
	v_mov_b32_e32 v2, 1.0
	v_mov_b32_e32 v3, 0
	ds_write_b64 v1, v[2:3]
.LBB163_15:
	s_or_b64 exec, exec, s[8:9]
	s_load_dword s27, s[0:1], 0x50
	s_lshl_b64 s[16:17], s[10:11], 3
	s_mul_i32 s0, s2, 0xffffffe4
	s_mul_i32 s18, s2, 28
	s_mov_b32 s28, 0
	s_waitcnt lgkmcnt(0)
	s_ashr_i32 s5, s27, 31
	s_add_u32 s8, s14, s16
	s_addc_u32 s9, s15, s17
	s_add_i32 s3, s3, -1
	s_add_i32 s0, s7, s0
	s_cmp_ge_u32 s2, s3
	s_cselect_b32 s7, s0, 28
	s_mul_hi_i32 s1, s27, s18
	s_mul_i32 s0, s27, s18
	s_lshl_b64 s[0:1], s[0:1], 3
	s_add_u32 s2, s8, s0
	s_addc_u32 s3, s9, s1
	s_cmp_gt_i32 s6, 0
	v_cmp_gt_i32_e64 s[0:1], s7, v0
	s_cselect_b64 s[8:9], -1, 0
	s_and_b64 s[20:21], s[0:1], s[8:9]
	s_and_saveexec_b64 s[10:11], s[20:21]
	s_cbranch_execz .LBB163_23
; %bb.16:
	s_cmp_lt_i32 s6, 2
	s_mov_b64 s[6:7], -1
	s_cbranch_scc1 .LBB163_20
; %bb.17:
	v_mad_i64_i32 v[2:3], s[6:7], s27, v0, 0
	v_mov_b32_e32 v1, 0x1880
	s_and_b32 s28, s26, 30
	s_mov_b32 s25, 0
	v_lshl_add_u64 v[2:3], v[2:3], 3, s[2:3]
	v_lshl_add_u32 v1, v0, 3, v1
	s_mov_b32 s6, s12
	s_mov_b32 s7, s12
	;; [unrolled: 1-line block ×7, first 2 shown]
.LBB163_18:                             ; =>This Inner Loop Header: Depth=1
	v_lshl_add_u64 v[4:5], s[24:25], 3, v[2:3]
	s_mov_b32 s23, s25
	v_lshl_add_u64 v[6:7], s[22:23], 3, v[2:3]
	flat_load_dwordx2 v[12:13], v[4:5]
	flat_load_dwordx2 v[8:9], v[6:7]
	s_mul_i32 s23, s22, 0xe0
	s_mul_i32 s29, s24, 0xe0
	s_add_i32 s24, s24, 2
	s_add_i32 s19, s19, -2
	s_add_i32 s22, s22, 2
	v_add_u32_e32 v10, s29, v1
	s_cmp_lg_u32 s19, 0
	v_add_u32_e32 v11, s23, v1
	s_waitcnt vmcnt(0) lgkmcnt(0)
	v_mov_b32_e32 v4, v12
	v_mov_b32_e32 v5, v8
	;; [unrolled: 1-line block ×3, first 2 shown]
	v_pk_mul_f32 v[6:7], s[20:21], v[8:9]
	v_pk_mul_f32 v[8:9], s[6:7], v[8:9]
	v_pk_fma_f32 v[6:7], s[6:7], v[4:5], v[6:7] neg_lo:[0,0,1] neg_hi:[0,0,1]
	v_pk_fma_f32 v[4:5], s[20:21], v[4:5], v[8:9]
	ds_write_b32 v10, v6
	ds_write_b32 v11, v7
	ds_write_b32 v10, v4 offset:4
	ds_write_b32 v11, v5 offset:4
	s_cbranch_scc1 .LBB163_18
; %bb.19:
	s_cmp_lg_u32 s26, s28
	s_cselect_b64 s[6:7], -1, 0
.LBB163_20:
	s_and_b64 vcc, exec, s[6:7]
	s_cbranch_vccz .LBB163_23
; %bb.21:
	s_ashr_i32 s19, s18, 31
	v_lshlrev_b32_e32 v2, 3, v0
	v_mov_b32_e32 v3, 0
	s_sub_i32 s20, s26, s28
	v_lshl_add_u64 v[4:5], s[18:19], 3, v[2:3]
	s_lshl_b32 s18, s28, 3
	s_add_u32 s14, s14, s18
	s_addc_u32 s15, s15, 0
	s_add_u32 s14, s14, s16
	s_addc_u32 s15, s15, s17
	v_mov_b64_e32 v[2:3], s[14:15]
	v_mad_u64_u32 v[2:3], s[14:15], v4, s27, v[2:3]
	v_mul_lo_u32 v1, v4, s5
	v_mul_lo_u32 v4, v5, s27
	s_mul_i32 s5, s28, 0xe0
	v_add3_u32 v3, v4, v3, v1
	v_lshl_add_u32 v1, v0, 3, s5
	s_mov_b32 s6, s13
	s_mov_b32 s7, s12
	v_add_u32_e32 v1, 0x1880, v1
.LBB163_22:                             ; =>This Inner Loop Header: Depth=1
	flat_load_dwordx2 v[4:5], v[2:3]
	s_add_i32 s20, s20, -1
	v_lshl_add_u64 v[2:3], v[2:3], 0, 8
	s_cmp_lg_u32 s20, 0
	s_waitcnt vmcnt(0) lgkmcnt(0)
	v_pk_mul_f32 v[6:7], s[6:7], v[4:5] op_sel:[0,1]
	s_nop 0
	v_pk_fma_f32 v[8:9], s[12:13], v[4:5], v[6:7] neg_lo:[0,0,1] neg_hi:[0,0,1]
	v_pk_fma_f32 v[4:5], s[12:13], v[4:5], v[6:7] op_sel_hi:[1,0,1]
	s_nop 0
	v_mov_b32_e32 v9, v5
	ds_write_b64 v1, v[8:9]
	v_add_u32_e32 v1, 0xe0, v1
	s_cbranch_scc1 .LBB163_22
.LBB163_23:
	s_or_b64 exec, exec, s[10:11]
	v_mov_b32_e32 v1, 0x1880
	s_cmpk_eq_i32 s4, 0x6f
	v_lshl_add_u32 v1, v0, 3, v1
	s_mov_b64 s[4:5], -1
	s_waitcnt lgkmcnt(0)
	; wave barrier
	s_cbranch_scc1 .LBB163_52
; %bb.24:
	s_mov_b32 s5, 0
	s_mov_b32 s4, s5
	;; [unrolled: 1-line block ×3, first 2 shown]
	s_branch .LBB163_26
.LBB163_25:                             ;   in Loop: Header=BB163_26 Depth=1
	s_cmp_ge_i32 s16, s26
	s_cselect_b64 s[6:7], -1, 0
	s_add_i32 s4, s4, 1
	s_cmp_eq_u32 s4, 3
	s_cselect_b64 s[10:11], -1, 0
	s_or_b64 s[6:7], s[6:7], s[10:11]
	s_andn2_b64 vcc, exec, s[6:7]
	s_cbranch_vccz .LBB163_51
.LBB163_26:                             ; =>This Loop Header: Depth=1
                                        ;     Child Loop BB163_29 Depth 2
                                        ;       Child Loop BB163_30 Depth 3
                                        ;       Child Loop BB163_34 Depth 3
                                        ;         Child Loop BB163_36 Depth 4
                                        ;         Child Loop BB163_42 Depth 4
                                        ;       Child Loop BB163_45 Depth 3
                                        ;         Child Loop BB163_47 Depth 4
	s_lshl_b64 s[6:7], s[4:5], 2
	s_getpc_b64 s[10:11]
	s_add_u32 s10, s10, __const._ZL38rocblas_trsm_small_left_device_sharedBILi28ELi28ELb0E19rocblas_complex_numIfES1_PKPKS1_PKPS1_Ev13rocblas_fill_18rocblas_operation_17rocblas_diagonal_iiT3_T4_lilT5_lili.step_sizes@rel32@lo+4
	s_addc_u32 s11, s11, __const._ZL38rocblas_trsm_small_left_device_sharedBILi28ELi28ELb0E19rocblas_complex_numIfES1_PKPKS1_PKPS1_Ev13rocblas_fill_18rocblas_operation_17rocblas_diagonal_iiT3_T4_lilT5_lili.step_sizes@rel32@hi+12
	s_add_u32 s6, s10, s6
	s_addc_u32 s7, s11, s7
	s_load_dword s17, s[6:7], 0x0
	s_waitcnt lgkmcnt(0)
	s_add_i32 s18, s17, -1
	s_add_i32 s6, s18, s16
	s_cmp_ge_i32 s6, s26
	s_cbranch_scc1 .LBB163_25
; %bb.27:                               ;   in Loop: Header=BB163_26 Depth=1
	s_max_i32 s19, s17, 1
	s_cmp_lg_u32 s4, 2
	s_cselect_b64 s[6:7], -1, 0
	s_and_b32 s20, s19, 0x7ffffffe
	s_cmp_lg_u32 s19, s20
	s_mul_i32 s12, s16, 0xe0
	s_cselect_b64 s[10:11], -1, 0
	v_add_u32_e32 v10, s12, v1
	s_mul_i32 s21, s17, 0xe0
	s_mul_i32 s22, s16, 0xe8
	;; [unrolled: 1-line block ×3, first 2 shown]
	s_branch .LBB163_29
.LBB163_28:                             ;   in Loop: Header=BB163_29 Depth=2
	s_add_i32 s16, s16, s17
	s_add_i32 s12, s18, s16
	;; [unrolled: 1-line block ×3, first 2 shown]
	s_cmp_ge_i32 s12, s26
	v_add_u32_e32 v10, s21, v10
	s_cbranch_scc1 .LBB163_25
.LBB163_29:                             ;   Parent Loop BB163_26 Depth=1
                                        ; =>  This Loop Header: Depth=2
                                        ;       Child Loop BB163_30 Depth 3
                                        ;       Child Loop BB163_34 Depth 3
                                        ;         Child Loop BB163_36 Depth 4
                                        ;         Child Loop BB163_42 Depth 4
                                        ;       Child Loop BB163_45 Depth 3
                                        ;         Child Loop BB163_47 Depth 4
	s_mov_b32 s12, 0
	v_mov_b32_e32 v2, v10
	s_mov_b32 s13, s19
.LBB163_30:                             ;   Parent Loop BB163_26 Depth=1
                                        ;     Parent Loop BB163_29 Depth=2
                                        ; =>    This Inner Loop Header: Depth=3
	ds_read_b64 v[4:5], v2
	s_add_i32 s13, s13, -1
	v_add_u32_e32 v2, 0xe0, v2
	s_waitcnt lgkmcnt(0)
	scratch_store_dwordx2 off, v[4:5], s12
	s_add_i32 s12, s12, 8
	s_cmp_eq_u32 s13, 0
	s_cbranch_scc0 .LBB163_30
; %bb.31:                               ;   in Loop: Header=BB163_29 Depth=2
	s_cmp_lt_i32 s16, 1
	s_cbranch_scc1 .LBB163_43
; %bb.32:                               ;   in Loop: Header=BB163_29 Depth=2
	s_mov_b32 s24, s16
	s_mov_b32 s25, 0
	s_mov_b32 s28, 0
	s_branch .LBB163_34
.LBB163_33:                             ;   in Loop: Header=BB163_34 Depth=3
	s_add_i32 s28, s28, 1
	s_add_i32 s25, s25, 8
	s_cmp_eq_u32 s28, s16
	s_cbranch_scc1 .LBB163_43
.LBB163_34:                             ;   Parent Loop BB163_26 Depth=1
                                        ;     Parent Loop BB163_29 Depth=2
                                        ; =>    This Loop Header: Depth=3
                                        ;         Child Loop BB163_36 Depth 4
                                        ;         Child Loop BB163_42 Depth 4
	s_mul_i32 s12, s28, 0xe0
	v_add_u32_e32 v2, s12, v1
	ds_read_b64 v[2:3], v2
	s_and_b64 vcc, exec, s[6:7]
	s_cbranch_vccz .LBB163_38
; %bb.35:                               ;   in Loop: Header=BB163_34 Depth=3
	s_lshl_b32 s12, s28, 3
	s_waitcnt lgkmcnt(0)
	v_mov_b32_e32 v6, v2
	v_mov_b32_e32 v7, v2
	;; [unrolled: 1-line block ×3, first 2 shown]
	s_mov_b32 s13, 0
	v_mov_b32_e32 v8, v3
	v_mov_b32_e32 v9, v3
	s_mov_b32 s14, 1
	s_mov_b32 s15, 0
	;; [unrolled: 1-line block ×3, first 2 shown]
.LBB163_36:                             ;   Parent Loop BB163_26 Depth=1
                                        ;     Parent Loop BB163_29 Depth=2
                                        ;       Parent Loop BB163_34 Depth=3
                                        ; =>      This Inner Loop Header: Depth=4
	scratch_load_dwordx4 v[12:15], off, s13
	s_add_i32 s30, s15, s16
	s_add_i32 s31, s14, s24
	s_mulk_i32 s30, 0xe0
	s_mulk_i32 s31, 0xe0
	s_add_i32 s30, s12, s30
	s_add_i32 s31, s12, s31
	v_mov_b32_e32 v5, s30
	v_mov_b32_e32 v11, s31
	ds_read_b64 v[20:21], v5
	ds_read_b64 v[16:17], v11
	s_add_i32 s15, s15, 2
	s_add_i32 s14, s14, 2
	s_add_i32 s29, s29, -2
	s_waitcnt lgkmcnt(1)
	v_mov_b32_e32 v18, v20
	s_waitcnt lgkmcnt(0)
	v_mov_b32_e32 v19, v16
	v_mov_b32_e32 v16, v21
	v_pk_mul_f32 v[20:21], v[16:17], v[8:9]
	v_pk_mul_f32 v[16:17], v[16:17], v[6:7]
	v_pk_fma_f32 v[20:21], v[18:19], v[6:7], v[20:21] neg_lo:[0,0,1] neg_hi:[0,0,1]
	v_pk_fma_f32 v[16:17], v[18:19], v[8:9], v[16:17]
	s_waitcnt vmcnt(0)
	v_mov_b32_e32 v18, v12
	v_mov_b32_e32 v19, v14
	;; [unrolled: 1-line block ×3, first 2 shown]
	v_pk_add_f32 v[18:19], v[18:19], v[20:21] neg_lo:[0,1] neg_hi:[0,1]
	v_pk_add_f32 v[14:15], v[14:15], v[16:17] neg_lo:[0,1] neg_hi:[0,1]
	v_mov_b32_e32 v12, v18
	v_mov_b32_e32 v13, v14
	;; [unrolled: 1-line block ×3, first 2 shown]
	scratch_store_dwordx4 off, v[12:15], s13
	s_add_i32 s13, s13, 16
	s_cmp_lg_u32 s29, 0
	s_cbranch_scc1 .LBB163_36
; %bb.37:                               ;   in Loop: Header=BB163_34 Depth=3
	s_mov_b64 s[12:13], s[10:11]
	s_mov_b32 s14, s20
	s_branch .LBB163_40
.LBB163_38:                             ;   in Loop: Header=BB163_34 Depth=3
	s_waitcnt lgkmcnt(0)
	v_mov_b32_e32 v4, v3
	s_mov_b64 s[12:13], 0
	s_mov_b32 s14, s20
	s_cbranch_execz .LBB163_40
; %bb.39:                               ;   in Loop: Header=BB163_34 Depth=3
	s_mov_b64 s[12:13], -1
	s_mov_b32 s14, 0
.LBB163_40:                             ;   in Loop: Header=BB163_34 Depth=3
	s_andn2_b64 vcc, exec, s[12:13]
	s_cbranch_vccnz .LBB163_33
; %bb.41:                               ;   in Loop: Header=BB163_34 Depth=3
	s_add_i32 s13, s16, s14
	s_mulk_i32 s13, 0xe0
	v_mov_b32_e32 v5, v3
	v_mov_b32_e32 v3, v2
	s_sub_i32 s12, s19, s14
	s_add_i32 s13, s25, s13
	s_lshl_b32 s14, s14, 3
.LBB163_42:                             ;   Parent Loop BB163_26 Depth=1
                                        ;     Parent Loop BB163_29 Depth=2
                                        ;       Parent Loop BB163_34 Depth=3
                                        ; =>      This Inner Loop Header: Depth=4
	scratch_load_dwordx2 v[6:7], off, s14
	v_mov_b32_e32 v8, s13
	ds_read_b64 v[8:9], v8
	s_add_i32 s12, s12, -1
	s_addk_i32 s13, 0xe0
	s_waitcnt lgkmcnt(0)
	v_pk_mul_f32 v[12:13], v[8:9], v[4:5] op_sel:[1,0] op_sel_hi:[0,1]
	v_pk_fma_f32 v[14:15], v[8:9], v[2:3], v[12:13] neg_lo:[0,0,1] neg_hi:[0,0,1]
	v_pk_fma_f32 v[8:9], v[8:9], v[2:3], v[12:13]
	s_nop 0
	v_mov_b32_e32 v15, v9
	s_waitcnt vmcnt(0)
	v_pk_add_f32 v[6:7], v[6:7], v[14:15] neg_lo:[0,1] neg_hi:[0,1]
	scratch_store_dwordx2 off, v[6:7], s14
	s_add_i32 s14, s14, 8
	s_cmp_eq_u32 s12, 0
	s_cbranch_scc0 .LBB163_42
	s_branch .LBB163_33
.LBB163_43:                             ;   in Loop: Header=BB163_29 Depth=2
	s_mul_i32 s14, s16, 0xe0
	s_mov_b32 s15, 0
	s_mov_b32 s24, s22
	s_branch .LBB163_45
.LBB163_44:                             ;   in Loop: Header=BB163_45 Depth=3
	s_mul_i32 s12, s28, 0xe8
	v_mov_b32_e32 v3, s12
	ds_read_b64 v[6:7], v3
	s_lshl_b32 s12, s15, 3
	s_add_i32 s15, s15, 1
	s_addk_i32 s24, 0xe0
	v_add_u32_e32 v11, s25, v1
	s_waitcnt lgkmcnt(0)
	v_pk_mul_f32 v[4:5], v[6:7], v[4:5] op_sel:[1,0] op_sel_hi:[0,0]
	v_pk_fma_f32 v[8:9], v[6:7], v[2:3], v[4:5] neg_lo:[0,0,1] neg_hi:[0,0,1]
	v_pk_fma_f32 v[2:3], v[6:7], v[2:3], v[4:5] op_sel_hi:[1,0,1]
	s_cmp_eq_u32 s15, s19
	v_mov_b32_e32 v9, v3
	scratch_store_dwordx2 off, v[8:9], s12
	ds_write_b64 v11, v[8:9]
	s_cbranch_scc1 .LBB163_28
.LBB163_45:                             ;   Parent Loop BB163_26 Depth=1
                                        ;     Parent Loop BB163_29 Depth=2
                                        ; =>    This Loop Header: Depth=3
                                        ;         Child Loop BB163_47 Depth 4
	s_cmp_lg_u32 s15, 0
	s_cbranch_scc0 .LBB163_49
; %bb.46:                               ;   in Loop: Header=BB163_45 Depth=3
	s_lshl_b32 s12, s15, 3
	scratch_load_dwordx2 v[2:3], off, s12
	s_mov_b32 s13, 0
	s_mov_b32 s25, s24
	;; [unrolled: 1-line block ×3, first 2 shown]
.LBB163_47:                             ;   Parent Loop BB163_26 Depth=1
                                        ;     Parent Loop BB163_29 Depth=2
                                        ;       Parent Loop BB163_45 Depth=3
                                        ; =>      This Inner Loop Header: Depth=4
	scratch_load_dwordx2 v[4:5], off, s13
	v_mov_b32_e32 v6, s25
	ds_read_b64 v[6:7], v6
	s_add_i32 s28, s28, -1
	s_add_i32 s13, s13, 8
	s_add_i32 s25, s25, 8
	s_cmp_eq_u32 s28, 0
	s_waitcnt vmcnt(0) lgkmcnt(0)
	v_pk_mul_f32 v[8:9], v[6:7], v[4:5] op_sel:[1,1] op_sel_hi:[0,1]
	v_pk_fma_f32 v[12:13], v[6:7], v[4:5], v[8:9] neg_lo:[0,0,1] neg_hi:[0,0,1]
	v_pk_fma_f32 v[4:5], v[6:7], v[4:5], v[8:9] op_sel_hi:[1,0,1]
	s_nop 0
	v_mov_b32_e32 v13, v5
	v_pk_add_f32 v[2:3], v[2:3], v[12:13] neg_lo:[0,1] neg_hi:[0,1]
	scratch_store_dwordx2 off, v[2:3], s12
	s_cbranch_scc0 .LBB163_47
; %bb.48:                               ;   in Loop: Header=BB163_45 Depth=3
	s_add_i32 s28, s15, s16
	s_mul_i32 s25, s28, 0xe0
	v_mov_b32_e32 v4, v3
	s_branch .LBB163_44
.LBB163_49:                             ;   in Loop: Header=BB163_45 Depth=3
                                        ; implicit-def: $vgpr2
                                        ; implicit-def: $vgpr4
                                        ; implicit-def: $sgpr28
                                        ; implicit-def: $sgpr25
	s_cbranch_execz .LBB163_44
; %bb.50:                               ;   in Loop: Header=BB163_45 Depth=3
	scratch_load_dwordx2 v[2:3], off, off
	s_mov_b32 s25, s14
	s_mov_b32 s28, s16
	s_waitcnt vmcnt(0)
	v_mov_b32_e32 v4, v3
	s_branch .LBB163_44
.LBB163_51:
	s_mov_b64 s[4:5], 0
.LBB163_52:
	s_and_b64 vcc, exec, s[4:5]
	s_cbranch_vccz .LBB163_80
; %bb.53:
	s_add_i32 s16, s26, -1
	v_mov_b32_e32 v2, 0x1880
	s_mul_i32 s17, s26, 0xe0
	s_mov_b32 s5, 0
	v_lshl_add_u32 v10, v0, 3, v2
	s_addk_i32 s17, 0xff20
	s_mov_b32 s4, s5
	s_mov_b32 s18, s16
	s_branch .LBB163_55
.LBB163_54:                             ;   in Loop: Header=BB163_55 Depth=1
	s_cmp_lt_i32 s18, 0
	s_cselect_b64 s[6:7], -1, 0
	s_add_i32 s4, s4, 1
	s_cmp_eq_u32 s4, 3
	s_cselect_b64 s[10:11], -1, 0
	s_or_b64 s[6:7], s[6:7], s[10:11]
	s_and_b64 vcc, exec, s[6:7]
	s_cbranch_vccnz .LBB163_80
.LBB163_55:                             ; =>This Loop Header: Depth=1
                                        ;     Child Loop BB163_58 Depth 2
                                        ;       Child Loop BB163_59 Depth 3
                                        ;       Child Loop BB163_63 Depth 3
                                        ;         Child Loop BB163_65 Depth 4
                                        ;         Child Loop BB163_71 Depth 4
                                        ;       Child Loop BB163_74 Depth 3
                                        ;         Child Loop BB163_76 Depth 4
	s_lshl_b64 s[6:7], s[4:5], 2
	s_getpc_b64 s[10:11]
	s_add_u32 s10, s10, __const._ZL38rocblas_trsm_small_left_device_sharedBILi28ELi28ELb0E19rocblas_complex_numIfES1_PKPKS1_PKPS1_Ev13rocblas_fill_18rocblas_operation_17rocblas_diagonal_iiT3_T4_lilT5_lili.step_sizes@rel32@lo+4
	s_addc_u32 s11, s11, __const._ZL38rocblas_trsm_small_left_device_sharedBILi28ELi28ELb0E19rocblas_complex_numIfES1_PKPKS1_PKPS1_Ev13rocblas_fill_18rocblas_operation_17rocblas_diagonal_iiT3_T4_lilT5_lili.step_sizes@rel32@hi+12
	s_add_u32 s6, s10, s6
	s_addc_u32 s7, s11, s7
	s_load_dword s19, s[6:7], 0x0
	s_waitcnt lgkmcnt(0)
	s_add_i32 s20, s19, -1
	s_cmp_lt_i32 s18, s20
	s_cbranch_scc1 .LBB163_54
; %bb.56:                               ;   in Loop: Header=BB163_55 Depth=1
	s_max_i32 s21, s19, 1
	s_cmp_lg_u32 s4, 2
	s_cselect_b64 s[6:7], -1, 0
	s_and_b32 s22, s21, 0x7ffffffe
	s_cmp_lg_u32 s21, s22
	s_mul_i32 s12, s18, 0xe0
	s_cselect_b64 s[10:11], -1, 0
	v_add_u32_e32 v11, s12, v10
	s_lshl_b32 s12, s18, 3
	s_add_i32 s24, s17, s12
	s_lshl_b32 s12, s19, 3
	s_mul_i32 s23, s19, 0xffffff20
	s_sub_i32 s25, 0, s12
	s_mul_i32 s28, s18, 0xe8
	s_mul_i32 s29, s19, 0xffffff18
	s_branch .LBB163_58
.LBB163_57:                             ;   in Loop: Header=BB163_58 Depth=2
	s_sub_i32 s18, s18, s19
	s_add_i32 s24, s24, s25
	s_add_i32 s28, s28, s29
	s_cmp_lt_i32 s18, s20
	v_add_u32_e32 v11, s23, v11
	s_cbranch_scc1 .LBB163_54
.LBB163_58:                             ;   Parent Loop BB163_55 Depth=1
                                        ; =>  This Loop Header: Depth=2
                                        ;       Child Loop BB163_59 Depth 3
                                        ;       Child Loop BB163_63 Depth 3
                                        ;         Child Loop BB163_65 Depth 4
                                        ;         Child Loop BB163_71 Depth 4
                                        ;       Child Loop BB163_74 Depth 3
                                        ;         Child Loop BB163_76 Depth 4
	s_mov_b32 s12, 0
	v_mov_b32_e32 v2, v11
	s_mov_b32 s13, s21
.LBB163_59:                             ;   Parent Loop BB163_55 Depth=1
                                        ;     Parent Loop BB163_58 Depth=2
                                        ; =>    This Inner Loop Header: Depth=3
	ds_read_b64 v[4:5], v2
	s_add_i32 s13, s13, -1
	v_add_u32_e32 v2, 0xffffff20, v2
	s_waitcnt lgkmcnt(0)
	scratch_store_dwordx2 off, v[4:5], s12
	s_add_i32 s12, s12, 8
	s_cmp_eq_u32 s13, 0
	s_cbranch_scc0 .LBB163_59
; %bb.60:                               ;   in Loop: Header=BB163_58 Depth=2
	s_cmp_le_i32 s16, s18
	s_cbranch_scc1 .LBB163_72
; %bb.61:                               ;   in Loop: Header=BB163_58 Depth=2
	s_mov_b32 s30, s18
	s_mov_b32 s31, s24
	;; [unrolled: 1-line block ×3, first 2 shown]
	s_branch .LBB163_63
.LBB163_62:                             ;   in Loop: Header=BB163_63 Depth=3
	s_add_i32 s33, s33, -1
	s_addk_i32 s31, 0xff20
	s_cmp_le_i32 s33, s18
	s_cbranch_scc1 .LBB163_72
.LBB163_63:                             ;   Parent Loop BB163_55 Depth=1
                                        ;     Parent Loop BB163_58 Depth=2
                                        ; =>    This Loop Header: Depth=3
                                        ;         Child Loop BB163_65 Depth 4
                                        ;         Child Loop BB163_71 Depth 4
	s_mul_i32 s12, s33, 28
	v_lshl_add_u32 v2, s12, 3, v1
	ds_read_b64 v[2:3], v2
	s_and_b64 vcc, exec, s[6:7]
	s_cbranch_vccz .LBB163_67
; %bb.64:                               ;   in Loop: Header=BB163_63 Depth=3
	s_lshl_b32 s12, s12, 3
	s_waitcnt lgkmcnt(0)
	v_mov_b32_e32 v6, v2
	v_mov_b32_e32 v7, v2
	;; [unrolled: 1-line block ×3, first 2 shown]
	s_mov_b32 s13, 0
	v_mov_b32_e32 v8, v3
	v_mov_b32_e32 v9, v3
	s_mov_b32 s14, 1
	s_mov_b32 s15, 0
	;; [unrolled: 1-line block ×3, first 2 shown]
.LBB163_65:                             ;   Parent Loop BB163_55 Depth=1
                                        ;     Parent Loop BB163_58 Depth=2
                                        ;       Parent Loop BB163_63 Depth=3
                                        ; =>      This Inner Loop Header: Depth=4
	scratch_load_dwordx4 v[12:15], off, s13
	s_sub_i32 s35, s30, s14
	s_sub_i32 s36, s18, s15
	s_lshl_b32 s36, s36, 3
	s_lshl_b32 s35, s35, 3
	s_add_i32 s36, s12, s36
	s_add_i32 s35, s12, s35
	v_mov_b32_e32 v5, s36
	v_mov_b32_e32 v16, s35
	ds_read_b64 v[20:21], v5
	ds_read_b64 v[16:17], v16
	s_add_i32 s15, s15, 2
	s_add_i32 s14, s14, 2
	s_add_i32 s34, s34, -2
	s_waitcnt lgkmcnt(1)
	v_mov_b32_e32 v18, v20
	s_waitcnt lgkmcnt(0)
	v_mov_b32_e32 v19, v16
	v_mov_b32_e32 v16, v21
	v_pk_mul_f32 v[20:21], v[16:17], v[8:9]
	v_pk_mul_f32 v[16:17], v[16:17], v[6:7]
	v_pk_fma_f32 v[20:21], v[18:19], v[6:7], v[20:21] neg_lo:[0,0,1] neg_hi:[0,0,1]
	v_pk_fma_f32 v[16:17], v[18:19], v[8:9], v[16:17]
	s_waitcnt vmcnt(0)
	v_mov_b32_e32 v18, v12
	v_mov_b32_e32 v19, v14
	;; [unrolled: 1-line block ×3, first 2 shown]
	v_pk_add_f32 v[18:19], v[18:19], v[20:21] neg_lo:[0,1] neg_hi:[0,1]
	v_pk_add_f32 v[14:15], v[14:15], v[16:17] neg_lo:[0,1] neg_hi:[0,1]
	v_mov_b32_e32 v12, v18
	v_mov_b32_e32 v13, v14
	;; [unrolled: 1-line block ×3, first 2 shown]
	scratch_store_dwordx4 off, v[12:15], s13
	s_add_i32 s13, s13, 16
	s_cmp_lg_u32 s34, 0
	s_cbranch_scc1 .LBB163_65
; %bb.66:                               ;   in Loop: Header=BB163_63 Depth=3
	s_mov_b64 s[12:13], s[10:11]
	s_mov_b32 s14, s22
	s_branch .LBB163_69
.LBB163_67:                             ;   in Loop: Header=BB163_63 Depth=3
	s_waitcnt lgkmcnt(0)
	v_mov_b32_e32 v4, v3
	s_mov_b64 s[12:13], 0
	s_mov_b32 s14, s22
	s_cbranch_execz .LBB163_69
; %bb.68:                               ;   in Loop: Header=BB163_63 Depth=3
	s_mov_b64 s[12:13], -1
	s_mov_b32 s14, 0
.LBB163_69:                             ;   in Loop: Header=BB163_63 Depth=3
	s_andn2_b64 vcc, exec, s[12:13]
	s_cbranch_vccnz .LBB163_62
; %bb.70:                               ;   in Loop: Header=BB163_63 Depth=3
	s_sub_i32 s12, s21, s14
	s_lshl_b32 s14, s14, 3
	v_mov_b32_e32 v5, v3
	v_mov_b32_e32 v3, v2
	s_sub_i32 s13, s31, s14
.LBB163_71:                             ;   Parent Loop BB163_55 Depth=1
                                        ;     Parent Loop BB163_58 Depth=2
                                        ;       Parent Loop BB163_63 Depth=3
                                        ; =>      This Inner Loop Header: Depth=4
	scratch_load_dwordx2 v[6:7], off, s14
	v_mov_b32_e32 v8, s13
	ds_read_b64 v[8:9], v8
	s_add_i32 s12, s12, -1
	s_add_i32 s13, s13, -8
	s_waitcnt lgkmcnt(0)
	v_pk_mul_f32 v[12:13], v[8:9], v[4:5] op_sel:[1,0] op_sel_hi:[0,1]
	v_pk_fma_f32 v[14:15], v[8:9], v[2:3], v[12:13] neg_lo:[0,0,1] neg_hi:[0,0,1]
	v_pk_fma_f32 v[8:9], v[8:9], v[2:3], v[12:13]
	s_nop 0
	v_mov_b32_e32 v15, v9
	s_waitcnt vmcnt(0)
	v_pk_add_f32 v[6:7], v[6:7], v[14:15] neg_lo:[0,1] neg_hi:[0,1]
	scratch_store_dwordx2 off, v[6:7], s14
	s_add_i32 s14, s14, 8
	s_cmp_eq_u32 s12, 0
	s_cbranch_scc0 .LBB163_71
	s_branch .LBB163_62
.LBB163_72:                             ;   in Loop: Header=BB163_58 Depth=2
	s_mov_b32 s14, 0
	s_mov_b32 s15, s28
	s_branch .LBB163_74
.LBB163_73:                             ;   in Loop: Header=BB163_74 Depth=3
	s_mul_i32 s12, s30, 0xe8
	v_mov_b32_e32 v3, s12
	ds_read_b64 v[6:7], v3
	s_lshl_b32 s12, s14, 3
	s_mul_i32 s13, s30, 0xe0
	s_add_i32 s14, s14, 1
	s_add_i32 s15, s15, -8
	s_waitcnt lgkmcnt(0)
	v_pk_mul_f32 v[4:5], v[6:7], v[4:5] op_sel:[1,0] op_sel_hi:[0,0]
	v_pk_fma_f32 v[8:9], v[6:7], v[2:3], v[4:5] neg_lo:[0,0,1] neg_hi:[0,0,1]
	v_pk_fma_f32 v[2:3], v[6:7], v[2:3], v[4:5] op_sel_hi:[1,0,1]
	s_cmp_eq_u32 s14, s21
	v_mov_b32_e32 v9, v3
	v_add_u32_e32 v2, s13, v1
	scratch_store_dwordx2 off, v[8:9], s12
	ds_write_b64 v2, v[8:9]
	s_cbranch_scc1 .LBB163_57
.LBB163_74:                             ;   Parent Loop BB163_55 Depth=1
                                        ;     Parent Loop BB163_58 Depth=2
                                        ; =>    This Loop Header: Depth=3
                                        ;         Child Loop BB163_76 Depth 4
	s_cmp_lg_u32 s14, 0
	s_cbranch_scc0 .LBB163_78
; %bb.75:                               ;   in Loop: Header=BB163_74 Depth=3
	s_lshl_b32 s12, s14, 3
	scratch_load_dwordx2 v[2:3], off, s12
	s_mov_b32 s13, 0
	s_mov_b32 s30, s15
	s_mov_b32 s31, s14
.LBB163_76:                             ;   Parent Loop BB163_55 Depth=1
                                        ;     Parent Loop BB163_58 Depth=2
                                        ;       Parent Loop BB163_74 Depth=3
                                        ; =>      This Inner Loop Header: Depth=4
	scratch_load_dwordx2 v[4:5], off, s13
	v_mov_b32_e32 v6, s30
	ds_read_b64 v[6:7], v6
	s_add_i32 s31, s31, -1
	s_addk_i32 s30, 0xff20
	s_add_i32 s13, s13, 8
	s_cmp_eq_u32 s31, 0
	s_waitcnt vmcnt(0) lgkmcnt(0)
	v_pk_mul_f32 v[8:9], v[6:7], v[4:5] op_sel:[1,1] op_sel_hi:[0,1]
	v_pk_fma_f32 v[12:13], v[6:7], v[4:5], v[8:9] neg_lo:[0,0,1] neg_hi:[0,0,1]
	v_pk_fma_f32 v[4:5], v[6:7], v[4:5], v[8:9] op_sel_hi:[1,0,1]
	s_nop 0
	v_mov_b32_e32 v13, v5
	v_pk_add_f32 v[2:3], v[2:3], v[12:13] neg_lo:[0,1] neg_hi:[0,1]
	scratch_store_dwordx2 off, v[2:3], s12
	s_cbranch_scc0 .LBB163_76
; %bb.77:                               ;   in Loop: Header=BB163_74 Depth=3
	s_sub_i32 s30, s18, s14
	v_mov_b32_e32 v4, v3
	s_branch .LBB163_73
.LBB163_78:                             ;   in Loop: Header=BB163_74 Depth=3
                                        ; implicit-def: $vgpr2
                                        ; implicit-def: $vgpr4
                                        ; implicit-def: $sgpr30
	s_cbranch_execz .LBB163_73
; %bb.79:                               ;   in Loop: Header=BB163_74 Depth=3
	scratch_load_dwordx2 v[2:3], off, off
	s_mov_b32 s30, s18
	s_waitcnt vmcnt(0)
	v_mov_b32_e32 v4, v3
	s_branch .LBB163_73
.LBB163_80:
	s_waitcnt lgkmcnt(0)
	; wave barrier
	s_and_saveexec_b64 s[4:5], s[0:1]
	s_cbranch_execz .LBB163_84
; %bb.81:
	s_andn2_b64 vcc, exec, s[8:9]
	s_cbranch_vccnz .LBB163_84
; %bb.82:
	v_mad_i64_i32 v[2:3], s[0:1], s27, v0, 0
	v_mov_b32_e32 v1, 0x1880
	v_lshl_add_u64 v[2:3], v[2:3], 3, s[2:3]
	v_lshl_add_u32 v0, v0, 3, v1
.LBB163_83:                             ; =>This Inner Loop Header: Depth=1
	ds_read_b64 v[4:5], v0
	s_add_i32 s26, s26, -1
	v_add_u32_e32 v0, 0xe0, v0
	s_cmp_lg_u32 s26, 0
	s_waitcnt lgkmcnt(0)
	flat_store_dwordx2 v[2:3], v[4:5]
	v_lshl_add_u64 v[2:3], v[2:3], 0, 8
	s_cbranch_scc1 .LBB163_83
.LBB163_84:
	s_endpgm
	.section	.rodata,"a",@progbits
	.p2align	6, 0x0
	.amdhsa_kernel _ZL38rocblas_trsm_small_left_device_sharedBILi28ELi28ELb0E19rocblas_complex_numIfES1_PKPKS1_PKPS1_Ev13rocblas_fill_18rocblas_operation_17rocblas_diagonal_iiT3_T4_lilT5_lili
		.amdhsa_group_segment_fixed_size 12544
		.amdhsa_private_segment_fixed_size 240
		.amdhsa_kernarg_size 360
		.amdhsa_user_sgpr_count 2
		.amdhsa_user_sgpr_dispatch_ptr 0
		.amdhsa_user_sgpr_queue_ptr 0
		.amdhsa_user_sgpr_kernarg_segment_ptr 1
		.amdhsa_user_sgpr_dispatch_id 0
		.amdhsa_user_sgpr_kernarg_preload_length 0
		.amdhsa_user_sgpr_kernarg_preload_offset 0
		.amdhsa_user_sgpr_private_segment_size 0
		.amdhsa_uses_dynamic_stack 0
		.amdhsa_enable_private_segment 1
		.amdhsa_system_sgpr_workgroup_id_x 1
		.amdhsa_system_sgpr_workgroup_id_y 0
		.amdhsa_system_sgpr_workgroup_id_z 1
		.amdhsa_system_sgpr_workgroup_info 0
		.amdhsa_system_vgpr_workitem_id 0
		.amdhsa_next_free_vgpr 97
		.amdhsa_next_free_sgpr 96
		.amdhsa_accum_offset 24
		.amdhsa_reserve_vcc 1
		.amdhsa_float_round_mode_32 0
		.amdhsa_float_round_mode_16_64 0
		.amdhsa_float_denorm_mode_32 3
		.amdhsa_float_denorm_mode_16_64 3
		.amdhsa_dx10_clamp 1
		.amdhsa_ieee_mode 1
		.amdhsa_fp16_overflow 0
		.amdhsa_tg_split 0
		.amdhsa_exception_fp_ieee_invalid_op 0
		.amdhsa_exception_fp_denorm_src 0
		.amdhsa_exception_fp_ieee_div_zero 0
		.amdhsa_exception_fp_ieee_overflow 0
		.amdhsa_exception_fp_ieee_underflow 0
		.amdhsa_exception_fp_ieee_inexact 0
		.amdhsa_exception_int_div_zero 0
	.end_amdhsa_kernel
	.section	.text._ZL38rocblas_trsm_small_left_device_sharedBILi28ELi28ELb0E19rocblas_complex_numIfES1_PKPKS1_PKPS1_Ev13rocblas_fill_18rocblas_operation_17rocblas_diagonal_iiT3_T4_lilT5_lili,"axG",@progbits,_ZL38rocblas_trsm_small_left_device_sharedBILi28ELi28ELb0E19rocblas_complex_numIfES1_PKPKS1_PKPS1_Ev13rocblas_fill_18rocblas_operation_17rocblas_diagonal_iiT3_T4_lilT5_lili,comdat
.Lfunc_end163:
	.size	_ZL38rocblas_trsm_small_left_device_sharedBILi28ELi28ELb0E19rocblas_complex_numIfES1_PKPKS1_PKPS1_Ev13rocblas_fill_18rocblas_operation_17rocblas_diagonal_iiT3_T4_lilT5_lili, .Lfunc_end163-_ZL38rocblas_trsm_small_left_device_sharedBILi28ELi28ELb0E19rocblas_complex_numIfES1_PKPKS1_PKPS1_Ev13rocblas_fill_18rocblas_operation_17rocblas_diagonal_iiT3_T4_lilT5_lili
                                        ; -- End function
	.set _ZL38rocblas_trsm_small_left_device_sharedBILi28ELi28ELb0E19rocblas_complex_numIfES1_PKPKS1_PKPS1_Ev13rocblas_fill_18rocblas_operation_17rocblas_diagonal_iiT3_T4_lilT5_lili.num_vgpr, 22
	.set _ZL38rocblas_trsm_small_left_device_sharedBILi28ELi28ELb0E19rocblas_complex_numIfES1_PKPKS1_PKPS1_Ev13rocblas_fill_18rocblas_operation_17rocblas_diagonal_iiT3_T4_lilT5_lili.num_agpr, 0
	.set _ZL38rocblas_trsm_small_left_device_sharedBILi28ELi28ELb0E19rocblas_complex_numIfES1_PKPKS1_PKPS1_Ev13rocblas_fill_18rocblas_operation_17rocblas_diagonal_iiT3_T4_lilT5_lili.numbered_sgpr, 37
	.set _ZL38rocblas_trsm_small_left_device_sharedBILi28ELi28ELb0E19rocblas_complex_numIfES1_PKPKS1_PKPS1_Ev13rocblas_fill_18rocblas_operation_17rocblas_diagonal_iiT3_T4_lilT5_lili.num_named_barrier, 0
	.set _ZL38rocblas_trsm_small_left_device_sharedBILi28ELi28ELb0E19rocblas_complex_numIfES1_PKPKS1_PKPS1_Ev13rocblas_fill_18rocblas_operation_17rocblas_diagonal_iiT3_T4_lilT5_lili.private_seg_size, 240
	.set _ZL38rocblas_trsm_small_left_device_sharedBILi28ELi28ELb0E19rocblas_complex_numIfES1_PKPKS1_PKPS1_Ev13rocblas_fill_18rocblas_operation_17rocblas_diagonal_iiT3_T4_lilT5_lili.uses_vcc, 1
	.set _ZL38rocblas_trsm_small_left_device_sharedBILi28ELi28ELb0E19rocblas_complex_numIfES1_PKPKS1_PKPS1_Ev13rocblas_fill_18rocblas_operation_17rocblas_diagonal_iiT3_T4_lilT5_lili.uses_flat_scratch, 0
	.set _ZL38rocblas_trsm_small_left_device_sharedBILi28ELi28ELb0E19rocblas_complex_numIfES1_PKPKS1_PKPS1_Ev13rocblas_fill_18rocblas_operation_17rocblas_diagonal_iiT3_T4_lilT5_lili.has_dyn_sized_stack, 0
	.set _ZL38rocblas_trsm_small_left_device_sharedBILi28ELi28ELb0E19rocblas_complex_numIfES1_PKPKS1_PKPS1_Ev13rocblas_fill_18rocblas_operation_17rocblas_diagonal_iiT3_T4_lilT5_lili.has_recursion, 0
	.set _ZL38rocblas_trsm_small_left_device_sharedBILi28ELi28ELb0E19rocblas_complex_numIfES1_PKPKS1_PKPS1_Ev13rocblas_fill_18rocblas_operation_17rocblas_diagonal_iiT3_T4_lilT5_lili.has_indirect_call, 0
	.section	.AMDGPU.csdata,"",@progbits
; Kernel info:
; codeLenInByte = 3508
; TotalNumSgprs: 43
; NumVgprs: 22
; NumAgprs: 0
; TotalNumVgprs: 22
; ScratchSize: 240
; MemoryBound: 0
; FloatMode: 240
; IeeeMode: 1
; LDSByteSize: 12544 bytes/workgroup (compile time only)
; SGPRBlocks: 12
; VGPRBlocks: 12
; NumSGPRsForWavesPerEU: 102
; NumVGPRsForWavesPerEU: 97
; AccumOffset: 24
; Occupancy: 4
; WaveLimiterHint : 1
; COMPUTE_PGM_RSRC2:SCRATCH_EN: 1
; COMPUTE_PGM_RSRC2:USER_SGPR: 2
; COMPUTE_PGM_RSRC2:TRAP_HANDLER: 0
; COMPUTE_PGM_RSRC2:TGID_X_EN: 1
; COMPUTE_PGM_RSRC2:TGID_Y_EN: 0
; COMPUTE_PGM_RSRC2:TGID_Z_EN: 1
; COMPUTE_PGM_RSRC2:TIDIG_COMP_CNT: 0
; COMPUTE_PGM_RSRC3_GFX90A:ACCUM_OFFSET: 5
; COMPUTE_PGM_RSRC3_GFX90A:TG_SPLIT: 0
	.section	.text._ZL30rocblas_trsm_small_left_deviceILi28ELi28ELb0E19rocblas_complex_numIfES1_PKPKS1_PKPS1_Ev13rocblas_fill_18rocblas_operation_17rocblas_diagonal_iiT3_T4_lilT5_lili,"axG",@progbits,_ZL30rocblas_trsm_small_left_deviceILi28ELi28ELb0E19rocblas_complex_numIfES1_PKPKS1_PKPS1_Ev13rocblas_fill_18rocblas_operation_17rocblas_diagonal_iiT3_T4_lilT5_lili,comdat
	.globl	_ZL30rocblas_trsm_small_left_deviceILi28ELi28ELb0E19rocblas_complex_numIfES1_PKPKS1_PKPS1_Ev13rocblas_fill_18rocblas_operation_17rocblas_diagonal_iiT3_T4_lilT5_lili ; -- Begin function _ZL30rocblas_trsm_small_left_deviceILi28ELi28ELb0E19rocblas_complex_numIfES1_PKPKS1_PKPS1_Ev13rocblas_fill_18rocblas_operation_17rocblas_diagonal_iiT3_T4_lilT5_lili
	.p2align	8
	.type	_ZL30rocblas_trsm_small_left_deviceILi28ELi28ELb0E19rocblas_complex_numIfES1_PKPKS1_PKPS1_Ev13rocblas_fill_18rocblas_operation_17rocblas_diagonal_iiT3_T4_lilT5_lili,@function
_ZL30rocblas_trsm_small_left_deviceILi28ELi28ELb0E19rocblas_complex_numIfES1_PKPKS1_PKPS1_Ev13rocblas_fill_18rocblas_operation_17rocblas_diagonal_iiT3_T4_lilT5_lili: ; @_ZL30rocblas_trsm_small_left_deviceILi28ELi28ELb0E19rocblas_complex_numIfES1_PKPKS1_PKPS1_Ev13rocblas_fill_18rocblas_operation_17rocblas_diagonal_iiT3_T4_lilT5_lili
; %bb.0:
	s_load_dwordx4 s[8:11], s[0:1], 0x40
	s_load_dwordx4 s[4:7], s[0:1], 0x4
	s_load_dwordx2 s[12:13], s[0:1], 0x14
	s_mov_b32 s14, s3
	s_mov_b32 s15, 0
	s_lshl_b64 s[18:19], s[14:15], 3
	s_waitcnt lgkmcnt(0)
	s_add_u32 s8, s8, s18
	s_addc_u32 s9, s9, s19
	s_load_dword s3, s[0:1], 0x68
	s_min_i32 s26, s6, 28
	s_load_dwordx2 s[8:9], s[8:9], 0x0
	v_cmp_gt_i32_e32 vcc, s26, v0
	s_and_saveexec_b64 s[14:15], vcc
	s_cbranch_execz .LBB164_15
; %bb.1:
	s_load_dword s24, s[0:1], 0x30
	s_load_dwordx4 s[20:23], s[0:1], 0x20
	v_lshlrev_b32_e32 v2, 3, v0
	v_mov_b32_e32 v3, 0
	v_mov_b32_e32 v1, v2
	s_waitcnt lgkmcnt(0)
	s_ashr_i32 s25, s24, 31
	s_cmpk_lg_i32 s4, 0x71
	s_cselect_b64 s[16:17], -1, 0
	s_add_u32 s18, s20, s18
	s_addc_u32 s19, s21, s19
	s_load_dwordx2 s[18:19], s[18:19], 0x0
	s_lshl_b64 s[20:21], s[22:23], 3
	s_mov_b32 s6, s26
	s_waitcnt lgkmcnt(0)
	s_add_u32 s20, s18, s20
	s_addc_u32 s21, s19, s21
	s_lshl_b64 s[18:19], s[24:25], 3
	v_lshl_add_u64 v[4:5], s[20:21], 0, v[2:3]
	s_branch .LBB164_3
.LBB164_2:                              ;   in Loop: Header=BB164_3 Depth=1
	flat_load_dword v6, v[4:5]
	s_add_i32 s6, s6, -1
	v_lshl_add_u64 v[4:5], v[4:5], 0, s[18:19]
	s_cmp_eq_u32 s6, 0
	s_waitcnt vmcnt(0) lgkmcnt(0)
	ds_write_b64 v1, v[6:7]
	v_add_u32_e32 v1, 0xe0, v1
	s_cbranch_scc1 .LBB164_7
.LBB164_3:                              ; =>This Inner Loop Header: Depth=1
	s_mov_b64 s[20:21], -1
	s_and_b64 vcc, exec, s[16:17]
                                        ; implicit-def: $vgpr7
	s_cbranch_vccz .LBB164_5
; %bb.4:                                ;   in Loop: Header=BB164_3 Depth=1
	flat_load_dword v7, v[4:5] offset:4
	s_mov_b64 s[20:21], 0
.LBB164_5:                              ;   in Loop: Header=BB164_3 Depth=1
	s_andn2_b64 vcc, exec, s[20:21]
	s_cbranch_vccnz .LBB164_2
; %bb.6:                                ;   in Loop: Header=BB164_3 Depth=1
	flat_load_dword v3, v[4:5] offset:4
	s_waitcnt vmcnt(0) lgkmcnt(0)
	v_xor_b32_e32 v7, 0x80000000, v3
	s_branch .LBB164_2
.LBB164_7:
	s_cmpk_lg_i32 s5, 0x84
	v_mul_u32_u24_e32 v1, 0xe0, v0
	s_mov_b64 s[16:17], -1
	s_cbranch_scc0 .LBB164_13
; %bb.8:
	v_add_u32_e32 v3, v2, v1
	ds_read_b64 v[4:5], v3
                                        ; implicit-def: $vgpr6_vgpr7
	s_waitcnt lgkmcnt(0)
	v_cmp_ngt_f32_e64 s[16:17], |v4|, |v5|
	s_and_saveexec_b64 s[18:19], s[16:17]
	s_xor_b64 s[16:17], exec, s[18:19]
	s_cbranch_execz .LBB164_10
; %bb.9:
	v_div_scale_f32 v6, s[18:19], v5, v5, v4
	v_rcp_f32_e32 v7, v6
	v_div_scale_f32 v8, vcc, v4, v5, v4
	v_fma_f32 v9, -v6, v7, 1.0
	v_fmac_f32_e32 v7, v9, v7
	v_mul_f32_e32 v9, v8, v7
	v_fma_f32 v10, -v6, v9, v8
	v_fmac_f32_e32 v9, v10, v7
	v_fma_f32 v6, -v6, v9, v8
	v_div_fmas_f32 v6, v6, v7, v9
	v_div_fixup_f32 v6, v6, v5, v4
	v_fmac_f32_e32 v5, v4, v6
	v_div_scale_f32 v4, s[18:19], v5, v5, 1.0
	v_rcp_f32_e32 v7, v4
	s_mov_b32 s18, 0
	s_mov_b32 s19, -1.0
	v_fma_f32 v8, -v4, v7, 1.0
	v_fmac_f32_e32 v7, v8, v7
	v_div_scale_f32 v8, vcc, 1.0, v5, 1.0
	v_mul_f32_e32 v9, v8, v7
	v_fma_f32 v10, -v4, v9, v8
	v_fmac_f32_e32 v9, v10, v7
	v_fma_f32 v4, -v4, v9, v8
	v_div_fmas_f32 v4, v4, v7, v9
	v_mul_f32_e32 v7, 0, v6
	v_div_fixup_f32 v4, v4, v5, 1.0
	v_pk_add_f32 v[6:7], v[6:7], s[18:19]
	s_nop 0
	v_pk_mul_f32 v[6:7], v[6:7], v[4:5] op_sel_hi:[1,0]
                                        ; implicit-def: $vgpr4_vgpr5
.LBB164_10:
	s_andn2_saveexec_b64 s[16:17], s[16:17]
	s_cbranch_execz .LBB164_12
; %bb.11:
	v_div_scale_f32 v6, s[18:19], v4, v4, v5
	v_rcp_f32_e32 v7, v6
	v_div_scale_f32 v8, vcc, v5, v4, v5
	v_fma_f32 v9, -v6, v7, 1.0
	v_fmac_f32_e32 v7, v9, v7
	v_mul_f32_e32 v9, v8, v7
	v_fma_f32 v10, -v6, v9, v8
	v_fmac_f32_e32 v9, v10, v7
	v_fma_f32 v6, -v6, v9, v8
	v_div_fmas_f32 v6, v6, v7, v9
	v_div_fixup_f32 v7, v6, v4, v5
	v_fmac_f32_e32 v4, v5, v7
	v_div_scale_f32 v5, s[18:19], v4, v4, 1.0
	v_rcp_f32_e32 v6, v5
	s_nop 0
	v_fma_f32 v8, -v5, v6, 1.0
	v_fmac_f32_e32 v6, v8, v6
	v_div_scale_f32 v8, vcc, 1.0, v4, 1.0
	v_mul_f32_e32 v9, v8, v6
	v_fma_f32 v10, -v5, v9, v8
	v_fmac_f32_e32 v9, v10, v6
	v_fma_f32 v5, -v5, v9, v8
	v_div_fmas_f32 v5, v5, v6, v9
	v_div_fixup_f32 v4, v5, v4, 1.0
	v_mul_f32_e32 v5, 0, v7
	v_add_f32_e32 v6, 1.0, v5
	v_sub_f32_e32 v7, 0, v7
	v_pk_mul_f32 v[6:7], v[6:7], v[4:5] op_sel_hi:[1,0]
.LBB164_12:
	s_or_b64 exec, exec, s[16:17]
	s_mov_b64 s[16:17], 0
	ds_write_b64 v3, v[6:7]
.LBB164_13:
	s_and_b64 vcc, exec, s[16:17]
	s_cbranch_vccz .LBB164_15
; %bb.14:
	v_add_u32_e32 v1, v2, v1
	v_mov_b32_e32 v2, 1.0
	v_mov_b32_e32 v3, 0
	ds_write_b64 v1, v[2:3]
.LBB164_15:
	s_or_b64 exec, exec, s[14:15]
	s_mul_i32 s5, s2, 0xffffffe4
	s_waitcnt lgkmcnt(0)
	s_add_i32 s3, s3, -1
	s_add_i32 s5, s7, s5
	s_cmp_ge_u32 s2, s3
	s_cselect_b32 s3, s5, 28
	v_cmp_gt_i32_e32 vcc, s3, v0
	; wave barrier
	s_and_saveexec_b64 s[6:7], vcc
	s_cbranch_execz .LBB164_83
; %bb.16:
	s_load_dword s5, s[0:1], 0x50
	s_lshl_b64 s[6:7], s[10:11], 3
	s_add_u32 s0, s8, s6
	v_mad_u64_u32 v[0:1], s[2:3], s2, 28, v[0:1]
	s_addc_u32 s1, s9, s7
	s_waitcnt lgkmcnt(0)
	v_mad_i64_i32 v[2:3], s[2:3], s5, v0, 0
	v_lshl_add_u64 v[0:1], v[2:3], 3, s[0:1]
	s_cmpk_eq_i32 s4, 0x6f
	s_mov_b64 s[0:1], -1
	s_cbranch_scc1 .LBB164_50
; %bb.17:
	s_add_u32 s0, s8, s6
	s_addc_u32 s1, s9, s7
	s_mov_b32 s15, 0
	s_mov_b32 s2, s12
	;; [unrolled: 1-line block ×7, first 2 shown]
	v_lshl_add_u64 v[4:5], v[2:3], 3, s[0:1]
	s_mov_b32 s16, s15
	s_mov_b32 s27, s15
	s_branch .LBB164_19
.LBB164_18:                             ;   in Loop: Header=BB164_19 Depth=1
	s_cmp_ge_i32 s27, s26
	s_cselect_b64 s[0:1], -1, 0
	s_add_i32 s16, s16, 1
	s_cmp_eq_u32 s16, 3
	s_cselect_b64 s[18:19], -1, 0
	s_or_b64 s[0:1], s[0:1], s[18:19]
	s_andn2_b64 vcc, exec, s[0:1]
	s_cbranch_vccz .LBB164_49
.LBB164_19:                             ; =>This Loop Header: Depth=1
                                        ;     Child Loop BB164_22 Depth 2
                                        ;       Child Loop BB164_24 Depth 3
                                        ;       Child Loop BB164_28 Depth 3
	;; [unrolled: 1-line block ×3, first 2 shown]
                                        ;         Child Loop BB164_34 Depth 4
                                        ;         Child Loop BB164_40 Depth 4
                                        ;       Child Loop BB164_43 Depth 3
                                        ;         Child Loop BB164_45 Depth 4
	s_mov_b32 s17, s15
	s_lshl_b64 s[0:1], s[16:17], 2
	s_getpc_b64 s[18:19]
	s_add_u32 s18, s18, __const._ZL30rocblas_trsm_small_left_deviceILi28ELi28ELb0E19rocblas_complex_numIfES1_PKPKS1_PKPS1_Ev13rocblas_fill_18rocblas_operation_17rocblas_diagonal_iiT3_T4_lilT5_lili.step_sizes@rel32@lo+4
	s_addc_u32 s19, s19, __const._ZL30rocblas_trsm_small_left_deviceILi28ELi28ELb0E19rocblas_complex_numIfES1_PKPKS1_PKPS1_Ev13rocblas_fill_18rocblas_operation_17rocblas_diagonal_iiT3_T4_lilT5_lili.step_sizes@rel32@hi+12
	s_add_u32 s0, s18, s0
	s_addc_u32 s1, s19, s1
	s_load_dword s17, s[0:1], 0x0
	s_waitcnt lgkmcnt(0)
	s_add_i32 s28, s17, -1
	s_add_i32 s0, s28, s27
	s_cmp_ge_i32 s0, s26
	s_cbranch_scc1 .LBB164_18
; %bb.20:                               ;   in Loop: Header=BB164_19 Depth=1
	s_max_i32 s29, s17, 1
	s_cmp_lg_u32 s16, 2
	s_cselect_b64 s[18:19], -1, 0
	s_and_b32 s30, s29, 0x7ffffffe
	s_cmp_lg_u32 s29, s30
	v_cndmask_b32_e64 v6, 0, 1, s[18:19]
	s_cselect_b64 s[20:21], -1, 0
	s_ashr_i32 s31, s27, 31
	s_ashr_i32 s33, s17, 31
	s_mul_i32 s34, s27, 0xe8
	s_mul_i32 s35, s17, 0xe8
	v_cmp_ne_u32_e64 s[0:1], 1, v6
	s_branch .LBB164_22
.LBB164_21:                             ;   in Loop: Header=BB164_22 Depth=2
	s_add_u32 s27, s27, s17
	s_addc_u32 s31, s31, s33
	s_add_i32 s14, s28, s27
	s_add_i32 s34, s34, s35
	s_cmp_ge_i32 s14, s26
	s_cbranch_scc1 .LBB164_18
.LBB164_22:                             ;   Parent Loop BB164_19 Depth=1
                                        ; =>  This Loop Header: Depth=2
                                        ;       Child Loop BB164_24 Depth 3
                                        ;       Child Loop BB164_28 Depth 3
	;; [unrolled: 1-line block ×3, first 2 shown]
                                        ;         Child Loop BB164_34 Depth 4
                                        ;         Child Loop BB164_40 Depth 4
                                        ;       Child Loop BB164_43 Depth 3
                                        ;         Child Loop BB164_45 Depth 4
	s_and_b64 vcc, exec, s[0:1]
	s_cbranch_vccnz .LBB164_26
; %bb.23:                               ;   in Loop: Header=BB164_22 Depth=2
	s_mov_b32 s14, 0
	s_mov_b32 s24, s27
	;; [unrolled: 1-line block ×6, first 2 shown]
.LBB164_24:                             ;   Parent Loop BB164_19 Depth=1
                                        ;     Parent Loop BB164_22 Depth=2
                                        ; =>    This Inner Loop Header: Depth=3
	s_add_i32 s22, s37, s24
	s_add_i32 s40, s36, s25
	s_ashr_i32 s23, s22, 31
	s_ashr_i32 s41, s40, 31
	v_lshl_add_u64 v[6:7], s[22:23], 3, v[0:1]
	v_lshl_add_u64 v[8:9], s[40:41], 3, v[0:1]
	flat_load_dwordx2 v[12:13], v[6:7]
	flat_load_dwordx2 v[10:11], v[8:9]
	s_add_i32 s37, s37, 2
	s_add_i32 s36, s36, 2
	s_add_i32 s38, s38, -2
	s_mov_b32 s39, s30
	s_mov_b64 s[22:23], s[20:21]
	s_waitcnt vmcnt(0) lgkmcnt(0)
	v_mov_b32_e32 v6, v12
	v_mov_b32_e32 v7, v10
	;; [unrolled: 1-line block ×3, first 2 shown]
	v_pk_mul_f32 v[8:9], v[10:11], s[4:5]
	v_pk_mul_f32 v[10:11], v[10:11], s[2:3]
	v_pk_fma_f32 v[12:13], v[6:7], s[2:3], v[8:9] neg_lo:[0,0,1] neg_hi:[0,0,1]
	v_pk_fma_f32 v[8:9], v[6:7], s[4:5], v[10:11]
	v_mov_b32_e32 v6, v12
	v_mov_b32_e32 v7, v8
	;; [unrolled: 1-line block ×3, first 2 shown]
	scratch_store_dwordx4 off, v[6:9], s14
	s_add_i32 s14, s14, 16
	s_cmp_lg_u32 s38, 0
	s_cbranch_scc1 .LBB164_24
; %bb.25:                               ;   in Loop: Header=BB164_22 Depth=2
	s_and_b64 vcc, exec, s[22:23]
	s_cbranch_vccnz .LBB164_27
	s_branch .LBB164_29
.LBB164_26:                             ;   in Loop: Header=BB164_22 Depth=2
	s_mov_b32 s39, 0
	s_cbranch_execz .LBB164_29
.LBB164_27:                             ;   in Loop: Header=BB164_22 Depth=2
	s_sub_i32 s14, s29, s39
	s_add_u32 s22, s27, s39
	s_addc_u32 s23, s31, 0
	v_lshl_add_u64 v[6:7], s[22:23], 3, v[4:5]
	s_lshl_b32 s22, s39, 3
.LBB164_28:                             ;   Parent Loop BB164_19 Depth=1
                                        ;     Parent Loop BB164_22 Depth=2
                                        ; =>    This Inner Loop Header: Depth=3
	flat_load_dwordx2 v[8:9], v[6:7]
	s_add_i32 s14, s14, -1
	v_lshl_add_u64 v[6:7], v[6:7], 0, 8
	s_waitcnt vmcnt(0) lgkmcnt(0)
	v_pk_mul_f32 v[10:11], v[8:9], s[10:11] op_sel:[1,0]
	s_nop 0
	v_pk_fma_f32 v[12:13], v[8:9], s[12:13], v[10:11] neg_lo:[0,0,1] neg_hi:[0,0,1]
	v_pk_fma_f32 v[8:9], v[8:9], s[12:13], v[10:11] op_sel_hi:[0,1,1]
	v_mov_b32_e32 v13, v9
	scratch_store_dwordx2 off, v[12:13], s22
	s_add_i32 s22, s22, 8
	s_cmp_eq_u32 s14, 0
	s_cbranch_scc0 .LBB164_28
.LBB164_29:                             ;   in Loop: Header=BB164_22 Depth=2
	s_cmp_lt_i32 s27, 1
	s_cbranch_scc1 .LBB164_41
; %bb.30:                               ;   in Loop: Header=BB164_22 Depth=2
	s_mov_b32 s38, 0
	s_mov_b32 s36, s27
	;; [unrolled: 1-line block ×4, first 2 shown]
	s_branch .LBB164_32
.LBB164_31:                             ;   in Loop: Header=BB164_32 Depth=3
	s_add_i32 s14, s14, 1
	s_add_i32 s38, s38, 8
	s_cmp_eq_u32 s14, s27
	s_cbranch_scc1 .LBB164_41
.LBB164_32:                             ;   Parent Loop BB164_19 Depth=1
                                        ;     Parent Loop BB164_22 Depth=2
                                        ; =>    This Loop Header: Depth=3
                                        ;         Child Loop BB164_34 Depth 4
                                        ;         Child Loop BB164_40 Depth 4
	v_lshl_add_u64 v[6:7], s[14:15], 3, v[0:1]
	flat_load_dwordx2 v[6:7], v[6:7]
	s_and_b64 vcc, exec, s[18:19]
	s_cbranch_vccz .LBB164_36
; %bb.33:                               ;   in Loop: Header=BB164_32 Depth=3
	s_lshl_b32 s22, s14, 3
	s_waitcnt vmcnt(0) lgkmcnt(0)
	v_mov_b32_e32 v10, v6
	v_mov_b32_e32 v11, v6
	v_mov_b32_e32 v8, v7
	s_mov_b32 s23, 0
	v_mov_b32_e32 v12, v7
	v_mov_b32_e32 v13, v7
	s_mov_b32 s24, 1
	s_mov_b32 s25, 0
	;; [unrolled: 1-line block ×3, first 2 shown]
.LBB164_34:                             ;   Parent Loop BB164_19 Depth=1
                                        ;     Parent Loop BB164_22 Depth=2
                                        ;       Parent Loop BB164_32 Depth=3
                                        ; =>      This Inner Loop Header: Depth=4
	scratch_load_dwordx4 v[14:17], off, s23
	s_add_i32 s40, s25, s36
	s_add_i32 s41, s24, s37
	s_mulk_i32 s41, 0xe0
	s_mulk_i32 s40, 0xe0
	s_add_i32 s40, s22, s40
	s_add_i32 s41, s22, s41
	v_mov_b32_e32 v9, s40
	v_mov_b32_e32 v18, s41
	ds_read_b64 v[22:23], v9
	ds_read_b64 v[18:19], v18
	s_add_i32 s25, s25, 2
	s_add_i32 s24, s24, 2
	s_add_i32 s39, s39, -2
	s_waitcnt lgkmcnt(1)
	v_mov_b32_e32 v20, v22
	s_waitcnt lgkmcnt(0)
	v_mov_b32_e32 v21, v18
	v_mov_b32_e32 v18, v23
	v_pk_mul_f32 v[22:23], v[18:19], v[12:13]
	v_pk_mul_f32 v[18:19], v[18:19], v[10:11]
	v_pk_fma_f32 v[22:23], v[20:21], v[10:11], v[22:23] neg_lo:[0,0,1] neg_hi:[0,0,1]
	v_pk_fma_f32 v[18:19], v[20:21], v[12:13], v[18:19]
	s_waitcnt vmcnt(0)
	v_mov_b32_e32 v20, v14
	v_mov_b32_e32 v21, v16
	;; [unrolled: 1-line block ×3, first 2 shown]
	v_pk_add_f32 v[20:21], v[20:21], v[22:23] neg_lo:[0,1] neg_hi:[0,1]
	v_pk_add_f32 v[16:17], v[16:17], v[18:19] neg_lo:[0,1] neg_hi:[0,1]
	v_mov_b32_e32 v14, v20
	v_mov_b32_e32 v15, v16
	;; [unrolled: 1-line block ×3, first 2 shown]
	scratch_store_dwordx4 off, v[14:17], s23
	s_add_i32 s23, s23, 16
	s_cmp_lg_u32 s39, 0
	s_cbranch_scc1 .LBB164_34
; %bb.35:                               ;   in Loop: Header=BB164_32 Depth=3
	s_mov_b64 s[22:23], s[20:21]
	s_mov_b32 s24, s30
	s_branch .LBB164_38
.LBB164_36:                             ;   in Loop: Header=BB164_32 Depth=3
	s_waitcnt vmcnt(0) lgkmcnt(0)
	v_mov_b32_e32 v8, v7
	s_mov_b64 s[22:23], 0
	s_mov_b32 s24, s30
	s_cbranch_execz .LBB164_38
; %bb.37:                               ;   in Loop: Header=BB164_32 Depth=3
	s_mov_b64 s[22:23], -1
	s_mov_b32 s24, 0
.LBB164_38:                             ;   in Loop: Header=BB164_32 Depth=3
	s_andn2_b64 vcc, exec, s[22:23]
	s_cbranch_vccnz .LBB164_31
; %bb.39:                               ;   in Loop: Header=BB164_32 Depth=3
	s_add_i32 s23, s27, s24
	s_mulk_i32 s23, 0xe0
	v_mov_b32_e32 v9, v7
	v_mov_b32_e32 v7, v6
	s_sub_i32 s22, s29, s24
	s_add_i32 s23, s38, s23
	s_lshl_b32 s24, s24, 3
.LBB164_40:                             ;   Parent Loop BB164_19 Depth=1
                                        ;     Parent Loop BB164_22 Depth=2
                                        ;       Parent Loop BB164_32 Depth=3
                                        ; =>      This Inner Loop Header: Depth=4
	scratch_load_dwordx2 v[10:11], off, s24
	v_mov_b32_e32 v12, s23
	ds_read_b64 v[12:13], v12
	s_add_i32 s22, s22, -1
	s_addk_i32 s23, 0xe0
	s_waitcnt lgkmcnt(0)
	v_pk_mul_f32 v[14:15], v[12:13], v[8:9] op_sel:[1,0] op_sel_hi:[0,1]
	v_pk_fma_f32 v[16:17], v[12:13], v[6:7], v[14:15] neg_lo:[0,0,1] neg_hi:[0,0,1]
	v_pk_fma_f32 v[12:13], v[12:13], v[6:7], v[14:15]
	s_nop 0
	v_mov_b32_e32 v17, v13
	s_waitcnt vmcnt(0)
	v_pk_add_f32 v[10:11], v[10:11], v[16:17] neg_lo:[0,1] neg_hi:[0,1]
	scratch_store_dwordx2 off, v[10:11], s24
	s_add_i32 s24, s24, 8
	s_cmp_eq_u32 s22, 0
	s_cbranch_scc0 .LBB164_40
	s_branch .LBB164_31
.LBB164_41:                             ;   in Loop: Header=BB164_22 Depth=2
	s_mov_b32 s14, 0
	s_mov_b32 s36, s34
	s_branch .LBB164_43
.LBB164_42:                             ;   in Loop: Header=BB164_43 Depth=3
	s_mul_i32 s23, s22, 0xe8
	v_mov_b32_e32 v7, s23
	ds_read_b64 v[10:11], v7
	s_lshl_b32 s24, s14, 3
	s_ashr_i32 s23, s22, 31
	s_add_i32 s14, s14, 1
	s_addk_i32 s36, 0xe0
	s_waitcnt lgkmcnt(0)
	v_pk_mul_f32 v[8:9], v[10:11], v[8:9] op_sel:[1,0] op_sel_hi:[0,0]
	v_pk_fma_f32 v[12:13], v[10:11], v[6:7], v[8:9] neg_lo:[0,0,1] neg_hi:[0,0,1]
	v_pk_fma_f32 v[6:7], v[10:11], v[6:7], v[8:9] op_sel_hi:[1,0,1]
	s_cmp_eq_u32 s14, s29
	v_mov_b32_e32 v13, v7
	v_lshl_add_u64 v[6:7], s[22:23], 3, v[0:1]
	scratch_store_dwordx2 off, v[12:13], s24
	flat_store_dwordx2 v[6:7], v[12:13]
	s_cbranch_scc1 .LBB164_21
.LBB164_43:                             ;   Parent Loop BB164_19 Depth=1
                                        ;     Parent Loop BB164_22 Depth=2
                                        ; =>    This Loop Header: Depth=3
                                        ;         Child Loop BB164_45 Depth 4
	s_cmp_lg_u32 s14, 0
	s_cbranch_scc0 .LBB164_47
; %bb.44:                               ;   in Loop: Header=BB164_43 Depth=3
	s_lshl_b32 s22, s14, 3
	scratch_load_dwordx2 v[6:7], off, s22
	s_mov_b32 s23, 0
	s_mov_b32 s24, s36
	;; [unrolled: 1-line block ×3, first 2 shown]
.LBB164_45:                             ;   Parent Loop BB164_19 Depth=1
                                        ;     Parent Loop BB164_22 Depth=2
                                        ;       Parent Loop BB164_43 Depth=3
                                        ; =>      This Inner Loop Header: Depth=4
	scratch_load_dwordx2 v[8:9], off, s23
	v_mov_b32_e32 v10, s24
	ds_read_b64 v[10:11], v10
	s_add_i32 s25, s25, -1
	s_add_i32 s23, s23, 8
	s_add_i32 s24, s24, 8
	s_cmp_eq_u32 s25, 0
	s_waitcnt vmcnt(0) lgkmcnt(0)
	v_pk_mul_f32 v[12:13], v[10:11], v[8:9] op_sel:[1,1] op_sel_hi:[0,1]
	v_pk_fma_f32 v[14:15], v[10:11], v[8:9], v[12:13] neg_lo:[0,0,1] neg_hi:[0,0,1]
	v_pk_fma_f32 v[8:9], v[10:11], v[8:9], v[12:13] op_sel_hi:[1,0,1]
	s_nop 0
	v_mov_b32_e32 v15, v9
	v_pk_add_f32 v[6:7], v[6:7], v[14:15] neg_lo:[0,1] neg_hi:[0,1]
	scratch_store_dwordx2 off, v[6:7], s22
	s_cbranch_scc0 .LBB164_45
; %bb.46:                               ;   in Loop: Header=BB164_43 Depth=3
	s_add_i32 s22, s14, s27
	v_mov_b32_e32 v8, v7
	s_branch .LBB164_42
.LBB164_47:                             ;   in Loop: Header=BB164_43 Depth=3
                                        ; implicit-def: $vgpr6
                                        ; implicit-def: $vgpr8
                                        ; implicit-def: $sgpr22
	s_cbranch_execz .LBB164_42
; %bb.48:                               ;   in Loop: Header=BB164_43 Depth=3
	scratch_load_dwordx2 v[6:7], off, off
	s_mov_b32 s22, s27
	s_waitcnt vmcnt(0)
	v_mov_b32_e32 v8, v7
	s_branch .LBB164_42
.LBB164_49:
	s_mov_b64 s[0:1], 0
.LBB164_50:
	s_and_b64 vcc, exec, s[0:1]
	s_cbranch_vccz .LBB164_83
; %bb.51:
	s_add_i32 s27, s26, -1
	s_add_u32 s0, s8, s6
	s_addc_u32 s1, s9, s7
	s_mulk_i32 s26, 0xe0
	s_mov_b32 s7, 0
	s_mov_b32 s2, s12
	;; [unrolled: 1-line block ×7, first 2 shown]
	v_lshl_add_u64 v[2:3], v[2:3], 3, s[0:1]
	s_addk_i32 s26, 0xff20
	s_mov_b32 s8, s27
	s_mov_b32 s14, s7
	s_branch .LBB164_53
.LBB164_52:                             ;   in Loop: Header=BB164_53 Depth=1
	s_cmp_lt_i32 s8, 0
	s_cselect_b64 s[0:1], -1, 0
	s_add_i32 s14, s14, 1
	s_cmp_eq_u32 s14, 3
	s_cselect_b64 s[16:17], -1, 0
	s_or_b64 s[0:1], s[0:1], s[16:17]
	s_and_b64 vcc, exec, s[0:1]
	s_cbranch_vccnz .LBB164_83
.LBB164_53:                             ; =>This Loop Header: Depth=1
                                        ;     Child Loop BB164_56 Depth 2
                                        ;       Child Loop BB164_58 Depth 3
                                        ;       Child Loop BB164_62 Depth 3
	;; [unrolled: 1-line block ×3, first 2 shown]
                                        ;         Child Loop BB164_68 Depth 4
                                        ;         Child Loop BB164_74 Depth 4
                                        ;       Child Loop BB164_77 Depth 3
                                        ;         Child Loop BB164_79 Depth 4
	s_mov_b32 s15, s7
	s_lshl_b64 s[0:1], s[14:15], 2
	s_getpc_b64 s[16:17]
	s_add_u32 s16, s16, __const._ZL30rocblas_trsm_small_left_deviceILi28ELi28ELb0E19rocblas_complex_numIfES1_PKPKS1_PKPS1_Ev13rocblas_fill_18rocblas_operation_17rocblas_diagonal_iiT3_T4_lilT5_lili.step_sizes@rel32@lo+4
	s_addc_u32 s17, s17, __const._ZL30rocblas_trsm_small_left_deviceILi28ELi28ELb0E19rocblas_complex_numIfES1_PKPKS1_PKPS1_Ev13rocblas_fill_18rocblas_operation_17rocblas_diagonal_iiT3_T4_lilT5_lili.step_sizes@rel32@hi+12
	s_add_u32 s0, s16, s0
	s_addc_u32 s1, s17, s1
	s_load_dword s15, s[0:1], 0x0
	s_waitcnt lgkmcnt(0)
	s_add_i32 s28, s15, -1
	s_cmp_lt_i32 s8, s28
	s_cbranch_scc1 .LBB164_52
; %bb.54:                               ;   in Loop: Header=BB164_53 Depth=1
	s_max_i32 s29, s15, 1
	s_cmp_lg_u32 s14, 2
	s_cselect_b64 s[16:17], -1, 0
	s_and_b32 s30, s29, 0x7ffffffe
	s_cmp_lg_u32 s29, s30
	s_cselect_b64 s[18:19], -1, 0
	s_lshl_b32 s0, s8, 3
	s_add_i32 s31, s26, s0
	s_lshl_b32 s0, s15, 3
	v_cndmask_b32_e64 v4, 0, 1, s[16:17]
	s_sub_i32 s33, 0, s0
	s_mul_i32 s34, s8, 0xe8
	s_mul_i32 s35, s15, 0xffffff18
	v_cmp_ne_u32_e64 s[0:1], 1, v4
	s_branch .LBB164_56
.LBB164_55:                             ;   in Loop: Header=BB164_56 Depth=2
	s_sub_i32 s8, s8, s15
	s_add_i32 s31, s31, s33
	s_add_i32 s34, s34, s35
	s_cmp_lt_i32 s8, s28
	s_cbranch_scc1 .LBB164_52
.LBB164_56:                             ;   Parent Loop BB164_53 Depth=1
                                        ; =>  This Loop Header: Depth=2
                                        ;       Child Loop BB164_58 Depth 3
                                        ;       Child Loop BB164_62 Depth 3
	;; [unrolled: 1-line block ×3, first 2 shown]
                                        ;         Child Loop BB164_68 Depth 4
                                        ;         Child Loop BB164_74 Depth 4
                                        ;       Child Loop BB164_77 Depth 3
                                        ;         Child Loop BB164_79 Depth 4
	s_and_b64 vcc, exec, s[0:1]
	s_cbranch_vccnz .LBB164_60
; %bb.57:                               ;   in Loop: Header=BB164_56 Depth=2
	s_mov_b32 s9, 0
	s_mov_b32 s22, s8
	s_mov_b32 s23, 1
	s_mov_b32 s24, 0
	s_mov_b32 s25, s30
.LBB164_58:                             ;   Parent Loop BB164_53 Depth=1
                                        ;     Parent Loop BB164_56 Depth=2
                                        ; =>    This Inner Loop Header: Depth=3
	s_sub_i32 s20, s8, s24
	s_sub_i32 s36, s22, s23
	s_ashr_i32 s21, s20, 31
	s_ashr_i32 s37, s36, 31
	v_lshl_add_u64 v[4:5], s[20:21], 3, v[0:1]
	v_lshl_add_u64 v[6:7], s[36:37], 3, v[0:1]
	flat_load_dwordx2 v[10:11], v[4:5]
	flat_load_dwordx2 v[8:9], v[6:7]
	s_add_i32 s24, s24, 2
	s_add_i32 s23, s23, 2
	s_add_i32 s25, s25, -2
	s_mov_b32 s6, s30
	s_mov_b64 s[20:21], s[18:19]
	s_waitcnt vmcnt(0) lgkmcnt(0)
	v_mov_b32_e32 v4, v10
	v_mov_b32_e32 v5, v8
	;; [unrolled: 1-line block ×3, first 2 shown]
	v_pk_mul_f32 v[6:7], v[8:9], s[4:5]
	v_pk_mul_f32 v[8:9], v[8:9], s[2:3]
	v_pk_fma_f32 v[10:11], v[4:5], s[2:3], v[6:7] neg_lo:[0,0,1] neg_hi:[0,0,1]
	v_pk_fma_f32 v[6:7], v[4:5], s[4:5], v[8:9]
	v_mov_b32_e32 v4, v10
	v_mov_b32_e32 v5, v6
	;; [unrolled: 1-line block ×3, first 2 shown]
	scratch_store_dwordx4 off, v[4:7], s9
	s_add_i32 s9, s9, 16
	s_cmp_lg_u32 s25, 0
	s_cbranch_scc1 .LBB164_58
; %bb.59:                               ;   in Loop: Header=BB164_56 Depth=2
	s_ashr_i32 s9, s8, 31
	s_and_b64 vcc, exec, s[20:21]
	s_cbranch_vccnz .LBB164_61
	s_branch .LBB164_63
.LBB164_60:                             ;   in Loop: Header=BB164_56 Depth=2
	s_mov_b32 s6, 0
	s_ashr_i32 s9, s8, 31
	s_cbranch_execz .LBB164_63
.LBB164_61:                             ;   in Loop: Header=BB164_56 Depth=2
	s_lshl_b64 s[22:23], s[8:9], 3
	s_sub_i32 s20, s29, s6
	s_lshl_b64 s[24:25], s[6:7], 3
	s_sub_u32 s22, s22, s24
	s_subb_u32 s23, s23, s25
	v_lshl_add_u64 v[4:5], v[2:3], 0, s[22:23]
	s_lshl_b32 s6, s6, 3
.LBB164_62:                             ;   Parent Loop BB164_53 Depth=1
                                        ;     Parent Loop BB164_56 Depth=2
                                        ; =>    This Inner Loop Header: Depth=3
	flat_load_dwordx2 v[6:7], v[4:5]
	s_add_i32 s20, s20, -1
	v_lshl_add_u64 v[4:5], v[4:5], 0, -8
	s_waitcnt vmcnt(0) lgkmcnt(0)
	v_pk_mul_f32 v[8:9], v[6:7], s[10:11] op_sel:[1,0]
	s_nop 0
	v_pk_fma_f32 v[10:11], v[6:7], s[12:13], v[8:9] neg_lo:[0,0,1] neg_hi:[0,0,1]
	v_pk_fma_f32 v[6:7], v[6:7], s[12:13], v[8:9] op_sel_hi:[0,1,1]
	v_mov_b32_e32 v11, v7
	scratch_store_dwordx2 off, v[10:11], s6
	s_add_i32 s6, s6, 8
	s_cmp_eq_u32 s20, 0
	s_cbranch_scc0 .LBB164_62
.LBB164_63:                             ;   in Loop: Header=BB164_56 Depth=2
	s_cmp_le_i32 s27, s8
	s_cbranch_scc1 .LBB164_75
; %bb.64:                               ;   in Loop: Header=BB164_56 Depth=2
	s_mov_b32 s6, s8
	s_mov_b32 s36, s8
	;; [unrolled: 1-line block ×4, first 2 shown]
	s_branch .LBB164_66
.LBB164_65:                             ;   in Loop: Header=BB164_66 Depth=3
	s_add_i32 s20, s20, -1
	s_addk_i32 s37, 0xff20
	s_cmp_le_i32 s20, s8
	s_cbranch_scc1 .LBB164_75
.LBB164_66:                             ;   Parent Loop BB164_53 Depth=1
                                        ;     Parent Loop BB164_56 Depth=2
                                        ; =>    This Loop Header: Depth=3
                                        ;         Child Loop BB164_68 Depth 4
                                        ;         Child Loop BB164_74 Depth 4
	s_ashr_i32 s21, s20, 31
	v_lshl_add_u64 v[4:5], s[20:21], 3, v[0:1]
	flat_load_dwordx2 v[4:5], v[4:5]
	s_and_b64 vcc, exec, s[16:17]
	s_cbranch_vccz .LBB164_70
; %bb.67:                               ;   in Loop: Header=BB164_66 Depth=3
	s_mul_i32 s21, s20, 0xe0
	s_waitcnt vmcnt(0) lgkmcnt(0)
	v_mov_b32_e32 v8, v4
	v_mov_b32_e32 v9, v4
	;; [unrolled: 1-line block ×3, first 2 shown]
	s_mov_b32 s22, 0
	v_mov_b32_e32 v10, v5
	v_mov_b32_e32 v11, v5
	s_mov_b32 s23, 1
	s_mov_b32 s24, 0
	;; [unrolled: 1-line block ×3, first 2 shown]
.LBB164_68:                             ;   Parent Loop BB164_53 Depth=1
                                        ;     Parent Loop BB164_56 Depth=2
                                        ;       Parent Loop BB164_66 Depth=3
                                        ; =>      This Inner Loop Header: Depth=4
	scratch_load_dwordx4 v[12:15], off, s22
	s_sub_i32 s38, s36, s23
	s_sub_i32 s39, s6, s24
	s_lshl_b32 s39, s39, 3
	s_lshl_b32 s38, s38, 3
	s_add_i32 s39, s21, s39
	s_add_i32 s38, s21, s38
	v_mov_b32_e32 v7, s39
	v_mov_b32_e32 v16, s38
	ds_read_b64 v[20:21], v7
	ds_read_b64 v[16:17], v16
	s_add_i32 s24, s24, 2
	s_add_i32 s23, s23, 2
	s_add_i32 s25, s25, -2
	s_waitcnt lgkmcnt(1)
	v_mov_b32_e32 v18, v20
	s_waitcnt lgkmcnt(0)
	v_mov_b32_e32 v19, v16
	v_mov_b32_e32 v16, v21
	v_pk_mul_f32 v[20:21], v[16:17], v[10:11]
	v_pk_mul_f32 v[16:17], v[16:17], v[8:9]
	v_pk_fma_f32 v[20:21], v[18:19], v[8:9], v[20:21] neg_lo:[0,0,1] neg_hi:[0,0,1]
	v_pk_fma_f32 v[16:17], v[18:19], v[10:11], v[16:17]
	s_waitcnt vmcnt(0)
	v_mov_b32_e32 v18, v12
	v_mov_b32_e32 v19, v14
	;; [unrolled: 1-line block ×3, first 2 shown]
	v_pk_add_f32 v[18:19], v[18:19], v[20:21] neg_lo:[0,1] neg_hi:[0,1]
	v_pk_add_f32 v[14:15], v[14:15], v[16:17] neg_lo:[0,1] neg_hi:[0,1]
	v_mov_b32_e32 v12, v18
	v_mov_b32_e32 v13, v14
	;; [unrolled: 1-line block ×3, first 2 shown]
	scratch_store_dwordx4 off, v[12:15], s22
	s_add_i32 s22, s22, 16
	s_cmp_lg_u32 s25, 0
	s_cbranch_scc1 .LBB164_68
; %bb.69:                               ;   in Loop: Header=BB164_66 Depth=3
	s_mov_b64 s[22:23], s[18:19]
	s_mov_b32 s24, s30
	s_branch .LBB164_72
.LBB164_70:                             ;   in Loop: Header=BB164_66 Depth=3
	s_waitcnt vmcnt(0) lgkmcnt(0)
	v_mov_b32_e32 v6, v5
	s_mov_b64 s[22:23], 0
	s_mov_b32 s24, s30
	s_cbranch_execz .LBB164_72
; %bb.71:                               ;   in Loop: Header=BB164_66 Depth=3
	s_mov_b64 s[22:23], -1
	s_mov_b32 s24, 0
.LBB164_72:                             ;   in Loop: Header=BB164_66 Depth=3
	s_andn2_b64 vcc, exec, s[22:23]
	s_cbranch_vccnz .LBB164_65
; %bb.73:                               ;   in Loop: Header=BB164_66 Depth=3
	s_lshl_b32 s23, s24, 3
	v_mov_b32_e32 v7, v5
	v_mov_b32_e32 v5, v4
	s_sub_i32 s21, s29, s24
	s_sub_i32 s22, s37, s23
.LBB164_74:                             ;   Parent Loop BB164_53 Depth=1
                                        ;     Parent Loop BB164_56 Depth=2
                                        ;       Parent Loop BB164_66 Depth=3
                                        ; =>      This Inner Loop Header: Depth=4
	scratch_load_dwordx2 v[8:9], off, s23
	v_mov_b32_e32 v10, s22
	ds_read_b64 v[10:11], v10
	s_add_i32 s21, s21, -1
	s_add_i32 s22, s22, -8
	s_waitcnt lgkmcnt(0)
	v_pk_mul_f32 v[12:13], v[10:11], v[6:7] op_sel:[1,0] op_sel_hi:[0,1]
	v_pk_fma_f32 v[14:15], v[10:11], v[4:5], v[12:13] neg_lo:[0,0,1] neg_hi:[0,0,1]
	v_pk_fma_f32 v[10:11], v[10:11], v[4:5], v[12:13]
	s_nop 0
	v_mov_b32_e32 v15, v11
	s_waitcnt vmcnt(0)
	v_pk_add_f32 v[8:9], v[8:9], v[14:15] neg_lo:[0,1] neg_hi:[0,1]
	scratch_store_dwordx2 off, v[8:9], s23
	s_add_i32 s23, s23, 8
	s_cmp_eq_u32 s21, 0
	s_cbranch_scc0 .LBB164_74
	s_branch .LBB164_65
.LBB164_75:                             ;   in Loop: Header=BB164_56 Depth=2
	s_mov_b32 s6, 0
	s_mov_b32 s36, s34
	s_branch .LBB164_77
.LBB164_76:                             ;   in Loop: Header=BB164_77 Depth=3
	s_mulk_i32 s22, 0xe8
	v_mov_b32_e32 v5, s22
	ds_read_b64 v[8:9], v5
	s_lshl_b32 s22, s6, 3
	s_add_i32 s6, s6, 1
	s_add_i32 s36, s36, -8
	v_lshl_add_u64 v[10:11], s[20:21], 3, v[0:1]
	s_waitcnt lgkmcnt(0)
	v_pk_mul_f32 v[6:7], v[8:9], v[6:7] op_sel:[1,0] op_sel_hi:[0,0]
	v_pk_fma_f32 v[12:13], v[8:9], v[4:5], v[6:7] neg_lo:[0,0,1] neg_hi:[0,0,1]
	v_pk_fma_f32 v[4:5], v[8:9], v[4:5], v[6:7] op_sel_hi:[1,0,1]
	s_cmp_eq_u32 s6, s29
	v_mov_b32_e32 v13, v5
	scratch_store_dwordx2 off, v[12:13], s22
	flat_store_dwordx2 v[10:11], v[12:13]
	s_cbranch_scc1 .LBB164_55
.LBB164_77:                             ;   Parent Loop BB164_53 Depth=1
                                        ;     Parent Loop BB164_56 Depth=2
                                        ; =>    This Loop Header: Depth=3
                                        ;         Child Loop BB164_79 Depth 4
	s_cmp_lg_u32 s6, 0
	s_cbranch_scc0 .LBB164_81
; %bb.78:                               ;   in Loop: Header=BB164_77 Depth=3
	s_lshl_b32 s20, s6, 3
	scratch_load_dwordx2 v[4:5], off, s20
	s_mov_b32 s21, 0
	s_mov_b32 s22, s36
	;; [unrolled: 1-line block ×3, first 2 shown]
.LBB164_79:                             ;   Parent Loop BB164_53 Depth=1
                                        ;     Parent Loop BB164_56 Depth=2
                                        ;       Parent Loop BB164_77 Depth=3
                                        ; =>      This Inner Loop Header: Depth=4
	scratch_load_dwordx2 v[6:7], off, s21
	v_mov_b32_e32 v8, s22
	ds_read_b64 v[8:9], v8
	s_add_i32 s23, s23, -1
	s_addk_i32 s22, 0xff20
	s_add_i32 s21, s21, 8
	s_cmp_eq_u32 s23, 0
	s_waitcnt vmcnt(0) lgkmcnt(0)
	v_pk_mul_f32 v[10:11], v[8:9], v[6:7] op_sel:[1,1] op_sel_hi:[0,1]
	v_pk_fma_f32 v[12:13], v[8:9], v[6:7], v[10:11] neg_lo:[0,0,1] neg_hi:[0,0,1]
	v_pk_fma_f32 v[6:7], v[8:9], v[6:7], v[10:11] op_sel_hi:[1,0,1]
	s_nop 0
	v_mov_b32_e32 v13, v7
	v_pk_add_f32 v[4:5], v[4:5], v[12:13] neg_lo:[0,1] neg_hi:[0,1]
	scratch_store_dwordx2 off, v[4:5], s20
	s_cbranch_scc0 .LBB164_79
; %bb.80:                               ;   in Loop: Header=BB164_77 Depth=3
	s_sub_i32 s22, s8, s6
	s_ashr_i32 s23, s22, 31
	v_mov_b32_e32 v6, v5
	s_mov_b64 s[20:21], s[22:23]
	s_branch .LBB164_76
.LBB164_81:                             ;   in Loop: Header=BB164_77 Depth=3
                                        ; implicit-def: $vgpr4
                                        ; implicit-def: $vgpr6
                                        ; implicit-def: $sgpr22
                                        ; implicit-def: $sgpr20_sgpr21
	s_cbranch_execz .LBB164_76
; %bb.82:                               ;   in Loop: Header=BB164_77 Depth=3
	scratch_load_dwordx2 v[4:5], off, off
	s_mov_b64 s[20:21], s[8:9]
	s_mov_b32 s22, s8
	s_waitcnt vmcnt(0)
	v_mov_b32_e32 v6, v5
	s_branch .LBB164_76
.LBB164_83:
	s_endpgm
	.section	.rodata,"a",@progbits
	.p2align	6, 0x0
	.amdhsa_kernel _ZL30rocblas_trsm_small_left_deviceILi28ELi28ELb0E19rocblas_complex_numIfES1_PKPKS1_PKPS1_Ev13rocblas_fill_18rocblas_operation_17rocblas_diagonal_iiT3_T4_lilT5_lili
		.amdhsa_group_segment_fixed_size 6272
		.amdhsa_private_segment_fixed_size 240
		.amdhsa_kernarg_size 360
		.amdhsa_user_sgpr_count 2
		.amdhsa_user_sgpr_dispatch_ptr 0
		.amdhsa_user_sgpr_queue_ptr 0
		.amdhsa_user_sgpr_kernarg_segment_ptr 1
		.amdhsa_user_sgpr_dispatch_id 0
		.amdhsa_user_sgpr_kernarg_preload_length 0
		.amdhsa_user_sgpr_kernarg_preload_offset 0
		.amdhsa_user_sgpr_private_segment_size 0
		.amdhsa_uses_dynamic_stack 0
		.amdhsa_enable_private_segment 1
		.amdhsa_system_sgpr_workgroup_id_x 1
		.amdhsa_system_sgpr_workgroup_id_y 0
		.amdhsa_system_sgpr_workgroup_id_z 1
		.amdhsa_system_sgpr_workgroup_info 0
		.amdhsa_system_vgpr_workitem_id 0
		.amdhsa_next_free_vgpr 65
		.amdhsa_next_free_sgpr 75
		.amdhsa_accum_offset 24
		.amdhsa_reserve_vcc 1
		.amdhsa_float_round_mode_32 0
		.amdhsa_float_round_mode_16_64 0
		.amdhsa_float_denorm_mode_32 3
		.amdhsa_float_denorm_mode_16_64 3
		.amdhsa_dx10_clamp 1
		.amdhsa_ieee_mode 1
		.amdhsa_fp16_overflow 0
		.amdhsa_tg_split 0
		.amdhsa_exception_fp_ieee_invalid_op 0
		.amdhsa_exception_fp_denorm_src 0
		.amdhsa_exception_fp_ieee_div_zero 0
		.amdhsa_exception_fp_ieee_overflow 0
		.amdhsa_exception_fp_ieee_underflow 0
		.amdhsa_exception_fp_ieee_inexact 0
		.amdhsa_exception_int_div_zero 0
	.end_amdhsa_kernel
	.section	.text._ZL30rocblas_trsm_small_left_deviceILi28ELi28ELb0E19rocblas_complex_numIfES1_PKPKS1_PKPS1_Ev13rocblas_fill_18rocblas_operation_17rocblas_diagonal_iiT3_T4_lilT5_lili,"axG",@progbits,_ZL30rocblas_trsm_small_left_deviceILi28ELi28ELb0E19rocblas_complex_numIfES1_PKPKS1_PKPS1_Ev13rocblas_fill_18rocblas_operation_17rocblas_diagonal_iiT3_T4_lilT5_lili,comdat
.Lfunc_end164:
	.size	_ZL30rocblas_trsm_small_left_deviceILi28ELi28ELb0E19rocblas_complex_numIfES1_PKPKS1_PKPS1_Ev13rocblas_fill_18rocblas_operation_17rocblas_diagonal_iiT3_T4_lilT5_lili, .Lfunc_end164-_ZL30rocblas_trsm_small_left_deviceILi28ELi28ELb0E19rocblas_complex_numIfES1_PKPKS1_PKPS1_Ev13rocblas_fill_18rocblas_operation_17rocblas_diagonal_iiT3_T4_lilT5_lili
                                        ; -- End function
	.set _ZL30rocblas_trsm_small_left_deviceILi28ELi28ELb0E19rocblas_complex_numIfES1_PKPKS1_PKPS1_Ev13rocblas_fill_18rocblas_operation_17rocblas_diagonal_iiT3_T4_lilT5_lili.num_vgpr, 24
	.set _ZL30rocblas_trsm_small_left_deviceILi28ELi28ELb0E19rocblas_complex_numIfES1_PKPKS1_PKPS1_Ev13rocblas_fill_18rocblas_operation_17rocblas_diagonal_iiT3_T4_lilT5_lili.num_agpr, 0
	.set _ZL30rocblas_trsm_small_left_deviceILi28ELi28ELb0E19rocblas_complex_numIfES1_PKPKS1_PKPS1_Ev13rocblas_fill_18rocblas_operation_17rocblas_diagonal_iiT3_T4_lilT5_lili.numbered_sgpr, 42
	.set _ZL30rocblas_trsm_small_left_deviceILi28ELi28ELb0E19rocblas_complex_numIfES1_PKPKS1_PKPS1_Ev13rocblas_fill_18rocblas_operation_17rocblas_diagonal_iiT3_T4_lilT5_lili.num_named_barrier, 0
	.set _ZL30rocblas_trsm_small_left_deviceILi28ELi28ELb0E19rocblas_complex_numIfES1_PKPKS1_PKPS1_Ev13rocblas_fill_18rocblas_operation_17rocblas_diagonal_iiT3_T4_lilT5_lili.private_seg_size, 240
	.set _ZL30rocblas_trsm_small_left_deviceILi28ELi28ELb0E19rocblas_complex_numIfES1_PKPKS1_PKPS1_Ev13rocblas_fill_18rocblas_operation_17rocblas_diagonal_iiT3_T4_lilT5_lili.uses_vcc, 1
	.set _ZL30rocblas_trsm_small_left_deviceILi28ELi28ELb0E19rocblas_complex_numIfES1_PKPKS1_PKPS1_Ev13rocblas_fill_18rocblas_operation_17rocblas_diagonal_iiT3_T4_lilT5_lili.uses_flat_scratch, 0
	.set _ZL30rocblas_trsm_small_left_deviceILi28ELi28ELb0E19rocblas_complex_numIfES1_PKPKS1_PKPS1_Ev13rocblas_fill_18rocblas_operation_17rocblas_diagonal_iiT3_T4_lilT5_lili.has_dyn_sized_stack, 0
	.set _ZL30rocblas_trsm_small_left_deviceILi28ELi28ELb0E19rocblas_complex_numIfES1_PKPKS1_PKPS1_Ev13rocblas_fill_18rocblas_operation_17rocblas_diagonal_iiT3_T4_lilT5_lili.has_recursion, 0
	.set _ZL30rocblas_trsm_small_left_deviceILi28ELi28ELb0E19rocblas_complex_numIfES1_PKPKS1_PKPS1_Ev13rocblas_fill_18rocblas_operation_17rocblas_diagonal_iiT3_T4_lilT5_lili.has_indirect_call, 0
	.section	.AMDGPU.csdata,"",@progbits
; Kernel info:
; codeLenInByte = 3480
; TotalNumSgprs: 48
; NumVgprs: 24
; NumAgprs: 0
; TotalNumVgprs: 24
; ScratchSize: 240
; MemoryBound: 0
; FloatMode: 240
; IeeeMode: 1
; LDSByteSize: 6272 bytes/workgroup (compile time only)
; SGPRBlocks: 10
; VGPRBlocks: 8
; NumSGPRsForWavesPerEU: 81
; NumVGPRsForWavesPerEU: 65
; AccumOffset: 24
; Occupancy: 7
; WaveLimiterHint : 1
; COMPUTE_PGM_RSRC2:SCRATCH_EN: 1
; COMPUTE_PGM_RSRC2:USER_SGPR: 2
; COMPUTE_PGM_RSRC2:TRAP_HANDLER: 0
; COMPUTE_PGM_RSRC2:TGID_X_EN: 1
; COMPUTE_PGM_RSRC2:TGID_Y_EN: 0
; COMPUTE_PGM_RSRC2:TGID_Z_EN: 1
; COMPUTE_PGM_RSRC2:TIDIG_COMP_CNT: 0
; COMPUTE_PGM_RSRC3_GFX90A:ACCUM_OFFSET: 5
; COMPUTE_PGM_RSRC3_GFX90A:TG_SPLIT: 0
	.section	.text._ZL38rocblas_trsm_small_left_device_sharedBILi28ELi28ELb1E19rocblas_complex_numIfES1_PKPKS1_PKPS1_Ev13rocblas_fill_18rocblas_operation_17rocblas_diagonal_iiT3_T4_lilT5_lili,"axG",@progbits,_ZL38rocblas_trsm_small_left_device_sharedBILi28ELi28ELb1E19rocblas_complex_numIfES1_PKPKS1_PKPS1_Ev13rocblas_fill_18rocblas_operation_17rocblas_diagonal_iiT3_T4_lilT5_lili,comdat
	.globl	_ZL38rocblas_trsm_small_left_device_sharedBILi28ELi28ELb1E19rocblas_complex_numIfES1_PKPKS1_PKPS1_Ev13rocblas_fill_18rocblas_operation_17rocblas_diagonal_iiT3_T4_lilT5_lili ; -- Begin function _ZL38rocblas_trsm_small_left_device_sharedBILi28ELi28ELb1E19rocblas_complex_numIfES1_PKPKS1_PKPS1_Ev13rocblas_fill_18rocblas_operation_17rocblas_diagonal_iiT3_T4_lilT5_lili
	.p2align	8
	.type	_ZL38rocblas_trsm_small_left_device_sharedBILi28ELi28ELb1E19rocblas_complex_numIfES1_PKPKS1_PKPS1_Ev13rocblas_fill_18rocblas_operation_17rocblas_diagonal_iiT3_T4_lilT5_lili,@function
_ZL38rocblas_trsm_small_left_device_sharedBILi28ELi28ELb1E19rocblas_complex_numIfES1_PKPKS1_PKPS1_Ev13rocblas_fill_18rocblas_operation_17rocblas_diagonal_iiT3_T4_lilT5_lili: ; @_ZL38rocblas_trsm_small_left_device_sharedBILi28ELi28ELb1E19rocblas_complex_numIfES1_PKPKS1_PKPS1_Ev13rocblas_fill_18rocblas_operation_17rocblas_diagonal_iiT3_T4_lilT5_lili
; %bb.0:
	s_load_dwordx4 s[8:11], s[0:1], 0x40
	s_load_dwordx4 s[4:7], s[0:1], 0x4
	s_load_dwordx2 s[12:13], s[0:1], 0x14
	s_mov_b32 s14, s3
	s_mov_b32 s15, 0
	s_lshl_b64 s[18:19], s[14:15], 3
	s_waitcnt lgkmcnt(0)
	s_add_u32 s8, s8, s18
	s_addc_u32 s9, s9, s19
	s_load_dword s3, s[0:1], 0x68
	s_load_dwordx2 s[14:15], s[8:9], 0x0
	s_min_i32 s26, s6, 28
	v_cmp_gt_i32_e32 vcc, s26, v0
	s_and_saveexec_b64 s[8:9], vcc
	s_cbranch_execz .LBB165_15
; %bb.1:
	s_load_dword s24, s[0:1], 0x30
	s_load_dwordx4 s[20:23], s[0:1], 0x20
	v_lshlrev_b32_e32 v2, 3, v0
	v_mov_b32_e32 v3, 0
	v_mov_b32_e32 v1, v2
	s_waitcnt lgkmcnt(0)
	s_ashr_i32 s25, s24, 31
	s_cmpk_lg_i32 s4, 0x71
	s_cselect_b64 s[16:17], -1, 0
	s_add_u32 s18, s20, s18
	s_addc_u32 s19, s21, s19
	s_load_dwordx2 s[18:19], s[18:19], 0x0
	s_lshl_b64 s[20:21], s[22:23], 3
	s_mov_b32 s22, s26
	s_waitcnt lgkmcnt(0)
	s_add_u32 s20, s18, s20
	s_addc_u32 s21, s19, s21
	s_lshl_b64 s[18:19], s[24:25], 3
	v_lshl_add_u64 v[4:5], s[20:21], 0, v[2:3]
	s_branch .LBB165_3
.LBB165_2:                              ;   in Loop: Header=BB165_3 Depth=1
	flat_load_dword v6, v[4:5]
	s_add_i32 s22, s22, -1
	v_lshl_add_u64 v[4:5], v[4:5], 0, s[18:19]
	s_cmp_eq_u32 s22, 0
	s_waitcnt vmcnt(0) lgkmcnt(0)
	ds_write_b64 v1, v[6:7]
	v_add_u32_e32 v1, 0xe0, v1
	s_cbranch_scc1 .LBB165_7
.LBB165_3:                              ; =>This Inner Loop Header: Depth=1
	s_mov_b64 s[20:21], -1
	s_and_b64 vcc, exec, s[16:17]
                                        ; implicit-def: $vgpr7
	s_cbranch_vccz .LBB165_5
; %bb.4:                                ;   in Loop: Header=BB165_3 Depth=1
	flat_load_dword v7, v[4:5] offset:4
	s_mov_b64 s[20:21], 0
.LBB165_5:                              ;   in Loop: Header=BB165_3 Depth=1
	s_andn2_b64 vcc, exec, s[20:21]
	s_cbranch_vccnz .LBB165_2
; %bb.6:                                ;   in Loop: Header=BB165_3 Depth=1
	flat_load_dword v3, v[4:5] offset:4
	s_waitcnt vmcnt(0) lgkmcnt(0)
	v_xor_b32_e32 v7, 0x80000000, v3
	s_branch .LBB165_2
.LBB165_7:
	v_mul_u32_u24_e32 v1, 0xe0, v0
	s_cmpk_lg_i32 s5, 0x84
	s_mov_b64 s[16:17], -1
	v_add_u32_e32 v1, v2, v1
	s_cbranch_scc0 .LBB165_13
; %bb.8:
	ds_read_b64 v[2:3], v1
                                        ; implicit-def: $vgpr4_vgpr5
	s_waitcnt lgkmcnt(0)
	v_cmp_ngt_f32_e64 s[16:17], |v2|, |v3|
	s_and_saveexec_b64 s[18:19], s[16:17]
	s_xor_b64 s[16:17], exec, s[18:19]
	s_cbranch_execz .LBB165_10
; %bb.9:
	v_div_scale_f32 v4, s[18:19], v3, v3, v2
	v_rcp_f32_e32 v5, v4
	v_div_scale_f32 v6, vcc, v2, v3, v2
	v_fma_f32 v7, -v4, v5, 1.0
	v_fmac_f32_e32 v5, v7, v5
	v_mul_f32_e32 v7, v6, v5
	v_fma_f32 v8, -v4, v7, v6
	v_fmac_f32_e32 v7, v8, v5
	v_fma_f32 v4, -v4, v7, v6
	v_div_fmas_f32 v4, v4, v5, v7
	v_div_fixup_f32 v4, v4, v3, v2
	v_fmac_f32_e32 v3, v2, v4
	v_div_scale_f32 v2, s[18:19], v3, v3, 1.0
	v_rcp_f32_e32 v5, v2
	s_mov_b32 s18, 0
	s_mov_b32 s19, -1.0
	v_fma_f32 v6, -v2, v5, 1.0
	v_fmac_f32_e32 v5, v6, v5
	v_div_scale_f32 v6, vcc, 1.0, v3, 1.0
	v_mul_f32_e32 v7, v6, v5
	v_fma_f32 v8, -v2, v7, v6
	v_fmac_f32_e32 v7, v8, v5
	v_fma_f32 v2, -v2, v7, v6
	v_div_fmas_f32 v2, v2, v5, v7
	v_mul_f32_e32 v5, 0, v4
	v_div_fixup_f32 v2, v2, v3, 1.0
	v_pk_add_f32 v[4:5], v[4:5], s[18:19]
	s_nop 0
	v_pk_mul_f32 v[4:5], v[4:5], v[2:3] op_sel_hi:[1,0]
                                        ; implicit-def: $vgpr2_vgpr3
.LBB165_10:
	s_andn2_saveexec_b64 s[16:17], s[16:17]
	s_cbranch_execz .LBB165_12
; %bb.11:
	v_div_scale_f32 v4, s[18:19], v2, v2, v3
	v_rcp_f32_e32 v5, v4
	v_div_scale_f32 v6, vcc, v3, v2, v3
	v_fma_f32 v7, -v4, v5, 1.0
	v_fmac_f32_e32 v5, v7, v5
	v_mul_f32_e32 v7, v6, v5
	v_fma_f32 v8, -v4, v7, v6
	v_fmac_f32_e32 v7, v8, v5
	v_fma_f32 v4, -v4, v7, v6
	v_div_fmas_f32 v4, v4, v5, v7
	v_div_fixup_f32 v5, v4, v2, v3
	v_fmac_f32_e32 v2, v3, v5
	v_div_scale_f32 v3, s[18:19], v2, v2, 1.0
	v_rcp_f32_e32 v4, v3
	s_nop 0
	v_fma_f32 v6, -v3, v4, 1.0
	v_fmac_f32_e32 v4, v6, v4
	v_div_scale_f32 v6, vcc, 1.0, v2, 1.0
	v_mul_f32_e32 v7, v6, v4
	v_fma_f32 v8, -v3, v7, v6
	v_fmac_f32_e32 v7, v8, v4
	v_fma_f32 v3, -v3, v7, v6
	v_div_fmas_f32 v3, v3, v4, v7
	v_div_fixup_f32 v2, v3, v2, 1.0
	v_mul_f32_e32 v3, 0, v5
	v_add_f32_e32 v4, 1.0, v3
	v_sub_f32_e32 v5, 0, v5
	v_pk_mul_f32 v[4:5], v[4:5], v[2:3] op_sel_hi:[1,0]
.LBB165_12:
	s_or_b64 exec, exec, s[16:17]
	s_mov_b64 s[16:17], 0
	ds_write_b64 v1, v[4:5]
.LBB165_13:
	s_and_b64 vcc, exec, s[16:17]
	s_cbranch_vccz .LBB165_15
; %bb.14:
	v_mov_b32_e32 v2, 1.0
	v_mov_b32_e32 v3, 0
	ds_write_b64 v1, v[2:3]
.LBB165_15:
	s_or_b64 exec, exec, s[8:9]
	s_load_dword s27, s[0:1], 0x50
	s_lshl_b64 s[16:17], s[10:11], 3
	s_mul_i32 s0, s2, 0xffffffe4
	s_mul_i32 s18, s2, 28
	s_mov_b32 s28, 0
	s_waitcnt lgkmcnt(0)
	s_ashr_i32 s5, s27, 31
	s_add_u32 s8, s14, s16
	s_addc_u32 s9, s15, s17
	s_add_i32 s3, s3, -1
	s_add_i32 s0, s7, s0
	s_cmp_ge_u32 s2, s3
	s_cselect_b32 s7, s0, 28
	s_mul_hi_i32 s1, s27, s18
	s_mul_i32 s0, s27, s18
	s_lshl_b64 s[0:1], s[0:1], 3
	s_add_u32 s2, s8, s0
	s_addc_u32 s3, s9, s1
	s_cmp_gt_i32 s6, 0
	v_cmp_gt_i32_e64 s[0:1], s7, v0
	s_cselect_b64 s[8:9], -1, 0
	s_and_b64 s[20:21], s[0:1], s[8:9]
	s_and_saveexec_b64 s[10:11], s[20:21]
	s_cbranch_execz .LBB165_23
; %bb.16:
	s_cmp_lt_i32 s6, 2
	s_mov_b64 s[6:7], -1
	s_cbranch_scc1 .LBB165_20
; %bb.17:
	v_mad_i64_i32 v[2:3], s[6:7], s27, v0, 0
	v_mov_b32_e32 v1, 0x1880
	s_and_b32 s28, s26, 30
	s_mov_b32 s25, 0
	v_lshl_add_u64 v[2:3], v[2:3], 3, s[2:3]
	v_lshl_add_u32 v1, v0, 3, v1
	s_mov_b32 s6, s12
	s_mov_b32 s7, s12
	;; [unrolled: 1-line block ×7, first 2 shown]
.LBB165_18:                             ; =>This Inner Loop Header: Depth=1
	v_lshl_add_u64 v[4:5], s[24:25], 3, v[2:3]
	s_mov_b32 s23, s25
	v_lshl_add_u64 v[6:7], s[22:23], 3, v[2:3]
	flat_load_dwordx2 v[12:13], v[4:5]
	flat_load_dwordx2 v[8:9], v[6:7]
	s_mul_i32 s23, s22, 0xe0
	s_mul_i32 s29, s24, 0xe0
	s_add_i32 s24, s24, 2
	s_add_i32 s19, s19, -2
	s_add_i32 s22, s22, 2
	v_add_u32_e32 v10, s29, v1
	s_cmp_lg_u32 s19, 0
	v_add_u32_e32 v11, s23, v1
	s_waitcnt vmcnt(0) lgkmcnt(0)
	v_mov_b32_e32 v4, v12
	v_mov_b32_e32 v5, v8
	;; [unrolled: 1-line block ×3, first 2 shown]
	v_pk_mul_f32 v[6:7], s[20:21], v[8:9]
	v_pk_mul_f32 v[8:9], s[6:7], v[8:9]
	v_pk_fma_f32 v[6:7], s[6:7], v[4:5], v[6:7] neg_lo:[0,0,1] neg_hi:[0,0,1]
	v_pk_fma_f32 v[4:5], s[20:21], v[4:5], v[8:9]
	ds_write_b32 v10, v6
	ds_write_b32 v11, v7
	ds_write_b32 v10, v4 offset:4
	ds_write_b32 v11, v5 offset:4
	s_cbranch_scc1 .LBB165_18
; %bb.19:
	s_cmp_lg_u32 s26, s28
	s_cselect_b64 s[6:7], -1, 0
.LBB165_20:
	s_and_b64 vcc, exec, s[6:7]
	s_cbranch_vccz .LBB165_23
; %bb.21:
	s_ashr_i32 s19, s18, 31
	v_lshlrev_b32_e32 v2, 3, v0
	v_mov_b32_e32 v3, 0
	s_sub_i32 s20, s26, s28
	v_lshl_add_u64 v[4:5], s[18:19], 3, v[2:3]
	s_lshl_b32 s18, s28, 3
	s_add_u32 s14, s14, s18
	s_addc_u32 s15, s15, 0
	s_add_u32 s14, s14, s16
	s_addc_u32 s15, s15, s17
	v_mov_b64_e32 v[2:3], s[14:15]
	v_mad_u64_u32 v[2:3], s[14:15], v4, s27, v[2:3]
	v_mul_lo_u32 v1, v4, s5
	v_mul_lo_u32 v4, v5, s27
	s_mul_i32 s5, s28, 0xe0
	v_add3_u32 v3, v4, v3, v1
	v_lshl_add_u32 v1, v0, 3, s5
	s_mov_b32 s6, s13
	s_mov_b32 s7, s12
	v_add_u32_e32 v1, 0x1880, v1
.LBB165_22:                             ; =>This Inner Loop Header: Depth=1
	flat_load_dwordx2 v[4:5], v[2:3]
	s_add_i32 s20, s20, -1
	v_lshl_add_u64 v[2:3], v[2:3], 0, 8
	s_cmp_lg_u32 s20, 0
	s_waitcnt vmcnt(0) lgkmcnt(0)
	v_pk_mul_f32 v[6:7], s[6:7], v[4:5] op_sel:[0,1]
	s_nop 0
	v_pk_fma_f32 v[8:9], s[12:13], v[4:5], v[6:7] neg_lo:[0,0,1] neg_hi:[0,0,1]
	v_pk_fma_f32 v[4:5], s[12:13], v[4:5], v[6:7] op_sel_hi:[1,0,1]
	s_nop 0
	v_mov_b32_e32 v9, v5
	ds_write_b64 v1, v[8:9]
	v_add_u32_e32 v1, 0xe0, v1
	s_cbranch_scc1 .LBB165_22
.LBB165_23:
	s_or_b64 exec, exec, s[10:11]
	v_mov_b32_e32 v1, 0x1880
	s_cmpk_eq_i32 s4, 0x6f
	v_lshl_add_u32 v1, v0, 3, v1
	s_mov_b64 s[4:5], -1
	s_waitcnt lgkmcnt(0)
	; wave barrier
	s_cbranch_scc1 .LBB165_52
; %bb.24:
	s_add_i32 s16, s26, -1
	s_lshl_b32 s17, s26, 3
	s_mov_b32 s5, 0
	s_add_i32 s17, s17, -8
	s_mov_b32 s4, s5
	s_mov_b32 s18, s16
	s_branch .LBB165_26
.LBB165_25:                             ;   in Loop: Header=BB165_26 Depth=1
	s_cmp_lt_i32 s18, 0
	s_cselect_b64 s[6:7], -1, 0
	s_add_i32 s4, s4, 1
	s_cmp_eq_u32 s4, 3
	s_cselect_b64 s[10:11], -1, 0
	s_or_b64 s[6:7], s[6:7], s[10:11]
	s_andn2_b64 vcc, exec, s[6:7]
	s_cbranch_vccz .LBB165_51
.LBB165_26:                             ; =>This Loop Header: Depth=1
                                        ;     Child Loop BB165_29 Depth 2
                                        ;       Child Loop BB165_30 Depth 3
                                        ;       Child Loop BB165_34 Depth 3
                                        ;         Child Loop BB165_36 Depth 4
                                        ;         Child Loop BB165_42 Depth 4
                                        ;       Child Loop BB165_45 Depth 3
                                        ;         Child Loop BB165_47 Depth 4
	s_lshl_b64 s[6:7], s[4:5], 2
	s_getpc_b64 s[10:11]
	s_add_u32 s10, s10, __const._ZL38rocblas_trsm_small_left_device_sharedBILi28ELi28ELb1E19rocblas_complex_numIfES1_PKPKS1_PKPS1_Ev13rocblas_fill_18rocblas_operation_17rocblas_diagonal_iiT3_T4_lilT5_lili.step_sizes@rel32@lo+4
	s_addc_u32 s11, s11, __const._ZL38rocblas_trsm_small_left_device_sharedBILi28ELi28ELb1E19rocblas_complex_numIfES1_PKPKS1_PKPS1_Ev13rocblas_fill_18rocblas_operation_17rocblas_diagonal_iiT3_T4_lilT5_lili.step_sizes@rel32@hi+12
	s_add_u32 s6, s10, s6
	s_addc_u32 s7, s11, s7
	s_load_dword s19, s[6:7], 0x0
	s_waitcnt lgkmcnt(0)
	s_add_i32 s20, s19, -1
	s_cmp_lt_i32 s18, s20
	s_cbranch_scc1 .LBB165_25
; %bb.27:                               ;   in Loop: Header=BB165_26 Depth=1
	s_max_i32 s21, s19, 1
	s_cmp_lg_u32 s4, 2
	s_cselect_b64 s[6:7], -1, 0
	s_and_b32 s22, s21, 0x7ffffffe
	s_cmp_lg_u32 s21, s22
	s_mul_i32 s12, s18, 0xe0
	s_cselect_b64 s[10:11], -1, 0
	v_add_u32_e32 v10, s12, v1
	s_mul_i32 s23, s19, 0xffffff20
	s_add_i32 s24, s17, s12
	s_mul_i32 s25, s18, 0xe8
	s_mul_i32 s28, s19, 0xffffff18
	s_branch .LBB165_29
.LBB165_28:                             ;   in Loop: Header=BB165_29 Depth=2
	s_sub_i32 s18, s18, s19
	s_add_i32 s24, s24, s23
	s_add_i32 s25, s25, s28
	s_cmp_lt_i32 s18, s20
	v_add_u32_e32 v10, s23, v10
	s_cbranch_scc1 .LBB165_25
.LBB165_29:                             ;   Parent Loop BB165_26 Depth=1
                                        ; =>  This Loop Header: Depth=2
                                        ;       Child Loop BB165_30 Depth 3
                                        ;       Child Loop BB165_34 Depth 3
                                        ;         Child Loop BB165_36 Depth 4
                                        ;         Child Loop BB165_42 Depth 4
                                        ;       Child Loop BB165_45 Depth 3
                                        ;         Child Loop BB165_47 Depth 4
	s_mov_b32 s12, 0
	v_mov_b32_e32 v2, v10
	s_mov_b32 s13, s21
.LBB165_30:                             ;   Parent Loop BB165_26 Depth=1
                                        ;     Parent Loop BB165_29 Depth=2
                                        ; =>    This Inner Loop Header: Depth=3
	ds_read_b64 v[4:5], v2
	s_add_i32 s13, s13, -1
	v_add_u32_e32 v2, 0xffffff20, v2
	s_waitcnt lgkmcnt(0)
	scratch_store_dwordx2 off, v[4:5], s12
	s_add_i32 s12, s12, 8
	s_cmp_eq_u32 s13, 0
	s_cbranch_scc0 .LBB165_30
; %bb.31:                               ;   in Loop: Header=BB165_29 Depth=2
	s_cmp_le_i32 s16, s18
	s_cbranch_scc1 .LBB165_43
; %bb.32:                               ;   in Loop: Header=BB165_29 Depth=2
	s_mov_b32 s29, s18
	s_mov_b32 s30, s24
	;; [unrolled: 1-line block ×3, first 2 shown]
	s_branch .LBB165_34
.LBB165_33:                             ;   in Loop: Header=BB165_34 Depth=3
	s_add_i32 s31, s31, -1
	s_add_i32 s30, s30, -8
	s_cmp_le_i32 s31, s18
	s_cbranch_scc1 .LBB165_43
.LBB165_34:                             ;   Parent Loop BB165_26 Depth=1
                                        ;     Parent Loop BB165_29 Depth=2
                                        ; =>    This Loop Header: Depth=3
                                        ;         Child Loop BB165_36 Depth 4
                                        ;         Child Loop BB165_42 Depth 4
	s_mul_i32 s12, s31, 0xe0
	v_add_u32_e32 v2, s12, v1
	ds_read_b64 v[2:3], v2
	s_and_b64 vcc, exec, s[6:7]
	s_cbranch_vccz .LBB165_38
; %bb.35:                               ;   in Loop: Header=BB165_34 Depth=3
	s_lshl_b32 s12, s31, 3
	s_waitcnt lgkmcnt(0)
	v_mov_b32_e32 v6, v2
	v_mov_b32_e32 v7, v2
	;; [unrolled: 1-line block ×3, first 2 shown]
	s_mov_b32 s13, 0
	v_mov_b32_e32 v8, v3
	v_mov_b32_e32 v9, v3
	s_mov_b32 s14, 1
	s_mov_b32 s15, 0
	;; [unrolled: 1-line block ×3, first 2 shown]
.LBB165_36:                             ;   Parent Loop BB165_26 Depth=1
                                        ;     Parent Loop BB165_29 Depth=2
                                        ;       Parent Loop BB165_34 Depth=3
                                        ; =>      This Inner Loop Header: Depth=4
	scratch_load_dwordx4 v[12:15], off, s13
	s_sub_i32 s34, s18, s15
	s_sub_i32 s35, s29, s14
	s_mulk_i32 s34, 0xe0
	s_mulk_i32 s35, 0xe0
	s_add_i32 s34, s12, s34
	s_add_i32 s35, s12, s35
	v_mov_b32_e32 v5, s34
	v_mov_b32_e32 v11, s35
	ds_read_b64 v[20:21], v5
	ds_read_b64 v[16:17], v11
	s_add_i32 s15, s15, 2
	s_add_i32 s14, s14, 2
	s_add_i32 s33, s33, -2
	s_waitcnt lgkmcnt(1)
	v_mov_b32_e32 v18, v20
	s_waitcnt lgkmcnt(0)
	v_mov_b32_e32 v19, v16
	v_mov_b32_e32 v16, v21
	v_pk_mul_f32 v[20:21], v[16:17], v[8:9]
	v_pk_mul_f32 v[16:17], v[16:17], v[6:7]
	v_pk_fma_f32 v[20:21], v[18:19], v[6:7], v[20:21] neg_lo:[0,0,1] neg_hi:[0,0,1]
	v_pk_fma_f32 v[16:17], v[18:19], v[8:9], v[16:17]
	s_waitcnt vmcnt(0)
	v_mov_b32_e32 v18, v12
	v_mov_b32_e32 v19, v14
	;; [unrolled: 1-line block ×3, first 2 shown]
	v_pk_add_f32 v[18:19], v[18:19], v[20:21] neg_lo:[0,1] neg_hi:[0,1]
	v_pk_add_f32 v[14:15], v[14:15], v[16:17] neg_lo:[0,1] neg_hi:[0,1]
	v_mov_b32_e32 v12, v18
	v_mov_b32_e32 v13, v14
	;; [unrolled: 1-line block ×3, first 2 shown]
	scratch_store_dwordx4 off, v[12:15], s13
	s_add_i32 s13, s13, 16
	s_cmp_lg_u32 s33, 0
	s_cbranch_scc1 .LBB165_36
; %bb.37:                               ;   in Loop: Header=BB165_34 Depth=3
	s_mov_b64 s[12:13], s[10:11]
	s_mov_b32 s14, s22
	s_branch .LBB165_40
.LBB165_38:                             ;   in Loop: Header=BB165_34 Depth=3
	s_waitcnt lgkmcnt(0)
	v_mov_b32_e32 v4, v3
	s_mov_b64 s[12:13], 0
	s_mov_b32 s14, s22
	s_cbranch_execz .LBB165_40
; %bb.39:                               ;   in Loop: Header=BB165_34 Depth=3
	s_mov_b64 s[12:13], -1
	s_mov_b32 s14, 0
.LBB165_40:                             ;   in Loop: Header=BB165_34 Depth=3
	s_andn2_b64 vcc, exec, s[12:13]
	s_cbranch_vccnz .LBB165_33
; %bb.41:                               ;   in Loop: Header=BB165_34 Depth=3
	s_mul_i32 s13, s14, 0xffffff20
	v_mov_b32_e32 v5, v3
	v_mov_b32_e32 v3, v2
	s_sub_i32 s12, s21, s14
	s_add_i32 s13, s30, s13
	s_lshl_b32 s14, s14, 3
.LBB165_42:                             ;   Parent Loop BB165_26 Depth=1
                                        ;     Parent Loop BB165_29 Depth=2
                                        ;       Parent Loop BB165_34 Depth=3
                                        ; =>      This Inner Loop Header: Depth=4
	scratch_load_dwordx2 v[6:7], off, s14
	v_mov_b32_e32 v8, s13
	ds_read_b64 v[8:9], v8
	s_add_i32 s12, s12, -1
	s_addk_i32 s13, 0xff20
	s_waitcnt lgkmcnt(0)
	v_pk_mul_f32 v[12:13], v[8:9], v[4:5] op_sel:[1,0] op_sel_hi:[0,1]
	v_pk_fma_f32 v[14:15], v[8:9], v[2:3], v[12:13] neg_lo:[0,0,1] neg_hi:[0,0,1]
	v_pk_fma_f32 v[8:9], v[8:9], v[2:3], v[12:13]
	s_nop 0
	v_mov_b32_e32 v15, v9
	s_waitcnt vmcnt(0)
	v_pk_add_f32 v[6:7], v[6:7], v[14:15] neg_lo:[0,1] neg_hi:[0,1]
	scratch_store_dwordx2 off, v[6:7], s14
	s_add_i32 s14, s14, 8
	s_cmp_eq_u32 s12, 0
	s_cbranch_scc0 .LBB165_42
	s_branch .LBB165_33
.LBB165_43:                             ;   in Loop: Header=BB165_29 Depth=2
	s_mul_i32 s14, s18, 0xe0
	s_mov_b32 s15, 0
	s_mov_b32 s29, s25
	s_branch .LBB165_45
.LBB165_44:                             ;   in Loop: Header=BB165_45 Depth=3
	s_mul_i32 s12, s31, 0xe8
	v_mov_b32_e32 v3, s12
	ds_read_b64 v[6:7], v3
	s_lshl_b32 s12, s15, 3
	s_add_i32 s15, s15, 1
	s_addk_i32 s29, 0xff20
	v_add_u32_e32 v11, s30, v1
	s_waitcnt lgkmcnt(0)
	v_pk_mul_f32 v[4:5], v[6:7], v[4:5] op_sel:[1,0] op_sel_hi:[0,0]
	v_pk_fma_f32 v[8:9], v[6:7], v[2:3], v[4:5] neg_lo:[0,0,1] neg_hi:[0,0,1]
	v_pk_fma_f32 v[2:3], v[6:7], v[2:3], v[4:5] op_sel_hi:[1,0,1]
	s_cmp_eq_u32 s15, s21
	v_mov_b32_e32 v9, v3
	scratch_store_dwordx2 off, v[8:9], s12
	ds_write_b64 v11, v[8:9]
	s_cbranch_scc1 .LBB165_28
.LBB165_45:                             ;   Parent Loop BB165_26 Depth=1
                                        ;     Parent Loop BB165_29 Depth=2
                                        ; =>    This Loop Header: Depth=3
                                        ;         Child Loop BB165_47 Depth 4
	s_cmp_lg_u32 s15, 0
	s_cbranch_scc0 .LBB165_49
; %bb.46:                               ;   in Loop: Header=BB165_45 Depth=3
	s_lshl_b32 s12, s15, 3
	scratch_load_dwordx2 v[2:3], off, s12
	s_mov_b32 s13, 0
	s_mov_b32 s30, s29
	;; [unrolled: 1-line block ×3, first 2 shown]
.LBB165_47:                             ;   Parent Loop BB165_26 Depth=1
                                        ;     Parent Loop BB165_29 Depth=2
                                        ;       Parent Loop BB165_45 Depth=3
                                        ; =>      This Inner Loop Header: Depth=4
	scratch_load_dwordx2 v[4:5], off, s13
	v_mov_b32_e32 v6, s30
	ds_read_b64 v[6:7], v6
	s_add_i32 s31, s31, -1
	s_add_i32 s30, s30, -8
	s_add_i32 s13, s13, 8
	s_cmp_eq_u32 s31, 0
	s_waitcnt vmcnt(0) lgkmcnt(0)
	v_pk_mul_f32 v[8:9], v[6:7], v[4:5] op_sel:[1,1] op_sel_hi:[0,1]
	v_pk_fma_f32 v[12:13], v[6:7], v[4:5], v[8:9] neg_lo:[0,0,1] neg_hi:[0,0,1]
	v_pk_fma_f32 v[4:5], v[6:7], v[4:5], v[8:9] op_sel_hi:[1,0,1]
	s_nop 0
	v_mov_b32_e32 v13, v5
	v_pk_add_f32 v[2:3], v[2:3], v[12:13] neg_lo:[0,1] neg_hi:[0,1]
	scratch_store_dwordx2 off, v[2:3], s12
	s_cbranch_scc0 .LBB165_47
; %bb.48:                               ;   in Loop: Header=BB165_45 Depth=3
	s_sub_i32 s31, s18, s15
	s_mul_i32 s30, s31, 0xe0
	v_mov_b32_e32 v4, v3
	s_branch .LBB165_44
.LBB165_49:                             ;   in Loop: Header=BB165_45 Depth=3
                                        ; implicit-def: $vgpr2
                                        ; implicit-def: $vgpr4
                                        ; implicit-def: $sgpr31
                                        ; implicit-def: $sgpr30
	s_cbranch_execz .LBB165_44
; %bb.50:                               ;   in Loop: Header=BB165_45 Depth=3
	scratch_load_dwordx2 v[2:3], off, off
	s_mov_b32 s30, s14
	s_mov_b32 s31, s18
	s_waitcnt vmcnt(0)
	v_mov_b32_e32 v4, v3
	s_branch .LBB165_44
.LBB165_51:
	s_mov_b64 s[4:5], 0
.LBB165_52:
	s_and_b64 vcc, exec, s[4:5]
	s_cbranch_vccz .LBB165_80
; %bb.53:
	v_mov_b32_e32 v2, 0x1880
	s_mov_b32 s5, 0
	v_lshl_add_u32 v10, v0, 3, v2
	s_mov_b32 s4, s5
	s_mov_b32 s16, s5
	s_branch .LBB165_55
.LBB165_54:                             ;   in Loop: Header=BB165_55 Depth=1
	s_cmp_ge_i32 s16, s26
	s_cselect_b64 s[6:7], -1, 0
	s_add_i32 s4, s4, 1
	s_cmp_eq_u32 s4, 3
	s_cselect_b64 s[10:11], -1, 0
	s_or_b64 s[6:7], s[6:7], s[10:11]
	s_and_b64 vcc, exec, s[6:7]
	s_cbranch_vccnz .LBB165_80
.LBB165_55:                             ; =>This Loop Header: Depth=1
                                        ;     Child Loop BB165_58 Depth 2
                                        ;       Child Loop BB165_59 Depth 3
                                        ;       Child Loop BB165_63 Depth 3
                                        ;         Child Loop BB165_65 Depth 4
                                        ;         Child Loop BB165_71 Depth 4
                                        ;       Child Loop BB165_74 Depth 3
                                        ;         Child Loop BB165_76 Depth 4
	s_lshl_b64 s[6:7], s[4:5], 2
	s_getpc_b64 s[10:11]
	s_add_u32 s10, s10, __const._ZL38rocblas_trsm_small_left_device_sharedBILi28ELi28ELb1E19rocblas_complex_numIfES1_PKPKS1_PKPS1_Ev13rocblas_fill_18rocblas_operation_17rocblas_diagonal_iiT3_T4_lilT5_lili.step_sizes@rel32@lo+4
	s_addc_u32 s11, s11, __const._ZL38rocblas_trsm_small_left_device_sharedBILi28ELi28ELb1E19rocblas_complex_numIfES1_PKPKS1_PKPS1_Ev13rocblas_fill_18rocblas_operation_17rocblas_diagonal_iiT3_T4_lilT5_lili.step_sizes@rel32@hi+12
	s_add_u32 s6, s10, s6
	s_addc_u32 s7, s11, s7
	s_load_dword s17, s[6:7], 0x0
	s_waitcnt lgkmcnt(0)
	s_add_i32 s18, s17, -1
	s_add_i32 s6, s18, s16
	s_cmp_ge_i32 s6, s26
	s_cbranch_scc1 .LBB165_54
; %bb.56:                               ;   in Loop: Header=BB165_55 Depth=1
	s_max_i32 s19, s17, 1
	s_cmp_lg_u32 s4, 2
	s_cselect_b64 s[6:7], -1, 0
	s_and_b32 s20, s19, 0x7ffffffe
	s_cmp_lg_u32 s19, s20
	s_mul_i32 s12, s16, 0xe0
	s_cselect_b64 s[10:11], -1, 0
	v_add_u32_e32 v11, s12, v10
	s_mul_i32 s21, s17, 0xe0
	s_lshl_b32 s22, s16, 3
	s_lshl_b32 s23, s17, 3
	s_mul_i32 s24, s16, 0xe8
	s_mul_i32 s25, s17, 0xe8
	s_branch .LBB165_58
.LBB165_57:                             ;   in Loop: Header=BB165_58 Depth=2
	s_add_i32 s16, s16, s17
	s_add_i32 s12, s18, s16
	;; [unrolled: 1-line block ×4, first 2 shown]
	s_cmp_ge_i32 s12, s26
	v_add_u32_e32 v11, s21, v11
	s_cbranch_scc1 .LBB165_54
.LBB165_58:                             ;   Parent Loop BB165_55 Depth=1
                                        ; =>  This Loop Header: Depth=2
                                        ;       Child Loop BB165_59 Depth 3
                                        ;       Child Loop BB165_63 Depth 3
                                        ;         Child Loop BB165_65 Depth 4
                                        ;         Child Loop BB165_71 Depth 4
                                        ;       Child Loop BB165_74 Depth 3
                                        ;         Child Loop BB165_76 Depth 4
	s_mov_b32 s12, 0
	v_mov_b32_e32 v2, v11
	s_mov_b32 s13, s19
.LBB165_59:                             ;   Parent Loop BB165_55 Depth=1
                                        ;     Parent Loop BB165_58 Depth=2
                                        ; =>    This Inner Loop Header: Depth=3
	ds_read_b64 v[4:5], v2
	s_add_i32 s13, s13, -1
	v_add_u32_e32 v2, 0xe0, v2
	s_waitcnt lgkmcnt(0)
	scratch_store_dwordx2 off, v[4:5], s12
	s_add_i32 s12, s12, 8
	s_cmp_eq_u32 s13, 0
	s_cbranch_scc0 .LBB165_59
; %bb.60:                               ;   in Loop: Header=BB165_58 Depth=2
	s_cmp_lt_i32 s16, 1
	s_cbranch_scc1 .LBB165_72
; %bb.61:                               ;   in Loop: Header=BB165_58 Depth=2
	s_mov_b32 s28, 0
	s_mov_b32 s29, s22
	s_branch .LBB165_63
.LBB165_62:                             ;   in Loop: Header=BB165_63 Depth=3
	s_add_i32 s28, s28, 1
	s_addk_i32 s29, 0xe0
	s_cmp_eq_u32 s28, s16
	s_cbranch_scc1 .LBB165_72
.LBB165_63:                             ;   Parent Loop BB165_55 Depth=1
                                        ;     Parent Loop BB165_58 Depth=2
                                        ; =>    This Loop Header: Depth=3
                                        ;         Child Loop BB165_65 Depth 4
                                        ;         Child Loop BB165_71 Depth 4
	s_mul_i32 s12, s28, 0xe0
	v_add_u32_e32 v2, s12, v1
	ds_read_b64 v[2:3], v2
	s_and_b64 vcc, exec, s[6:7]
	s_cbranch_vccz .LBB165_67
; %bb.64:                               ;   in Loop: Header=BB165_63 Depth=3
	s_waitcnt lgkmcnt(0)
	v_mov_b32_e32 v6, v2
	v_mov_b32_e32 v7, v2
	;; [unrolled: 1-line block ×3, first 2 shown]
	s_mov_b32 s12, 0
	v_mov_b32_e32 v8, v3
	v_mov_b32_e32 v9, v3
	s_mov_b32 s13, s20
	s_mov_b32 s14, s29
.LBB165_65:                             ;   Parent Loop BB165_55 Depth=1
                                        ;     Parent Loop BB165_58 Depth=2
                                        ;       Parent Loop BB165_63 Depth=3
                                        ; =>      This Inner Loop Header: Depth=4
	scratch_load_dwordx4 v[12:15], off, s12
	v_mov_b32_e32 v5, s14
	ds_read2_b64 v[16:19], v5 offset1:1
	s_add_i32 s14, s14, 16
	s_add_i32 s13, s13, -2
	s_waitcnt lgkmcnt(0)
	v_mov_b32_e32 v21, v18
	v_mov_b32_e32 v18, v17
	;; [unrolled: 1-line block ×3, first 2 shown]
	v_pk_mul_f32 v[16:17], v[18:19], v[8:9]
	v_pk_mul_f32 v[18:19], v[18:19], v[6:7]
	v_pk_fma_f32 v[16:17], v[20:21], v[6:7], v[16:17] neg_lo:[0,0,1] neg_hi:[0,0,1]
	v_pk_fma_f32 v[18:19], v[20:21], v[8:9], v[18:19]
	s_waitcnt vmcnt(0)
	v_mov_b32_e32 v20, v12
	v_mov_b32_e32 v21, v14
	;; [unrolled: 1-line block ×3, first 2 shown]
	v_pk_add_f32 v[16:17], v[20:21], v[16:17] neg_lo:[0,1] neg_hi:[0,1]
	v_pk_add_f32 v[14:15], v[14:15], v[18:19] neg_lo:[0,1] neg_hi:[0,1]
	v_mov_b32_e32 v12, v16
	v_mov_b32_e32 v13, v14
	;; [unrolled: 1-line block ×3, first 2 shown]
	scratch_store_dwordx4 off, v[12:15], s12
	s_add_i32 s12, s12, 16
	s_cmp_lg_u32 s13, 0
	s_cbranch_scc1 .LBB165_65
; %bb.66:                               ;   in Loop: Header=BB165_63 Depth=3
	s_mov_b64 s[12:13], s[10:11]
	s_mov_b32 s14, s20
	s_branch .LBB165_69
.LBB165_67:                             ;   in Loop: Header=BB165_63 Depth=3
	s_waitcnt lgkmcnt(0)
	v_mov_b32_e32 v4, v3
	s_mov_b64 s[12:13], 0
	s_mov_b32 s14, s20
	s_cbranch_execz .LBB165_69
; %bb.68:                               ;   in Loop: Header=BB165_63 Depth=3
	s_mov_b64 s[12:13], -1
	s_mov_b32 s14, 0
.LBB165_69:                             ;   in Loop: Header=BB165_63 Depth=3
	s_andn2_b64 vcc, exec, s[12:13]
	s_cbranch_vccnz .LBB165_62
; %bb.70:                               ;   in Loop: Header=BB165_63 Depth=3
	v_mov_b32_e32 v5, v3
	v_mov_b32_e32 v3, v2
	s_sub_i32 s12, s19, s14
	s_lshl_b32 s13, s14, 3
.LBB165_71:                             ;   Parent Loop BB165_55 Depth=1
                                        ;     Parent Loop BB165_58 Depth=2
                                        ;       Parent Loop BB165_63 Depth=3
                                        ; =>      This Inner Loop Header: Depth=4
	scratch_load_dwordx2 v[6:7], off, s13
	s_add_i32 s15, s29, s13
	v_mov_b32_e32 v8, s15
	ds_read_b64 v[8:9], v8
	s_mov_b32 s14, s13
	s_add_i32 s12, s12, -1
	s_add_i32 s13, s13, 8
	s_cmp_eq_u32 s12, 0
	s_waitcnt lgkmcnt(0)
	v_pk_mul_f32 v[12:13], v[8:9], v[4:5] op_sel:[1,0] op_sel_hi:[0,1]
	v_pk_fma_f32 v[14:15], v[8:9], v[2:3], v[12:13] neg_lo:[0,0,1] neg_hi:[0,0,1]
	v_pk_fma_f32 v[8:9], v[8:9], v[2:3], v[12:13]
	s_nop 0
	v_mov_b32_e32 v15, v9
	s_waitcnt vmcnt(0)
	v_pk_add_f32 v[6:7], v[6:7], v[14:15] neg_lo:[0,1] neg_hi:[0,1]
	scratch_store_dwordx2 off, v[6:7], s14
	s_cbranch_scc0 .LBB165_71
	s_branch .LBB165_62
.LBB165_72:                             ;   in Loop: Header=BB165_58 Depth=2
	s_mov_b32 s14, 0
	s_mov_b32 s15, s24
	s_branch .LBB165_74
.LBB165_73:                             ;   in Loop: Header=BB165_74 Depth=3
	s_add_i32 s12, s14, s16
	s_mul_i32 s13, s12, 0xe8
	v_mov_b32_e32 v3, s13
	ds_read_b64 v[6:7], v3
	s_lshl_b32 s13, s14, 3
	s_mulk_i32 s12, 0xe0
	s_add_i32 s14, s14, 1
	s_add_i32 s15, s15, 8
	s_waitcnt lgkmcnt(0)
	v_pk_mul_f32 v[4:5], v[6:7], v[4:5] op_sel:[1,0] op_sel_hi:[0,0]
	v_pk_fma_f32 v[8:9], v[6:7], v[2:3], v[4:5] neg_lo:[0,0,1] neg_hi:[0,0,1]
	v_pk_fma_f32 v[2:3], v[6:7], v[2:3], v[4:5] op_sel_hi:[1,0,1]
	s_cmp_eq_u32 s14, s19
	v_mov_b32_e32 v9, v3
	v_add_u32_e32 v2, s12, v1
	scratch_store_dwordx2 off, v[8:9], s13
	ds_write_b64 v2, v[8:9]
	s_cbranch_scc1 .LBB165_57
.LBB165_74:                             ;   Parent Loop BB165_55 Depth=1
                                        ;     Parent Loop BB165_58 Depth=2
                                        ; =>    This Loop Header: Depth=3
                                        ;         Child Loop BB165_76 Depth 4
	s_cmp_lg_u32 s14, 0
	s_cbranch_scc0 .LBB165_78
; %bb.75:                               ;   in Loop: Header=BB165_74 Depth=3
	s_lshl_b32 s12, s14, 3
	scratch_load_dwordx2 v[2:3], off, s12
	s_mov_b32 s13, 0
	s_mov_b32 s28, s15
	s_mov_b32 s29, s14
.LBB165_76:                             ;   Parent Loop BB165_55 Depth=1
                                        ;     Parent Loop BB165_58 Depth=2
                                        ;       Parent Loop BB165_74 Depth=3
                                        ; =>      This Inner Loop Header: Depth=4
	scratch_load_dwordx2 v[4:5], off, s13
	v_mov_b32_e32 v6, s28
	ds_read_b64 v[6:7], v6
	s_add_i32 s29, s29, -1
	s_addk_i32 s28, 0xe0
	s_add_i32 s13, s13, 8
	s_cmp_eq_u32 s29, 0
	s_waitcnt vmcnt(0) lgkmcnt(0)
	v_pk_mul_f32 v[8:9], v[6:7], v[4:5] op_sel:[1,1] op_sel_hi:[0,1]
	v_pk_fma_f32 v[12:13], v[6:7], v[4:5], v[8:9] neg_lo:[0,0,1] neg_hi:[0,0,1]
	v_pk_fma_f32 v[4:5], v[6:7], v[4:5], v[8:9] op_sel_hi:[1,0,1]
	s_nop 0
	v_mov_b32_e32 v13, v5
	v_pk_add_f32 v[2:3], v[2:3], v[12:13] neg_lo:[0,1] neg_hi:[0,1]
	scratch_store_dwordx2 off, v[2:3], s12
	s_cbranch_scc0 .LBB165_76
; %bb.77:                               ;   in Loop: Header=BB165_74 Depth=3
	v_mov_b32_e32 v4, v3
	s_branch .LBB165_73
.LBB165_78:                             ;   in Loop: Header=BB165_74 Depth=3
                                        ; implicit-def: $vgpr2
                                        ; implicit-def: $vgpr4
	s_cbranch_execz .LBB165_73
; %bb.79:                               ;   in Loop: Header=BB165_74 Depth=3
	scratch_load_dwordx2 v[2:3], off, off
	s_waitcnt vmcnt(0)
	v_mov_b32_e32 v4, v3
	s_branch .LBB165_73
.LBB165_80:
	s_waitcnt lgkmcnt(0)
	; wave barrier
	s_and_saveexec_b64 s[4:5], s[0:1]
	s_cbranch_execz .LBB165_84
; %bb.81:
	s_andn2_b64 vcc, exec, s[8:9]
	s_cbranch_vccnz .LBB165_84
; %bb.82:
	v_mad_i64_i32 v[2:3], s[0:1], s27, v0, 0
	v_mov_b32_e32 v1, 0x1880
	v_lshl_add_u64 v[2:3], v[2:3], 3, s[2:3]
	v_lshl_add_u32 v0, v0, 3, v1
.LBB165_83:                             ; =>This Inner Loop Header: Depth=1
	ds_read_b64 v[4:5], v0
	s_add_i32 s26, s26, -1
	v_add_u32_e32 v0, 0xe0, v0
	s_cmp_lg_u32 s26, 0
	s_waitcnt lgkmcnt(0)
	flat_store_dwordx2 v[2:3], v[4:5]
	v_lshl_add_u64 v[2:3], v[2:3], 0, 8
	s_cbranch_scc1 .LBB165_83
.LBB165_84:
	s_endpgm
	.section	.rodata,"a",@progbits
	.p2align	6, 0x0
	.amdhsa_kernel _ZL38rocblas_trsm_small_left_device_sharedBILi28ELi28ELb1E19rocblas_complex_numIfES1_PKPKS1_PKPS1_Ev13rocblas_fill_18rocblas_operation_17rocblas_diagonal_iiT3_T4_lilT5_lili
		.amdhsa_group_segment_fixed_size 12544
		.amdhsa_private_segment_fixed_size 240
		.amdhsa_kernarg_size 360
		.amdhsa_user_sgpr_count 2
		.amdhsa_user_sgpr_dispatch_ptr 0
		.amdhsa_user_sgpr_queue_ptr 0
		.amdhsa_user_sgpr_kernarg_segment_ptr 1
		.amdhsa_user_sgpr_dispatch_id 0
		.amdhsa_user_sgpr_kernarg_preload_length 0
		.amdhsa_user_sgpr_kernarg_preload_offset 0
		.amdhsa_user_sgpr_private_segment_size 0
		.amdhsa_uses_dynamic_stack 0
		.amdhsa_enable_private_segment 1
		.amdhsa_system_sgpr_workgroup_id_x 1
		.amdhsa_system_sgpr_workgroup_id_y 0
		.amdhsa_system_sgpr_workgroup_id_z 1
		.amdhsa_system_sgpr_workgroup_info 0
		.amdhsa_system_vgpr_workitem_id 0
		.amdhsa_next_free_vgpr 97
		.amdhsa_next_free_sgpr 96
		.amdhsa_accum_offset 24
		.amdhsa_reserve_vcc 1
		.amdhsa_float_round_mode_32 0
		.amdhsa_float_round_mode_16_64 0
		.amdhsa_float_denorm_mode_32 3
		.amdhsa_float_denorm_mode_16_64 3
		.amdhsa_dx10_clamp 1
		.amdhsa_ieee_mode 1
		.amdhsa_fp16_overflow 0
		.amdhsa_tg_split 0
		.amdhsa_exception_fp_ieee_invalid_op 0
		.amdhsa_exception_fp_denorm_src 0
		.amdhsa_exception_fp_ieee_div_zero 0
		.amdhsa_exception_fp_ieee_overflow 0
		.amdhsa_exception_fp_ieee_underflow 0
		.amdhsa_exception_fp_ieee_inexact 0
		.amdhsa_exception_int_div_zero 0
	.end_amdhsa_kernel
	.section	.text._ZL38rocblas_trsm_small_left_device_sharedBILi28ELi28ELb1E19rocblas_complex_numIfES1_PKPKS1_PKPS1_Ev13rocblas_fill_18rocblas_operation_17rocblas_diagonal_iiT3_T4_lilT5_lili,"axG",@progbits,_ZL38rocblas_trsm_small_left_device_sharedBILi28ELi28ELb1E19rocblas_complex_numIfES1_PKPKS1_PKPS1_Ev13rocblas_fill_18rocblas_operation_17rocblas_diagonal_iiT3_T4_lilT5_lili,comdat
.Lfunc_end165:
	.size	_ZL38rocblas_trsm_small_left_device_sharedBILi28ELi28ELb1E19rocblas_complex_numIfES1_PKPKS1_PKPS1_Ev13rocblas_fill_18rocblas_operation_17rocblas_diagonal_iiT3_T4_lilT5_lili, .Lfunc_end165-_ZL38rocblas_trsm_small_left_device_sharedBILi28ELi28ELb1E19rocblas_complex_numIfES1_PKPKS1_PKPS1_Ev13rocblas_fill_18rocblas_operation_17rocblas_diagonal_iiT3_T4_lilT5_lili
                                        ; -- End function
	.set _ZL38rocblas_trsm_small_left_device_sharedBILi28ELi28ELb1E19rocblas_complex_numIfES1_PKPKS1_PKPS1_Ev13rocblas_fill_18rocblas_operation_17rocblas_diagonal_iiT3_T4_lilT5_lili.num_vgpr, 22
	.set _ZL38rocblas_trsm_small_left_device_sharedBILi28ELi28ELb1E19rocblas_complex_numIfES1_PKPKS1_PKPS1_Ev13rocblas_fill_18rocblas_operation_17rocblas_diagonal_iiT3_T4_lilT5_lili.num_agpr, 0
	.set _ZL38rocblas_trsm_small_left_device_sharedBILi28ELi28ELb1E19rocblas_complex_numIfES1_PKPKS1_PKPS1_Ev13rocblas_fill_18rocblas_operation_17rocblas_diagonal_iiT3_T4_lilT5_lili.numbered_sgpr, 36
	.set _ZL38rocblas_trsm_small_left_device_sharedBILi28ELi28ELb1E19rocblas_complex_numIfES1_PKPKS1_PKPS1_Ev13rocblas_fill_18rocblas_operation_17rocblas_diagonal_iiT3_T4_lilT5_lili.num_named_barrier, 0
	.set _ZL38rocblas_trsm_small_left_device_sharedBILi28ELi28ELb1E19rocblas_complex_numIfES1_PKPKS1_PKPS1_Ev13rocblas_fill_18rocblas_operation_17rocblas_diagonal_iiT3_T4_lilT5_lili.private_seg_size, 240
	.set _ZL38rocblas_trsm_small_left_device_sharedBILi28ELi28ELb1E19rocblas_complex_numIfES1_PKPKS1_PKPS1_Ev13rocblas_fill_18rocblas_operation_17rocblas_diagonal_iiT3_T4_lilT5_lili.uses_vcc, 1
	.set _ZL38rocblas_trsm_small_left_device_sharedBILi28ELi28ELb1E19rocblas_complex_numIfES1_PKPKS1_PKPS1_Ev13rocblas_fill_18rocblas_operation_17rocblas_diagonal_iiT3_T4_lilT5_lili.uses_flat_scratch, 0
	.set _ZL38rocblas_trsm_small_left_device_sharedBILi28ELi28ELb1E19rocblas_complex_numIfES1_PKPKS1_PKPS1_Ev13rocblas_fill_18rocblas_operation_17rocblas_diagonal_iiT3_T4_lilT5_lili.has_dyn_sized_stack, 0
	.set _ZL38rocblas_trsm_small_left_device_sharedBILi28ELi28ELb1E19rocblas_complex_numIfES1_PKPKS1_PKPS1_Ev13rocblas_fill_18rocblas_operation_17rocblas_diagonal_iiT3_T4_lilT5_lili.has_recursion, 0
	.set _ZL38rocblas_trsm_small_left_device_sharedBILi28ELi28ELb1E19rocblas_complex_numIfES1_PKPKS1_PKPS1_Ev13rocblas_fill_18rocblas_operation_17rocblas_diagonal_iiT3_T4_lilT5_lili.has_indirect_call, 0
	.section	.AMDGPU.csdata,"",@progbits
; Kernel info:
; codeLenInByte = 3440
; TotalNumSgprs: 42
; NumVgprs: 22
; NumAgprs: 0
; TotalNumVgprs: 22
; ScratchSize: 240
; MemoryBound: 0
; FloatMode: 240
; IeeeMode: 1
; LDSByteSize: 12544 bytes/workgroup (compile time only)
; SGPRBlocks: 12
; VGPRBlocks: 12
; NumSGPRsForWavesPerEU: 102
; NumVGPRsForWavesPerEU: 97
; AccumOffset: 24
; Occupancy: 4
; WaveLimiterHint : 1
; COMPUTE_PGM_RSRC2:SCRATCH_EN: 1
; COMPUTE_PGM_RSRC2:USER_SGPR: 2
; COMPUTE_PGM_RSRC2:TRAP_HANDLER: 0
; COMPUTE_PGM_RSRC2:TGID_X_EN: 1
; COMPUTE_PGM_RSRC2:TGID_Y_EN: 0
; COMPUTE_PGM_RSRC2:TGID_Z_EN: 1
; COMPUTE_PGM_RSRC2:TIDIG_COMP_CNT: 0
; COMPUTE_PGM_RSRC3_GFX90A:ACCUM_OFFSET: 5
; COMPUTE_PGM_RSRC3_GFX90A:TG_SPLIT: 0
	.section	.text._ZL30rocblas_trsm_small_left_deviceILi28ELi28ELb1E19rocblas_complex_numIfES1_PKPKS1_PKPS1_Ev13rocblas_fill_18rocblas_operation_17rocblas_diagonal_iiT3_T4_lilT5_lili,"axG",@progbits,_ZL30rocblas_trsm_small_left_deviceILi28ELi28ELb1E19rocblas_complex_numIfES1_PKPKS1_PKPS1_Ev13rocblas_fill_18rocblas_operation_17rocblas_diagonal_iiT3_T4_lilT5_lili,comdat
	.globl	_ZL30rocblas_trsm_small_left_deviceILi28ELi28ELb1E19rocblas_complex_numIfES1_PKPKS1_PKPS1_Ev13rocblas_fill_18rocblas_operation_17rocblas_diagonal_iiT3_T4_lilT5_lili ; -- Begin function _ZL30rocblas_trsm_small_left_deviceILi28ELi28ELb1E19rocblas_complex_numIfES1_PKPKS1_PKPS1_Ev13rocblas_fill_18rocblas_operation_17rocblas_diagonal_iiT3_T4_lilT5_lili
	.p2align	8
	.type	_ZL30rocblas_trsm_small_left_deviceILi28ELi28ELb1E19rocblas_complex_numIfES1_PKPKS1_PKPS1_Ev13rocblas_fill_18rocblas_operation_17rocblas_diagonal_iiT3_T4_lilT5_lili,@function
_ZL30rocblas_trsm_small_left_deviceILi28ELi28ELb1E19rocblas_complex_numIfES1_PKPKS1_PKPS1_Ev13rocblas_fill_18rocblas_operation_17rocblas_diagonal_iiT3_T4_lilT5_lili: ; @_ZL30rocblas_trsm_small_left_deviceILi28ELi28ELb1E19rocblas_complex_numIfES1_PKPKS1_PKPS1_Ev13rocblas_fill_18rocblas_operation_17rocblas_diagonal_iiT3_T4_lilT5_lili
; %bb.0:
	s_load_dwordx4 s[8:11], s[0:1], 0x40
	s_load_dwordx4 s[4:7], s[0:1], 0x4
	s_load_dwordx2 s[12:13], s[0:1], 0x14
	s_mov_b32 s14, s3
	s_mov_b32 s15, 0
	s_lshl_b64 s[18:19], s[14:15], 3
	s_waitcnt lgkmcnt(0)
	s_add_u32 s8, s8, s18
	s_addc_u32 s9, s9, s19
	s_load_dword s3, s[0:1], 0x68
	s_min_i32 s30, s6, 28
	s_load_dwordx2 s[8:9], s[8:9], 0x0
	v_cmp_gt_i32_e32 vcc, s30, v0
	s_and_saveexec_b64 s[14:15], vcc
	s_cbranch_execz .LBB166_15
; %bb.1:
	s_load_dword s24, s[0:1], 0x30
	s_load_dwordx4 s[20:23], s[0:1], 0x20
	v_lshlrev_b32_e32 v2, 3, v0
	v_mov_b32_e32 v3, 0
	v_mov_b32_e32 v1, v2
	s_waitcnt lgkmcnt(0)
	s_ashr_i32 s25, s24, 31
	s_cmpk_lg_i32 s4, 0x71
	s_cselect_b64 s[16:17], -1, 0
	s_add_u32 s18, s20, s18
	s_addc_u32 s19, s21, s19
	s_load_dwordx2 s[18:19], s[18:19], 0x0
	s_lshl_b64 s[20:21], s[22:23], 3
	s_mov_b32 s6, s30
	s_waitcnt lgkmcnt(0)
	s_add_u32 s20, s18, s20
	s_addc_u32 s21, s19, s21
	s_lshl_b64 s[18:19], s[24:25], 3
	v_lshl_add_u64 v[4:5], s[20:21], 0, v[2:3]
	s_branch .LBB166_3
.LBB166_2:                              ;   in Loop: Header=BB166_3 Depth=1
	flat_load_dword v6, v[4:5]
	s_add_i32 s6, s6, -1
	v_lshl_add_u64 v[4:5], v[4:5], 0, s[18:19]
	s_cmp_eq_u32 s6, 0
	s_waitcnt vmcnt(0) lgkmcnt(0)
	ds_write_b64 v1, v[6:7]
	v_add_u32_e32 v1, 0xe0, v1
	s_cbranch_scc1 .LBB166_7
.LBB166_3:                              ; =>This Inner Loop Header: Depth=1
	s_mov_b64 s[20:21], -1
	s_and_b64 vcc, exec, s[16:17]
                                        ; implicit-def: $vgpr7
	s_cbranch_vccz .LBB166_5
; %bb.4:                                ;   in Loop: Header=BB166_3 Depth=1
	flat_load_dword v7, v[4:5] offset:4
	s_mov_b64 s[20:21], 0
.LBB166_5:                              ;   in Loop: Header=BB166_3 Depth=1
	s_andn2_b64 vcc, exec, s[20:21]
	s_cbranch_vccnz .LBB166_2
; %bb.6:                                ;   in Loop: Header=BB166_3 Depth=1
	flat_load_dword v3, v[4:5] offset:4
	s_waitcnt vmcnt(0) lgkmcnt(0)
	v_xor_b32_e32 v7, 0x80000000, v3
	s_branch .LBB166_2
.LBB166_7:
	s_cmpk_lg_i32 s5, 0x84
	v_mul_u32_u24_e32 v1, 0xe0, v0
	s_mov_b64 s[16:17], -1
	s_cbranch_scc0 .LBB166_13
; %bb.8:
	v_add_u32_e32 v3, v2, v1
	ds_read_b64 v[4:5], v3
                                        ; implicit-def: $vgpr6_vgpr7
	s_waitcnt lgkmcnt(0)
	v_cmp_ngt_f32_e64 s[16:17], |v4|, |v5|
	s_and_saveexec_b64 s[18:19], s[16:17]
	s_xor_b64 s[16:17], exec, s[18:19]
	s_cbranch_execz .LBB166_10
; %bb.9:
	v_div_scale_f32 v6, s[18:19], v5, v5, v4
	v_rcp_f32_e32 v7, v6
	v_div_scale_f32 v8, vcc, v4, v5, v4
	v_fma_f32 v9, -v6, v7, 1.0
	v_fmac_f32_e32 v7, v9, v7
	v_mul_f32_e32 v9, v8, v7
	v_fma_f32 v10, -v6, v9, v8
	v_fmac_f32_e32 v9, v10, v7
	v_fma_f32 v6, -v6, v9, v8
	v_div_fmas_f32 v6, v6, v7, v9
	v_div_fixup_f32 v6, v6, v5, v4
	v_fmac_f32_e32 v5, v4, v6
	v_div_scale_f32 v4, s[18:19], v5, v5, 1.0
	v_rcp_f32_e32 v7, v4
	s_mov_b32 s18, 0
	s_mov_b32 s19, -1.0
	v_fma_f32 v8, -v4, v7, 1.0
	v_fmac_f32_e32 v7, v8, v7
	v_div_scale_f32 v8, vcc, 1.0, v5, 1.0
	v_mul_f32_e32 v9, v8, v7
	v_fma_f32 v10, -v4, v9, v8
	v_fmac_f32_e32 v9, v10, v7
	v_fma_f32 v4, -v4, v9, v8
	v_div_fmas_f32 v4, v4, v7, v9
	v_mul_f32_e32 v7, 0, v6
	v_div_fixup_f32 v4, v4, v5, 1.0
	v_pk_add_f32 v[6:7], v[6:7], s[18:19]
	s_nop 0
	v_pk_mul_f32 v[6:7], v[6:7], v[4:5] op_sel_hi:[1,0]
                                        ; implicit-def: $vgpr4_vgpr5
.LBB166_10:
	s_andn2_saveexec_b64 s[16:17], s[16:17]
	s_cbranch_execz .LBB166_12
; %bb.11:
	v_div_scale_f32 v6, s[18:19], v4, v4, v5
	v_rcp_f32_e32 v7, v6
	v_div_scale_f32 v8, vcc, v5, v4, v5
	v_fma_f32 v9, -v6, v7, 1.0
	v_fmac_f32_e32 v7, v9, v7
	v_mul_f32_e32 v9, v8, v7
	v_fma_f32 v10, -v6, v9, v8
	v_fmac_f32_e32 v9, v10, v7
	v_fma_f32 v6, -v6, v9, v8
	v_div_fmas_f32 v6, v6, v7, v9
	v_div_fixup_f32 v7, v6, v4, v5
	v_fmac_f32_e32 v4, v5, v7
	v_div_scale_f32 v5, s[18:19], v4, v4, 1.0
	v_rcp_f32_e32 v6, v5
	s_nop 0
	v_fma_f32 v8, -v5, v6, 1.0
	v_fmac_f32_e32 v6, v8, v6
	v_div_scale_f32 v8, vcc, 1.0, v4, 1.0
	v_mul_f32_e32 v9, v8, v6
	v_fma_f32 v10, -v5, v9, v8
	v_fmac_f32_e32 v9, v10, v6
	v_fma_f32 v5, -v5, v9, v8
	v_div_fmas_f32 v5, v5, v6, v9
	v_div_fixup_f32 v4, v5, v4, 1.0
	v_mul_f32_e32 v5, 0, v7
	v_add_f32_e32 v6, 1.0, v5
	v_sub_f32_e32 v7, 0, v7
	v_pk_mul_f32 v[6:7], v[6:7], v[4:5] op_sel_hi:[1,0]
.LBB166_12:
	s_or_b64 exec, exec, s[16:17]
	s_mov_b64 s[16:17], 0
	ds_write_b64 v3, v[6:7]
.LBB166_13:
	s_and_b64 vcc, exec, s[16:17]
	s_cbranch_vccz .LBB166_15
; %bb.14:
	v_add_u32_e32 v1, v2, v1
	v_mov_b32_e32 v2, 1.0
	v_mov_b32_e32 v3, 0
	ds_write_b64 v1, v[2:3]
.LBB166_15:
	s_or_b64 exec, exec, s[14:15]
	s_mul_i32 s5, s2, 0xffffffe4
	s_waitcnt lgkmcnt(0)
	s_add_i32 s3, s3, -1
	s_add_i32 s5, s7, s5
	s_cmp_ge_u32 s2, s3
	s_cselect_b32 s3, s5, 28
	v_cmp_gt_i32_e32 vcc, s3, v0
	; wave barrier
	s_and_saveexec_b64 s[6:7], vcc
	s_cbranch_execz .LBB166_83
; %bb.16:
	s_load_dword s5, s[0:1], 0x50
	s_lshl_b64 s[6:7], s[10:11], 3
	s_add_u32 s0, s8, s6
	v_mad_u64_u32 v[0:1], s[2:3], s2, 28, v[0:1]
	s_addc_u32 s1, s9, s7
	s_waitcnt lgkmcnt(0)
	v_mad_i64_i32 v[2:3], s[2:3], s5, v0, 0
	v_lshl_add_u64 v[0:1], v[2:3], 3, s[0:1]
	s_cmpk_eq_i32 s4, 0x6f
	s_mov_b64 s[0:1], -1
	s_cbranch_scc1 .LBB166_50
; %bb.17:
	s_add_i32 s31, s30, -1
	s_add_u32 s0, s8, s6
	s_addc_u32 s1, s9, s7
	s_lshl_b32 s33, s30, 3
	s_mov_b32 s15, 0
	s_mov_b32 s2, s12
	;; [unrolled: 1-line block ×7, first 2 shown]
	v_lshl_add_u64 v[4:5], v[2:3], 3, s[0:1]
	s_add_i32 s33, s33, -8
	s_mov_b32 s16, s15
	s_mov_b32 s18, s31
	s_branch .LBB166_19
.LBB166_18:                             ;   in Loop: Header=BB166_19 Depth=1
	s_cmp_lt_i32 s18, 0
	s_cselect_b64 s[0:1], -1, 0
	s_add_i32 s16, s16, 1
	s_cmp_eq_u32 s16, 3
	s_cselect_b64 s[20:21], -1, 0
	s_or_b64 s[0:1], s[0:1], s[20:21]
	s_andn2_b64 vcc, exec, s[0:1]
	s_cbranch_vccz .LBB166_49
.LBB166_19:                             ; =>This Loop Header: Depth=1
                                        ;     Child Loop BB166_22 Depth 2
                                        ;       Child Loop BB166_24 Depth 3
                                        ;       Child Loop BB166_28 Depth 3
	;; [unrolled: 1-line block ×3, first 2 shown]
                                        ;         Child Loop BB166_34 Depth 4
                                        ;         Child Loop BB166_40 Depth 4
                                        ;       Child Loop BB166_43 Depth 3
                                        ;         Child Loop BB166_45 Depth 4
	s_mov_b32 s17, s15
	s_lshl_b64 s[0:1], s[16:17], 2
	s_getpc_b64 s[20:21]
	s_add_u32 s20, s20, __const._ZL30rocblas_trsm_small_left_deviceILi28ELi28ELb1E19rocblas_complex_numIfES1_PKPKS1_PKPS1_Ev13rocblas_fill_18rocblas_operation_17rocblas_diagonal_iiT3_T4_lilT5_lili.step_sizes@rel32@lo+4
	s_addc_u32 s21, s21, __const._ZL30rocblas_trsm_small_left_deviceILi28ELi28ELb1E19rocblas_complex_numIfES1_PKPKS1_PKPS1_Ev13rocblas_fill_18rocblas_operation_17rocblas_diagonal_iiT3_T4_lilT5_lili.step_sizes@rel32@hi+12
	s_add_u32 s0, s20, s0
	s_addc_u32 s1, s21, s1
	s_load_dword s17, s[0:1], 0x0
	s_waitcnt lgkmcnt(0)
	s_add_i32 s34, s17, -1
	s_cmp_lt_i32 s18, s34
	s_cbranch_scc1 .LBB166_18
; %bb.20:                               ;   in Loop: Header=BB166_19 Depth=1
	s_max_i32 s35, s17, 1
	s_cmp_lg_u32 s16, 2
	s_cselect_b64 s[20:21], -1, 0
	s_and_b32 s36, s35, 0x7ffffffe
	s_cmp_lg_u32 s35, s36
	s_mul_i32 s0, s18, 0xe0
	v_cndmask_b32_e64 v6, 0, 1, s[20:21]
	s_cselect_b64 s[22:23], -1, 0
	s_add_i32 s37, s33, s0
	s_mul_i32 s38, s17, 0xffffff20
	s_mul_i32 s39, s18, 0xe8
	;; [unrolled: 1-line block ×3, first 2 shown]
	v_cmp_ne_u32_e64 s[0:1], 1, v6
	s_branch .LBB166_22
.LBB166_21:                             ;   in Loop: Header=BB166_22 Depth=2
	s_sub_i32 s18, s18, s17
	s_add_i32 s37, s37, s38
	s_add_i32 s39, s39, s40
	s_cmp_lt_i32 s18, s34
	s_cbranch_scc1 .LBB166_18
.LBB166_22:                             ;   Parent Loop BB166_19 Depth=1
                                        ; =>  This Loop Header: Depth=2
                                        ;       Child Loop BB166_24 Depth 3
                                        ;       Child Loop BB166_28 Depth 3
	;; [unrolled: 1-line block ×3, first 2 shown]
                                        ;         Child Loop BB166_34 Depth 4
                                        ;         Child Loop BB166_40 Depth 4
                                        ;       Child Loop BB166_43 Depth 3
                                        ;         Child Loop BB166_45 Depth 4
	s_and_b64 vcc, exec, s[0:1]
	s_cbranch_vccnz .LBB166_26
; %bb.23:                               ;   in Loop: Header=BB166_22 Depth=2
	s_mov_b32 s19, 0
	s_mov_b32 s26, s18
	;; [unrolled: 1-line block ×5, first 2 shown]
.LBB166_24:                             ;   Parent Loop BB166_19 Depth=1
                                        ;     Parent Loop BB166_22 Depth=2
                                        ; =>    This Inner Loop Header: Depth=3
	s_sub_i32 s24, s18, s28
	s_sub_i32 s42, s26, s27
	s_ashr_i32 s25, s24, 31
	s_ashr_i32 s43, s42, 31
	v_lshl_add_u64 v[6:7], s[24:25], 3, v[0:1]
	v_lshl_add_u64 v[8:9], s[42:43], 3, v[0:1]
	flat_load_dwordx2 v[12:13], v[6:7]
	flat_load_dwordx2 v[10:11], v[8:9]
	s_add_i32 s28, s28, 2
	s_add_i32 s27, s27, 2
	s_add_i32 s29, s29, -2
	s_mov_b32 s14, s36
	s_mov_b64 s[24:25], s[22:23]
	s_waitcnt vmcnt(0) lgkmcnt(0)
	v_mov_b32_e32 v6, v12
	v_mov_b32_e32 v7, v10
	v_mov_b32_e32 v10, v13
	v_pk_mul_f32 v[8:9], v[10:11], s[4:5]
	v_pk_mul_f32 v[10:11], v[10:11], s[2:3]
	v_pk_fma_f32 v[12:13], v[6:7], s[2:3], v[8:9] neg_lo:[0,0,1] neg_hi:[0,0,1]
	v_pk_fma_f32 v[8:9], v[6:7], s[4:5], v[10:11]
	v_mov_b32_e32 v6, v12
	v_mov_b32_e32 v7, v8
	;; [unrolled: 1-line block ×3, first 2 shown]
	scratch_store_dwordx4 off, v[6:9], s19
	s_add_i32 s19, s19, 16
	s_cmp_lg_u32 s29, 0
	s_cbranch_scc1 .LBB166_24
; %bb.25:                               ;   in Loop: Header=BB166_22 Depth=2
	s_ashr_i32 s19, s18, 31
	s_and_b64 vcc, exec, s[24:25]
	s_cbranch_vccnz .LBB166_27
	s_branch .LBB166_29
.LBB166_26:                             ;   in Loop: Header=BB166_22 Depth=2
	s_mov_b32 s14, 0
	s_ashr_i32 s19, s18, 31
	s_cbranch_execz .LBB166_29
.LBB166_27:                             ;   in Loop: Header=BB166_22 Depth=2
	s_lshl_b64 s[26:27], s[18:19], 3
	s_sub_i32 s24, s35, s14
	s_lshl_b64 s[28:29], s[14:15], 3
	s_sub_u32 s26, s26, s28
	s_subb_u32 s27, s27, s29
	v_lshl_add_u64 v[6:7], v[4:5], 0, s[26:27]
	s_lshl_b32 s14, s14, 3
.LBB166_28:                             ;   Parent Loop BB166_19 Depth=1
                                        ;     Parent Loop BB166_22 Depth=2
                                        ; =>    This Inner Loop Header: Depth=3
	flat_load_dwordx2 v[8:9], v[6:7]
	s_add_i32 s24, s24, -1
	v_lshl_add_u64 v[6:7], v[6:7], 0, -8
	s_waitcnt vmcnt(0) lgkmcnt(0)
	v_pk_mul_f32 v[10:11], v[8:9], s[10:11] op_sel:[1,0]
	s_nop 0
	v_pk_fma_f32 v[12:13], v[8:9], s[12:13], v[10:11] neg_lo:[0,0,1] neg_hi:[0,0,1]
	v_pk_fma_f32 v[8:9], v[8:9], s[12:13], v[10:11] op_sel_hi:[0,1,1]
	v_mov_b32_e32 v13, v9
	scratch_store_dwordx2 off, v[12:13], s14
	s_add_i32 s14, s14, 8
	s_cmp_eq_u32 s24, 0
	s_cbranch_scc0 .LBB166_28
.LBB166_29:                             ;   in Loop: Header=BB166_22 Depth=2
	s_cmp_le_i32 s31, s18
	s_cbranch_scc1 .LBB166_41
; %bb.30:                               ;   in Loop: Header=BB166_22 Depth=2
	s_mov_b32 s14, s18
	s_mov_b32 s41, s18
	;; [unrolled: 1-line block ×4, first 2 shown]
	s_branch .LBB166_32
.LBB166_31:                             ;   in Loop: Header=BB166_32 Depth=3
	s_add_i32 s24, s24, -1
	s_add_i32 s42, s42, -8
	s_cmp_le_i32 s24, s18
	s_cbranch_scc1 .LBB166_41
.LBB166_32:                             ;   Parent Loop BB166_19 Depth=1
                                        ;     Parent Loop BB166_22 Depth=2
                                        ; =>    This Loop Header: Depth=3
                                        ;         Child Loop BB166_34 Depth 4
                                        ;         Child Loop BB166_40 Depth 4
	s_ashr_i32 s25, s24, 31
	v_lshl_add_u64 v[6:7], s[24:25], 3, v[0:1]
	flat_load_dwordx2 v[6:7], v[6:7]
	s_and_b64 vcc, exec, s[20:21]
	s_cbranch_vccz .LBB166_36
; %bb.33:                               ;   in Loop: Header=BB166_32 Depth=3
	s_lshl_b32 s25, s24, 3
	s_waitcnt vmcnt(0) lgkmcnt(0)
	v_mov_b32_e32 v10, v6
	v_mov_b32_e32 v11, v6
	;; [unrolled: 1-line block ×3, first 2 shown]
	s_mov_b32 s26, 0
	v_mov_b32_e32 v12, v7
	v_mov_b32_e32 v13, v7
	s_mov_b32 s27, 1
	s_mov_b32 s28, 0
	;; [unrolled: 1-line block ×3, first 2 shown]
.LBB166_34:                             ;   Parent Loop BB166_19 Depth=1
                                        ;     Parent Loop BB166_22 Depth=2
                                        ;       Parent Loop BB166_32 Depth=3
                                        ; =>      This Inner Loop Header: Depth=4
	scratch_load_dwordx4 v[14:17], off, s26
	s_sub_i32 s43, s14, s28
	s_sub_i32 s44, s41, s27
	s_mulk_i32 s44, 0xe0
	s_mulk_i32 s43, 0xe0
	s_add_i32 s43, s25, s43
	s_add_i32 s44, s25, s44
	v_mov_b32_e32 v9, s43
	v_mov_b32_e32 v18, s44
	ds_read_b64 v[22:23], v9
	ds_read_b64 v[18:19], v18
	s_add_i32 s28, s28, 2
	s_add_i32 s27, s27, 2
	s_add_i32 s29, s29, -2
	s_waitcnt lgkmcnt(1)
	v_mov_b32_e32 v20, v22
	s_waitcnt lgkmcnt(0)
	v_mov_b32_e32 v21, v18
	v_mov_b32_e32 v18, v23
	v_pk_mul_f32 v[22:23], v[18:19], v[12:13]
	v_pk_mul_f32 v[18:19], v[18:19], v[10:11]
	v_pk_fma_f32 v[22:23], v[20:21], v[10:11], v[22:23] neg_lo:[0,0,1] neg_hi:[0,0,1]
	v_pk_fma_f32 v[18:19], v[20:21], v[12:13], v[18:19]
	s_waitcnt vmcnt(0)
	v_mov_b32_e32 v20, v14
	v_mov_b32_e32 v21, v16
	;; [unrolled: 1-line block ×3, first 2 shown]
	v_pk_add_f32 v[20:21], v[20:21], v[22:23] neg_lo:[0,1] neg_hi:[0,1]
	v_pk_add_f32 v[16:17], v[16:17], v[18:19] neg_lo:[0,1] neg_hi:[0,1]
	v_mov_b32_e32 v14, v20
	v_mov_b32_e32 v15, v16
	;; [unrolled: 1-line block ×3, first 2 shown]
	scratch_store_dwordx4 off, v[14:17], s26
	s_add_i32 s26, s26, 16
	s_cmp_lg_u32 s29, 0
	s_cbranch_scc1 .LBB166_34
; %bb.35:                               ;   in Loop: Header=BB166_32 Depth=3
	s_mov_b64 s[26:27], s[22:23]
	s_mov_b32 s28, s36
	s_branch .LBB166_38
.LBB166_36:                             ;   in Loop: Header=BB166_32 Depth=3
	s_waitcnt vmcnt(0) lgkmcnt(0)
	v_mov_b32_e32 v8, v7
	s_mov_b64 s[26:27], 0
	s_mov_b32 s28, s36
	s_cbranch_execz .LBB166_38
; %bb.37:                               ;   in Loop: Header=BB166_32 Depth=3
	s_mov_b64 s[26:27], -1
	s_mov_b32 s28, 0
.LBB166_38:                             ;   in Loop: Header=BB166_32 Depth=3
	s_andn2_b64 vcc, exec, s[26:27]
	s_cbranch_vccnz .LBB166_31
; %bb.39:                               ;   in Loop: Header=BB166_32 Depth=3
	s_mul_i32 s26, s28, 0xffffff20
	v_mov_b32_e32 v9, v7
	v_mov_b32_e32 v7, v6
	s_sub_i32 s25, s35, s28
	s_add_i32 s26, s42, s26
	s_lshl_b32 s27, s28, 3
.LBB166_40:                             ;   Parent Loop BB166_19 Depth=1
                                        ;     Parent Loop BB166_22 Depth=2
                                        ;       Parent Loop BB166_32 Depth=3
                                        ; =>      This Inner Loop Header: Depth=4
	scratch_load_dwordx2 v[10:11], off, s27
	v_mov_b32_e32 v12, s26
	ds_read_b64 v[12:13], v12
	s_add_i32 s25, s25, -1
	s_addk_i32 s26, 0xff20
	s_waitcnt lgkmcnt(0)
	v_pk_mul_f32 v[14:15], v[12:13], v[8:9] op_sel:[1,0] op_sel_hi:[0,1]
	v_pk_fma_f32 v[16:17], v[12:13], v[6:7], v[14:15] neg_lo:[0,0,1] neg_hi:[0,0,1]
	v_pk_fma_f32 v[12:13], v[12:13], v[6:7], v[14:15]
	s_nop 0
	v_mov_b32_e32 v17, v13
	s_waitcnt vmcnt(0)
	v_pk_add_f32 v[10:11], v[10:11], v[16:17] neg_lo:[0,1] neg_hi:[0,1]
	scratch_store_dwordx2 off, v[10:11], s27
	s_add_i32 s27, s27, 8
	s_cmp_eq_u32 s25, 0
	s_cbranch_scc0 .LBB166_40
	s_branch .LBB166_31
.LBB166_41:                             ;   in Loop: Header=BB166_22 Depth=2
	s_mov_b32 s14, 0
	s_mov_b32 s41, s39
	s_branch .LBB166_43
.LBB166_42:                             ;   in Loop: Header=BB166_43 Depth=3
	s_mulk_i32 s26, 0xe8
	v_mov_b32_e32 v7, s26
	ds_read_b64 v[10:11], v7
	s_lshl_b32 s26, s14, 3
	s_add_i32 s14, s14, 1
	s_addk_i32 s41, 0xff20
	v_lshl_add_u64 v[12:13], s[24:25], 3, v[0:1]
	s_waitcnt lgkmcnt(0)
	v_pk_mul_f32 v[8:9], v[10:11], v[8:9] op_sel:[1,0] op_sel_hi:[0,0]
	v_pk_fma_f32 v[14:15], v[10:11], v[6:7], v[8:9] neg_lo:[0,0,1] neg_hi:[0,0,1]
	v_pk_fma_f32 v[6:7], v[10:11], v[6:7], v[8:9] op_sel_hi:[1,0,1]
	s_cmp_eq_u32 s14, s35
	v_mov_b32_e32 v15, v7
	scratch_store_dwordx2 off, v[14:15], s26
	flat_store_dwordx2 v[12:13], v[14:15]
	s_cbranch_scc1 .LBB166_21
.LBB166_43:                             ;   Parent Loop BB166_19 Depth=1
                                        ;     Parent Loop BB166_22 Depth=2
                                        ; =>    This Loop Header: Depth=3
                                        ;         Child Loop BB166_45 Depth 4
	s_cmp_lg_u32 s14, 0
	s_cbranch_scc0 .LBB166_47
; %bb.44:                               ;   in Loop: Header=BB166_43 Depth=3
	s_lshl_b32 s24, s14, 3
	scratch_load_dwordx2 v[6:7], off, s24
	s_mov_b32 s25, 0
	s_mov_b32 s26, s41
	s_mov_b32 s27, s14
.LBB166_45:                             ;   Parent Loop BB166_19 Depth=1
                                        ;     Parent Loop BB166_22 Depth=2
                                        ;       Parent Loop BB166_43 Depth=3
                                        ; =>      This Inner Loop Header: Depth=4
	scratch_load_dwordx2 v[8:9], off, s25
	v_mov_b32_e32 v10, s26
	ds_read_b64 v[10:11], v10
	s_add_i32 s27, s27, -1
	s_add_i32 s26, s26, -8
	s_add_i32 s25, s25, 8
	s_cmp_eq_u32 s27, 0
	s_waitcnt vmcnt(0) lgkmcnt(0)
	v_pk_mul_f32 v[12:13], v[10:11], v[8:9] op_sel:[1,1] op_sel_hi:[0,1]
	v_pk_fma_f32 v[14:15], v[10:11], v[8:9], v[12:13] neg_lo:[0,0,1] neg_hi:[0,0,1]
	v_pk_fma_f32 v[8:9], v[10:11], v[8:9], v[12:13] op_sel_hi:[1,0,1]
	s_nop 0
	v_mov_b32_e32 v15, v9
	v_pk_add_f32 v[6:7], v[6:7], v[14:15] neg_lo:[0,1] neg_hi:[0,1]
	scratch_store_dwordx2 off, v[6:7], s24
	s_cbranch_scc0 .LBB166_45
; %bb.46:                               ;   in Loop: Header=BB166_43 Depth=3
	s_sub_i32 s26, s18, s14
	s_ashr_i32 s27, s26, 31
	v_mov_b32_e32 v8, v7
	s_mov_b64 s[24:25], s[26:27]
	s_branch .LBB166_42
.LBB166_47:                             ;   in Loop: Header=BB166_43 Depth=3
                                        ; implicit-def: $vgpr6
                                        ; implicit-def: $vgpr8
                                        ; implicit-def: $sgpr26
                                        ; implicit-def: $sgpr24_sgpr25
	s_cbranch_execz .LBB166_42
; %bb.48:                               ;   in Loop: Header=BB166_43 Depth=3
	scratch_load_dwordx2 v[6:7], off, off
	s_mov_b64 s[24:25], s[18:19]
	s_mov_b32 s26, s18
	s_waitcnt vmcnt(0)
	v_mov_b32_e32 v8, v7
	s_branch .LBB166_42
.LBB166_49:
	s_mov_b64 s[0:1], 0
.LBB166_50:
	s_and_b64 vcc, exec, s[0:1]
	s_cbranch_vccz .LBB166_83
; %bb.51:
	s_add_u32 s0, s8, s6
	s_addc_u32 s1, s9, s7
	s_mov_b32 s7, 0
	s_mov_b32 s2, s12
	;; [unrolled: 1-line block ×7, first 2 shown]
	v_lshl_add_u64 v[2:3], v[2:3], 3, s[0:1]
	s_mov_b32 s22, s7
	s_mov_b32 s8, s7
	s_branch .LBB166_53
.LBB166_52:                             ;   in Loop: Header=BB166_53 Depth=1
	s_cmp_ge_i32 s22, s30
	s_cselect_b64 s[0:1], -1, 0
	s_add_i32 s8, s8, 1
	s_cmp_eq_u32 s8, 3
	s_cselect_b64 s[14:15], -1, 0
	s_or_b64 s[0:1], s[0:1], s[14:15]
	s_and_b64 vcc, exec, s[0:1]
	s_cbranch_vccnz .LBB166_83
.LBB166_53:                             ; =>This Loop Header: Depth=1
                                        ;     Child Loop BB166_56 Depth 2
                                        ;       Child Loop BB166_58 Depth 3
                                        ;       Child Loop BB166_62 Depth 3
	;; [unrolled: 1-line block ×3, first 2 shown]
                                        ;         Child Loop BB166_68 Depth 4
                                        ;         Child Loop BB166_74 Depth 4
                                        ;       Child Loop BB166_77 Depth 3
                                        ;         Child Loop BB166_79 Depth 4
	s_mov_b32 s9, s7
	s_lshl_b64 s[0:1], s[8:9], 2
	s_getpc_b64 s[14:15]
	s_add_u32 s14, s14, __const._ZL30rocblas_trsm_small_left_deviceILi28ELi28ELb1E19rocblas_complex_numIfES1_PKPKS1_PKPS1_Ev13rocblas_fill_18rocblas_operation_17rocblas_diagonal_iiT3_T4_lilT5_lili.step_sizes@rel32@lo+4
	s_addc_u32 s15, s15, __const._ZL30rocblas_trsm_small_left_deviceILi28ELi28ELb1E19rocblas_complex_numIfES1_PKPKS1_PKPS1_Ev13rocblas_fill_18rocblas_operation_17rocblas_diagonal_iiT3_T4_lilT5_lili.step_sizes@rel32@hi+12
	s_add_u32 s0, s14, s0
	s_addc_u32 s1, s15, s1
	s_load_dword s9, s[0:1], 0x0
	s_waitcnt lgkmcnt(0)
	s_add_i32 s23, s9, -1
	s_add_i32 s0, s23, s22
	s_cmp_ge_i32 s0, s30
	s_cbranch_scc1 .LBB166_52
; %bb.54:                               ;   in Loop: Header=BB166_53 Depth=1
	s_max_i32 s24, s9, 1
	s_cmp_lg_u32 s8, 2
	s_cselect_b64 s[14:15], -1, 0
	s_and_b32 s25, s24, 0x7ffffffe
	s_cmp_lg_u32 s24, s25
	v_cndmask_b32_e64 v4, 0, 1, s[14:15]
	s_cselect_b64 s[16:17], -1, 0
	s_ashr_i32 s26, s22, 31
	s_ashr_i32 s27, s9, 31
	s_lshl_b32 s28, s22, 3
	s_lshl_b32 s29, s9, 3
	s_mul_i32 s31, s22, 0xe8
	s_mul_i32 s33, s9, 0xe8
	v_cmp_ne_u32_e64 s[0:1], 1, v4
	s_branch .LBB166_56
.LBB166_55:                             ;   in Loop: Header=BB166_56 Depth=2
	s_add_u32 s22, s22, s9
	s_addc_u32 s26, s26, s27
	s_add_i32 s6, s23, s22
	s_add_i32 s28, s28, s29
	;; [unrolled: 1-line block ×3, first 2 shown]
	s_cmp_ge_i32 s6, s30
	s_cbranch_scc1 .LBB166_52
.LBB166_56:                             ;   Parent Loop BB166_53 Depth=1
                                        ; =>  This Loop Header: Depth=2
                                        ;       Child Loop BB166_58 Depth 3
                                        ;       Child Loop BB166_62 Depth 3
                                        ;       Child Loop BB166_66 Depth 3
                                        ;         Child Loop BB166_68 Depth 4
                                        ;         Child Loop BB166_74 Depth 4
                                        ;       Child Loop BB166_77 Depth 3
                                        ;         Child Loop BB166_79 Depth 4
	s_and_b64 vcc, exec, s[0:1]
	s_cbranch_vccnz .LBB166_60
; %bb.57:                               ;   in Loop: Header=BB166_56 Depth=2
	s_mov_b32 s6, 0
	s_mov_b32 s20, s22
	;; [unrolled: 1-line block ×6, first 2 shown]
.LBB166_58:                             ;   Parent Loop BB166_53 Depth=1
                                        ;     Parent Loop BB166_56 Depth=2
                                        ; =>    This Inner Loop Header: Depth=3
	s_add_i32 s18, s35, s20
	s_add_i32 s38, s34, s21
	s_ashr_i32 s19, s18, 31
	s_ashr_i32 s39, s38, 31
	v_lshl_add_u64 v[4:5], s[18:19], 3, v[0:1]
	v_lshl_add_u64 v[6:7], s[38:39], 3, v[0:1]
	flat_load_dwordx2 v[10:11], v[4:5]
	flat_load_dwordx2 v[8:9], v[6:7]
	s_add_i32 s35, s35, 2
	s_add_i32 s34, s34, 2
	s_add_i32 s36, s36, -2
	s_mov_b32 s37, s25
	s_mov_b64 s[18:19], s[16:17]
	s_waitcnt vmcnt(0) lgkmcnt(0)
	v_mov_b32_e32 v4, v10
	v_mov_b32_e32 v5, v8
	;; [unrolled: 1-line block ×3, first 2 shown]
	v_pk_mul_f32 v[6:7], v[8:9], s[4:5]
	v_pk_mul_f32 v[8:9], v[8:9], s[2:3]
	v_pk_fma_f32 v[10:11], v[4:5], s[2:3], v[6:7] neg_lo:[0,0,1] neg_hi:[0,0,1]
	v_pk_fma_f32 v[6:7], v[4:5], s[4:5], v[8:9]
	v_mov_b32_e32 v4, v10
	v_mov_b32_e32 v5, v6
	;; [unrolled: 1-line block ×3, first 2 shown]
	scratch_store_dwordx4 off, v[4:7], s6
	s_add_i32 s6, s6, 16
	s_cmp_lg_u32 s36, 0
	s_cbranch_scc1 .LBB166_58
; %bb.59:                               ;   in Loop: Header=BB166_56 Depth=2
	s_and_b64 vcc, exec, s[18:19]
	s_cbranch_vccnz .LBB166_61
	s_branch .LBB166_63
.LBB166_60:                             ;   in Loop: Header=BB166_56 Depth=2
	s_mov_b32 s37, 0
	s_cbranch_execz .LBB166_63
.LBB166_61:                             ;   in Loop: Header=BB166_56 Depth=2
	s_sub_i32 s6, s24, s37
	s_add_u32 s18, s22, s37
	s_addc_u32 s19, s26, 0
	v_lshl_add_u64 v[4:5], s[18:19], 3, v[2:3]
	s_lshl_b32 s18, s37, 3
.LBB166_62:                             ;   Parent Loop BB166_53 Depth=1
                                        ;     Parent Loop BB166_56 Depth=2
                                        ; =>    This Inner Loop Header: Depth=3
	flat_load_dwordx2 v[6:7], v[4:5]
	s_add_i32 s6, s6, -1
	v_lshl_add_u64 v[4:5], v[4:5], 0, 8
	s_waitcnt vmcnt(0) lgkmcnt(0)
	v_pk_mul_f32 v[8:9], v[6:7], s[10:11] op_sel:[1,0]
	s_nop 0
	v_pk_fma_f32 v[10:11], v[6:7], s[12:13], v[8:9] neg_lo:[0,0,1] neg_hi:[0,0,1]
	v_pk_fma_f32 v[6:7], v[6:7], s[12:13], v[8:9] op_sel_hi:[0,1,1]
	v_mov_b32_e32 v11, v7
	scratch_store_dwordx2 off, v[10:11], s18
	s_add_i32 s18, s18, 8
	s_cmp_eq_u32 s6, 0
	s_cbranch_scc0 .LBB166_62
.LBB166_63:                             ;   in Loop: Header=BB166_56 Depth=2
	s_cmp_lt_i32 s22, 1
	s_cbranch_scc1 .LBB166_75
; %bb.64:                               ;   in Loop: Header=BB166_56 Depth=2
	s_mov_b32 s6, 0
	s_mov_b32 s34, s28
	s_branch .LBB166_66
.LBB166_65:                             ;   in Loop: Header=BB166_66 Depth=3
	s_add_i32 s6, s6, 1
	s_addk_i32 s34, 0xe0
	s_cmp_eq_u32 s6, s22
	s_cbranch_scc1 .LBB166_75
.LBB166_66:                             ;   Parent Loop BB166_53 Depth=1
                                        ;     Parent Loop BB166_56 Depth=2
                                        ; =>    This Loop Header: Depth=3
                                        ;         Child Loop BB166_68 Depth 4
                                        ;         Child Loop BB166_74 Depth 4
	v_lshl_add_u64 v[4:5], s[6:7], 3, v[0:1]
	flat_load_dwordx2 v[4:5], v[4:5]
	s_and_b64 vcc, exec, s[14:15]
	s_cbranch_vccz .LBB166_70
; %bb.67:                               ;   in Loop: Header=BB166_66 Depth=3
	s_waitcnt vmcnt(0) lgkmcnt(0)
	v_mov_b32_e32 v8, v4
	v_mov_b32_e32 v9, v4
	;; [unrolled: 1-line block ×3, first 2 shown]
	s_mov_b32 s18, 0
	v_mov_b32_e32 v10, v5
	v_mov_b32_e32 v11, v5
	s_mov_b32 s19, s25
	s_mov_b32 s20, s34
.LBB166_68:                             ;   Parent Loop BB166_53 Depth=1
                                        ;     Parent Loop BB166_56 Depth=2
                                        ;       Parent Loop BB166_66 Depth=3
                                        ; =>      This Inner Loop Header: Depth=4
	scratch_load_dwordx4 v[12:15], off, s18
	v_mov_b32_e32 v7, s20
	ds_read2_b64 v[16:19], v7 offset1:1
	s_add_i32 s20, s20, 16
	s_add_i32 s19, s19, -2
	s_waitcnt lgkmcnt(0)
	v_mov_b32_e32 v21, v18
	v_mov_b32_e32 v18, v17
	;; [unrolled: 1-line block ×3, first 2 shown]
	v_pk_mul_f32 v[16:17], v[18:19], v[10:11]
	v_pk_mul_f32 v[18:19], v[18:19], v[8:9]
	v_pk_fma_f32 v[16:17], v[20:21], v[8:9], v[16:17] neg_lo:[0,0,1] neg_hi:[0,0,1]
	v_pk_fma_f32 v[18:19], v[20:21], v[10:11], v[18:19]
	s_waitcnt vmcnt(0)
	v_mov_b32_e32 v20, v12
	v_mov_b32_e32 v21, v14
	;; [unrolled: 1-line block ×3, first 2 shown]
	v_pk_add_f32 v[16:17], v[20:21], v[16:17] neg_lo:[0,1] neg_hi:[0,1]
	v_pk_add_f32 v[14:15], v[14:15], v[18:19] neg_lo:[0,1] neg_hi:[0,1]
	v_mov_b32_e32 v12, v16
	v_mov_b32_e32 v13, v14
	;; [unrolled: 1-line block ×3, first 2 shown]
	scratch_store_dwordx4 off, v[12:15], s18
	s_add_i32 s18, s18, 16
	s_cmp_lg_u32 s19, 0
	s_cbranch_scc1 .LBB166_68
; %bb.69:                               ;   in Loop: Header=BB166_66 Depth=3
	s_mov_b64 s[18:19], s[16:17]
	s_mov_b32 s20, s25
	s_branch .LBB166_72
.LBB166_70:                             ;   in Loop: Header=BB166_66 Depth=3
	s_waitcnt vmcnt(0) lgkmcnt(0)
	v_mov_b32_e32 v6, v5
	s_mov_b64 s[18:19], 0
	s_mov_b32 s20, s25
	s_cbranch_execz .LBB166_72
; %bb.71:                               ;   in Loop: Header=BB166_66 Depth=3
	s_mov_b64 s[18:19], -1
	s_mov_b32 s20, 0
.LBB166_72:                             ;   in Loop: Header=BB166_66 Depth=3
	s_andn2_b64 vcc, exec, s[18:19]
	s_cbranch_vccnz .LBB166_65
; %bb.73:                               ;   in Loop: Header=BB166_66 Depth=3
	v_mov_b32_e32 v7, v5
	v_mov_b32_e32 v5, v4
	s_sub_i32 s18, s24, s20
	s_lshl_b32 s19, s20, 3
.LBB166_74:                             ;   Parent Loop BB166_53 Depth=1
                                        ;     Parent Loop BB166_56 Depth=2
                                        ;       Parent Loop BB166_66 Depth=3
                                        ; =>      This Inner Loop Header: Depth=4
	scratch_load_dwordx2 v[8:9], off, s19
	s_add_i32 s21, s34, s19
	v_mov_b32_e32 v10, s21
	ds_read_b64 v[10:11], v10
	s_mov_b32 s20, s19
	s_add_i32 s18, s18, -1
	s_add_i32 s19, s19, 8
	s_cmp_eq_u32 s18, 0
	s_waitcnt lgkmcnt(0)
	v_pk_mul_f32 v[12:13], v[10:11], v[6:7] op_sel:[1,0] op_sel_hi:[0,1]
	v_pk_fma_f32 v[14:15], v[10:11], v[4:5], v[12:13] neg_lo:[0,0,1] neg_hi:[0,0,1]
	v_pk_fma_f32 v[10:11], v[10:11], v[4:5], v[12:13]
	s_nop 0
	v_mov_b32_e32 v15, v11
	s_waitcnt vmcnt(0)
	v_pk_add_f32 v[8:9], v[8:9], v[14:15] neg_lo:[0,1] neg_hi:[0,1]
	scratch_store_dwordx2 off, v[8:9], s20
	s_cbranch_scc0 .LBB166_74
	s_branch .LBB166_65
.LBB166_75:                             ;   in Loop: Header=BB166_56 Depth=2
	s_mov_b32 s6, 0
	s_mov_b32 s20, s31
	s_branch .LBB166_77
.LBB166_76:                             ;   in Loop: Header=BB166_77 Depth=3
	s_add_i32 s18, s6, s22
	s_mul_i32 s19, s18, 0xe8
	v_mov_b32_e32 v5, s19
	ds_read_b64 v[8:9], v5
	s_lshl_b32 s21, s6, 3
	s_ashr_i32 s19, s18, 31
	s_add_i32 s6, s6, 1
	s_add_i32 s20, s20, 8
	s_waitcnt lgkmcnt(0)
	v_pk_mul_f32 v[6:7], v[8:9], v[6:7] op_sel:[1,0] op_sel_hi:[0,0]
	v_pk_fma_f32 v[10:11], v[8:9], v[4:5], v[6:7] neg_lo:[0,0,1] neg_hi:[0,0,1]
	v_pk_fma_f32 v[4:5], v[8:9], v[4:5], v[6:7] op_sel_hi:[1,0,1]
	s_cmp_eq_u32 s6, s24
	v_mov_b32_e32 v11, v5
	v_lshl_add_u64 v[4:5], s[18:19], 3, v[0:1]
	scratch_store_dwordx2 off, v[10:11], s21
	flat_store_dwordx2 v[4:5], v[10:11]
	s_cbranch_scc1 .LBB166_55
.LBB166_77:                             ;   Parent Loop BB166_53 Depth=1
                                        ;     Parent Loop BB166_56 Depth=2
                                        ; =>    This Loop Header: Depth=3
                                        ;         Child Loop BB166_79 Depth 4
	s_cmp_lg_u32 s6, 0
	s_cbranch_scc0 .LBB166_81
; %bb.78:                               ;   in Loop: Header=BB166_77 Depth=3
	s_lshl_b32 s18, s6, 3
	scratch_load_dwordx2 v[4:5], off, s18
	s_mov_b32 s19, 0
	s_mov_b32 s21, s20
	;; [unrolled: 1-line block ×3, first 2 shown]
.LBB166_79:                             ;   Parent Loop BB166_53 Depth=1
                                        ;     Parent Loop BB166_56 Depth=2
                                        ;       Parent Loop BB166_77 Depth=3
                                        ; =>      This Inner Loop Header: Depth=4
	scratch_load_dwordx2 v[6:7], off, s19
	v_mov_b32_e32 v8, s21
	ds_read_b64 v[8:9], v8
	s_add_i32 s34, s34, -1
	s_addk_i32 s21, 0xe0
	s_add_i32 s19, s19, 8
	s_cmp_eq_u32 s34, 0
	s_waitcnt vmcnt(0) lgkmcnt(0)
	v_pk_mul_f32 v[10:11], v[8:9], v[6:7] op_sel:[1,1] op_sel_hi:[0,1]
	v_pk_fma_f32 v[12:13], v[8:9], v[6:7], v[10:11] neg_lo:[0,0,1] neg_hi:[0,0,1]
	v_pk_fma_f32 v[6:7], v[8:9], v[6:7], v[10:11] op_sel_hi:[1,0,1]
	s_nop 0
	v_mov_b32_e32 v13, v7
	v_pk_add_f32 v[4:5], v[4:5], v[12:13] neg_lo:[0,1] neg_hi:[0,1]
	scratch_store_dwordx2 off, v[4:5], s18
	s_cbranch_scc0 .LBB166_79
; %bb.80:                               ;   in Loop: Header=BB166_77 Depth=3
	v_mov_b32_e32 v6, v5
	s_branch .LBB166_76
.LBB166_81:                             ;   in Loop: Header=BB166_77 Depth=3
                                        ; implicit-def: $vgpr4
                                        ; implicit-def: $vgpr6
	s_cbranch_execz .LBB166_76
; %bb.82:                               ;   in Loop: Header=BB166_77 Depth=3
	scratch_load_dwordx2 v[4:5], off, off
	s_waitcnt vmcnt(0)
	v_mov_b32_e32 v6, v5
	s_branch .LBB166_76
.LBB166_83:
	s_endpgm
	.section	.rodata,"a",@progbits
	.p2align	6, 0x0
	.amdhsa_kernel _ZL30rocblas_trsm_small_left_deviceILi28ELi28ELb1E19rocblas_complex_numIfES1_PKPKS1_PKPS1_Ev13rocblas_fill_18rocblas_operation_17rocblas_diagonal_iiT3_T4_lilT5_lili
		.amdhsa_group_segment_fixed_size 6272
		.amdhsa_private_segment_fixed_size 240
		.amdhsa_kernarg_size 360
		.amdhsa_user_sgpr_count 2
		.amdhsa_user_sgpr_dispatch_ptr 0
		.amdhsa_user_sgpr_queue_ptr 0
		.amdhsa_user_sgpr_kernarg_segment_ptr 1
		.amdhsa_user_sgpr_dispatch_id 0
		.amdhsa_user_sgpr_kernarg_preload_length 0
		.amdhsa_user_sgpr_kernarg_preload_offset 0
		.amdhsa_user_sgpr_private_segment_size 0
		.amdhsa_uses_dynamic_stack 0
		.amdhsa_enable_private_segment 1
		.amdhsa_system_sgpr_workgroup_id_x 1
		.amdhsa_system_sgpr_workgroup_id_y 0
		.amdhsa_system_sgpr_workgroup_id_z 1
		.amdhsa_system_sgpr_workgroup_info 0
		.amdhsa_system_vgpr_workitem_id 0
		.amdhsa_next_free_vgpr 65
		.amdhsa_next_free_sgpr 75
		.amdhsa_accum_offset 24
		.amdhsa_reserve_vcc 1
		.amdhsa_float_round_mode_32 0
		.amdhsa_float_round_mode_16_64 0
		.amdhsa_float_denorm_mode_32 3
		.amdhsa_float_denorm_mode_16_64 3
		.amdhsa_dx10_clamp 1
		.amdhsa_ieee_mode 1
		.amdhsa_fp16_overflow 0
		.amdhsa_tg_split 0
		.amdhsa_exception_fp_ieee_invalid_op 0
		.amdhsa_exception_fp_denorm_src 0
		.amdhsa_exception_fp_ieee_div_zero 0
		.amdhsa_exception_fp_ieee_overflow 0
		.amdhsa_exception_fp_ieee_underflow 0
		.amdhsa_exception_fp_ieee_inexact 0
		.amdhsa_exception_int_div_zero 0
	.end_amdhsa_kernel
	.section	.text._ZL30rocblas_trsm_small_left_deviceILi28ELi28ELb1E19rocblas_complex_numIfES1_PKPKS1_PKPS1_Ev13rocblas_fill_18rocblas_operation_17rocblas_diagonal_iiT3_T4_lilT5_lili,"axG",@progbits,_ZL30rocblas_trsm_small_left_deviceILi28ELi28ELb1E19rocblas_complex_numIfES1_PKPKS1_PKPS1_Ev13rocblas_fill_18rocblas_operation_17rocblas_diagonal_iiT3_T4_lilT5_lili,comdat
.Lfunc_end166:
	.size	_ZL30rocblas_trsm_small_left_deviceILi28ELi28ELb1E19rocblas_complex_numIfES1_PKPKS1_PKPS1_Ev13rocblas_fill_18rocblas_operation_17rocblas_diagonal_iiT3_T4_lilT5_lili, .Lfunc_end166-_ZL30rocblas_trsm_small_left_deviceILi28ELi28ELb1E19rocblas_complex_numIfES1_PKPKS1_PKPS1_Ev13rocblas_fill_18rocblas_operation_17rocblas_diagonal_iiT3_T4_lilT5_lili
                                        ; -- End function
	.set _ZL30rocblas_trsm_small_left_deviceILi28ELi28ELb1E19rocblas_complex_numIfES1_PKPKS1_PKPS1_Ev13rocblas_fill_18rocblas_operation_17rocblas_diagonal_iiT3_T4_lilT5_lili.num_vgpr, 24
	.set _ZL30rocblas_trsm_small_left_deviceILi28ELi28ELb1E19rocblas_complex_numIfES1_PKPKS1_PKPS1_Ev13rocblas_fill_18rocblas_operation_17rocblas_diagonal_iiT3_T4_lilT5_lili.num_agpr, 0
	.set _ZL30rocblas_trsm_small_left_deviceILi28ELi28ELb1E19rocblas_complex_numIfES1_PKPKS1_PKPS1_Ev13rocblas_fill_18rocblas_operation_17rocblas_diagonal_iiT3_T4_lilT5_lili.numbered_sgpr, 45
	.set _ZL30rocblas_trsm_small_left_deviceILi28ELi28ELb1E19rocblas_complex_numIfES1_PKPKS1_PKPS1_Ev13rocblas_fill_18rocblas_operation_17rocblas_diagonal_iiT3_T4_lilT5_lili.num_named_barrier, 0
	.set _ZL30rocblas_trsm_small_left_deviceILi28ELi28ELb1E19rocblas_complex_numIfES1_PKPKS1_PKPS1_Ev13rocblas_fill_18rocblas_operation_17rocblas_diagonal_iiT3_T4_lilT5_lili.private_seg_size, 240
	.set _ZL30rocblas_trsm_small_left_deviceILi28ELi28ELb1E19rocblas_complex_numIfES1_PKPKS1_PKPS1_Ev13rocblas_fill_18rocblas_operation_17rocblas_diagonal_iiT3_T4_lilT5_lili.uses_vcc, 1
	.set _ZL30rocblas_trsm_small_left_deviceILi28ELi28ELb1E19rocblas_complex_numIfES1_PKPKS1_PKPS1_Ev13rocblas_fill_18rocblas_operation_17rocblas_diagonal_iiT3_T4_lilT5_lili.uses_flat_scratch, 0
	.set _ZL30rocblas_trsm_small_left_deviceILi28ELi28ELb1E19rocblas_complex_numIfES1_PKPKS1_PKPS1_Ev13rocblas_fill_18rocblas_operation_17rocblas_diagonal_iiT3_T4_lilT5_lili.has_dyn_sized_stack, 0
	.set _ZL30rocblas_trsm_small_left_deviceILi28ELi28ELb1E19rocblas_complex_numIfES1_PKPKS1_PKPS1_Ev13rocblas_fill_18rocblas_operation_17rocblas_diagonal_iiT3_T4_lilT5_lili.has_recursion, 0
	.set _ZL30rocblas_trsm_small_left_deviceILi28ELi28ELb1E19rocblas_complex_numIfES1_PKPKS1_PKPS1_Ev13rocblas_fill_18rocblas_operation_17rocblas_diagonal_iiT3_T4_lilT5_lili.has_indirect_call, 0
	.section	.AMDGPU.csdata,"",@progbits
; Kernel info:
; codeLenInByte = 3428
; TotalNumSgprs: 51
; NumVgprs: 24
; NumAgprs: 0
; TotalNumVgprs: 24
; ScratchSize: 240
; MemoryBound: 0
; FloatMode: 240
; IeeeMode: 1
; LDSByteSize: 6272 bytes/workgroup (compile time only)
; SGPRBlocks: 10
; VGPRBlocks: 8
; NumSGPRsForWavesPerEU: 81
; NumVGPRsForWavesPerEU: 65
; AccumOffset: 24
; Occupancy: 7
; WaveLimiterHint : 1
; COMPUTE_PGM_RSRC2:SCRATCH_EN: 1
; COMPUTE_PGM_RSRC2:USER_SGPR: 2
; COMPUTE_PGM_RSRC2:TRAP_HANDLER: 0
; COMPUTE_PGM_RSRC2:TGID_X_EN: 1
; COMPUTE_PGM_RSRC2:TGID_Y_EN: 0
; COMPUTE_PGM_RSRC2:TGID_Z_EN: 1
; COMPUTE_PGM_RSRC2:TIDIG_COMP_CNT: 0
; COMPUTE_PGM_RSRC3_GFX90A:ACCUM_OFFSET: 5
; COMPUTE_PGM_RSRC3_GFX90A:TG_SPLIT: 0
	.section	.text._ZL31rocblas_trsm_small_right_deviceI19rocblas_complex_numIfES1_PKPKS1_PKPS1_Li28EEv13rocblas_fill_18rocblas_operation_17rocblas_diagonal_iiT0_T1_lilT2_lili,"axG",@progbits,_ZL31rocblas_trsm_small_right_deviceI19rocblas_complex_numIfES1_PKPKS1_PKPS1_Li28EEv13rocblas_fill_18rocblas_operation_17rocblas_diagonal_iiT0_T1_lilT2_lili,comdat
	.globl	_ZL31rocblas_trsm_small_right_deviceI19rocblas_complex_numIfES1_PKPKS1_PKPS1_Li28EEv13rocblas_fill_18rocblas_operation_17rocblas_diagonal_iiT0_T1_lilT2_lili ; -- Begin function _ZL31rocblas_trsm_small_right_deviceI19rocblas_complex_numIfES1_PKPKS1_PKPS1_Li28EEv13rocblas_fill_18rocblas_operation_17rocblas_diagonal_iiT0_T1_lilT2_lili
	.p2align	8
	.type	_ZL31rocblas_trsm_small_right_deviceI19rocblas_complex_numIfES1_PKPKS1_PKPS1_Li28EEv13rocblas_fill_18rocblas_operation_17rocblas_diagonal_iiT0_T1_lilT2_lili,@function
_ZL31rocblas_trsm_small_right_deviceI19rocblas_complex_numIfES1_PKPKS1_PKPS1_Li28EEv13rocblas_fill_18rocblas_operation_17rocblas_diagonal_iiT0_T1_lilT2_lili: ; @_ZL31rocblas_trsm_small_right_deviceI19rocblas_complex_numIfES1_PKPKS1_PKPS1_Li28EEv13rocblas_fill_18rocblas_operation_17rocblas_diagonal_iiT0_T1_lilT2_lili
; %bb.0:
	s_load_dwordx4 s[12:15], s[0:1], 0x40
	s_load_dwordx8 s[4:11], s[0:1], 0x0
	s_mov_b32 s16, s3
	s_mov_b32 s17, 0
	s_lshl_b64 s[20:21], s[16:17], 3
	s_waitcnt lgkmcnt(0)
	s_add_u32 s12, s12, s20
	s_addc_u32 s13, s13, s21
	s_load_dwordx2 s[12:13], s[12:13], 0x0
	s_min_i32 s26, s8, 28
	v_cmp_gt_i32_e32 vcc, s26, v0
	s_and_saveexec_b64 s[16:17], vcc
	s_cbranch_execz .LBB167_9
; %bb.1:
	s_load_dword s22, s[0:1], 0x30
	s_load_dwordx4 s[28:31], s[0:1], 0x20
	v_lshlrev_b32_e32 v2, 3, v0
	v_mov_b32_e32 v3, 0
	v_mov_b32_e32 v1, v2
	s_waitcnt lgkmcnt(0)
	s_ashr_i32 s23, s22, 31
	s_cmpk_lg_i32 s5, 0x71
	s_cselect_b64 s[18:19], -1, 0
	s_add_u32 s20, s28, s20
	s_addc_u32 s21, s29, s21
	s_load_dwordx2 s[20:21], s[20:21], 0x0
	s_lshl_b64 s[24:25], s[30:31], 3
	s_mov_b32 s3, s26
	s_waitcnt lgkmcnt(0)
	s_add_u32 s24, s20, s24
	s_addc_u32 s25, s21, s25
	s_lshl_b64 s[20:21], s[22:23], 3
	v_lshl_add_u64 v[4:5], s[24:25], 0, v[2:3]
	s_branch .LBB167_3
.LBB167_2:                              ;   in Loop: Header=BB167_3 Depth=1
	flat_load_dword v6, v[4:5]
	s_add_i32 s3, s3, -1
	v_lshl_add_u64 v[4:5], v[4:5], 0, s[20:21]
	s_cmp_eq_u32 s3, 0
	s_waitcnt vmcnt(0) lgkmcnt(0)
	ds_write_b64 v1, v[6:7]
	v_add_u32_e32 v1, 0xe0, v1
	s_cbranch_scc1 .LBB167_7
.LBB167_3:                              ; =>This Inner Loop Header: Depth=1
	s_mov_b64 s[22:23], -1
	s_and_b64 vcc, exec, s[18:19]
                                        ; implicit-def: $vgpr7
	s_cbranch_vccz .LBB167_5
; %bb.4:                                ;   in Loop: Header=BB167_3 Depth=1
	flat_load_dword v7, v[4:5] offset:4
	s_mov_b64 s[22:23], 0
.LBB167_5:                              ;   in Loop: Header=BB167_3 Depth=1
	s_andn2_b64 vcc, exec, s[22:23]
	s_cbranch_vccnz .LBB167_2
; %bb.6:                                ;   in Loop: Header=BB167_3 Depth=1
	flat_load_dword v3, v[4:5] offset:4
	s_waitcnt vmcnt(0) lgkmcnt(0)
	v_xor_b32_e32 v7, 0x80000000, v3
	s_branch .LBB167_2
.LBB167_7:
	s_cmpk_eq_i32 s6, 0x84
	s_cbranch_scc0 .LBB167_9
; %bb.8:
	s_movk_i32 s3, 0xe0
	v_mad_u32_u24 v1, v0, s3, v2
	v_mov_b32_e32 v2, 1.0
	v_mov_b32_e32 v3, 0
	ds_write_b64 v1, v[2:3]
.LBB167_9:
	s_or_b64 exec, exec, s[16:17]
	s_load_dword s3, s[0:1], 0x68
	s_load_dword s6, s[0:1], 0x50
	s_lshl_b64 s[18:19], s[14:15], 3
	s_waitcnt lgkmcnt(0)
	s_add_u32 s0, s12, s18
	s_mul_i32 s11, s2, 0xffffffe4
	s_addc_u32 s1, s13, s19
	s_add_i32 s3, s3, -1
	s_add_i32 s7, s7, s11
	s_cmp_ge_u32 s2, s3
	s_mul_i32 s28, s2, 0xe0
	s_cselect_b32 s7, s7, 28
	s_mul_hi_i32 s27, s2, 0xe0
	s_add_u32 s2, s0, s28
	s_addc_u32 s3, s1, s27
	v_cmp_gt_i32_e64 s[0:1], s7, v0
	s_and_saveexec_b64 s[14:15], s[0:1]
	s_cbranch_execz .LBB167_18
; %bb.10:
	s_cmp_lt_i32 s8, 1
	s_cbranch_scc1 .LBB167_18
; %bb.11:
	s_cmp_eq_u32 s8, 1
	s_cselect_b64 s[20:21], -1, 0
	s_cmp_lg_u32 s6, 1
	s_cselect_b64 s[22:23], -1, 0
	s_or_b64 s[20:21], s[20:21], s[22:23]
	s_mov_b32 s16, s9
	s_mov_b32 s17, s10
	v_mov_b32_e32 v3, 0
	s_and_b64 vcc, exec, s[20:21]
	s_cbranch_vccnz .LBB167_15
; %bb.12:
	v_lshlrev_b32_e32 v2, 3, v0
	v_mov_b32_e32 v1, 0x1880
	s_and_b32 s29, s8, 0x7ffffffe
	s_mov_b32 s25, 0
	v_lshl_add_u64 v[2:3], s[2:3], 0, v[2:3]
	v_lshl_add_u32 v1, v0, 3, v1
	s_mov_b32 s20, s16
	s_mov_b32 s21, s9
	;; [unrolled: 1-line block ×6, first 2 shown]
.LBB167_13:                             ; =>This Inner Loop Header: Depth=1
	v_lshl_add_u64 v[4:5], s[24:25], 3, v[2:3]
	s_mov_b32 s23, s25
	v_lshl_add_u64 v[6:7], s[22:23], 3, v[2:3]
	flat_load_dwordx2 v[12:13], v[4:5]
	flat_load_dwordx2 v[8:9], v[6:7]
	s_mul_i32 s23, s22, 0xe0
	s_mul_i32 s30, s24, 0xe0
	s_add_i32 s24, s24, 2
	s_add_i32 s7, s7, -2
	s_add_i32 s22, s22, 2
	v_add_u32_e32 v10, s30, v1
	s_cmp_lg_u32 s7, 0
	v_add_u32_e32 v11, s23, v1
	s_waitcnt vmcnt(0) lgkmcnt(0)
	v_mov_b32_e32 v4, v12
	v_mov_b32_e32 v5, v8
	;; [unrolled: 1-line block ×3, first 2 shown]
	v_pk_mul_f32 v[6:7], s[10:11], v[8:9]
	v_pk_mul_f32 v[8:9], s[20:21], v[8:9]
	v_pk_fma_f32 v[6:7], s[20:21], v[4:5], v[6:7] neg_lo:[0,0,1] neg_hi:[0,0,1]
	v_pk_fma_f32 v[4:5], s[10:11], v[4:5], v[8:9]
	ds_write_b32 v10, v6
	ds_write_b32 v11, v7
	ds_write_b32 v10, v4 offset:4
	ds_write_b32 v11, v5 offset:4
	s_cbranch_scc1 .LBB167_13
; %bb.14:
	s_cmp_lg_u32 s8, s29
	s_cselect_b64 s[20:21], -1, 0
	s_and_b64 vcc, exec, s[20:21]
	s_cbranch_vccnz .LBB167_16
	s_branch .LBB167_18
.LBB167_15:
	s_mov_b32 s29, 0
	s_cbranch_execz .LBB167_18
.LBB167_16:
	s_mul_hi_i32 s21, s6, s29
	s_mul_i32 s20, s6, s29
	s_ashr_i32 s7, s6, 31
	s_mov_b32 s11, s9
	s_sub_i32 s9, s8, s29
	s_lshl_b64 s[20:21], s[20:21], 3
	s_add_u32 s20, s20, s28
	s_addc_u32 s21, s21, s27
	s_add_u32 s18, s20, s18
	s_addc_u32 s19, s21, s19
	s_add_u32 s12, s12, s18
	v_lshlrev_b32_e32 v2, 3, v0
	v_mov_b32_e32 v3, 0
	s_addc_u32 s13, s13, s19
	v_lshl_add_u64 v[2:3], s[12:13], 0, v[2:3]
	s_lshl_b64 s[12:13], s[6:7], 3
	s_mul_i32 s7, s29, 0xe0
	v_lshl_add_u32 v1, v0, 3, s7
	v_add_u32_e32 v1, 0x1880, v1
.LBB167_17:                             ; =>This Inner Loop Header: Depth=1
	flat_load_dwordx2 v[4:5], v[2:3]
	s_add_i32 s9, s9, -1
	v_lshl_add_u64 v[2:3], v[2:3], 0, s[12:13]
	s_cmp_lg_u32 s9, 0
	s_waitcnt vmcnt(0) lgkmcnt(0)
	v_pk_mul_f32 v[6:7], s[10:11], v[4:5] op_sel:[0,1]
	s_nop 0
	v_pk_fma_f32 v[8:9], s[16:17], v[4:5], v[6:7] neg_lo:[0,0,1] neg_hi:[0,0,1]
	v_pk_fma_f32 v[4:5], s[16:17], v[4:5], v[6:7] op_sel_hi:[1,0,1]
	s_nop 0
	v_mov_b32_e32 v9, v5
	ds_write_b64 v1, v[8:9]
	v_add_u32_e32 v1, 0xe0, v1
	s_cbranch_scc1 .LBB167_17
.LBB167_18:
	s_or_b64 exec, exec, s[14:15]
	s_cmpk_eq_i32 s5, 0x6f
	s_cselect_b64 s[12:13], -1, 0
	s_cmpk_lg_i32 s4, 0x79
	s_cselect_b64 s[10:11], -1, 0
	s_cmpk_eq_i32 s4, 0x79
	s_cselect_b64 s[14:15], -1, 0
	s_and_b64 s[14:15], s[14:15], s[12:13]
	s_andn2_b64 vcc, exec, s[14:15]
	s_mov_b64 s[14:15], -1
	s_waitcnt lgkmcnt(0)
	; wave barrier
	s_cbranch_vccz .LBB167_119
; %bb.19:
	s_cmpk_lg_i32 s4, 0x7a
	s_cselect_b64 s[4:5], -1, 0
	s_xor_b64 s[12:13], s[12:13], -1
	s_add_i32 s7, s26, -1
	s_or_b64 s[12:13], s[4:5], s[12:13]
	v_mov_b32_e32 v1, 0x1880
	s_cmp_gt_i32 s8, 3
	v_lshl_add_u32 v1, v0, 3, v1
	s_cselect_b64 s[4:5], -1, 0
	s_and_b64 vcc, exec, s[12:13]
	s_cbranch_vccz .LBB167_86
; %bb.20:
	s_andn2_b64 vcc, exec, s[10:11]
	s_mov_b64 s[10:11], -1
	s_cbranch_vccnz .LBB167_53
; %bb.21:
	s_andn2_b64 vcc, exec, s[4:5]
	s_mov_b32 s13, 0
	s_cbranch_vccnz .LBB167_43
; %bb.22:
	v_mov_b32_e32 v2, 0x1880
	v_lshl_add_u32 v16, v0, 3, v2
	s_mov_b32 s9, 0
	s_mov_b32 s12, 0
.LBB167_23:                             ; =>This Loop Header: Depth=1
                                        ;     Child Loop BB167_24 Depth 2
	s_or_b32 s11, s12, 3
	s_mul_i32 s10, s12, 0xe0
	v_add_u32_e32 v18, s10, v1
	s_mulk_i32 s11, 0xe0
	ds_read2_b64 v[2:5], v18 offset1:28
	v_add_u32_e32 v17, s11, v1
	ds_read_b64 v[12:13], v18 offset:448
	ds_read_b64 v[10:11], v17
	s_cmp_eq_u32 s12, 0
	v_mov_b32_e32 v6, v16
	s_mov_b32 s11, s9
	s_mov_b32 s13, s12
	s_cbranch_scc1 .LBB167_25
.LBB167_24:                             ;   Parent Loop BB167_23 Depth=1
                                        ; =>  This Inner Loop Header: Depth=2
	v_mov_b32_e32 v7, s11
	ds_read_b64 v[8:9], v6
	ds_read_b128 v[20:23], v7
	ds_read_b128 v[24:27], v7 offset:16
	s_add_i32 s13, s13, -1
	s_addk_i32 s11, 0xe0
	v_add_u32_e32 v6, 0xe0, v6
	s_waitcnt lgkmcnt(1)
	v_mul_f32_e32 v7, v21, v9
	v_mul_f32_e32 v19, v20, v9
	;; [unrolled: 1-line block ×4, first 2 shown]
	s_waitcnt lgkmcnt(0)
	v_pk_mul_f32 v[14:15], v[24:25], v[8:9] op_sel:[0,1]
	v_pk_mul_f32 v[28:29], v[26:27], v[8:9] op_sel:[0,1]
	v_fma_f32 v7, v20, v8, -v7
	v_fmac_f32_e32 v19, v21, v8
	v_fma_f32 v30, v22, v8, -v30
	v_fmac_f32_e32 v31, v22, v9
	v_pk_fma_f32 v[20:21], v[24:25], v[8:9], v[14:15] op_sel:[0,0,1] op_sel_hi:[1,1,0] neg_lo:[0,0,1] neg_hi:[0,0,1]
	v_pk_fma_f32 v[14:15], v[24:25], v[8:9], v[14:15] op_sel:[0,0,1] op_sel_hi:[1,0,0]
	v_pk_fma_f32 v[22:23], v[26:27], v[8:9], v[28:29] op_sel:[0,0,1] op_sel_hi:[1,1,0] neg_lo:[0,0,1] neg_hi:[0,0,1]
	v_pk_fma_f32 v[8:9], v[26:27], v[8:9], v[28:29] op_sel:[0,0,1] op_sel_hi:[1,0,0]
	v_mov_b32_e32 v21, v15
	v_mov_b32_e32 v23, v9
	s_cmp_eq_u32 s13, 0
	v_sub_f32_e32 v2, v2, v7
	v_sub_f32_e32 v3, v3, v19
	v_sub_f32_e32 v4, v4, v30
	v_sub_f32_e32 v5, v5, v31
	v_pk_add_f32 v[12:13], v[12:13], v[20:21] neg_lo:[0,1] neg_hi:[0,1]
	v_pk_add_f32 v[10:11], v[10:11], v[22:23] neg_lo:[0,1] neg_hi:[0,1]
	s_cbranch_scc0 .LBB167_24
.LBB167_25:                             ;   in Loop: Header=BB167_23 Depth=1
	s_lshl_b32 s13, s12, 3
	s_add_i32 s14, s13, s10
	v_mov_b32_e32 v6, s14
	ds_read_b64 v[6:7], v6
	s_mov_b64 s[10:11], -1
                                        ; implicit-def: $vgpr15
	s_waitcnt lgkmcnt(0)
	v_cmp_ngt_f32_e64 s[16:17], |v6|, |v7|
	s_and_b64 vcc, exec, s[16:17]
	s_cbranch_vccz .LBB167_27
; %bb.26:                               ;   in Loop: Header=BB167_23 Depth=1
	v_div_scale_f32 v8, s[10:11], v7, v7, v6
	v_rcp_f32_e32 v9, v8
	v_div_scale_f32 v14, vcc, v6, v7, v6
	v_fma_f32 v15, -v8, v9, 1.0
	v_fmac_f32_e32 v9, v15, v9
	v_mul_f32_e32 v15, v14, v9
	v_fma_f32 v19, -v8, v15, v14
	v_fmac_f32_e32 v15, v19, v9
	v_fma_f32 v8, -v8, v15, v14
	v_div_fmas_f32 v8, v8, v9, v15
	v_div_fixup_f32 v8, v8, v7, v6
	v_fma_f32 v9, v6, v8, v7
	v_div_scale_f32 v14, s[10:11], v9, v9, 1.0
	v_rcp_f32_e32 v15, v14
	s_mov_b64 s[10:11], 0
	v_fma_f32 v19, -v14, v15, 1.0
	v_fmac_f32_e32 v15, v19, v15
	v_div_scale_f32 v19, vcc, 1.0, v9, 1.0
	v_mul_f32_e32 v20, v19, v15
	v_fma_f32 v21, -v14, v20, v19
	v_fmac_f32_e32 v20, v21, v15
	v_fma_f32 v14, -v14, v20, v19
	v_div_fmas_f32 v14, v14, v15, v20
	v_div_fixup_f32 v9, v14, v9, 1.0
	v_fma_f32 v14, v2, v8, v3
	v_fma_f32 v8, v3, v8, -v2
	v_mul_f32_e32 v14, v14, v9
	v_mul_f32_e32 v15, v8, v9
.LBB167_27:                             ;   in Loop: Header=BB167_23 Depth=1
	s_andn2_b64 vcc, exec, s[10:11]
	s_cbranch_vccnz .LBB167_29
; %bb.28:                               ;   in Loop: Header=BB167_23 Depth=1
	v_div_scale_f32 v8, s[10:11], v6, v6, v7
	v_rcp_f32_e32 v9, v8
	v_div_scale_f32 v14, vcc, v7, v6, v7
	v_fma_f32 v15, -v8, v9, 1.0
	v_fmac_f32_e32 v9, v15, v9
	v_mul_f32_e32 v15, v14, v9
	v_fma_f32 v19, -v8, v15, v14
	v_fmac_f32_e32 v15, v19, v9
	v_fma_f32 v8, -v8, v15, v14
	v_div_fmas_f32 v8, v8, v9, v15
	v_div_fixup_f32 v8, v8, v6, v7
	v_fmac_f32_e32 v6, v7, v8
	v_div_scale_f32 v7, s[10:11], v6, v6, 1.0
	v_rcp_f32_e32 v9, v7
	s_nop 0
	v_fma_f32 v14, -v7, v9, 1.0
	v_fmac_f32_e32 v9, v14, v9
	v_div_scale_f32 v14, vcc, 1.0, v6, 1.0
	v_mul_f32_e32 v15, v14, v9
	v_fma_f32 v19, -v7, v15, v14
	v_fmac_f32_e32 v15, v19, v9
	v_fma_f32 v7, -v7, v15, v14
	v_div_fmas_f32 v7, v7, v9, v15
	v_div_fixup_f32 v6, v7, v6, 1.0
	v_fma_f32 v7, v3, v8, v2
	v_fma_f32 v2, -v2, v8, v3
	v_mul_f32_e32 v14, v7, v6
	v_mul_f32_e32 v15, v2, v6
.LBB167_29:                             ;   in Loop: Header=BB167_23 Depth=1
	v_mov_b32_e32 v2, s14
	ds_read2_b64 v[6:9], v2 offset0:1 offset1:29
	s_mov_b64 s[10:11], -1
	ds_write_b64 v18, v[14:15]
	s_waitcnt lgkmcnt(1)
	v_mul_f32_e32 v2, v15, v7
	v_mul_f32_e32 v3, v14, v7
	v_fma_f32 v2, v14, v6, -v2
	v_fmac_f32_e32 v3, v15, v6
	v_cmp_ngt_f32_e64 s[16:17], |v8|, |v9|
	v_sub_f32_e32 v2, v4, v2
	v_sub_f32_e32 v3, v5, v3
	s_and_b64 vcc, exec, s[16:17]
                                        ; implicit-def: $vgpr7
	s_cbranch_vccz .LBB167_31
; %bb.30:                               ;   in Loop: Header=BB167_23 Depth=1
	v_div_scale_f32 v4, s[10:11], v9, v9, v8
	v_rcp_f32_e32 v5, v4
	v_div_scale_f32 v6, vcc, v8, v9, v8
	v_fma_f32 v7, -v4, v5, 1.0
	v_fmac_f32_e32 v5, v7, v5
	v_mul_f32_e32 v7, v6, v5
	v_fma_f32 v19, -v4, v7, v6
	v_fmac_f32_e32 v7, v19, v5
	v_fma_f32 v4, -v4, v7, v6
	v_div_fmas_f32 v4, v4, v5, v7
	v_div_fixup_f32 v4, v4, v9, v8
	v_fma_f32 v5, v8, v4, v9
	v_div_scale_f32 v6, s[10:11], v5, v5, 1.0
	v_rcp_f32_e32 v7, v6
	s_mov_b64 s[10:11], 0
	v_fma_f32 v19, -v6, v7, 1.0
	v_fmac_f32_e32 v7, v19, v7
	v_div_scale_f32 v19, vcc, 1.0, v5, 1.0
	v_mul_f32_e32 v20, v19, v7
	v_fma_f32 v21, -v6, v20, v19
	v_fmac_f32_e32 v20, v21, v7
	v_fma_f32 v6, -v6, v20, v19
	v_div_fmas_f32 v6, v6, v7, v20
	v_div_fixup_f32 v5, v6, v5, 1.0
	v_fma_f32 v6, v4, v2, v3
	v_fma_f32 v4, v4, v3, -v2
	v_mul_f32_e32 v6, v6, v5
	v_mul_f32_e32 v7, v4, v5
.LBB167_31:                             ;   in Loop: Header=BB167_23 Depth=1
	s_andn2_b64 vcc, exec, s[10:11]
	s_cbranch_vccnz .LBB167_33
; %bb.32:                               ;   in Loop: Header=BB167_23 Depth=1
	v_div_scale_f32 v4, s[10:11], v8, v8, v9
	v_rcp_f32_e32 v5, v4
	v_div_scale_f32 v6, vcc, v9, v8, v9
	v_fma_f32 v7, -v4, v5, 1.0
	v_fmac_f32_e32 v5, v7, v5
	v_mul_f32_e32 v7, v6, v5
	v_fma_f32 v19, -v4, v7, v6
	v_fmac_f32_e32 v7, v19, v5
	v_fma_f32 v4, -v4, v7, v6
	v_div_fmas_f32 v4, v4, v5, v7
	v_div_fixup_f32 v4, v4, v8, v9
	v_fmac_f32_e32 v8, v9, v4
	v_div_scale_f32 v5, s[10:11], v8, v8, 1.0
	v_rcp_f32_e32 v6, v5
	s_nop 0
	v_fma_f32 v7, -v5, v6, 1.0
	v_fmac_f32_e32 v6, v7, v6
	v_div_scale_f32 v7, vcc, 1.0, v8, 1.0
	v_mul_f32_e32 v9, v7, v6
	v_fma_f32 v19, -v5, v9, v7
	v_fmac_f32_e32 v9, v19, v6
	v_fma_f32 v5, -v5, v9, v7
	v_div_fmas_f32 v5, v5, v6, v9
	v_div_fixup_f32 v5, v5, v8, 1.0
	v_fma_f32 v6, v4, v3, v2
	v_fma_f32 v2, -v4, v2, v3
	v_mul_f32_e32 v6, v6, v5
	v_mul_f32_e32 v7, v2, v5
.LBB167_33:                             ;   in Loop: Header=BB167_23 Depth=1
	s_add_i32 s15, s14, 0xe8
	s_or_b32 s10, s13, 8
	v_mov_b32_e32 v2, s14
	s_sub_i32 s16, s15, s10
	ds_read2_b64 v[2:5], v2 offset0:2 offset1:58
	s_add_i32 s16, s16, s13
	v_mov_b32_e32 v19, s16
	ds_read_b64 v[22:23], v19 offset:16
	v_mov_b32_e32 v8, v15
	s_waitcnt lgkmcnt(1)
	v_pk_mul_f32 v[8:9], v[8:9], v[2:3] op_sel_hi:[0,1]
	v_pk_fma_f32 v[20:21], v[14:15], v[2:3], v[8:9] op_sel:[0,0,1] op_sel_hi:[1,1,0] neg_lo:[0,0,1] neg_hi:[0,0,1]
	v_pk_fma_f32 v[2:3], v[14:15], v[2:3], v[8:9] op_sel:[0,0,1] op_sel_hi:[0,1,0]
	v_mov_b32_e32 v8, v7
	v_mov_b32_e32 v21, v3
	s_waitcnt lgkmcnt(0)
	v_pk_mul_f32 v[8:9], v[8:9], v[22:23] op_sel_hi:[0,1]
	v_pk_add_f32 v[2:3], v[12:13], v[20:21] neg_lo:[0,1] neg_hi:[0,1]
	v_pk_fma_f32 v[12:13], v[6:7], v[22:23], v[8:9] op_sel:[0,0,1] op_sel_hi:[1,1,0] neg_lo:[0,0,1] neg_hi:[0,0,1]
	v_pk_fma_f32 v[8:9], v[6:7], v[22:23], v[8:9] op_sel:[0,0,1] op_sel_hi:[0,1,0]
	v_mov_b32_e32 v13, v9
	v_cmp_ngt_f32_e64 s[18:19], |v4|, |v5|
	v_pk_add_f32 v[2:3], v[2:3], v[12:13] neg_lo:[0,1] neg_hi:[0,1]
	s_mov_b64 s[10:11], -1
	s_and_b64 vcc, exec, s[18:19]
	ds_write_b64 v18, v[6:7] offset:224
                                        ; implicit-def: $vgpr8_vgpr9
	s_cbranch_vccz .LBB167_35
; %bb.34:                               ;   in Loop: Header=BB167_23 Depth=1
	v_div_scale_f32 v8, s[10:11], v5, v5, v4
	v_rcp_f32_e32 v9, v8
	v_div_scale_f32 v12, vcc, v4, v5, v4
	v_fma_f32 v13, -v8, v9, 1.0
	v_fmac_f32_e32 v9, v13, v9
	v_mul_f32_e32 v13, v12, v9
	v_fma_f32 v19, -v8, v13, v12
	v_fmac_f32_e32 v13, v19, v9
	v_fma_f32 v8, -v8, v13, v12
	v_div_fmas_f32 v8, v8, v9, v13
	v_div_fixup_f32 v8, v8, v5, v4
	v_fma_f32 v9, v4, v8, v5
	v_div_scale_f32 v19, s[10:11], v9, v9, 1.0
	v_rcp_f32_e32 v20, v19
	v_pk_fma_f32 v[12:13], v[8:9], v[2:3], v[2:3] op_sel:[0,0,1] op_sel_hi:[1,1,0]
	s_mov_b64 s[10:11], 0
	v_fma_f32 v13, -v19, v20, 1.0
	v_fmac_f32_e32 v20, v13, v20
	v_div_scale_f32 v13, vcc, 1.0, v9, 1.0
	v_mul_f32_e32 v21, v13, v20
	v_fma_f32 v22, -v19, v21, v13
	v_fmac_f32_e32 v21, v22, v20
	v_fma_f32 v13, -v19, v21, v13
	v_div_fmas_f32 v13, v13, v20, v21
	v_div_fixup_f32 v13, v13, v9, 1.0
	v_fma_f32 v9, v8, v3, -v2
	v_mov_b32_e32 v8, v13
	v_pk_mul_f32 v[8:9], v[12:13], v[8:9]
.LBB167_35:                             ;   in Loop: Header=BB167_23 Depth=1
	s_andn2_b64 vcc, exec, s[10:11]
	s_cbranch_vccnz .LBB167_37
; %bb.36:                               ;   in Loop: Header=BB167_23 Depth=1
	v_div_scale_f32 v8, s[10:11], v4, v4, v5
	v_rcp_f32_e32 v9, v8
	v_div_scale_f32 v12, vcc, v5, v4, v5
	v_fma_f32 v13, -v8, v9, 1.0
	v_fmac_f32_e32 v9, v13, v9
	v_mul_f32_e32 v13, v12, v9
	v_fma_f32 v19, -v8, v13, v12
	v_fmac_f32_e32 v13, v19, v9
	v_fma_f32 v8, -v8, v13, v12
	v_div_fmas_f32 v8, v8, v9, v13
	v_div_fixup_f32 v8, v8, v4, v5
	v_fma_f32 v4, v5, v8, v4
	v_div_scale_f32 v5, s[10:11], v4, v4, 1.0
	v_rcp_f32_e32 v9, v5
	s_nop 0
	v_fma_f32 v12, -v5, v9, 1.0
	v_fmac_f32_e32 v9, v12, v9
	v_div_scale_f32 v12, vcc, 1.0, v4, 1.0
	v_mul_f32_e32 v13, v12, v9
	v_fma_f32 v19, -v5, v13, v12
	v_fmac_f32_e32 v13, v19, v9
	v_fma_f32 v5, -v5, v13, v12
	v_div_fmas_f32 v5, v5, v9, v13
	v_pk_fma_f32 v[12:13], v[8:9], v[2:3], v[2:3] op_sel:[0,1,0] op_sel_hi:[1,0,1]
	v_pk_fma_f32 v[2:3], v[8:9], v[2:3], v[2:3] op_sel:[0,1,0] op_sel_hi:[0,0,1] neg_lo:[1,0,0] neg_hi:[1,0,0]
	v_div_fixup_f32 v4, v5, v4, 1.0
	v_mov_b32_e32 v13, v3
	v_pk_mul_f32 v[8:9], v[12:13], v[4:5] op_sel_hi:[1,0]
.LBB167_37:                             ;   in Loop: Header=BB167_23 Depth=1
	v_mov_b32_e32 v2, s14
	ds_read2_b64 v[2:5], v2 offset0:3 offset1:87
	v_mov_b32_e32 v12, v15
	v_mov_b32_e32 v13, v15
	;; [unrolled: 1-line block ×3, first 2 shown]
	s_or_b32 s10, s13, 16
	s_waitcnt lgkmcnt(0)
	v_pk_mul_f32 v[12:13], v[12:13], v[2:3]
	ds_write_b64 v18, v[8:9] offset:448
	v_pk_fma_f32 v[18:19], v[14:15], v[2:3], v[12:13] op_sel:[0,0,1] op_sel_hi:[1,1,0] neg_lo:[0,0,1] neg_hi:[0,0,1]
	v_pk_fma_f32 v[2:3], v[14:15], v[2:3], v[12:13] op_sel:[0,0,1] op_sel_hi:[1,1,0]
	s_sub_i32 s10, s15, s10
	v_mov_b32_e32 v2, s16
	s_add_i32 s10, s10, s13
	ds_read_b64 v[12:13], v2 offset:24
	v_mov_b32_e32 v19, v3
	v_pk_add_f32 v[2:3], v[10:11], v[18:19] neg_lo:[0,1] neg_hi:[0,1]
	v_mov_b32_e32 v10, s10
	ds_read_b64 v[10:11], v10 offset:256
	v_mov_b32_e32 v20, v7
	v_mov_b32_e32 v21, v7
	;; [unrolled: 1-line block ×3, first 2 shown]
	s_waitcnt lgkmcnt(1)
	v_pk_mul_f32 v[14:15], v[20:21], v[12:13]
	v_cmp_ngt_f32_e64 s[14:15], |v4|, |v5|
	v_pk_fma_f32 v[18:19], v[6:7], v[12:13], v[14:15] op_sel:[0,0,1] op_sel_hi:[1,1,0] neg_lo:[0,0,1] neg_hi:[0,0,1]
	v_pk_fma_f32 v[6:7], v[6:7], v[12:13], v[14:15] op_sel:[0,0,1] op_sel_hi:[1,1,0]
	s_mov_b64 s[10:11], -1
	v_mov_b32_e32 v19, v7
	s_waitcnt lgkmcnt(0)
	v_pk_mul_f32 v[6:7], v[8:9], v[10:11] op_sel:[1,1] op_sel_hi:[1,0]
	v_pk_add_f32 v[2:3], v[2:3], v[18:19] neg_lo:[0,1] neg_hi:[0,1]
	v_pk_fma_f32 v[12:13], v[8:9], v[10:11], v[6:7] neg_lo:[0,0,1] neg_hi:[0,0,1]
	v_pk_fma_f32 v[6:7], v[8:9], v[10:11], v[6:7] op_sel_hi:[0,1,1]
	v_mov_b32_e32 v13, v7
	v_pk_add_f32 v[2:3], v[2:3], v[12:13] neg_lo:[0,1] neg_hi:[0,1]
	s_and_b64 vcc, exec, s[14:15]
                                        ; implicit-def: $vgpr6_vgpr7
	s_cbranch_vccz .LBB167_39
; %bb.38:                               ;   in Loop: Header=BB167_23 Depth=1
	v_div_scale_f32 v6, s[10:11], v5, v5, v4
	v_rcp_f32_e32 v7, v6
	v_div_scale_f32 v8, vcc, v4, v5, v4
	v_fma_f32 v9, -v6, v7, 1.0
	v_fmac_f32_e32 v7, v9, v7
	v_mul_f32_e32 v9, v8, v7
	v_fma_f32 v10, -v6, v9, v8
	v_fmac_f32_e32 v9, v10, v7
	v_fma_f32 v6, -v6, v9, v8
	v_div_fmas_f32 v6, v6, v7, v9
	v_div_fixup_f32 v6, v6, v5, v4
	v_fma_f32 v7, v4, v6, v5
	v_div_scale_f32 v10, s[10:11], v7, v7, 1.0
	v_rcp_f32_e32 v11, v10
	v_pk_fma_f32 v[8:9], v[6:7], v[2:3], v[2:3] op_sel:[0,0,1] op_sel_hi:[1,1,0]
	s_mov_b64 s[10:11], 0
	v_fma_f32 v9, -v10, v11, 1.0
	v_fmac_f32_e32 v11, v9, v11
	v_div_scale_f32 v9, vcc, 1.0, v7, 1.0
	v_mul_f32_e32 v12, v9, v11
	v_fma_f32 v13, -v10, v12, v9
	v_fmac_f32_e32 v12, v13, v11
	v_fma_f32 v9, -v10, v12, v9
	v_div_fmas_f32 v9, v9, v11, v12
	v_div_fixup_f32 v9, v9, v7, 1.0
	v_fma_f32 v7, v6, v3, -v2
	v_mov_b32_e32 v6, v9
	v_pk_mul_f32 v[6:7], v[8:9], v[6:7]
.LBB167_39:                             ;   in Loop: Header=BB167_23 Depth=1
	s_andn2_b64 vcc, exec, s[10:11]
	s_cbranch_vccnz .LBB167_41
; %bb.40:                               ;   in Loop: Header=BB167_23 Depth=1
	v_div_scale_f32 v6, s[10:11], v4, v4, v5
	v_rcp_f32_e32 v7, v6
	v_div_scale_f32 v8, vcc, v5, v4, v5
	v_fma_f32 v9, -v6, v7, 1.0
	v_fmac_f32_e32 v7, v9, v7
	v_mul_f32_e32 v9, v8, v7
	v_fma_f32 v10, -v6, v9, v8
	v_fmac_f32_e32 v9, v10, v7
	v_fma_f32 v6, -v6, v9, v8
	v_div_fmas_f32 v6, v6, v7, v9
	v_div_fixup_f32 v6, v6, v4, v5
	v_fma_f32 v4, v5, v6, v4
	v_div_scale_f32 v5, s[10:11], v4, v4, 1.0
	v_rcp_f32_e32 v7, v5
	s_nop 0
	v_fma_f32 v8, -v5, v7, 1.0
	v_fmac_f32_e32 v7, v8, v7
	v_div_scale_f32 v8, vcc, 1.0, v4, 1.0
	v_mul_f32_e32 v9, v8, v7
	v_fma_f32 v10, -v5, v9, v8
	v_fmac_f32_e32 v9, v10, v7
	v_fma_f32 v5, -v5, v9, v8
	v_div_fmas_f32 v5, v5, v7, v9
	v_pk_fma_f32 v[8:9], v[6:7], v[2:3], v[2:3] op_sel:[0,1,0] op_sel_hi:[1,0,1]
	v_pk_fma_f32 v[2:3], v[6:7], v[2:3], v[2:3] op_sel:[0,1,0] op_sel_hi:[0,0,1] neg_lo:[1,0,0] neg_hi:[1,0,0]
	v_div_fixup_f32 v4, v5, v4, 1.0
	v_mov_b32_e32 v9, v3
	v_pk_mul_f32 v[6:7], v[8:9], v[4:5] op_sel_hi:[1,0]
.LBB167_41:                             ;   in Loop: Header=BB167_23 Depth=1
	s_add_i32 s13, s12, 4
	s_add_i32 s10, s12, 7
	;; [unrolled: 1-line block ×3, first 2 shown]
	s_cmp_ge_i32 s10, s26
	ds_write_b64 v17, v[6:7]
	s_cbranch_scc1 .LBB167_43
; %bb.42:                               ;   in Loop: Header=BB167_23 Depth=1
	s_mov_b32 s12, s13
	s_branch .LBB167_23
.LBB167_43:
	s_cmp_ge_i32 s13, s26
	s_cbranch_scc1 .LBB167_52
; %bb.44:
	v_mov_b32_e32 v2, 0x1880
	s_lshl_b32 s9, s13, 3
	v_lshl_add_u32 v8, v0, 3, v2
	s_branch .LBB167_46
.LBB167_45:                             ;   in Loop: Header=BB167_46 Depth=1
	s_add_i32 s13, s13, 1
	s_add_i32 s9, s9, 8
	s_cmp_ge_i32 s13, s26
	ds_write_b64 v9, v[6:7]
	s_cbranch_scc1 .LBB167_52
.LBB167_46:                             ; =>This Loop Header: Depth=1
                                        ;     Child Loop BB167_47 Depth 2
	s_mul_i32 s10, s13, 0xe0
	v_add_u32_e32 v9, s10, v1
	ds_read_b64 v[2:3], v9
	s_cmp_eq_u32 s13, 0
	v_mov_b32_e32 v4, v8
	s_mov_b32 s11, s9
	s_mov_b32 s12, s13
	s_cbranch_scc1 .LBB167_48
.LBB167_47:                             ;   Parent Loop BB167_46 Depth=1
                                        ; =>  This Inner Loop Header: Depth=2
	v_mov_b32_e32 v5, s11
	ds_read_b64 v[6:7], v4
	ds_read_b64 v[10:11], v5
	s_add_i32 s12, s12, -1
	s_addk_i32 s11, 0xe0
	v_add_u32_e32 v4, 0xe0, v4
	s_cmp_eq_u32 s12, 0
	s_waitcnt lgkmcnt(0)
	v_pk_mul_f32 v[12:13], v[10:11], v[6:7] op_sel:[1,1] op_sel_hi:[0,1]
	v_pk_fma_f32 v[14:15], v[10:11], v[6:7], v[12:13] op_sel_hi:[1,0,1]
	v_pk_fma_f32 v[6:7], v[10:11], v[6:7], v[12:13] op_sel_hi:[1,0,1] neg_lo:[0,0,1] neg_hi:[0,0,1]
	s_nop 0
	v_mov_b32_e32 v7, v15
	v_pk_add_f32 v[2:3], v[2:3], v[6:7] neg_lo:[0,1] neg_hi:[0,1]
	s_cbranch_scc0 .LBB167_47
.LBB167_48:                             ;   in Loop: Header=BB167_46 Depth=1
	s_lshl_b32 s11, s13, 3
	s_add_i32 s10, s11, s10
	v_mov_b32_e32 v4, s10
	ds_read_b64 v[4:5], v4
	s_mov_b64 s[10:11], -1
                                        ; implicit-def: $vgpr6_vgpr7
	s_waitcnt lgkmcnt(0)
	v_cmp_ngt_f32_e64 s[14:15], |v4|, |v5|
	s_and_b64 vcc, exec, s[14:15]
	s_cbranch_vccz .LBB167_50
; %bb.49:                               ;   in Loop: Header=BB167_46 Depth=1
	v_div_scale_f32 v6, s[10:11], v5, v5, v4
	v_rcp_f32_e32 v7, v6
	v_div_scale_f32 v10, vcc, v4, v5, v4
	v_fma_f32 v11, -v6, v7, 1.0
	v_fmac_f32_e32 v7, v11, v7
	v_mul_f32_e32 v11, v10, v7
	v_fma_f32 v12, -v6, v11, v10
	v_fmac_f32_e32 v11, v12, v7
	v_fma_f32 v6, -v6, v11, v10
	v_div_fmas_f32 v6, v6, v7, v11
	v_div_fixup_f32 v6, v6, v5, v4
	v_fma_f32 v7, v4, v6, v5
	v_div_scale_f32 v10, s[10:11], v7, v7, 1.0
	v_rcp_f32_e32 v11, v10
	s_mov_b64 s[10:11], 0
	v_fma_f32 v12, -v10, v11, 1.0
	v_fmac_f32_e32 v11, v12, v11
	v_div_scale_f32 v12, vcc, 1.0, v7, 1.0
	v_mul_f32_e32 v13, v12, v11
	v_fma_f32 v14, -v10, v13, v12
	v_fmac_f32_e32 v13, v14, v11
	v_fma_f32 v10, -v10, v13, v12
	v_div_fmas_f32 v10, v10, v11, v13
	v_div_fixup_f32 v10, v10, v7, 1.0
	v_pk_fma_f32 v[12:13], v[2:3], v[6:7], v[2:3] op_sel:[0,0,1] op_sel_hi:[1,0,0] neg_lo:[0,0,1] neg_hi:[0,0,1]
	v_pk_fma_f32 v[6:7], v[2:3], v[6:7], v[2:3] op_sel:[0,0,1] op_sel_hi:[1,0,0]
	s_nop 0
	v_mov_b32_e32 v7, v13
	v_pk_mul_f32 v[6:7], v[6:7], v[10:11] op_sel_hi:[1,0]
.LBB167_50:                             ;   in Loop: Header=BB167_46 Depth=1
	s_andn2_b64 vcc, exec, s[10:11]
	s_cbranch_vccnz .LBB167_45
; %bb.51:                               ;   in Loop: Header=BB167_46 Depth=1
	v_div_scale_f32 v6, s[10:11], v4, v4, v5
	v_rcp_f32_e32 v7, v6
	v_div_scale_f32 v10, vcc, v5, v4, v5
	v_fma_f32 v11, -v6, v7, 1.0
	v_fmac_f32_e32 v7, v11, v7
	v_mul_f32_e32 v11, v10, v7
	v_fma_f32 v12, -v6, v11, v10
	v_fmac_f32_e32 v11, v12, v7
	v_fma_f32 v6, -v6, v11, v10
	v_div_fmas_f32 v6, v6, v7, v11
	v_div_fixup_f32 v6, v6, v4, v5
	v_fmac_f32_e32 v4, v5, v6
	v_div_scale_f32 v5, s[10:11], v4, v4, 1.0
	v_rcp_f32_e32 v7, v5
	s_nop 0
	v_fma_f32 v10, -v5, v7, 1.0
	v_fmac_f32_e32 v7, v10, v7
	v_div_scale_f32 v10, vcc, 1.0, v4, 1.0
	v_mul_f32_e32 v11, v10, v7
	v_fma_f32 v12, -v5, v11, v10
	v_fmac_f32_e32 v11, v12, v7
	v_fma_f32 v5, -v5, v11, v10
	v_div_fmas_f32 v5, v5, v7, v11
	v_pk_fma_f32 v[10:11], v[2:3], v[6:7], v[2:3] op_sel:[1,0,0] op_sel_hi:[0,0,1] neg_lo:[1,0,0] neg_hi:[1,0,0]
	v_pk_fma_f32 v[2:3], v[2:3], v[6:7], v[2:3] op_sel:[1,0,0] op_sel_hi:[0,0,1]
	v_div_fixup_f32 v4, v5, v4, 1.0
	v_mov_b32_e32 v3, v11
	v_pk_mul_f32 v[6:7], v[2:3], v[4:5] op_sel_hi:[1,0]
	s_branch .LBB167_45
.LBB167_52:
	s_mov_b64 s[10:11], 0
.LBB167_53:
	s_and_b64 vcc, exec, s[10:11]
	s_cbranch_vccz .LBB167_85
; %bb.54:
	s_andn2_b64 vcc, exec, s[4:5]
	s_mov_b32 s13, s7
	s_cbranch_vccnz .LBB167_76
; %bb.55:
	s_mul_i32 s10, s26, 0xe0
	v_lshl_add_u32 v2, v0, 3, s10
	s_mul_i32 s9, s26, 0xe8
	v_add_u32_e32 v14, 0x17a0, v2
	s_mov_b32 s12, s7
.LBB167_56:                             ; =>This Loop Header: Depth=1
                                        ;     Child Loop BB167_57 Depth 2
	s_mul_i32 s10, s12, 0xe0
	v_add_u32_e32 v18, s10, v1
	s_add_i32 s13, s10, 0xfffffd60
	v_add_u32_e32 v17, 0xffffff20, v18
	v_add_u32_e32 v16, 0xfffffe40, v18
	;; [unrolled: 1-line block ×3, first 2 shown]
	ds_read_b64 v[10:11], v18
	ds_read_b64 v[8:9], v17
	;; [unrolled: 1-line block ×4, first 2 shown]
	s_cmp_le_i32 s7, s12
	v_mov_b32_e32 v6, v14
	s_mov_b32 s11, s9
	s_mov_b32 s14, s7
	s_cbranch_scc1 .LBB167_58
.LBB167_57:                             ;   Parent Loop BB167_56 Depth=1
                                        ; =>  This Inner Loop Header: Depth=2
	s_add_i32 s15, s11, 0xffffff10
	s_add_i32 s16, s11, 0xffffff00
	v_mov_b32_e32 v7, s15
	ds_read_b64 v[12:13], v6
	v_mov_b32_e32 v19, s16
	ds_read2_b64 v[20:23], v7 offset1:1
	ds_read2_b64 v[24:27], v19 offset1:1
	s_add_i32 s14, s14, -1
	s_addk_i32 s11, 0xff20
	v_add_u32_e32 v6, 0xffffff20, v6
	s_waitcnt lgkmcnt(1)
	v_mul_f32_e32 v7, v23, v13
	v_mul_f32_e32 v19, v22, v13
	;; [unrolled: 1-line block ×4, first 2 shown]
	s_waitcnt lgkmcnt(0)
	v_pk_mul_f32 v[28:29], v[26:27], v[12:13] op_sel:[0,1]
	v_pk_mul_f32 v[30:31], v[24:25], v[12:13] op_sel:[0,1]
	v_fma_f32 v7, v22, v12, -v7
	v_fmac_f32_e32 v19, v23, v12
	v_fma_f32 v32, v20, v12, -v32
	v_fmac_f32_e32 v33, v20, v13
	v_pk_fma_f32 v[20:21], v[26:27], v[12:13], v[28:29] op_sel:[0,0,1] op_sel_hi:[1,1,0] neg_lo:[0,0,1] neg_hi:[0,0,1]
	v_pk_fma_f32 v[22:23], v[26:27], v[12:13], v[28:29] op_sel:[0,0,1] op_sel_hi:[1,0,0]
	v_pk_fma_f32 v[26:27], v[24:25], v[12:13], v[30:31] op_sel:[0,0,1] op_sel_hi:[1,1,0] neg_lo:[0,0,1] neg_hi:[0,0,1]
	v_pk_fma_f32 v[12:13], v[24:25], v[12:13], v[30:31] op_sel:[0,0,1] op_sel_hi:[1,0,0]
	v_mov_b32_e32 v21, v23
	v_mov_b32_e32 v27, v13
	s_cmp_le_i32 s14, s12
	v_sub_f32_e32 v10, v10, v7
	v_sub_f32_e32 v11, v11, v19
	;; [unrolled: 1-line block ×4, first 2 shown]
	v_pk_add_f32 v[4:5], v[4:5], v[20:21] neg_lo:[0,1] neg_hi:[0,1]
	v_pk_add_f32 v[2:3], v[2:3], v[26:27] neg_lo:[0,1] neg_hi:[0,1]
	s_cbranch_scc0 .LBB167_57
.LBB167_58:                             ;   in Loop: Header=BB167_56 Depth=1
	s_lshl_b32 s16, s12, 3
	s_add_i32 s15, s16, s10
	v_mov_b32_e32 v6, s15
	ds_read_b64 v[12:13], v6
	s_add_i32 s14, s12, -3
	s_mov_b64 s[10:11], -1
                                        ; implicit-def: $vgpr7
	s_waitcnt lgkmcnt(0)
	v_cmp_ngt_f32_e64 s[18:19], |v12|, |v13|
	s_and_b64 vcc, exec, s[18:19]
	s_cbranch_vccz .LBB167_60
; %bb.59:                               ;   in Loop: Header=BB167_56 Depth=1
	v_div_scale_f32 v6, s[10:11], v13, v13, v12
	v_rcp_f32_e32 v7, v6
	v_div_scale_f32 v19, vcc, v12, v13, v12
	v_fma_f32 v20, -v6, v7, 1.0
	v_fmac_f32_e32 v7, v20, v7
	v_mul_f32_e32 v20, v19, v7
	v_fma_f32 v21, -v6, v20, v19
	v_fmac_f32_e32 v20, v21, v7
	v_fma_f32 v6, -v6, v20, v19
	v_div_fmas_f32 v6, v6, v7, v20
	v_div_fixup_f32 v7, v6, v13, v12
	v_fma_f32 v6, v12, v7, v13
	v_div_scale_f32 v19, s[10:11], v6, v6, 1.0
	v_rcp_f32_e32 v20, v19
	s_mov_b64 s[10:11], 0
	v_fma_f32 v21, -v19, v20, 1.0
	v_fmac_f32_e32 v20, v21, v20
	v_div_scale_f32 v21, vcc, 1.0, v6, 1.0
	v_mul_f32_e32 v22, v21, v20
	v_fma_f32 v23, -v19, v22, v21
	v_fmac_f32_e32 v22, v23, v20
	v_fma_f32 v19, -v19, v22, v21
	v_div_fmas_f32 v19, v19, v20, v22
	v_div_fixup_f32 v19, v19, v6, 1.0
	v_fma_f32 v6, v10, v7, v11
	v_fma_f32 v7, v11, v7, -v10
	v_mul_f32_e32 v6, v6, v19
	v_mul_f32_e32 v7, v7, v19
.LBB167_60:                             ;   in Loop: Header=BB167_56 Depth=1
	s_andn2_b64 vcc, exec, s[10:11]
	s_cbranch_vccnz .LBB167_62
; %bb.61:                               ;   in Loop: Header=BB167_56 Depth=1
	v_div_scale_f32 v6, s[10:11], v12, v12, v13
	v_rcp_f32_e32 v7, v6
	v_div_scale_f32 v19, vcc, v13, v12, v13
	v_fma_f32 v20, -v6, v7, 1.0
	v_fmac_f32_e32 v7, v20, v7
	v_mul_f32_e32 v20, v19, v7
	v_fma_f32 v21, -v6, v20, v19
	v_fmac_f32_e32 v20, v21, v7
	v_fma_f32 v6, -v6, v20, v19
	v_div_fmas_f32 v6, v6, v7, v20
	v_div_fixup_f32 v7, v6, v12, v13
	v_fmac_f32_e32 v12, v13, v7
	v_div_scale_f32 v6, s[10:11], v12, v12, 1.0
	v_rcp_f32_e32 v13, v6
	s_nop 0
	v_fma_f32 v19, -v6, v13, 1.0
	v_fmac_f32_e32 v13, v19, v13
	v_div_scale_f32 v19, vcc, 1.0, v12, 1.0
	v_mul_f32_e32 v20, v19, v13
	v_fma_f32 v21, -v6, v20, v19
	v_fmac_f32_e32 v20, v21, v13
	v_fma_f32 v6, -v6, v20, v19
	v_div_fmas_f32 v6, v6, v13, v20
	v_div_fixup_f32 v12, v6, v12, 1.0
	v_fma_f32 v6, v11, v7, v10
	v_fma_f32 v7, -v10, v7, v11
	v_mul_f32_e32 v6, v6, v12
	v_mul_f32_e32 v7, v7, v12
.LBB167_62:                             ;   in Loop: Header=BB167_56 Depth=1
	s_add_i32 s10, s15, -8
	v_mov_b32_e32 v10, s10
	s_add_i32 s17, s15, 0xffffff18
	ds_read_b64 v[12:13], v10
	v_mov_b32_e32 v10, s17
	ds_read_b64 v[10:11], v10
	ds_write_b64 v18, v[6:7]
	s_mov_b64 s[10:11], -1
	s_waitcnt lgkmcnt(2)
	v_mul_f32_e32 v18, v7, v13
	v_mul_f32_e32 v13, v6, v13
	v_fma_f32 v18, v6, v12, -v18
	v_fmac_f32_e32 v13, v7, v12
	s_waitcnt lgkmcnt(1)
	v_cmp_ngt_f32_e64 s[18:19], |v10|, |v11|
	v_sub_f32_e32 v12, v8, v18
	v_sub_f32_e32 v13, v9, v13
	s_and_b64 vcc, exec, s[18:19]
                                        ; implicit-def: $vgpr9
	s_cbranch_vccz .LBB167_64
; %bb.63:                               ;   in Loop: Header=BB167_56 Depth=1
	v_div_scale_f32 v8, s[10:11], v11, v11, v10
	v_rcp_f32_e32 v9, v8
	v_div_scale_f32 v18, vcc, v10, v11, v10
	v_fma_f32 v19, -v8, v9, 1.0
	v_fmac_f32_e32 v9, v19, v9
	v_mul_f32_e32 v19, v18, v9
	v_fma_f32 v20, -v8, v19, v18
	v_fmac_f32_e32 v19, v20, v9
	v_fma_f32 v8, -v8, v19, v18
	v_div_fmas_f32 v8, v8, v9, v19
	v_div_fixup_f32 v9, v8, v11, v10
	v_fma_f32 v8, v10, v9, v11
	v_div_scale_f32 v18, s[10:11], v8, v8, 1.0
	v_rcp_f32_e32 v19, v18
	s_mov_b64 s[10:11], 0
	v_fma_f32 v20, -v18, v19, 1.0
	v_fmac_f32_e32 v19, v20, v19
	v_div_scale_f32 v20, vcc, 1.0, v8, 1.0
	v_mul_f32_e32 v21, v20, v19
	v_fma_f32 v22, -v18, v21, v20
	v_fmac_f32_e32 v21, v22, v19
	v_fma_f32 v18, -v18, v21, v20
	v_div_fmas_f32 v18, v18, v19, v21
	v_div_fixup_f32 v18, v18, v8, 1.0
	v_fma_f32 v8, v9, v12, v13
	v_fma_f32 v9, v9, v13, -v12
	v_mul_f32_e32 v8, v8, v18
	v_mul_f32_e32 v9, v9, v18
.LBB167_64:                             ;   in Loop: Header=BB167_56 Depth=1
	s_andn2_b64 vcc, exec, s[10:11]
	s_cbranch_vccnz .LBB167_66
; %bb.65:                               ;   in Loop: Header=BB167_56 Depth=1
	v_div_scale_f32 v8, s[10:11], v10, v10, v11
	v_rcp_f32_e32 v9, v8
	v_div_scale_f32 v18, vcc, v11, v10, v11
	v_fma_f32 v19, -v8, v9, 1.0
	v_fmac_f32_e32 v9, v19, v9
	v_mul_f32_e32 v19, v18, v9
	v_fma_f32 v20, -v8, v19, v18
	v_fmac_f32_e32 v19, v20, v9
	v_fma_f32 v8, -v8, v19, v18
	v_div_fmas_f32 v8, v8, v9, v19
	v_div_fixup_f32 v9, v8, v10, v11
	v_fmac_f32_e32 v10, v11, v9
	v_div_scale_f32 v8, s[10:11], v10, v10, 1.0
	v_rcp_f32_e32 v11, v8
	s_nop 0
	v_fma_f32 v18, -v8, v11, 1.0
	v_fmac_f32_e32 v11, v18, v11
	v_div_scale_f32 v18, vcc, 1.0, v10, 1.0
	v_mul_f32_e32 v19, v18, v11
	v_fma_f32 v20, -v8, v19, v18
	v_fmac_f32_e32 v19, v20, v11
	v_fma_f32 v8, -v8, v19, v18
	v_div_fmas_f32 v8, v8, v11, v19
	v_div_fixup_f32 v10, v8, v10, 1.0
	v_fma_f32 v8, v9, v13, v12
	v_fma_f32 v9, -v9, v12, v13
	v_mul_f32_e32 v8, v8, v10
	v_mul_f32_e32 v9, v9, v10
.LBB167_66:                             ;   in Loop: Header=BB167_56 Depth=1
	s_add_i32 s19, s15, -16
	s_add_i32 s10, s12, -1
	v_mov_b32_e32 v10, s19
	s_add_i32 s11, s12, -2
	s_lshl_b32 s10, s10, 3
	ds_read_b64 v[12:13], v10
	s_sub_i32 s17, s17, s10
	s_lshl_b32 s18, s11, 3
	s_add_i32 s10, s17, s18
	s_add_i32 s19, s15, 0xfffffe30
	ds_write_b64 v17, v[8:9]
	v_mov_b32_e32 v10, s10
	v_mov_b32_e32 v11, s19
	;; [unrolled: 1-line block ×3, first 2 shown]
	ds_read_b64 v[20:21], v10
	ds_read_b64 v[10:11], v11
	s_waitcnt lgkmcnt(3)
	v_pk_mul_f32 v[18:19], v[18:19], v[12:13] op_sel_hi:[0,1]
	v_pk_fma_f32 v[22:23], v[6:7], v[12:13], v[18:19] op_sel:[0,0,1] op_sel_hi:[1,1,0] neg_lo:[0,0,1] neg_hi:[0,0,1]
	v_pk_fma_f32 v[12:13], v[6:7], v[12:13], v[18:19] op_sel:[0,0,1] op_sel_hi:[0,1,0]
	v_mov_b32_e32 v12, v9
	v_mov_b32_e32 v23, v13
	s_waitcnt lgkmcnt(1)
	v_pk_mul_f32 v[12:13], v[12:13], v[20:21] op_sel_hi:[0,1]
	v_pk_fma_f32 v[18:19], v[8:9], v[20:21], v[12:13] op_sel:[0,0,1] op_sel_hi:[1,1,0] neg_lo:[0,0,1] neg_hi:[0,0,1]
	v_pk_fma_f32 v[12:13], v[8:9], v[20:21], v[12:13] op_sel:[0,0,1] op_sel_hi:[0,1,0]
	v_pk_add_f32 v[4:5], v[4:5], v[22:23] neg_lo:[0,1] neg_hi:[0,1]
	v_mov_b32_e32 v19, v13
	s_waitcnt lgkmcnt(0)
	v_cmp_ngt_f32_e64 s[20:21], |v10|, |v11|
	v_pk_add_f32 v[4:5], v[4:5], v[18:19] neg_lo:[0,1] neg_hi:[0,1]
	s_mov_b64 s[10:11], -1
	s_and_b64 vcc, exec, s[20:21]
                                        ; implicit-def: $vgpr12_vgpr13
	s_cbranch_vccz .LBB167_68
; %bb.67:                               ;   in Loop: Header=BB167_56 Depth=1
	v_div_scale_f32 v12, s[10:11], v11, v11, v10
	v_rcp_f32_e32 v13, v12
	v_div_scale_f32 v17, vcc, v10, v11, v10
	v_fma_f32 v18, -v12, v13, 1.0
	v_fmac_f32_e32 v13, v18, v13
	v_mul_f32_e32 v18, v17, v13
	v_fma_f32 v19, -v12, v18, v17
	v_fmac_f32_e32 v18, v19, v13
	v_fma_f32 v12, -v12, v18, v17
	v_div_fmas_f32 v12, v12, v13, v18
	v_div_fixup_f32 v12, v12, v11, v10
	v_fma_f32 v13, v10, v12, v11
	v_div_scale_f32 v17, s[10:11], v13, v13, 1.0
	v_rcp_f32_e32 v20, v17
	v_pk_fma_f32 v[18:19], v[12:13], v[4:5], v[4:5] op_sel:[0,0,1] op_sel_hi:[1,1,0]
	s_mov_b64 s[10:11], 0
	v_fma_f32 v19, -v17, v20, 1.0
	v_fmac_f32_e32 v20, v19, v20
	v_div_scale_f32 v19, vcc, 1.0, v13, 1.0
	v_mul_f32_e32 v21, v19, v20
	v_fma_f32 v22, -v17, v21, v19
	v_fmac_f32_e32 v21, v22, v20
	v_fma_f32 v17, -v17, v21, v19
	v_div_fmas_f32 v17, v17, v20, v21
	v_div_fixup_f32 v19, v17, v13, 1.0
	v_fma_f32 v13, v12, v5, -v4
	v_mov_b32_e32 v12, v19
	v_pk_mul_f32 v[12:13], v[18:19], v[12:13]
.LBB167_68:                             ;   in Loop: Header=BB167_56 Depth=1
	s_andn2_b64 vcc, exec, s[10:11]
	s_cbranch_vccnz .LBB167_70
; %bb.69:                               ;   in Loop: Header=BB167_56 Depth=1
	v_div_scale_f32 v12, s[10:11], v10, v10, v11
	v_rcp_f32_e32 v13, v12
	v_div_scale_f32 v17, vcc, v11, v10, v11
	v_fma_f32 v18, -v12, v13, 1.0
	v_fmac_f32_e32 v13, v18, v13
	v_mul_f32_e32 v18, v17, v13
	v_fma_f32 v19, -v12, v18, v17
	v_fmac_f32_e32 v18, v19, v13
	v_fma_f32 v12, -v12, v18, v17
	v_div_fmas_f32 v12, v12, v13, v18
	v_div_fixup_f32 v12, v12, v10, v11
	v_fmac_f32_e32 v10, v11, v12
	v_div_scale_f32 v11, s[10:11], v10, v10, 1.0
	v_rcp_f32_e32 v13, v11
	s_nop 0
	v_fma_f32 v17, -v11, v13, 1.0
	v_fmac_f32_e32 v13, v17, v13
	v_div_scale_f32 v17, vcc, 1.0, v10, 1.0
	v_mul_f32_e32 v18, v17, v13
	v_fma_f32 v19, -v11, v18, v17
	v_fmac_f32_e32 v18, v19, v13
	v_fma_f32 v11, -v11, v18, v17
	v_div_fmas_f32 v11, v11, v13, v18
	v_pk_fma_f32 v[18:19], v[12:13], v[4:5], v[4:5] op_sel:[0,1,0] op_sel_hi:[1,0,1]
	v_pk_fma_f32 v[4:5], v[12:13], v[4:5], v[4:5] op_sel:[0,1,0] op_sel_hi:[0,0,1] neg_lo:[1,0,0] neg_hi:[1,0,0]
	v_div_fixup_f32 v10, v11, v10, 1.0
	v_mov_b32_e32 v19, v5
	v_pk_mul_f32 v[12:13], v[18:19], v[10:11] op_sel_hi:[1,0]
.LBB167_70:                             ;   in Loop: Header=BB167_56 Depth=1
	s_sub_i32 s10, s15, 24
	v_mov_b32_e32 v4, s10
	ds_write_b64 v16, v[12:13]
	ds_read_b64 v[16:17], v4
	s_lshl_b32 s11, s14, 3
	s_sub_i32 s14, s19, s18
	s_add_i32 s16, s16, s13
	s_add_i32 s13, s17, s11
	;; [unrolled: 1-line block ×3, first 2 shown]
	v_mov_b32_e32 v4, s13
	v_mov_b32_e32 v5, s11
	s_sub_i32 s10, s16, 24
	v_mov_b32_e32 v10, v7
	v_mov_b32_e32 v11, v7
	;; [unrolled: 1-line block ×3, first 2 shown]
	ds_read_b64 v[20:21], v4
	ds_read_b64 v[22:23], v5
	;; [unrolled: 1-line block ×3, first 2 shown]
	v_mov_b32_e32 v7, v6
	s_waitcnt lgkmcnt(3)
	v_pk_mul_f32 v[10:11], v[10:11], v[16:17]
	v_mov_b32_e32 v18, v9
	v_mov_b32_e32 v19, v9
	v_pk_fma_f32 v[24:25], v[6:7], v[16:17], v[10:11] op_sel:[0,0,1] op_sel_hi:[1,1,0] neg_lo:[0,0,1] neg_hi:[0,0,1]
	v_pk_fma_f32 v[6:7], v[6:7], v[16:17], v[10:11] op_sel:[0,0,1] op_sel_hi:[1,1,0]
	v_mov_b32_e32 v9, v8
	v_mov_b32_e32 v25, v7
	s_waitcnt lgkmcnt(2)
	v_pk_mul_f32 v[6:7], v[18:19], v[20:21]
	v_pk_add_f32 v[2:3], v[2:3], v[24:25] neg_lo:[0,1] neg_hi:[0,1]
	v_pk_fma_f32 v[10:11], v[8:9], v[20:21], v[6:7] op_sel:[0,0,1] op_sel_hi:[1,1,0] neg_lo:[0,0,1] neg_hi:[0,0,1]
	v_pk_fma_f32 v[6:7], v[8:9], v[20:21], v[6:7] op_sel:[0,0,1] op_sel_hi:[1,1,0]
	s_waitcnt lgkmcnt(0)
	v_cmp_ngt_f32_e64 s[14:15], |v4|, |v5|
	v_mov_b32_e32 v11, v7
	v_pk_mul_f32 v[6:7], v[12:13], v[22:23] op_sel:[1,1] op_sel_hi:[1,0]
	v_pk_add_f32 v[2:3], v[2:3], v[10:11] neg_lo:[0,1] neg_hi:[0,1]
	v_pk_fma_f32 v[8:9], v[12:13], v[22:23], v[6:7] neg_lo:[0,0,1] neg_hi:[0,0,1]
	v_pk_fma_f32 v[6:7], v[12:13], v[22:23], v[6:7] op_sel_hi:[0,1,1]
	v_mov_b32_e32 v9, v7
	v_pk_add_f32 v[2:3], v[2:3], v[8:9] neg_lo:[0,1] neg_hi:[0,1]
	s_mov_b64 s[10:11], -1
	s_and_b64 vcc, exec, s[14:15]
                                        ; implicit-def: $vgpr6_vgpr7
	s_cbranch_vccz .LBB167_72
; %bb.71:                               ;   in Loop: Header=BB167_56 Depth=1
	v_div_scale_f32 v6, s[10:11], v5, v5, v4
	v_rcp_f32_e32 v7, v6
	v_div_scale_f32 v8, vcc, v4, v5, v4
	v_fma_f32 v9, -v6, v7, 1.0
	v_fmac_f32_e32 v7, v9, v7
	v_mul_f32_e32 v9, v8, v7
	v_fma_f32 v10, -v6, v9, v8
	v_fmac_f32_e32 v9, v10, v7
	v_fma_f32 v6, -v6, v9, v8
	v_div_fmas_f32 v6, v6, v7, v9
	v_div_fixup_f32 v6, v6, v5, v4
	v_fma_f32 v7, v4, v6, v5
	v_div_scale_f32 v10, s[10:11], v7, v7, 1.0
	v_rcp_f32_e32 v11, v10
	v_pk_fma_f32 v[8:9], v[6:7], v[2:3], v[2:3] op_sel:[0,0,1] op_sel_hi:[1,1,0]
	s_mov_b64 s[10:11], 0
	v_fma_f32 v9, -v10, v11, 1.0
	v_fmac_f32_e32 v11, v9, v11
	v_div_scale_f32 v9, vcc, 1.0, v7, 1.0
	v_mul_f32_e32 v12, v9, v11
	v_fma_f32 v13, -v10, v12, v9
	v_fmac_f32_e32 v12, v13, v11
	v_fma_f32 v9, -v10, v12, v9
	v_div_fmas_f32 v9, v9, v11, v12
	v_div_fixup_f32 v9, v9, v7, 1.0
	v_fma_f32 v7, v6, v3, -v2
	v_mov_b32_e32 v6, v9
	v_pk_mul_f32 v[6:7], v[8:9], v[6:7]
.LBB167_72:                             ;   in Loop: Header=BB167_56 Depth=1
	s_andn2_b64 vcc, exec, s[10:11]
	s_cbranch_vccnz .LBB167_74
; %bb.73:                               ;   in Loop: Header=BB167_56 Depth=1
	v_div_scale_f32 v6, s[10:11], v4, v4, v5
	v_rcp_f32_e32 v7, v6
	v_div_scale_f32 v8, vcc, v5, v4, v5
	v_fma_f32 v9, -v6, v7, 1.0
	v_fmac_f32_e32 v7, v9, v7
	v_mul_f32_e32 v9, v8, v7
	v_fma_f32 v10, -v6, v9, v8
	v_fmac_f32_e32 v9, v10, v7
	v_fma_f32 v6, -v6, v9, v8
	v_div_fmas_f32 v6, v6, v7, v9
	v_div_fixup_f32 v6, v6, v4, v5
	v_fmac_f32_e32 v4, v5, v6
	v_div_scale_f32 v5, s[10:11], v4, v4, 1.0
	v_rcp_f32_e32 v7, v5
	s_nop 0
	v_fma_f32 v8, -v5, v7, 1.0
	v_fmac_f32_e32 v7, v8, v7
	v_div_scale_f32 v8, vcc, 1.0, v4, 1.0
	v_mul_f32_e32 v9, v8, v7
	v_fma_f32 v10, -v5, v9, v8
	v_fmac_f32_e32 v9, v10, v7
	v_fma_f32 v5, -v5, v9, v8
	v_div_fmas_f32 v5, v5, v7, v9
	v_pk_fma_f32 v[8:9], v[6:7], v[2:3], v[2:3] op_sel:[0,1,0] op_sel_hi:[1,0,1]
	v_pk_fma_f32 v[2:3], v[6:7], v[2:3], v[2:3] op_sel:[0,1,0] op_sel_hi:[0,0,1] neg_lo:[1,0,0] neg_hi:[1,0,0]
	v_div_fixup_f32 v4, v5, v4, 1.0
	v_mov_b32_e32 v9, v3
	v_pk_mul_f32 v[6:7], v[8:9], v[4:5] op_sel_hi:[1,0]
.LBB167_74:                             ;   in Loop: Header=BB167_56 Depth=1
	s_add_i32 s13, s12, -4
	s_sub_i32 s9, s9, 32
	s_cmp_lt_i32 s12, 7
	ds_write_b64 v15, v[6:7]
	s_cbranch_scc1 .LBB167_76
; %bb.75:                               ;   in Loop: Header=BB167_56 Depth=1
	s_mov_b32 s12, s13
	s_branch .LBB167_56
.LBB167_76:
	s_cmp_lt_i32 s13, 0
	s_cbranch_scc1 .LBB167_85
; %bb.77:
	s_mul_i32 s10, s26, 0xe0
	s_lshl_b32 s9, s13, 3
	s_add_i32 s9, s10, s9
	v_lshl_add_u32 v2, v0, 3, s10
	s_addk_i32 s9, 0xff20
	v_add_u32_e32 v8, 0x17a0, v2
	s_branch .LBB167_79
.LBB167_78:                             ;   in Loop: Header=BB167_79 Depth=1
	v_sub_co_u32_e64 v2, s[10:11], s13, 1
	s_nop 0
	v_readfirstlane_b32 s13, v2
	s_add_i32 s9, s9, -8
	s_and_b64 vcc, exec, s[10:11]
	ds_write_b64 v9, v[6:7]
	s_cbranch_vccnz .LBB167_85
.LBB167_79:                             ; =>This Loop Header: Depth=1
                                        ;     Child Loop BB167_80 Depth 2
	s_mul_i32 s10, s13, 0xe0
	v_add_u32_e32 v9, s10, v1
	ds_read_b64 v[2:3], v9
	s_cmp_le_i32 s7, s13
	v_mov_b32_e32 v4, v8
	s_mov_b32 s11, s9
	s_mov_b32 s12, s7
	s_cbranch_scc1 .LBB167_81
.LBB167_80:                             ;   Parent Loop BB167_79 Depth=1
                                        ; =>  This Inner Loop Header: Depth=2
	v_mov_b32_e32 v5, s11
	ds_read_b64 v[6:7], v4
	ds_read_b64 v[10:11], v5
	s_add_i32 s12, s12, -1
	s_addk_i32 s11, 0xff20
	v_add_u32_e32 v4, 0xffffff20, v4
	s_cmp_le_u32 s12, s13
	s_waitcnt lgkmcnt(0)
	v_pk_mul_f32 v[12:13], v[10:11], v[6:7] op_sel:[1,1] op_sel_hi:[0,1]
	v_pk_fma_f32 v[14:15], v[10:11], v[6:7], v[12:13] op_sel_hi:[1,0,1]
	v_pk_fma_f32 v[6:7], v[10:11], v[6:7], v[12:13] op_sel_hi:[1,0,1] neg_lo:[0,0,1] neg_hi:[0,0,1]
	s_nop 0
	v_mov_b32_e32 v7, v15
	v_pk_add_f32 v[2:3], v[2:3], v[6:7] neg_lo:[0,1] neg_hi:[0,1]
	s_cbranch_scc0 .LBB167_80
.LBB167_81:                             ;   in Loop: Header=BB167_79 Depth=1
	s_lshl_b32 s11, s13, 3
	s_add_i32 s10, s11, s10
	v_mov_b32_e32 v4, s10
	ds_read_b64 v[4:5], v4
	s_mov_b64 s[10:11], -1
                                        ; implicit-def: $vgpr6_vgpr7
	s_waitcnt lgkmcnt(0)
	v_cmp_ngt_f32_e64 s[14:15], |v4|, |v5|
	s_and_b64 vcc, exec, s[14:15]
	s_cbranch_vccz .LBB167_83
; %bb.82:                               ;   in Loop: Header=BB167_79 Depth=1
	v_div_scale_f32 v6, s[10:11], v5, v5, v4
	v_rcp_f32_e32 v7, v6
	v_div_scale_f32 v10, vcc, v4, v5, v4
	v_fma_f32 v11, -v6, v7, 1.0
	v_fmac_f32_e32 v7, v11, v7
	v_mul_f32_e32 v11, v10, v7
	v_fma_f32 v12, -v6, v11, v10
	v_fmac_f32_e32 v11, v12, v7
	v_fma_f32 v6, -v6, v11, v10
	v_div_fmas_f32 v6, v6, v7, v11
	v_div_fixup_f32 v6, v6, v5, v4
	v_fma_f32 v7, v4, v6, v5
	v_div_scale_f32 v10, s[10:11], v7, v7, 1.0
	v_rcp_f32_e32 v11, v10
	s_mov_b64 s[10:11], 0
	v_fma_f32 v12, -v10, v11, 1.0
	v_fmac_f32_e32 v11, v12, v11
	v_div_scale_f32 v12, vcc, 1.0, v7, 1.0
	v_mul_f32_e32 v13, v12, v11
	v_fma_f32 v14, -v10, v13, v12
	v_fmac_f32_e32 v13, v14, v11
	v_fma_f32 v10, -v10, v13, v12
	v_div_fmas_f32 v10, v10, v11, v13
	v_div_fixup_f32 v10, v10, v7, 1.0
	v_pk_fma_f32 v[12:13], v[2:3], v[6:7], v[2:3] op_sel:[0,0,1] op_sel_hi:[1,0,0] neg_lo:[0,0,1] neg_hi:[0,0,1]
	v_pk_fma_f32 v[6:7], v[2:3], v[6:7], v[2:3] op_sel:[0,0,1] op_sel_hi:[1,0,0]
	s_nop 0
	v_mov_b32_e32 v7, v13
	v_pk_mul_f32 v[6:7], v[6:7], v[10:11] op_sel_hi:[1,0]
.LBB167_83:                             ;   in Loop: Header=BB167_79 Depth=1
	s_andn2_b64 vcc, exec, s[10:11]
	s_cbranch_vccnz .LBB167_78
; %bb.84:                               ;   in Loop: Header=BB167_79 Depth=1
	v_div_scale_f32 v6, s[10:11], v4, v4, v5
	v_rcp_f32_e32 v7, v6
	v_div_scale_f32 v10, vcc, v5, v4, v5
	v_fma_f32 v11, -v6, v7, 1.0
	v_fmac_f32_e32 v7, v11, v7
	v_mul_f32_e32 v11, v10, v7
	v_fma_f32 v12, -v6, v11, v10
	v_fmac_f32_e32 v11, v12, v7
	v_fma_f32 v6, -v6, v11, v10
	v_div_fmas_f32 v6, v6, v7, v11
	v_div_fixup_f32 v6, v6, v4, v5
	v_fmac_f32_e32 v4, v5, v6
	v_div_scale_f32 v5, s[10:11], v4, v4, 1.0
	v_rcp_f32_e32 v7, v5
	s_nop 0
	v_fma_f32 v10, -v5, v7, 1.0
	v_fmac_f32_e32 v7, v10, v7
	v_div_scale_f32 v10, vcc, 1.0, v4, 1.0
	v_mul_f32_e32 v11, v10, v7
	v_fma_f32 v12, -v5, v11, v10
	v_fmac_f32_e32 v11, v12, v7
	v_fma_f32 v5, -v5, v11, v10
	v_div_fmas_f32 v5, v5, v7, v11
	v_pk_fma_f32 v[10:11], v[2:3], v[6:7], v[2:3] op_sel:[1,0,0] op_sel_hi:[0,0,1] neg_lo:[1,0,0] neg_hi:[1,0,0]
	v_pk_fma_f32 v[2:3], v[2:3], v[6:7], v[2:3] op_sel:[1,0,0] op_sel_hi:[0,0,1]
	v_div_fixup_f32 v4, v5, v4, 1.0
	v_mov_b32_e32 v3, v11
	v_pk_mul_f32 v[6:7], v[2:3], v[4:5] op_sel_hi:[1,0]
	s_branch .LBB167_78
.LBB167_85:
	s_mov_b64 s[14:15], 0
.LBB167_86:
	s_andn2_b64 vcc, exec, s[14:15]
	s_cbranch_vccnz .LBB167_118
; %bb.87:
	s_andn2_b64 vcc, exec, s[4:5]
	s_mul_i32 s9, s26, 0xe0
	s_mov_b32 s12, s7
	s_cbranch_vccnz .LBB167_109
; %bb.88:
	v_lshl_add_u32 v2, v0, 3, s9
	s_mul_i32 s4, s26, 0xe8
	v_add_u32_e32 v14, 0x17a0, v2
	s_add_i32 s10, s4, 0xfffffc78
	s_mov_b32 s11, s7
.LBB167_89:                             ; =>This Loop Header: Depth=1
                                        ;     Child Loop BB167_90 Depth 2
	s_mul_i32 s12, s11, 28
	v_lshl_add_u32 v18, s12, 3, v1
	v_add_u32_e32 v17, 0xffffff20, v18
	v_add_u32_e32 v16, 0xfffffe40, v18
	;; [unrolled: 1-line block ×3, first 2 shown]
	ds_read_b64 v[2:3], v18
	ds_read_b64 v[12:13], v17
	;; [unrolled: 1-line block ×4, first 2 shown]
	s_cmp_le_i32 s7, s11
	s_mov_b32 s4, s10
	v_mov_b32_e32 v4, v14
	s_mov_b32 s5, s7
	s_cbranch_scc1 .LBB167_91
.LBB167_90:                             ;   Parent Loop BB167_89 Depth=1
                                        ; =>  This Inner Loop Header: Depth=2
	v_mov_b32_e32 v5, s4
	ds_read_b64 v[10:11], v4
	ds_read2_b64 v[20:23], v5 offset0:56 offset1:84
	ds_read2_b64 v[24:27], v5 offset1:28
	s_add_i32 s5, s5, -1
	s_add_i32 s4, s4, -8
	v_add_u32_e32 v4, 0xffffff20, v4
	s_waitcnt lgkmcnt(1)
	v_mul_f32_e32 v5, v23, v11
	v_mul_f32_e32 v19, v22, v11
	;; [unrolled: 1-line block ×4, first 2 shown]
	s_waitcnt lgkmcnt(0)
	v_pk_mul_f32 v[28:29], v[26:27], v[10:11] op_sel:[0,1]
	v_pk_mul_f32 v[30:31], v[24:25], v[10:11] op_sel:[0,1]
	v_fma_f32 v5, v22, v10, -v5
	v_fmac_f32_e32 v19, v23, v10
	v_fma_f32 v32, v20, v10, -v32
	v_fmac_f32_e32 v33, v20, v11
	v_pk_fma_f32 v[20:21], v[26:27], v[10:11], v[28:29] op_sel:[0,0,1] op_sel_hi:[1,1,0] neg_lo:[0,0,1] neg_hi:[0,0,1]
	v_pk_fma_f32 v[22:23], v[26:27], v[10:11], v[28:29] op_sel:[0,0,1] op_sel_hi:[1,0,0]
	v_pk_fma_f32 v[26:27], v[24:25], v[10:11], v[30:31] op_sel:[0,0,1] op_sel_hi:[1,1,0] neg_lo:[0,0,1] neg_hi:[0,0,1]
	v_pk_fma_f32 v[10:11], v[24:25], v[10:11], v[30:31] op_sel:[0,0,1] op_sel_hi:[1,0,0]
	v_mov_b32_e32 v21, v23
	v_mov_b32_e32 v27, v11
	s_cmp_le_i32 s5, s11
	v_sub_f32_e32 v2, v2, v5
	v_sub_f32_e32 v3, v3, v19
	;; [unrolled: 1-line block ×4, first 2 shown]
	v_pk_add_f32 v[8:9], v[8:9], v[20:21] neg_lo:[0,1] neg_hi:[0,1]
	v_pk_add_f32 v[6:7], v[6:7], v[26:27] neg_lo:[0,1] neg_hi:[0,1]
	s_cbranch_scc0 .LBB167_90
.LBB167_91:                             ;   in Loop: Header=BB167_89 Depth=1
	s_mul_i32 s4, s11, 0xe8
	v_mov_b32_e32 v4, s4
	ds_read_b64 v[4:5], v4
	s_mov_b64 s[4:5], -1
                                        ; implicit-def: $vgpr11
	s_waitcnt lgkmcnt(0)
	v_cmp_ngt_f32_e64 s[14:15], |v4|, |v5|
	s_and_b64 vcc, exec, s[14:15]
	s_cbranch_vccz .LBB167_93
; %bb.92:                               ;   in Loop: Header=BB167_89 Depth=1
	v_div_scale_f32 v10, s[4:5], v5, v5, v4
	v_rcp_f32_e32 v11, v10
	v_div_scale_f32 v19, vcc, v4, v5, v4
	v_fma_f32 v20, -v10, v11, 1.0
	v_fmac_f32_e32 v11, v20, v11
	v_mul_f32_e32 v20, v19, v11
	v_fma_f32 v21, -v10, v20, v19
	v_fmac_f32_e32 v20, v21, v11
	v_fma_f32 v10, -v10, v20, v19
	v_div_fmas_f32 v10, v10, v11, v20
	v_div_fixup_f32 v11, v10, v5, v4
	v_fma_f32 v10, v4, v11, v5
	v_div_scale_f32 v19, s[4:5], v10, v10, 1.0
	v_rcp_f32_e32 v20, v19
	s_mov_b64 s[4:5], 0
	v_fma_f32 v21, -v19, v20, 1.0
	v_fmac_f32_e32 v20, v21, v20
	v_div_scale_f32 v21, vcc, 1.0, v10, 1.0
	v_mul_f32_e32 v22, v21, v20
	v_fma_f32 v23, -v19, v22, v21
	v_fmac_f32_e32 v22, v23, v20
	v_fma_f32 v19, -v19, v22, v21
	v_div_fmas_f32 v19, v19, v20, v22
	v_div_fixup_f32 v19, v19, v10, 1.0
	v_fma_f32 v10, v2, v11, v3
	v_fma_f32 v11, v3, v11, -v2
	v_mul_f32_e32 v10, v10, v19
	v_mul_f32_e32 v11, v11, v19
.LBB167_93:                             ;   in Loop: Header=BB167_89 Depth=1
	s_andn2_b64 vcc, exec, s[4:5]
	s_cbranch_vccnz .LBB167_95
; %bb.94:                               ;   in Loop: Header=BB167_89 Depth=1
	v_div_scale_f32 v10, s[4:5], v4, v4, v5
	v_rcp_f32_e32 v11, v10
	v_div_scale_f32 v19, vcc, v5, v4, v5
	v_fma_f32 v20, -v10, v11, 1.0
	v_fmac_f32_e32 v11, v20, v11
	v_mul_f32_e32 v20, v19, v11
	v_fma_f32 v21, -v10, v20, v19
	v_fmac_f32_e32 v20, v21, v11
	v_fma_f32 v10, -v10, v20, v19
	v_div_fmas_f32 v10, v10, v11, v20
	v_div_fixup_f32 v11, v10, v4, v5
	v_fmac_f32_e32 v4, v5, v11
	v_div_scale_f32 v5, s[4:5], v4, v4, 1.0
	v_rcp_f32_e32 v10, v5
	s_nop 0
	v_fma_f32 v19, -v5, v10, 1.0
	v_fmac_f32_e32 v10, v19, v10
	v_div_scale_f32 v19, vcc, 1.0, v4, 1.0
	v_mul_f32_e32 v20, v19, v10
	v_fma_f32 v21, -v5, v20, v19
	v_fmac_f32_e32 v20, v21, v10
	v_fma_f32 v5, -v5, v20, v19
	v_div_fmas_f32 v5, v5, v10, v20
	v_div_fixup_f32 v4, v5, v4, 1.0
	v_fma_f32 v5, v3, v11, v2
	v_fma_f32 v2, -v2, v11, v3
	v_mul_f32_e32 v10, v5, v4
	v_mul_f32_e32 v11, v2, v4
.LBB167_95:                             ;   in Loop: Header=BB167_89 Depth=1
	s_lshl_b32 s12, s12, 3
	s_lshl_b32 s13, s11, 3
	s_addk_i32 s12, 0xff20
	s_add_i32 s4, s13, s12
	s_add_i32 s4, s4, -8
	v_mov_b32_e32 v2, s4
	ds_read2_b64 v[2:5], v2 offset1:1
	ds_write_b64 v18, v[10:11]
	s_mov_b64 s[4:5], -1
	s_waitcnt lgkmcnt(1)
	v_mul_f32_e32 v18, v11, v5
	v_mul_f32_e32 v5, v10, v5
	v_fma_f32 v18, v10, v4, -v18
	v_fmac_f32_e32 v5, v11, v4
	v_cmp_ngt_f32_e64 s[14:15], |v2|, |v3|
	v_sub_f32_e32 v4, v12, v18
	v_sub_f32_e32 v5, v13, v5
	s_and_b64 vcc, exec, s[14:15]
                                        ; implicit-def: $vgpr13
	s_cbranch_vccz .LBB167_97
; %bb.96:                               ;   in Loop: Header=BB167_89 Depth=1
	v_div_scale_f32 v12, s[4:5], v3, v3, v2
	v_rcp_f32_e32 v13, v12
	v_div_scale_f32 v18, vcc, v2, v3, v2
	v_fma_f32 v19, -v12, v13, 1.0
	v_fmac_f32_e32 v13, v19, v13
	v_mul_f32_e32 v19, v18, v13
	v_fma_f32 v20, -v12, v19, v18
	v_fmac_f32_e32 v19, v20, v13
	v_fma_f32 v12, -v12, v19, v18
	v_div_fmas_f32 v12, v12, v13, v19
	v_div_fixup_f32 v13, v12, v3, v2
	v_fma_f32 v12, v2, v13, v3
	v_div_scale_f32 v18, s[4:5], v12, v12, 1.0
	v_rcp_f32_e32 v19, v18
	s_mov_b64 s[4:5], 0
	v_fma_f32 v20, -v18, v19, 1.0
	v_fmac_f32_e32 v19, v20, v19
	v_div_scale_f32 v20, vcc, 1.0, v12, 1.0
	v_mul_f32_e32 v21, v20, v19
	v_fma_f32 v22, -v18, v21, v20
	v_fmac_f32_e32 v21, v22, v19
	v_fma_f32 v18, -v18, v21, v20
	v_div_fmas_f32 v18, v18, v19, v21
	v_div_fixup_f32 v18, v18, v12, 1.0
	v_fma_f32 v12, v13, v4, v5
	v_fma_f32 v13, v13, v5, -v4
	v_mul_f32_e32 v12, v12, v18
	v_mul_f32_e32 v13, v13, v18
.LBB167_97:                             ;   in Loop: Header=BB167_89 Depth=1
	s_andn2_b64 vcc, exec, s[4:5]
	s_cbranch_vccnz .LBB167_99
; %bb.98:                               ;   in Loop: Header=BB167_89 Depth=1
	v_div_scale_f32 v12, s[4:5], v2, v2, v3
	v_rcp_f32_e32 v13, v12
	v_div_scale_f32 v18, vcc, v3, v2, v3
	v_fma_f32 v19, -v12, v13, 1.0
	v_fmac_f32_e32 v13, v19, v13
	v_mul_f32_e32 v19, v18, v13
	v_fma_f32 v20, -v12, v19, v18
	v_fmac_f32_e32 v19, v20, v13
	v_fma_f32 v12, -v12, v19, v18
	v_div_fmas_f32 v12, v12, v13, v19
	v_div_fixup_f32 v13, v12, v2, v3
	v_fmac_f32_e32 v2, v3, v13
	v_div_scale_f32 v3, s[4:5], v2, v2, 1.0
	v_rcp_f32_e32 v12, v3
	s_nop 0
	v_fma_f32 v18, -v3, v12, 1.0
	v_fmac_f32_e32 v12, v18, v12
	v_div_scale_f32 v18, vcc, 1.0, v2, 1.0
	v_mul_f32_e32 v19, v18, v12
	v_fma_f32 v20, -v3, v19, v18
	v_fmac_f32_e32 v19, v20, v12
	v_fma_f32 v3, -v3, v19, v18
	v_div_fmas_f32 v3, v3, v12, v19
	v_div_fixup_f32 v2, v3, v2, 1.0
	v_fma_f32 v3, v13, v5, v4
	v_mul_f32_e32 v12, v3, v2
	v_fma_f32 v3, -v13, v4, v5
	v_mul_f32_e32 v13, v3, v2
.LBB167_99:                             ;   in Loop: Header=BB167_89 Depth=1
	s_addk_i32 s12, 0xff20
	s_add_i32 s12, s12, s13
	v_mov_b32_e32 v2, s12
	ds_read_b64 v[18:19], v2
	s_add_i32 s4, s12, -16
	v_mov_b32_e32 v2, s4
	ds_read2_b64 v[2:5], v2 offset1:1
	v_mov_b32_e32 v20, v11
	s_waitcnt lgkmcnt(1)
	v_pk_mul_f32 v[20:21], v[20:21], v[18:19] op_sel_hi:[0,1]
	v_pk_fma_f32 v[22:23], v[10:11], v[18:19], v[20:21] op_sel:[0,0,1] op_sel_hi:[1,1,0] neg_lo:[0,0,1] neg_hi:[0,0,1]
	v_pk_fma_f32 v[18:19], v[10:11], v[18:19], v[20:21] op_sel:[0,0,1] op_sel_hi:[0,1,0]
	v_mov_b32_e32 v18, v13
	v_mov_b32_e32 v23, v19
	s_waitcnt lgkmcnt(0)
	v_pk_mul_f32 v[18:19], v[18:19], v[4:5] op_sel_hi:[0,1]
	v_pk_fma_f32 v[20:21], v[12:13], v[4:5], v[18:19] op_sel:[0,0,1] op_sel_hi:[1,1,0] neg_lo:[0,0,1] neg_hi:[0,0,1]
	v_pk_fma_f32 v[4:5], v[12:13], v[4:5], v[18:19] op_sel:[0,0,1] op_sel_hi:[0,1,0]
	v_pk_add_f32 v[8:9], v[8:9], v[22:23] neg_lo:[0,1] neg_hi:[0,1]
	v_mov_b32_e32 v21, v5
	v_cmp_ngt_f32_e64 s[14:15], |v2|, |v3|
	v_pk_add_f32 v[4:5], v[8:9], v[20:21] neg_lo:[0,1] neg_hi:[0,1]
	s_mov_b64 s[4:5], -1
	s_and_b64 vcc, exec, s[14:15]
	ds_write_b64 v17, v[12:13]
                                        ; implicit-def: $vgpr8_vgpr9
	s_cbranch_vccz .LBB167_101
; %bb.100:                              ;   in Loop: Header=BB167_89 Depth=1
	v_div_scale_f32 v8, s[4:5], v3, v3, v2
	v_rcp_f32_e32 v9, v8
	v_div_scale_f32 v17, vcc, v2, v3, v2
	v_fma_f32 v18, -v8, v9, 1.0
	v_fmac_f32_e32 v9, v18, v9
	v_mul_f32_e32 v18, v17, v9
	v_fma_f32 v19, -v8, v18, v17
	v_fmac_f32_e32 v18, v19, v9
	v_fma_f32 v8, -v8, v18, v17
	v_div_fmas_f32 v8, v8, v9, v18
	v_div_fixup_f32 v8, v8, v3, v2
	v_fma_f32 v9, v2, v8, v3
	v_div_scale_f32 v17, s[4:5], v9, v9, 1.0
	v_rcp_f32_e32 v20, v17
	v_pk_fma_f32 v[18:19], v[8:9], v[4:5], v[4:5] op_sel:[0,0,1] op_sel_hi:[1,1,0]
	s_mov_b64 s[4:5], 0
	v_fma_f32 v19, -v17, v20, 1.0
	v_fmac_f32_e32 v20, v19, v20
	v_div_scale_f32 v19, vcc, 1.0, v9, 1.0
	v_mul_f32_e32 v21, v19, v20
	v_fma_f32 v22, -v17, v21, v19
	v_fmac_f32_e32 v21, v22, v20
	v_fma_f32 v17, -v17, v21, v19
	v_div_fmas_f32 v17, v17, v20, v21
	v_div_fixup_f32 v19, v17, v9, 1.0
	v_fma_f32 v9, v8, v5, -v4
	v_mov_b32_e32 v8, v19
	v_pk_mul_f32 v[8:9], v[18:19], v[8:9]
.LBB167_101:                            ;   in Loop: Header=BB167_89 Depth=1
	s_andn2_b64 vcc, exec, s[4:5]
	s_cbranch_vccnz .LBB167_103
; %bb.102:                              ;   in Loop: Header=BB167_89 Depth=1
	v_div_scale_f32 v8, s[4:5], v2, v2, v3
	v_rcp_f32_e32 v9, v8
	v_div_scale_f32 v17, vcc, v3, v2, v3
	v_fma_f32 v18, -v8, v9, 1.0
	v_fmac_f32_e32 v9, v18, v9
	v_mul_f32_e32 v18, v17, v9
	v_fma_f32 v19, -v8, v18, v17
	v_fmac_f32_e32 v18, v19, v9
	v_fma_f32 v8, -v8, v18, v17
	v_div_fmas_f32 v8, v8, v9, v18
	v_div_fixup_f32 v8, v8, v2, v3
	v_fmac_f32_e32 v2, v3, v8
	v_div_scale_f32 v3, s[4:5], v2, v2, 1.0
	v_rcp_f32_e32 v9, v3
	s_nop 0
	v_fma_f32 v17, -v3, v9, 1.0
	v_fmac_f32_e32 v9, v17, v9
	v_div_scale_f32 v17, vcc, 1.0, v2, 1.0
	v_mul_f32_e32 v18, v17, v9
	v_fma_f32 v19, -v3, v18, v17
	v_fmac_f32_e32 v18, v19, v9
	v_fma_f32 v3, -v3, v18, v17
	v_div_fmas_f32 v3, v3, v9, v18
	v_pk_fma_f32 v[18:19], v[8:9], v[4:5], v[4:5] op_sel:[0,1,0] op_sel_hi:[1,0,1]
	v_pk_fma_f32 v[4:5], v[8:9], v[4:5], v[4:5] op_sel:[0,1,0] op_sel_hi:[0,0,1] neg_lo:[1,0,0] neg_hi:[1,0,0]
	v_div_fixup_f32 v2, v3, v2, 1.0
	v_mov_b32_e32 v19, v5
	v_pk_mul_f32 v[8:9], v[18:19], v[2:3] op_sel_hi:[1,0]
.LBB167_103:                            ;   in Loop: Header=BB167_89 Depth=1
	s_add_i32 s4, s12, 0xffffff18
	v_mov_b32_e32 v2, s4
	ds_read2_b64 v[18:21], v2 offset1:1
	s_add_i32 s4, s12, 0xffffff08
	v_mov_b32_e32 v2, s4
	v_mov_b32_e32 v22, v11
	;; [unrolled: 1-line block ×3, first 2 shown]
	ds_read2_b64 v[2:5], v2 offset1:1
	v_mov_b32_e32 v11, v10
	ds_write_b64 v16, v[8:9]
	s_waitcnt lgkmcnt(2)
	v_pk_mul_f32 v[16:17], v[22:23], v[20:21]
	v_mov_b32_e32 v24, v13
	v_mov_b32_e32 v25, v13
	v_pk_fma_f32 v[22:23], v[10:11], v[20:21], v[16:17] op_sel:[0,0,1] op_sel_hi:[1,1,0] neg_lo:[0,0,1] neg_hi:[0,0,1]
	v_pk_fma_f32 v[10:11], v[10:11], v[20:21], v[16:17] op_sel:[0,0,1] op_sel_hi:[1,1,0]
	v_mov_b32_e32 v13, v12
	v_mov_b32_e32 v23, v11
	v_pk_mul_f32 v[10:11], v[24:25], v[18:19]
	v_pk_add_f32 v[6:7], v[6:7], v[22:23] neg_lo:[0,1] neg_hi:[0,1]
	v_pk_fma_f32 v[16:17], v[12:13], v[18:19], v[10:11] op_sel:[0,0,1] op_sel_hi:[1,1,0] neg_lo:[0,0,1] neg_hi:[0,0,1]
	v_pk_fma_f32 v[10:11], v[12:13], v[18:19], v[10:11] op_sel:[0,0,1] op_sel_hi:[1,1,0]
	s_waitcnt lgkmcnt(1)
	v_cmp_ngt_f32_e64 s[12:13], |v2|, |v3|
	v_mov_b32_e32 v17, v11
	v_pk_mul_f32 v[10:11], v[8:9], v[4:5] op_sel:[1,1] op_sel_hi:[1,0]
	v_pk_add_f32 v[6:7], v[6:7], v[16:17] neg_lo:[0,1] neg_hi:[0,1]
	v_pk_fma_f32 v[12:13], v[8:9], v[4:5], v[10:11] neg_lo:[0,0,1] neg_hi:[0,0,1]
	v_pk_fma_f32 v[4:5], v[8:9], v[4:5], v[10:11] op_sel_hi:[0,1,1]
	v_mov_b32_e32 v13, v5
	v_pk_add_f32 v[4:5], v[6:7], v[12:13] neg_lo:[0,1] neg_hi:[0,1]
	s_mov_b64 s[4:5], -1
	s_and_b64 vcc, exec, s[12:13]
                                        ; implicit-def: $vgpr6_vgpr7
	s_cbranch_vccz .LBB167_105
; %bb.104:                              ;   in Loop: Header=BB167_89 Depth=1
	v_div_scale_f32 v6, s[4:5], v3, v3, v2
	v_rcp_f32_e32 v7, v6
	v_div_scale_f32 v8, vcc, v2, v3, v2
	v_fma_f32 v9, -v6, v7, 1.0
	v_fmac_f32_e32 v7, v9, v7
	v_mul_f32_e32 v9, v8, v7
	v_fma_f32 v10, -v6, v9, v8
	v_fmac_f32_e32 v9, v10, v7
	v_fma_f32 v6, -v6, v9, v8
	v_div_fmas_f32 v6, v6, v7, v9
	v_div_fixup_f32 v6, v6, v3, v2
	v_fma_f32 v7, v2, v6, v3
	v_div_scale_f32 v10, s[4:5], v7, v7, 1.0
	v_rcp_f32_e32 v11, v10
	v_pk_fma_f32 v[8:9], v[6:7], v[4:5], v[4:5] op_sel:[0,0,1] op_sel_hi:[1,1,0]
	s_mov_b64 s[4:5], 0
	v_fma_f32 v9, -v10, v11, 1.0
	v_fmac_f32_e32 v11, v9, v11
	v_div_scale_f32 v9, vcc, 1.0, v7, 1.0
	v_mul_f32_e32 v12, v9, v11
	v_fma_f32 v13, -v10, v12, v9
	v_fmac_f32_e32 v12, v13, v11
	v_fma_f32 v9, -v10, v12, v9
	v_div_fmas_f32 v9, v9, v11, v12
	v_div_fixup_f32 v9, v9, v7, 1.0
	v_fma_f32 v7, v6, v5, -v4
	v_mov_b32_e32 v6, v9
	v_pk_mul_f32 v[6:7], v[8:9], v[6:7]
.LBB167_105:                            ;   in Loop: Header=BB167_89 Depth=1
	s_andn2_b64 vcc, exec, s[4:5]
	s_cbranch_vccnz .LBB167_107
; %bb.106:                              ;   in Loop: Header=BB167_89 Depth=1
	v_div_scale_f32 v6, s[4:5], v2, v2, v3
	v_rcp_f32_e32 v7, v6
	v_div_scale_f32 v8, vcc, v3, v2, v3
	v_fma_f32 v9, -v6, v7, 1.0
	v_fmac_f32_e32 v7, v9, v7
	v_mul_f32_e32 v9, v8, v7
	v_fma_f32 v10, -v6, v9, v8
	v_fmac_f32_e32 v9, v10, v7
	v_fma_f32 v6, -v6, v9, v8
	v_div_fmas_f32 v6, v6, v7, v9
	v_div_fixup_f32 v6, v6, v2, v3
	v_fmac_f32_e32 v2, v3, v6
	v_div_scale_f32 v3, s[4:5], v2, v2, 1.0
	v_rcp_f32_e32 v7, v3
	s_nop 0
	v_fma_f32 v8, -v3, v7, 1.0
	v_fmac_f32_e32 v7, v8, v7
	v_div_scale_f32 v8, vcc, 1.0, v2, 1.0
	v_mul_f32_e32 v9, v8, v7
	v_fma_f32 v10, -v3, v9, v8
	v_fmac_f32_e32 v9, v10, v7
	v_fma_f32 v3, -v3, v9, v8
	v_div_fmas_f32 v3, v3, v7, v9
	v_pk_fma_f32 v[8:9], v[6:7], v[4:5], v[4:5] op_sel:[0,1,0] op_sel_hi:[1,0,1]
	v_pk_fma_f32 v[4:5], v[6:7], v[4:5], v[4:5] op_sel:[0,1,0] op_sel_hi:[0,0,1] neg_lo:[1,0,0] neg_hi:[1,0,0]
	v_div_fixup_f32 v2, v3, v2, 1.0
	v_mov_b32_e32 v9, v5
	v_pk_mul_f32 v[6:7], v[8:9], v[2:3] op_sel_hi:[1,0]
.LBB167_107:                            ;   in Loop: Header=BB167_89 Depth=1
	s_add_i32 s12, s11, -4
	s_addk_i32 s10, 0xfc80
	s_cmp_lt_i32 s11, 7
	ds_write_b64 v15, v[6:7]
	s_cbranch_scc1 .LBB167_109
; %bb.108:                              ;   in Loop: Header=BB167_89 Depth=1
	s_mov_b32 s11, s12
	s_branch .LBB167_89
.LBB167_109:
	s_cmp_lt_i32 s12, 0
	s_cbranch_scc1 .LBB167_118
; %bb.110:
	s_mul_i32 s4, s12, 0xe0
	s_lshl_b32 s5, s26, 3
	v_lshl_add_u32 v2, v0, 3, s9
	s_add_i32 s4, s4, s5
	v_add_u32_e32 v8, 0x17a0, v2
	s_add_i32 s9, s4, -8
	s_branch .LBB167_112
.LBB167_111:                            ;   in Loop: Header=BB167_112 Depth=1
	v_sub_co_u32_e64 v2, s[4:5], s12, 1
	s_nop 0
	v_readfirstlane_b32 s12, v2
	s_addk_i32 s9, 0xff20
	s_and_b64 vcc, exec, s[4:5]
	ds_write_b64 v9, v[6:7]
	s_cbranch_vccnz .LBB167_118
.LBB167_112:                            ; =>This Loop Header: Depth=1
                                        ;     Child Loop BB167_113 Depth 2
	s_mul_i32 s4, s12, 0xe0
	v_add_u32_e32 v9, s4, v1
	ds_read_b64 v[2:3], v9
	s_cmp_le_i32 s7, s12
	s_mov_b32 s4, s9
	v_mov_b32_e32 v4, v8
	s_mov_b32 s5, s7
	s_cbranch_scc1 .LBB167_114
.LBB167_113:                            ;   Parent Loop BB167_112 Depth=1
                                        ; =>  This Inner Loop Header: Depth=2
	v_mov_b32_e32 v5, s4
	ds_read_b64 v[6:7], v4
	ds_read_b64 v[10:11], v5
	s_add_i32 s5, s5, -1
	s_add_i32 s4, s4, -8
	v_add_u32_e32 v4, 0xffffff20, v4
	s_cmp_le_u32 s5, s12
	s_waitcnt lgkmcnt(0)
	v_pk_mul_f32 v[12:13], v[10:11], v[6:7] op_sel:[1,1] op_sel_hi:[0,1]
	v_pk_fma_f32 v[14:15], v[10:11], v[6:7], v[12:13] op_sel_hi:[1,0,1]
	v_pk_fma_f32 v[6:7], v[10:11], v[6:7], v[12:13] op_sel_hi:[1,0,1] neg_lo:[0,0,1] neg_hi:[0,0,1]
	s_nop 0
	v_mov_b32_e32 v7, v15
	v_pk_add_f32 v[2:3], v[2:3], v[6:7] neg_lo:[0,1] neg_hi:[0,1]
	s_cbranch_scc0 .LBB167_113
.LBB167_114:                            ;   in Loop: Header=BB167_112 Depth=1
	s_mul_i32 s4, s12, 0xe8
	v_mov_b32_e32 v4, s4
	ds_read_b64 v[4:5], v4
	s_mov_b64 s[4:5], -1
                                        ; implicit-def: $vgpr6_vgpr7
	s_waitcnt lgkmcnt(0)
	v_cmp_ngt_f32_e64 s[10:11], |v4|, |v5|
	s_and_b64 vcc, exec, s[10:11]
	s_cbranch_vccz .LBB167_116
; %bb.115:                              ;   in Loop: Header=BB167_112 Depth=1
	v_div_scale_f32 v6, s[4:5], v5, v5, v4
	v_rcp_f32_e32 v7, v6
	v_div_scale_f32 v10, vcc, v4, v5, v4
	v_fma_f32 v11, -v6, v7, 1.0
	v_fmac_f32_e32 v7, v11, v7
	v_mul_f32_e32 v11, v10, v7
	v_fma_f32 v12, -v6, v11, v10
	v_fmac_f32_e32 v11, v12, v7
	v_fma_f32 v6, -v6, v11, v10
	v_div_fmas_f32 v6, v6, v7, v11
	v_div_fixup_f32 v6, v6, v5, v4
	v_fma_f32 v7, v4, v6, v5
	v_div_scale_f32 v10, s[4:5], v7, v7, 1.0
	v_rcp_f32_e32 v11, v10
	s_mov_b64 s[4:5], 0
	v_fma_f32 v12, -v10, v11, 1.0
	v_fmac_f32_e32 v11, v12, v11
	v_div_scale_f32 v12, vcc, 1.0, v7, 1.0
	v_mul_f32_e32 v13, v12, v11
	v_fma_f32 v14, -v10, v13, v12
	v_fmac_f32_e32 v13, v14, v11
	v_fma_f32 v10, -v10, v13, v12
	v_div_fmas_f32 v10, v10, v11, v13
	v_div_fixup_f32 v10, v10, v7, 1.0
	v_pk_fma_f32 v[12:13], v[2:3], v[6:7], v[2:3] op_sel:[0,0,1] op_sel_hi:[1,0,0] neg_lo:[0,0,1] neg_hi:[0,0,1]
	v_pk_fma_f32 v[6:7], v[2:3], v[6:7], v[2:3] op_sel:[0,0,1] op_sel_hi:[1,0,0]
	s_nop 0
	v_mov_b32_e32 v7, v13
	v_pk_mul_f32 v[6:7], v[6:7], v[10:11] op_sel_hi:[1,0]
.LBB167_116:                            ;   in Loop: Header=BB167_112 Depth=1
	s_andn2_b64 vcc, exec, s[4:5]
	s_cbranch_vccnz .LBB167_111
; %bb.117:                              ;   in Loop: Header=BB167_112 Depth=1
	v_div_scale_f32 v6, s[4:5], v4, v4, v5
	v_rcp_f32_e32 v7, v6
	v_div_scale_f32 v10, vcc, v5, v4, v5
	v_fma_f32 v11, -v6, v7, 1.0
	v_fmac_f32_e32 v7, v11, v7
	v_mul_f32_e32 v11, v10, v7
	v_fma_f32 v12, -v6, v11, v10
	v_fmac_f32_e32 v11, v12, v7
	v_fma_f32 v6, -v6, v11, v10
	v_div_fmas_f32 v6, v6, v7, v11
	v_div_fixup_f32 v6, v6, v4, v5
	v_fmac_f32_e32 v4, v5, v6
	v_div_scale_f32 v5, s[4:5], v4, v4, 1.0
	v_rcp_f32_e32 v7, v5
	s_nop 0
	v_fma_f32 v10, -v5, v7, 1.0
	v_fmac_f32_e32 v7, v10, v7
	v_div_scale_f32 v10, vcc, 1.0, v4, 1.0
	v_mul_f32_e32 v11, v10, v7
	v_fma_f32 v12, -v5, v11, v10
	v_fmac_f32_e32 v11, v12, v7
	v_fma_f32 v5, -v5, v11, v10
	v_div_fmas_f32 v5, v5, v7, v11
	v_pk_fma_f32 v[10:11], v[2:3], v[6:7], v[2:3] op_sel:[1,0,0] op_sel_hi:[0,0,1] neg_lo:[1,0,0] neg_hi:[1,0,0]
	v_pk_fma_f32 v[2:3], v[2:3], v[6:7], v[2:3] op_sel:[1,0,0] op_sel_hi:[0,0,1]
	v_div_fixup_f32 v4, v5, v4, 1.0
	v_mov_b32_e32 v3, v11
	v_pk_mul_f32 v[6:7], v[2:3], v[4:5] op_sel_hi:[1,0]
	s_branch .LBB167_111
.LBB167_118:
	s_mov_b64 s[14:15], 0
.LBB167_119:
	s_andn2_b64 vcc, exec, s[14:15]
	s_cbranch_vccnz .LBB167_151
; %bb.120:
	v_mov_b32_e32 v1, 0x1880
	v_lshl_add_u32 v1, v0, 3, v1
	s_cmp_lt_i32 s8, 4
	s_mov_b32 s10, 0
	s_cbranch_scc1 .LBB167_142
; %bb.121:
	s_mov_b32 s7, 0
	s_mov_b32 s9, 0
.LBB167_122:                            ; =>This Loop Header: Depth=1
                                        ;     Child Loop BB167_123 Depth 2
	s_mul_i32 s10, s9, 28
	v_lshl_add_u32 v16, s10, 3, v1
	ds_read2_b64 v[6:9], v16 offset1:28
	ds_read2_b64 v[2:5], v16 offset0:56 offset1:84
	s_cmp_eq_u32 s9, 0
	s_mov_b32 s4, s7
	v_mov_b32_e32 v10, v1
	s_mov_b32 s5, s9
	s_cbranch_scc1 .LBB167_124
.LBB167_123:                            ;   Parent Loop BB167_122 Depth=1
                                        ; =>  This Inner Loop Header: Depth=2
	v_mov_b32_e32 v11, s4
	ds_read_b64 v[22:23], v10
	ds_read2_b64 v[12:15], v11 offset1:28
	ds_read2_b64 v[18:21], v11 offset0:56 offset1:84
	s_add_i32 s5, s5, -1
	s_add_i32 s4, s4, 8
	v_add_u32_e32 v10, 0xe0, v10
	s_waitcnt lgkmcnt(1)
	v_mul_f32_e32 v11, v13, v23
	v_mul_f32_e32 v17, v12, v23
	;; [unrolled: 1-line block ×4, first 2 shown]
	s_waitcnt lgkmcnt(0)
	v_pk_mul_f32 v[24:25], v[18:19], v[22:23] op_sel:[0,1]
	v_pk_mul_f32 v[26:27], v[20:21], v[22:23] op_sel:[0,1]
	v_fma_f32 v11, v12, v22, -v11
	v_fmac_f32_e32 v17, v13, v22
	v_fma_f32 v28, v14, v22, -v28
	v_fmac_f32_e32 v29, v14, v23
	v_pk_fma_f32 v[12:13], v[18:19], v[22:23], v[24:25] op_sel:[0,0,1] op_sel_hi:[1,1,0] neg_lo:[0,0,1] neg_hi:[0,0,1]
	v_pk_fma_f32 v[14:15], v[18:19], v[22:23], v[24:25] op_sel:[0,0,1] op_sel_hi:[1,0,0]
	v_pk_fma_f32 v[18:19], v[20:21], v[22:23], v[26:27] op_sel:[0,0,1] op_sel_hi:[1,1,0] neg_lo:[0,0,1] neg_hi:[0,0,1]
	v_pk_fma_f32 v[20:21], v[20:21], v[22:23], v[26:27] op_sel:[0,0,1] op_sel_hi:[1,0,0]
	v_mov_b32_e32 v13, v15
	v_mov_b32_e32 v19, v21
	s_cmp_eq_u32 s5, 0
	v_sub_f32_e32 v6, v6, v11
	v_sub_f32_e32 v7, v7, v17
	;; [unrolled: 1-line block ×4, first 2 shown]
	v_pk_add_f32 v[2:3], v[2:3], v[12:13] neg_lo:[0,1] neg_hi:[0,1]
	v_pk_add_f32 v[4:5], v[4:5], v[18:19] neg_lo:[0,1] neg_hi:[0,1]
	s_cbranch_scc0 .LBB167_123
.LBB167_124:                            ;   in Loop: Header=BB167_122 Depth=1
	s_mul_i32 s4, s9, 0xe8
	v_mov_b32_e32 v10, s4
	ds_read_b64 v[10:11], v10
	s_mov_b64 s[4:5], -1
                                        ; implicit-def: $vgpr15
	s_waitcnt lgkmcnt(0)
	v_cmp_ngt_f32_e64 s[12:13], |v10|, |v11|
	s_and_b64 vcc, exec, s[12:13]
	s_cbranch_vccz .LBB167_126
; %bb.125:                              ;   in Loop: Header=BB167_122 Depth=1
	v_div_scale_f32 v12, s[4:5], v11, v11, v10
	v_rcp_f32_e32 v13, v12
	v_div_scale_f32 v14, vcc, v10, v11, v10
	v_fma_f32 v15, -v12, v13, 1.0
	v_fmac_f32_e32 v13, v15, v13
	v_mul_f32_e32 v15, v14, v13
	v_fma_f32 v17, -v12, v15, v14
	v_fmac_f32_e32 v15, v17, v13
	v_fma_f32 v12, -v12, v15, v14
	v_div_fmas_f32 v12, v12, v13, v15
	v_div_fixup_f32 v12, v12, v11, v10
	v_fma_f32 v13, v10, v12, v11
	v_div_scale_f32 v14, s[4:5], v13, v13, 1.0
	v_rcp_f32_e32 v15, v14
	s_mov_b64 s[4:5], 0
	v_fma_f32 v17, -v14, v15, 1.0
	v_fmac_f32_e32 v15, v17, v15
	v_div_scale_f32 v17, vcc, 1.0, v13, 1.0
	v_mul_f32_e32 v18, v17, v15
	v_fma_f32 v19, -v14, v18, v17
	v_fmac_f32_e32 v18, v19, v15
	v_fma_f32 v14, -v14, v18, v17
	v_div_fmas_f32 v14, v14, v15, v18
	v_div_fixup_f32 v13, v14, v13, 1.0
	v_fma_f32 v14, v6, v12, v7
	v_fma_f32 v12, v7, v12, -v6
	v_mul_f32_e32 v14, v14, v13
	v_mul_f32_e32 v15, v12, v13
.LBB167_126:                            ;   in Loop: Header=BB167_122 Depth=1
	s_andn2_b64 vcc, exec, s[4:5]
	s_cbranch_vccnz .LBB167_128
; %bb.127:                              ;   in Loop: Header=BB167_122 Depth=1
	v_div_scale_f32 v12, s[4:5], v10, v10, v11
	v_rcp_f32_e32 v13, v12
	v_div_scale_f32 v14, vcc, v11, v10, v11
	v_fma_f32 v15, -v12, v13, 1.0
	v_fmac_f32_e32 v13, v15, v13
	v_mul_f32_e32 v15, v14, v13
	v_fma_f32 v17, -v12, v15, v14
	v_fmac_f32_e32 v15, v17, v13
	v_fma_f32 v12, -v12, v15, v14
	v_div_fmas_f32 v12, v12, v13, v15
	v_div_fixup_f32 v12, v12, v10, v11
	v_fmac_f32_e32 v10, v11, v12
	v_div_scale_f32 v11, s[4:5], v10, v10, 1.0
	v_rcp_f32_e32 v13, v11
	s_nop 0
	v_fma_f32 v14, -v11, v13, 1.0
	v_fmac_f32_e32 v13, v14, v13
	v_div_scale_f32 v14, vcc, 1.0, v10, 1.0
	v_mul_f32_e32 v15, v14, v13
	v_fma_f32 v17, -v11, v15, v14
	v_fmac_f32_e32 v15, v17, v13
	v_fma_f32 v11, -v11, v15, v14
	v_div_fmas_f32 v11, v11, v13, v15
	v_div_fixup_f32 v10, v11, v10, 1.0
	v_fma_f32 v11, v7, v12, v6
	v_fma_f32 v6, -v6, v12, v7
	v_mul_f32_e32 v14, v11, v10
	v_mul_f32_e32 v15, v6, v10
.LBB167_128:                            ;   in Loop: Header=BB167_122 Depth=1
	s_lshl_b32 s10, s10, 3
	s_addk_i32 s10, 0xe0
	s_lshl_b32 s11, s9, 3
	s_add_i32 s4, s10, s11
	v_mov_b32_e32 v6, s4
	ds_read_b128 v[10:13], v6
	s_mov_b64 s[4:5], -1
	ds_write_b64 v16, v[14:15]
	s_waitcnt lgkmcnt(1)
	v_mul_f32_e32 v6, v15, v11
	v_mul_f32_e32 v7, v14, v11
	v_fma_f32 v6, v14, v10, -v6
	v_fmac_f32_e32 v7, v15, v10
	v_cmp_ngt_f32_e64 s[12:13], |v12|, |v13|
	v_sub_f32_e32 v6, v8, v6
	v_sub_f32_e32 v7, v9, v7
	s_and_b64 vcc, exec, s[12:13]
                                        ; implicit-def: $vgpr11
	s_cbranch_vccz .LBB167_130
; %bb.129:                              ;   in Loop: Header=BB167_122 Depth=1
	v_div_scale_f32 v8, s[4:5], v13, v13, v12
	v_rcp_f32_e32 v9, v8
	v_div_scale_f32 v10, vcc, v12, v13, v12
	v_fma_f32 v11, -v8, v9, 1.0
	v_fmac_f32_e32 v9, v11, v9
	v_mul_f32_e32 v11, v10, v9
	v_fma_f32 v17, -v8, v11, v10
	v_fmac_f32_e32 v11, v17, v9
	v_fma_f32 v8, -v8, v11, v10
	v_div_fmas_f32 v8, v8, v9, v11
	v_div_fixup_f32 v8, v8, v13, v12
	v_fma_f32 v9, v12, v8, v13
	v_div_scale_f32 v10, s[4:5], v9, v9, 1.0
	v_rcp_f32_e32 v11, v10
	s_mov_b64 s[4:5], 0
	v_fma_f32 v17, -v10, v11, 1.0
	v_fmac_f32_e32 v11, v17, v11
	v_div_scale_f32 v17, vcc, 1.0, v9, 1.0
	v_mul_f32_e32 v18, v17, v11
	v_fma_f32 v19, -v10, v18, v17
	v_fmac_f32_e32 v18, v19, v11
	v_fma_f32 v10, -v10, v18, v17
	v_div_fmas_f32 v10, v10, v11, v18
	v_div_fixup_f32 v9, v10, v9, 1.0
	v_fma_f32 v10, v8, v6, v7
	v_fma_f32 v8, v8, v7, -v6
	v_mul_f32_e32 v10, v10, v9
	v_mul_f32_e32 v11, v8, v9
.LBB167_130:                            ;   in Loop: Header=BB167_122 Depth=1
	s_andn2_b64 vcc, exec, s[4:5]
	s_cbranch_vccnz .LBB167_132
; %bb.131:                              ;   in Loop: Header=BB167_122 Depth=1
	v_div_scale_f32 v8, s[4:5], v12, v12, v13
	v_rcp_f32_e32 v9, v8
	v_div_scale_f32 v10, vcc, v13, v12, v13
	v_fma_f32 v11, -v8, v9, 1.0
	v_fmac_f32_e32 v9, v11, v9
	v_mul_f32_e32 v11, v10, v9
	v_fma_f32 v17, -v8, v11, v10
	v_fmac_f32_e32 v11, v17, v9
	v_fma_f32 v8, -v8, v11, v10
	v_div_fmas_f32 v8, v8, v9, v11
	v_div_fixup_f32 v8, v8, v12, v13
	v_fmac_f32_e32 v12, v13, v8
	v_div_scale_f32 v9, s[4:5], v12, v12, 1.0
	v_rcp_f32_e32 v10, v9
	s_nop 0
	v_fma_f32 v11, -v9, v10, 1.0
	v_fmac_f32_e32 v10, v11, v10
	v_div_scale_f32 v11, vcc, 1.0, v12, 1.0
	v_mul_f32_e32 v13, v11, v10
	v_fma_f32 v17, -v9, v13, v11
	v_fmac_f32_e32 v13, v17, v10
	v_fma_f32 v9, -v9, v13, v11
	v_div_fmas_f32 v9, v9, v10, v13
	v_div_fixup_f32 v9, v9, v12, 1.0
	v_fma_f32 v10, v8, v7, v6
	v_fma_f32 v6, -v8, v6, v7
	v_mul_f32_e32 v10, v10, v9
	v_mul_f32_e32 v11, v6, v9
.LBB167_132:                            ;   in Loop: Header=BB167_122 Depth=1
	s_addk_i32 s10, 0xe0
	s_add_i32 s10, s10, s11
	v_mov_b32_e32 v6, s10
	ds_read_b128 v[18:21], v6
	v_mov_b32_e32 v8, v15
	ds_read_b64 v[6:7], v6 offset:16
	s_mov_b64 s[4:5], -1
	ds_write_b64 v16, v[10:11] offset:224
	s_waitcnt lgkmcnt(2)
	v_pk_mul_f32 v[8:9], v[8:9], v[18:19] op_sel_hi:[0,1]
	v_pk_fma_f32 v[12:13], v[14:15], v[18:19], v[8:9] op_sel:[0,0,1] op_sel_hi:[1,1,0] neg_lo:[0,0,1] neg_hi:[0,0,1]
	v_pk_fma_f32 v[8:9], v[14:15], v[18:19], v[8:9] op_sel:[0,0,1] op_sel_hi:[0,1,0]
	v_mov_b32_e32 v8, v11
	v_mov_b32_e32 v13, v9
	v_pk_mul_f32 v[8:9], v[8:9], v[20:21] op_sel_hi:[0,1]
	v_pk_add_f32 v[2:3], v[2:3], v[12:13] neg_lo:[0,1] neg_hi:[0,1]
	v_pk_fma_f32 v[12:13], v[10:11], v[20:21], v[8:9] op_sel:[0,0,1] op_sel_hi:[1,1,0] neg_lo:[0,0,1] neg_hi:[0,0,1]
	v_pk_fma_f32 v[8:9], v[10:11], v[20:21], v[8:9] op_sel:[0,0,1] op_sel_hi:[0,1,0]
	v_mov_b32_e32 v13, v9
	s_waitcnt lgkmcnt(1)
	v_cmp_ngt_f32_e64 s[12:13], |v6|, |v7|
	v_pk_add_f32 v[2:3], v[2:3], v[12:13] neg_lo:[0,1] neg_hi:[0,1]
	s_and_b64 vcc, exec, s[12:13]
                                        ; implicit-def: $vgpr12_vgpr13
	s_cbranch_vccz .LBB167_134
; %bb.133:                              ;   in Loop: Header=BB167_122 Depth=1
	v_div_scale_f32 v8, s[4:5], v7, v7, v6
	v_rcp_f32_e32 v9, v8
	v_div_scale_f32 v12, vcc, v6, v7, v6
	v_fma_f32 v13, -v8, v9, 1.0
	v_fmac_f32_e32 v9, v13, v9
	v_mul_f32_e32 v13, v12, v9
	v_fma_f32 v17, -v8, v13, v12
	v_fmac_f32_e32 v13, v17, v9
	v_fma_f32 v8, -v8, v13, v12
	v_div_fmas_f32 v8, v8, v9, v13
	v_div_fixup_f32 v8, v8, v7, v6
	v_fma_f32 v9, v6, v8, v7
	v_div_scale_f32 v17, s[4:5], v9, v9, 1.0
	v_rcp_f32_e32 v18, v17
	v_pk_fma_f32 v[12:13], v[8:9], v[2:3], v[2:3] op_sel:[0,0,1] op_sel_hi:[1,1,0]
	s_mov_b64 s[4:5], 0
	v_fma_f32 v13, -v17, v18, 1.0
	v_fmac_f32_e32 v18, v13, v18
	v_div_scale_f32 v13, vcc, 1.0, v9, 1.0
	v_mul_f32_e32 v19, v13, v18
	v_fma_f32 v20, -v17, v19, v13
	v_fmac_f32_e32 v19, v20, v18
	v_fma_f32 v13, -v17, v19, v13
	v_div_fmas_f32 v13, v13, v18, v19
	v_div_fixup_f32 v13, v13, v9, 1.0
	v_fma_f32 v9, v8, v3, -v2
	v_mov_b32_e32 v8, v13
	v_pk_mul_f32 v[12:13], v[12:13], v[8:9]
.LBB167_134:                            ;   in Loop: Header=BB167_122 Depth=1
	s_andn2_b64 vcc, exec, s[4:5]
	s_cbranch_vccnz .LBB167_136
; %bb.135:                              ;   in Loop: Header=BB167_122 Depth=1
	v_div_scale_f32 v8, s[4:5], v6, v6, v7
	v_rcp_f32_e32 v9, v8
	v_div_scale_f32 v12, vcc, v7, v6, v7
	v_fma_f32 v13, -v8, v9, 1.0
	v_fmac_f32_e32 v9, v13, v9
	v_mul_f32_e32 v13, v12, v9
	v_fma_f32 v17, -v8, v13, v12
	v_fmac_f32_e32 v13, v17, v9
	v_fma_f32 v8, -v8, v13, v12
	v_div_fmas_f32 v8, v8, v9, v13
	v_div_fixup_f32 v8, v8, v6, v7
	v_fmac_f32_e32 v6, v7, v8
	v_div_scale_f32 v7, s[4:5], v6, v6, 1.0
	v_rcp_f32_e32 v9, v7
	s_nop 0
	v_fma_f32 v12, -v7, v9, 1.0
	v_fmac_f32_e32 v9, v12, v9
	v_div_scale_f32 v12, vcc, 1.0, v6, 1.0
	v_mul_f32_e32 v13, v12, v9
	v_fma_f32 v17, -v7, v13, v12
	v_fmac_f32_e32 v13, v17, v9
	v_fma_f32 v7, -v7, v13, v12
	v_div_fmas_f32 v7, v7, v9, v13
	v_pk_fma_f32 v[12:13], v[8:9], v[2:3], v[2:3] op_sel:[0,1,0] op_sel_hi:[1,0,1]
	v_pk_fma_f32 v[2:3], v[8:9], v[2:3], v[2:3] op_sel:[0,1,0] op_sel_hi:[0,0,1] neg_lo:[1,0,0] neg_hi:[1,0,0]
	v_div_fixup_f32 v6, v7, v6, 1.0
	v_mov_b32_e32 v13, v3
	v_pk_mul_f32 v[12:13], v[12:13], v[6:7] op_sel_hi:[1,0]
.LBB167_136:                            ;   in Loop: Header=BB167_122 Depth=1
	v_mov_b32_e32 v6, s10
	ds_read_b128 v[18:21], v6 offset:224
	v_mov_b32_e32 v2, v15
	v_mov_b32_e32 v3, v15
	v_mov_b32_e32 v15, v14
	ds_read_b128 v[6:9], v6 offset:240
	s_waitcnt lgkmcnt(1)
	v_pk_mul_f32 v[2:3], v[2:3], v[18:19]
	v_mov_b32_e32 v22, v11
	v_pk_fma_f32 v[24:25], v[14:15], v[18:19], v[2:3] op_sel:[0,0,1] op_sel_hi:[1,1,0] neg_lo:[0,0,1] neg_hi:[0,0,1]
	v_pk_fma_f32 v[2:3], v[14:15], v[18:19], v[2:3] op_sel:[0,0,1] op_sel_hi:[1,1,0]
	v_mov_b32_e32 v23, v11
	v_mov_b32_e32 v25, v3
	;; [unrolled: 1-line block ×3, first 2 shown]
	v_pk_add_f32 v[2:3], v[4:5], v[24:25] neg_lo:[0,1] neg_hi:[0,1]
	v_pk_mul_f32 v[4:5], v[22:23], v[20:21]
	s_waitcnt lgkmcnt(0)
	v_cmp_ngt_f32_e64 s[10:11], |v8|, |v9|
	v_pk_fma_f32 v[14:15], v[10:11], v[20:21], v[4:5] op_sel:[0,0,1] op_sel_hi:[1,1,0] neg_lo:[0,0,1] neg_hi:[0,0,1]
	v_pk_fma_f32 v[4:5], v[10:11], v[20:21], v[4:5] op_sel:[0,0,1] op_sel_hi:[1,1,0]
	s_mov_b64 s[4:5], -1
	v_mov_b32_e32 v15, v5
	v_pk_mul_f32 v[4:5], v[12:13], v[6:7] op_sel:[1,1] op_sel_hi:[1,0]
	v_pk_add_f32 v[2:3], v[2:3], v[14:15] neg_lo:[0,1] neg_hi:[0,1]
	v_pk_fma_f32 v[10:11], v[12:13], v[6:7], v[4:5] neg_lo:[0,0,1] neg_hi:[0,0,1]
	v_pk_fma_f32 v[4:5], v[12:13], v[6:7], v[4:5] op_sel_hi:[0,1,1]
	v_mov_b32_e32 v11, v5
	v_pk_add_f32 v[2:3], v[2:3], v[10:11] neg_lo:[0,1] neg_hi:[0,1]
	s_and_b64 vcc, exec, s[10:11]
	ds_write_b64 v16, v[12:13] offset:448
                                        ; implicit-def: $vgpr4_vgpr5
	s_cbranch_vccz .LBB167_138
; %bb.137:                              ;   in Loop: Header=BB167_122 Depth=1
	v_div_scale_f32 v4, s[4:5], v9, v9, v8
	v_rcp_f32_e32 v5, v4
	v_div_scale_f32 v6, vcc, v8, v9, v8
	v_fma_f32 v7, -v4, v5, 1.0
	v_fmac_f32_e32 v5, v7, v5
	v_mul_f32_e32 v7, v6, v5
	v_fma_f32 v10, -v4, v7, v6
	v_fmac_f32_e32 v7, v10, v5
	v_fma_f32 v4, -v4, v7, v6
	v_div_fmas_f32 v4, v4, v5, v7
	v_div_fixup_f32 v4, v4, v9, v8
	v_fma_f32 v5, v8, v4, v9
	v_div_scale_f32 v10, s[4:5], v5, v5, 1.0
	v_rcp_f32_e32 v11, v10
	v_pk_fma_f32 v[6:7], v[4:5], v[2:3], v[2:3] op_sel:[0,0,1] op_sel_hi:[1,1,0]
	s_mov_b64 s[4:5], 0
	v_fma_f32 v7, -v10, v11, 1.0
	v_fmac_f32_e32 v11, v7, v11
	v_div_scale_f32 v7, vcc, 1.0, v5, 1.0
	v_mul_f32_e32 v12, v7, v11
	v_fma_f32 v13, -v10, v12, v7
	v_fmac_f32_e32 v12, v13, v11
	v_fma_f32 v7, -v10, v12, v7
	v_div_fmas_f32 v7, v7, v11, v12
	v_div_fixup_f32 v7, v7, v5, 1.0
	v_fma_f32 v5, v4, v3, -v2
	v_mov_b32_e32 v4, v7
	v_pk_mul_f32 v[4:5], v[6:7], v[4:5]
.LBB167_138:                            ;   in Loop: Header=BB167_122 Depth=1
	s_andn2_b64 vcc, exec, s[4:5]
	s_cbranch_vccnz .LBB167_140
; %bb.139:                              ;   in Loop: Header=BB167_122 Depth=1
	v_div_scale_f32 v4, s[4:5], v8, v8, v9
	v_rcp_f32_e32 v5, v4
	v_div_scale_f32 v6, vcc, v9, v8, v9
	v_fma_f32 v7, -v4, v5, 1.0
	v_fmac_f32_e32 v5, v7, v5
	v_mul_f32_e32 v7, v6, v5
	v_fma_f32 v10, -v4, v7, v6
	v_fmac_f32_e32 v7, v10, v5
	v_fma_f32 v4, -v4, v7, v6
	v_div_fmas_f32 v4, v4, v5, v7
	v_div_fixup_f32 v4, v4, v8, v9
	v_fmac_f32_e32 v8, v9, v4
	v_div_scale_f32 v5, s[4:5], v8, v8, 1.0
	v_rcp_f32_e32 v6, v5
	s_nop 0
	v_fma_f32 v7, -v5, v6, 1.0
	v_fmac_f32_e32 v6, v7, v6
	v_div_scale_f32 v7, vcc, 1.0, v8, 1.0
	v_mul_f32_e32 v9, v7, v6
	v_fma_f32 v10, -v5, v9, v7
	v_fmac_f32_e32 v9, v10, v6
	v_fma_f32 v5, -v5, v9, v7
	v_div_fmas_f32 v5, v5, v6, v9
	v_div_fixup_f32 v6, v5, v8, 1.0
	v_pk_fma_f32 v[8:9], v[4:5], v[2:3], v[2:3] op_sel:[0,1,0] op_sel_hi:[1,0,1]
	v_pk_fma_f32 v[2:3], v[4:5], v[2:3], v[2:3] op_sel:[0,1,0] op_sel_hi:[0,0,1] neg_lo:[1,0,0] neg_hi:[1,0,0]
	v_mov_b32_e32 v9, v3
	v_pk_mul_f32 v[4:5], v[8:9], v[6:7] op_sel_hi:[1,0]
.LBB167_140:                            ;   in Loop: Header=BB167_122 Depth=1
	s_add_i32 s10, s9, 4
	s_add_i32 s4, s9, 7
	s_addk_i32 s7, 0x380
	s_cmp_ge_i32 s4, s26
	ds_write_b64 v16, v[4:5] offset:672
	s_cbranch_scc1 .LBB167_142
; %bb.141:                              ;   in Loop: Header=BB167_122 Depth=1
	s_mov_b32 s9, s10
	s_branch .LBB167_122
.LBB167_142:
	s_cmp_ge_i32 s10, s26
	s_cbranch_scc1 .LBB167_151
; %bb.143:
	v_mov_b32_e32 v2, 0x1880
	v_lshl_add_u32 v8, v0, 3, v2
	s_mul_i32 s7, s10, 0xe0
	s_branch .LBB167_145
.LBB167_144:                            ;   in Loop: Header=BB167_145 Depth=1
	s_add_i32 s10, s10, 1
	s_addk_i32 s7, 0xe0
	s_cmp_ge_i32 s10, s26
	ds_write_b64 v9, v[6:7]
	s_cbranch_scc1 .LBB167_151
.LBB167_145:                            ; =>This Loop Header: Depth=1
                                        ;     Child Loop BB167_146 Depth 2
	s_mul_i32 s4, s10, 0xe0
	v_add_u32_e32 v9, s4, v1
	ds_read_b64 v[2:3], v9
	s_cmp_eq_u32 s10, 0
	s_mov_b32 s4, s7
	v_mov_b32_e32 v4, v8
	s_mov_b32 s5, s10
	s_cbranch_scc1 .LBB167_147
.LBB167_146:                            ;   Parent Loop BB167_145 Depth=1
                                        ; =>  This Inner Loop Header: Depth=2
	v_mov_b32_e32 v5, s4
	ds_read_b64 v[6:7], v4
	ds_read_b64 v[10:11], v5
	s_add_i32 s5, s5, -1
	s_add_i32 s4, s4, 8
	v_add_u32_e32 v4, 0xe0, v4
	s_cmp_eq_u32 s5, 0
	s_waitcnt lgkmcnt(0)
	v_pk_mul_f32 v[12:13], v[10:11], v[6:7] op_sel:[1,1] op_sel_hi:[0,1]
	v_pk_fma_f32 v[14:15], v[10:11], v[6:7], v[12:13] op_sel_hi:[1,0,1]
	v_pk_fma_f32 v[6:7], v[10:11], v[6:7], v[12:13] op_sel_hi:[1,0,1] neg_lo:[0,0,1] neg_hi:[0,0,1]
	s_nop 0
	v_mov_b32_e32 v7, v15
	v_pk_add_f32 v[2:3], v[2:3], v[6:7] neg_lo:[0,1] neg_hi:[0,1]
	s_cbranch_scc0 .LBB167_146
.LBB167_147:                            ;   in Loop: Header=BB167_145 Depth=1
	s_mul_i32 s4, s10, 0xe8
	v_mov_b32_e32 v4, s4
	ds_read_b64 v[4:5], v4
	s_mov_b64 s[4:5], -1
                                        ; implicit-def: $vgpr6_vgpr7
	s_waitcnt lgkmcnt(0)
	v_cmp_ngt_f32_e64 s[12:13], |v4|, |v5|
	s_and_b64 vcc, exec, s[12:13]
	s_cbranch_vccz .LBB167_149
; %bb.148:                              ;   in Loop: Header=BB167_145 Depth=1
	v_div_scale_f32 v6, s[4:5], v5, v5, v4
	v_rcp_f32_e32 v7, v6
	v_div_scale_f32 v10, vcc, v4, v5, v4
	v_fma_f32 v11, -v6, v7, 1.0
	v_fmac_f32_e32 v7, v11, v7
	v_mul_f32_e32 v11, v10, v7
	v_fma_f32 v12, -v6, v11, v10
	v_fmac_f32_e32 v11, v12, v7
	v_fma_f32 v6, -v6, v11, v10
	v_div_fmas_f32 v6, v6, v7, v11
	v_div_fixup_f32 v6, v6, v5, v4
	v_fma_f32 v7, v4, v6, v5
	v_div_scale_f32 v10, s[4:5], v7, v7, 1.0
	v_rcp_f32_e32 v11, v10
	s_mov_b64 s[4:5], 0
	v_fma_f32 v12, -v10, v11, 1.0
	v_fmac_f32_e32 v11, v12, v11
	v_div_scale_f32 v12, vcc, 1.0, v7, 1.0
	v_mul_f32_e32 v13, v12, v11
	v_fma_f32 v14, -v10, v13, v12
	v_fmac_f32_e32 v13, v14, v11
	v_fma_f32 v10, -v10, v13, v12
	v_div_fmas_f32 v10, v10, v11, v13
	v_div_fixup_f32 v10, v10, v7, 1.0
	v_pk_fma_f32 v[12:13], v[2:3], v[6:7], v[2:3] op_sel:[0,0,1] op_sel_hi:[1,0,0] neg_lo:[0,0,1] neg_hi:[0,0,1]
	v_pk_fma_f32 v[6:7], v[2:3], v[6:7], v[2:3] op_sel:[0,0,1] op_sel_hi:[1,0,0]
	s_nop 0
	v_mov_b32_e32 v7, v13
	v_pk_mul_f32 v[6:7], v[6:7], v[10:11] op_sel_hi:[1,0]
.LBB167_149:                            ;   in Loop: Header=BB167_145 Depth=1
	s_andn2_b64 vcc, exec, s[4:5]
	s_cbranch_vccnz .LBB167_144
; %bb.150:                              ;   in Loop: Header=BB167_145 Depth=1
	v_div_scale_f32 v6, s[4:5], v4, v4, v5
	v_rcp_f32_e32 v7, v6
	v_div_scale_f32 v10, vcc, v5, v4, v5
	v_fma_f32 v11, -v6, v7, 1.0
	v_fmac_f32_e32 v7, v11, v7
	v_mul_f32_e32 v11, v10, v7
	v_fma_f32 v12, -v6, v11, v10
	v_fmac_f32_e32 v11, v12, v7
	v_fma_f32 v6, -v6, v11, v10
	v_div_fmas_f32 v6, v6, v7, v11
	v_div_fixup_f32 v6, v6, v4, v5
	v_fmac_f32_e32 v4, v5, v6
	v_div_scale_f32 v5, s[4:5], v4, v4, 1.0
	v_rcp_f32_e32 v7, v5
	s_nop 0
	v_fma_f32 v10, -v5, v7, 1.0
	v_fmac_f32_e32 v7, v10, v7
	v_div_scale_f32 v10, vcc, 1.0, v4, 1.0
	v_mul_f32_e32 v11, v10, v7
	v_fma_f32 v12, -v5, v11, v10
	v_fmac_f32_e32 v11, v12, v7
	v_fma_f32 v5, -v5, v11, v10
	v_div_fmas_f32 v5, v5, v7, v11
	v_pk_fma_f32 v[10:11], v[2:3], v[6:7], v[2:3] op_sel:[1,0,0] op_sel_hi:[0,0,1] neg_lo:[1,0,0] neg_hi:[1,0,0]
	v_pk_fma_f32 v[2:3], v[2:3], v[6:7], v[2:3] op_sel:[1,0,0] op_sel_hi:[0,0,1]
	v_div_fixup_f32 v4, v5, v4, 1.0
	v_mov_b32_e32 v3, v11
	v_pk_mul_f32 v[6:7], v[2:3], v[4:5] op_sel_hi:[1,0]
	s_branch .LBB167_144
.LBB167_151:
	s_and_saveexec_b64 s[4:5], s[0:1]
	s_cbranch_execz .LBB167_155
; %bb.152:
	s_cmp_lt_i32 s8, 1
	s_cbranch_scc1 .LBB167_155
; %bb.153:
	s_ashr_i32 s7, s6, 31
	v_lshlrev_b32_e32 v2, 3, v0
	v_mov_b32_e32 v3, 0
	v_lshl_add_u64 v[0:1], s[2:3], 0, v[2:3]
	s_lshl_b64 s[0:1], s[6:7], 3
	v_add_u32_e32 v2, 0x1880, v2
.LBB167_154:                            ; =>This Inner Loop Header: Depth=1
	ds_read_b64 v[4:5], v2
	s_add_i32 s8, s8, -1
	v_add_u32_e32 v2, 0xe0, v2
	s_cmp_lg_u32 s8, 0
	s_waitcnt lgkmcnt(0)
	flat_store_dwordx2 v[0:1], v[4:5]
	v_lshl_add_u64 v[0:1], v[0:1], 0, s[0:1]
	s_cbranch_scc1 .LBB167_154
.LBB167_155:
	s_endpgm
	.section	.rodata,"a",@progbits
	.p2align	6, 0x0
	.amdhsa_kernel _ZL31rocblas_trsm_small_right_deviceI19rocblas_complex_numIfES1_PKPKS1_PKPS1_Li28EEv13rocblas_fill_18rocblas_operation_17rocblas_diagonal_iiT0_T1_lilT2_lili
		.amdhsa_group_segment_fixed_size 12544
		.amdhsa_private_segment_fixed_size 0
		.amdhsa_kernarg_size 360
		.amdhsa_user_sgpr_count 2
		.amdhsa_user_sgpr_dispatch_ptr 0
		.amdhsa_user_sgpr_queue_ptr 0
		.amdhsa_user_sgpr_kernarg_segment_ptr 1
		.amdhsa_user_sgpr_dispatch_id 0
		.amdhsa_user_sgpr_kernarg_preload_length 0
		.amdhsa_user_sgpr_kernarg_preload_offset 0
		.amdhsa_user_sgpr_private_segment_size 0
		.amdhsa_uses_dynamic_stack 0
		.amdhsa_enable_private_segment 0
		.amdhsa_system_sgpr_workgroup_id_x 1
		.amdhsa_system_sgpr_workgroup_id_y 0
		.amdhsa_system_sgpr_workgroup_id_z 1
		.amdhsa_system_sgpr_workgroup_info 0
		.amdhsa_system_vgpr_workitem_id 0
		.amdhsa_next_free_vgpr 97
		.amdhsa_next_free_sgpr 96
		.amdhsa_accum_offset 36
		.amdhsa_reserve_vcc 1
		.amdhsa_float_round_mode_32 0
		.amdhsa_float_round_mode_16_64 0
		.amdhsa_float_denorm_mode_32 3
		.amdhsa_float_denorm_mode_16_64 3
		.amdhsa_dx10_clamp 1
		.amdhsa_ieee_mode 1
		.amdhsa_fp16_overflow 0
		.amdhsa_tg_split 0
		.amdhsa_exception_fp_ieee_invalid_op 0
		.amdhsa_exception_fp_denorm_src 0
		.amdhsa_exception_fp_ieee_div_zero 0
		.amdhsa_exception_fp_ieee_overflow 0
		.amdhsa_exception_fp_ieee_underflow 0
		.amdhsa_exception_fp_ieee_inexact 0
		.amdhsa_exception_int_div_zero 0
	.end_amdhsa_kernel
	.section	.text._ZL31rocblas_trsm_small_right_deviceI19rocblas_complex_numIfES1_PKPKS1_PKPS1_Li28EEv13rocblas_fill_18rocblas_operation_17rocblas_diagonal_iiT0_T1_lilT2_lili,"axG",@progbits,_ZL31rocblas_trsm_small_right_deviceI19rocblas_complex_numIfES1_PKPKS1_PKPS1_Li28EEv13rocblas_fill_18rocblas_operation_17rocblas_diagonal_iiT0_T1_lilT2_lili,comdat
.Lfunc_end167:
	.size	_ZL31rocblas_trsm_small_right_deviceI19rocblas_complex_numIfES1_PKPKS1_PKPS1_Li28EEv13rocblas_fill_18rocblas_operation_17rocblas_diagonal_iiT0_T1_lilT2_lili, .Lfunc_end167-_ZL31rocblas_trsm_small_right_deviceI19rocblas_complex_numIfES1_PKPKS1_PKPS1_Li28EEv13rocblas_fill_18rocblas_operation_17rocblas_diagonal_iiT0_T1_lilT2_lili
                                        ; -- End function
	.set _ZL31rocblas_trsm_small_right_deviceI19rocblas_complex_numIfES1_PKPKS1_PKPS1_Li28EEv13rocblas_fill_18rocblas_operation_17rocblas_diagonal_iiT0_T1_lilT2_lili.num_vgpr, 34
	.set _ZL31rocblas_trsm_small_right_deviceI19rocblas_complex_numIfES1_PKPKS1_PKPS1_Li28EEv13rocblas_fill_18rocblas_operation_17rocblas_diagonal_iiT0_T1_lilT2_lili.num_agpr, 0
	.set _ZL31rocblas_trsm_small_right_deviceI19rocblas_complex_numIfES1_PKPKS1_PKPS1_Li28EEv13rocblas_fill_18rocblas_operation_17rocblas_diagonal_iiT0_T1_lilT2_lili.numbered_sgpr, 32
	.set _ZL31rocblas_trsm_small_right_deviceI19rocblas_complex_numIfES1_PKPKS1_PKPS1_Li28EEv13rocblas_fill_18rocblas_operation_17rocblas_diagonal_iiT0_T1_lilT2_lili.num_named_barrier, 0
	.set _ZL31rocblas_trsm_small_right_deviceI19rocblas_complex_numIfES1_PKPKS1_PKPS1_Li28EEv13rocblas_fill_18rocblas_operation_17rocblas_diagonal_iiT0_T1_lilT2_lili.private_seg_size, 0
	.set _ZL31rocblas_trsm_small_right_deviceI19rocblas_complex_numIfES1_PKPKS1_PKPS1_Li28EEv13rocblas_fill_18rocblas_operation_17rocblas_diagonal_iiT0_T1_lilT2_lili.uses_vcc, 1
	.set _ZL31rocblas_trsm_small_right_deviceI19rocblas_complex_numIfES1_PKPKS1_PKPS1_Li28EEv13rocblas_fill_18rocblas_operation_17rocblas_diagonal_iiT0_T1_lilT2_lili.uses_flat_scratch, 0
	.set _ZL31rocblas_trsm_small_right_deviceI19rocblas_complex_numIfES1_PKPKS1_PKPS1_Li28EEv13rocblas_fill_18rocblas_operation_17rocblas_diagonal_iiT0_T1_lilT2_lili.has_dyn_sized_stack, 0
	.set _ZL31rocblas_trsm_small_right_deviceI19rocblas_complex_numIfES1_PKPKS1_PKPS1_Li28EEv13rocblas_fill_18rocblas_operation_17rocblas_diagonal_iiT0_T1_lilT2_lili.has_recursion, 0
	.set _ZL31rocblas_trsm_small_right_deviceI19rocblas_complex_numIfES1_PKPKS1_PKPS1_Li28EEv13rocblas_fill_18rocblas_operation_17rocblas_diagonal_iiT0_T1_lilT2_lili.has_indirect_call, 0
	.section	.AMDGPU.csdata,"",@progbits
; Kernel info:
; codeLenInByte = 12936
; TotalNumSgprs: 38
; NumVgprs: 34
; NumAgprs: 0
; TotalNumVgprs: 34
; ScratchSize: 0
; MemoryBound: 0
; FloatMode: 240
; IeeeMode: 1
; LDSByteSize: 12544 bytes/workgroup (compile time only)
; SGPRBlocks: 12
; VGPRBlocks: 12
; NumSGPRsForWavesPerEU: 102
; NumVGPRsForWavesPerEU: 97
; AccumOffset: 36
; Occupancy: 4
; WaveLimiterHint : 1
; COMPUTE_PGM_RSRC2:SCRATCH_EN: 0
; COMPUTE_PGM_RSRC2:USER_SGPR: 2
; COMPUTE_PGM_RSRC2:TRAP_HANDLER: 0
; COMPUTE_PGM_RSRC2:TGID_X_EN: 1
; COMPUTE_PGM_RSRC2:TGID_Y_EN: 0
; COMPUTE_PGM_RSRC2:TGID_Z_EN: 1
; COMPUTE_PGM_RSRC2:TIDIG_COMP_CNT: 0
; COMPUTE_PGM_RSRC3_GFX90A:ACCUM_OFFSET: 8
; COMPUTE_PGM_RSRC3_GFX90A:TG_SPLIT: 0
	.section	.text._ZL38rocblas_trsm_small_left_device_sharedBILi32ELi32ELb0E19rocblas_complex_numIfES1_PKPKS1_PKPS1_Ev13rocblas_fill_18rocblas_operation_17rocblas_diagonal_iiT3_T4_lilT5_lili,"axG",@progbits,_ZL38rocblas_trsm_small_left_device_sharedBILi32ELi32ELb0E19rocblas_complex_numIfES1_PKPKS1_PKPS1_Ev13rocblas_fill_18rocblas_operation_17rocblas_diagonal_iiT3_T4_lilT5_lili,comdat
	.globl	_ZL38rocblas_trsm_small_left_device_sharedBILi32ELi32ELb0E19rocblas_complex_numIfES1_PKPKS1_PKPS1_Ev13rocblas_fill_18rocblas_operation_17rocblas_diagonal_iiT3_T4_lilT5_lili ; -- Begin function _ZL38rocblas_trsm_small_left_device_sharedBILi32ELi32ELb0E19rocblas_complex_numIfES1_PKPKS1_PKPS1_Ev13rocblas_fill_18rocblas_operation_17rocblas_diagonal_iiT3_T4_lilT5_lili
	.p2align	8
	.type	_ZL38rocblas_trsm_small_left_device_sharedBILi32ELi32ELb0E19rocblas_complex_numIfES1_PKPKS1_PKPS1_Ev13rocblas_fill_18rocblas_operation_17rocblas_diagonal_iiT3_T4_lilT5_lili,@function
_ZL38rocblas_trsm_small_left_device_sharedBILi32ELi32ELb0E19rocblas_complex_numIfES1_PKPKS1_PKPS1_Ev13rocblas_fill_18rocblas_operation_17rocblas_diagonal_iiT3_T4_lilT5_lili: ; @_ZL38rocblas_trsm_small_left_device_sharedBILi32ELi32ELb0E19rocblas_complex_numIfES1_PKPKS1_PKPS1_Ev13rocblas_fill_18rocblas_operation_17rocblas_diagonal_iiT3_T4_lilT5_lili
; %bb.0:
	s_load_dwordx4 s[8:11], s[0:1], 0x40
	s_load_dwordx4 s[4:7], s[0:1], 0x4
	s_load_dwordx2 s[12:13], s[0:1], 0x14
	s_mov_b32 s14, s3
	s_mov_b32 s15, 0
	s_lshl_b64 s[18:19], s[14:15], 3
	s_waitcnt lgkmcnt(0)
	s_add_u32 s8, s8, s18
	s_addc_u32 s9, s9, s19
	s_load_dword s3, s[0:1], 0x68
	s_load_dwordx2 s[14:15], s[8:9], 0x0
	s_min_i32 s28, s6, 32
	v_cmp_gt_i32_e32 vcc, s28, v0
	s_and_saveexec_b64 s[8:9], vcc
	s_cbranch_execz .LBB168_15
; %bb.1:
	s_load_dword s24, s[0:1], 0x30
	s_load_dwordx4 s[20:23], s[0:1], 0x20
	v_lshlrev_b32_e32 v2, 3, v0
	v_mov_b32_e32 v3, 0
	v_mov_b32_e32 v1, v2
	s_waitcnt lgkmcnt(0)
	s_ashr_i32 s25, s24, 31
	s_cmpk_lg_i32 s4, 0x71
	s_cselect_b64 s[16:17], -1, 0
	s_add_u32 s18, s20, s18
	s_addc_u32 s19, s21, s19
	s_load_dwordx2 s[18:19], s[18:19], 0x0
	s_lshl_b64 s[20:21], s[22:23], 3
	s_mov_b32 s22, s28
	s_waitcnt lgkmcnt(0)
	s_add_u32 s20, s18, s20
	s_addc_u32 s21, s19, s21
	s_lshl_b64 s[18:19], s[24:25], 3
	v_lshl_add_u64 v[4:5], s[20:21], 0, v[2:3]
	s_branch .LBB168_3
.LBB168_2:                              ;   in Loop: Header=BB168_3 Depth=1
	flat_load_dword v6, v[4:5]
	s_add_i32 s22, s22, -1
	v_lshl_add_u64 v[4:5], v[4:5], 0, s[18:19]
	s_cmp_eq_u32 s22, 0
	s_waitcnt vmcnt(0) lgkmcnt(0)
	ds_write_b64 v1, v[6:7]
	v_add_u32_e32 v1, 0x100, v1
	s_cbranch_scc1 .LBB168_7
.LBB168_3:                              ; =>This Inner Loop Header: Depth=1
	s_mov_b64 s[20:21], -1
	s_and_b64 vcc, exec, s[16:17]
                                        ; implicit-def: $vgpr7
	s_cbranch_vccz .LBB168_5
; %bb.4:                                ;   in Loop: Header=BB168_3 Depth=1
	flat_load_dword v7, v[4:5] offset:4
	s_mov_b64 s[20:21], 0
.LBB168_5:                              ;   in Loop: Header=BB168_3 Depth=1
	s_andn2_b64 vcc, exec, s[20:21]
	s_cbranch_vccnz .LBB168_2
; %bb.6:                                ;   in Loop: Header=BB168_3 Depth=1
	flat_load_dword v3, v[4:5] offset:4
	s_waitcnt vmcnt(0) lgkmcnt(0)
	v_xor_b32_e32 v7, 0x80000000, v3
	s_branch .LBB168_2
.LBB168_7:
	v_lshlrev_b32_e32 v1, 8, v0
	s_cmpk_lg_i32 s5, 0x84
	s_mov_b64 s[16:17], -1
	v_add_u32_e32 v1, v2, v1
	s_cbranch_scc0 .LBB168_13
; %bb.8:
	ds_read_b64 v[2:3], v1
                                        ; implicit-def: $vgpr4_vgpr5
	s_waitcnt lgkmcnt(0)
	v_cmp_ngt_f32_e64 s[16:17], |v2|, |v3|
	s_and_saveexec_b64 s[18:19], s[16:17]
	s_xor_b64 s[16:17], exec, s[18:19]
	s_cbranch_execz .LBB168_10
; %bb.9:
	v_div_scale_f32 v4, s[18:19], v3, v3, v2
	v_rcp_f32_e32 v5, v4
	v_div_scale_f32 v6, vcc, v2, v3, v2
	v_fma_f32 v7, -v4, v5, 1.0
	v_fmac_f32_e32 v5, v7, v5
	v_mul_f32_e32 v7, v6, v5
	v_fma_f32 v8, -v4, v7, v6
	v_fmac_f32_e32 v7, v8, v5
	v_fma_f32 v4, -v4, v7, v6
	v_div_fmas_f32 v4, v4, v5, v7
	v_div_fixup_f32 v4, v4, v3, v2
	v_fmac_f32_e32 v3, v2, v4
	v_div_scale_f32 v2, s[18:19], v3, v3, 1.0
	v_rcp_f32_e32 v5, v2
	s_mov_b32 s18, 0
	s_mov_b32 s19, -1.0
	v_fma_f32 v6, -v2, v5, 1.0
	v_fmac_f32_e32 v5, v6, v5
	v_div_scale_f32 v6, vcc, 1.0, v3, 1.0
	v_mul_f32_e32 v7, v6, v5
	v_fma_f32 v8, -v2, v7, v6
	v_fmac_f32_e32 v7, v8, v5
	v_fma_f32 v2, -v2, v7, v6
	v_div_fmas_f32 v2, v2, v5, v7
	v_mul_f32_e32 v5, 0, v4
	v_div_fixup_f32 v2, v2, v3, 1.0
	v_pk_add_f32 v[4:5], v[4:5], s[18:19]
	s_nop 0
	v_pk_mul_f32 v[4:5], v[4:5], v[2:3] op_sel_hi:[1,0]
                                        ; implicit-def: $vgpr2_vgpr3
.LBB168_10:
	s_andn2_saveexec_b64 s[16:17], s[16:17]
	s_cbranch_execz .LBB168_12
; %bb.11:
	v_div_scale_f32 v4, s[18:19], v2, v2, v3
	v_rcp_f32_e32 v5, v4
	v_div_scale_f32 v6, vcc, v3, v2, v3
	v_fma_f32 v7, -v4, v5, 1.0
	v_fmac_f32_e32 v5, v7, v5
	v_mul_f32_e32 v7, v6, v5
	v_fma_f32 v8, -v4, v7, v6
	v_fmac_f32_e32 v7, v8, v5
	v_fma_f32 v4, -v4, v7, v6
	v_div_fmas_f32 v4, v4, v5, v7
	v_div_fixup_f32 v5, v4, v2, v3
	v_fmac_f32_e32 v2, v3, v5
	v_div_scale_f32 v3, s[18:19], v2, v2, 1.0
	v_rcp_f32_e32 v4, v3
	s_nop 0
	v_fma_f32 v6, -v3, v4, 1.0
	v_fmac_f32_e32 v4, v6, v4
	v_div_scale_f32 v6, vcc, 1.0, v2, 1.0
	v_mul_f32_e32 v7, v6, v4
	v_fma_f32 v8, -v3, v7, v6
	v_fmac_f32_e32 v7, v8, v4
	v_fma_f32 v3, -v3, v7, v6
	v_div_fmas_f32 v3, v3, v4, v7
	v_div_fixup_f32 v2, v3, v2, 1.0
	v_mul_f32_e32 v3, 0, v5
	v_add_f32_e32 v4, 1.0, v3
	v_sub_f32_e32 v5, 0, v5
	v_pk_mul_f32 v[4:5], v[4:5], v[2:3] op_sel_hi:[1,0]
.LBB168_12:
	s_or_b64 exec, exec, s[16:17]
	s_mov_b64 s[16:17], 0
	ds_write_b64 v1, v[4:5]
.LBB168_13:
	s_and_b64 vcc, exec, s[16:17]
	s_cbranch_vccz .LBB168_15
; %bb.14:
	v_mov_b32_e32 v2, 1.0
	v_mov_b32_e32 v3, 0
	ds_write_b64 v1, v[2:3]
.LBB168_15:
	s_or_b64 exec, exec, s[8:9]
	s_load_dword s29, s[0:1], 0x50
	s_lshl_b64 s[16:17], s[10:11], 3
	s_waitcnt lgkmcnt(0)
	s_ashr_i32 s5, s29, 31
	s_add_u32 s8, s14, s16
	s_addc_u32 s9, s15, s17
	s_lshl_b32 s18, s2, 5
	s_add_i32 s3, s3, -1
	s_sub_i32 s0, s7, s18
	s_cmp_ge_u32 s2, s3
	s_mul_hi_i32 s1, s29, s18
	s_cselect_b32 s7, s0, 32
	s_mul_i32 s0, s29, s18
	s_lshl_b64 s[0:1], s[0:1], 3
	s_add_u32 s2, s8, s0
	s_addc_u32 s3, s9, s1
	s_cmp_gt_i32 s6, 0
	v_cmp_gt_i32_e64 s[0:1], s7, v0
	s_cselect_b64 s[8:9], -1, 0
	s_mov_b32 s7, 0
	s_and_b64 s[20:21], s[0:1], s[8:9]
	s_and_saveexec_b64 s[10:11], s[20:21]
	s_cbranch_execz .LBB168_23
; %bb.16:
	s_cmp_lt_i32 s6, 2
	s_mov_b64 s[20:21], -1
	s_cbranch_scc1 .LBB168_20
; %bb.17:
	v_mad_i64_i32 v[2:3], s[20:21], s29, v0, 0
	v_mov_b32_e32 v1, 0x2000
	s_and_b32 s7, s28, 62
	s_mov_b32 s27, 0
	v_lshl_add_u64 v[2:3], v[2:3], 3, s[2:3]
	v_lshl_or_b32 v1, v0, 3, v1
	s_mov_b32 s20, s12
	s_mov_b32 s21, s12
	;; [unrolled: 1-line block ×7, first 2 shown]
.LBB168_18:                             ; =>This Inner Loop Header: Depth=1
	v_lshl_add_u64 v[4:5], s[26:27], 3, v[2:3]
	s_mov_b32 s25, s27
	v_lshl_add_u64 v[6:7], s[24:25], 3, v[2:3]
	flat_load_dwordx2 v[12:13], v[4:5]
	flat_load_dwordx2 v[8:9], v[6:7]
	v_lshl_add_u32 v10, s26, 8, v1
	v_lshl_add_u32 v11, s24, 8, v1
	s_add_i32 s26, s26, 2
	s_add_i32 s19, s19, -2
	s_add_i32 s24, s24, 2
	s_cmp_lg_u32 s19, 0
	s_waitcnt vmcnt(0) lgkmcnt(0)
	v_mov_b32_e32 v4, v12
	v_mov_b32_e32 v5, v8
	;; [unrolled: 1-line block ×3, first 2 shown]
	v_pk_mul_f32 v[6:7], s[22:23], v[8:9]
	v_pk_mul_f32 v[8:9], s[20:21], v[8:9]
	v_pk_fma_f32 v[6:7], s[20:21], v[4:5], v[6:7] neg_lo:[0,0,1] neg_hi:[0,0,1]
	v_pk_fma_f32 v[4:5], s[22:23], v[4:5], v[8:9]
	ds_write_b32 v10, v6
	ds_write_b32 v11, v7
	ds_write_b32 v10, v4 offset:4
	ds_write_b32 v11, v5 offset:4
	s_cbranch_scc1 .LBB168_18
; %bb.19:
	s_cmp_lg_u32 s28, s7
	s_cselect_b64 s[20:21], -1, 0
.LBB168_20:
	s_and_b64 vcc, exec, s[20:21]
	s_cbranch_vccz .LBB168_23
; %bb.21:
	s_ashr_i32 s19, s18, 31
	v_lshlrev_b32_e32 v4, 3, v0
	v_mov_b32_e32 v5, 0
	s_sub_i32 s22, s28, s7
	v_lshl_add_u64 v[6:7], s[18:19], 3, v[4:5]
	s_lshl_b32 s18, s7, 3
	s_add_u32 s14, s14, s18
	s_addc_u32 s15, s15, 0
	s_add_u32 s14, s14, s16
	s_addc_u32 s15, s15, s17
	v_mov_b64_e32 v[2:3], s[14:15]
	v_mad_u64_u32 v[2:3], s[14:15], v6, s29, v[2:3]
	v_mul_lo_u32 v1, v6, s5
	v_mul_lo_u32 v5, v7, s29
	v_add3_u32 v3, v5, v3, v1
	v_lshl_or_b32 v1, s7, 8, v4
	s_mov_b32 s20, s13
	s_mov_b32 s21, s12
	v_add_u32_e32 v1, 0x2000, v1
.LBB168_22:                             ; =>This Inner Loop Header: Depth=1
	flat_load_dwordx2 v[4:5], v[2:3]
	s_add_i32 s22, s22, -1
	v_lshl_add_u64 v[2:3], v[2:3], 0, 8
	s_cmp_lg_u32 s22, 0
	s_waitcnt vmcnt(0) lgkmcnt(0)
	v_pk_mul_f32 v[6:7], s[20:21], v[4:5] op_sel:[0,1]
	s_nop 0
	v_pk_fma_f32 v[8:9], s[12:13], v[4:5], v[6:7] neg_lo:[0,0,1] neg_hi:[0,0,1]
	v_pk_fma_f32 v[4:5], s[12:13], v[4:5], v[6:7] op_sel_hi:[1,0,1]
	s_nop 0
	v_mov_b32_e32 v9, v5
	ds_write_b64 v1, v[8:9]
	v_add_u32_e32 v1, 0x100, v1
	s_cbranch_scc1 .LBB168_22
.LBB168_23:
	s_or_b64 exec, exec, s[10:11]
	v_mov_b32_e32 v1, 0x2000
	s_cmpk_eq_i32 s4, 0x6f
	v_lshl_or_b32 v1, v0, 3, v1
	s_mov_b64 s[4:5], -1
	s_waitcnt lgkmcnt(0)
	; wave barrier
	s_cbranch_scc1 .LBB168_43
; %bb.24:
	s_cmp_lt_i32 s6, 32
	s_cselect_b64 s[4:5], -1, 0
	s_cmp_gt_i32 s6, 31
	s_mov_b32 s11, 0
	s_cbranch_scc0 .LBB168_26
; %bb.25:
	ds_read2_b64 v[2:5], v1 offset1:32
	v_mov_b32_e32 v86, 0
	v_add_u32_e32 v89, 0x800, v1
	s_movk_i32 s7, 0x800
	v_add_u32_e32 v88, 0x1000, v1
	s_waitcnt lgkmcnt(0)
	scratch_store_dwordx4 off, v[2:5], off
	scratch_load_dwordx4 v[10:13], off, off
	ds_read2_b64 v[2:5], v1 offset0:64 offset1:96
	ds_read2_b64 v[6:9], v1 offset0:128 offset1:160
	s_movk_i32 s10, 0xa00
	v_add_u32_e32 v87, 0x1800, v1
	s_mov_b32 s11, 32
	s_waitcnt lgkmcnt(1)
	scratch_store_dwordx4 off, v[2:5], off offset:16
	s_waitcnt lgkmcnt(0)
	scratch_store_dwordx4 off, v[6:9], off offset:32
	scratch_load_dwordx4 v[18:21], off, off offset:16
	scratch_load_dwordx4 v[22:25], off, off offset:32
	ds_read2_b64 v[6:9], v1 offset0:192 offset1:224
	ds_read2_b64 v[26:29], v86 offset1:66
	ds_read_b128 v[30:33], v86 offset:256
	ds_read_b128 v[34:37], v86 offset:512
	;; [unrolled: 1-line block ×6, first 2 shown]
	ds_read2_b64 v[2:5], v86 offset0:132 offset1:198
	ds_read_b128 v[54:57], v86 offset:1280
	ds_read_b128 v[60:63], v86 offset:1296
	;; [unrolled: 1-line block ×3, first 2 shown]
	s_waitcnt lgkmcnt(11)
	scratch_store_dwordx4 off, v[6:9], off offset:48
	scratch_load_dwordx4 v[6:9], off, off offset:48
	s_waitcnt vmcnt(6) lgkmcnt(10)
	v_mul_f32_e32 v59, v26, v11
	v_mul_f32_e32 v58, v27, v11
	v_fmac_f32_e32 v59, v27, v10
	v_fma_f32 v58, v26, v10, -v58
	s_waitcnt lgkmcnt(9)
	v_mul_f32_e32 v11, v30, v59
	v_mul_f32_e32 v10, v31, v59
	s_waitcnt lgkmcnt(8)
	v_mul_f32_e32 v27, v34, v59
	s_waitcnt lgkmcnt(7)
	;; [unrolled: 2-line block ×3, first 2 shown]
	v_mul_f32_e32 v67, v46, v59
	v_fmac_f32_e32 v11, v31, v58
	v_mul_f32_e32 v26, v35, v59
	v_mul_f32_e32 v64, v39, v59
	v_mul_f32_e32 v66, v47, v59
	v_fma_f32 v10, v30, v58, -v10
	v_fmac_f32_e32 v27, v35, v58
	v_fmac_f32_e32 v65, v39, v58
	;; [unrolled: 1-line block ×3, first 2 shown]
	v_sub_f32_e32 v11, v13, v11
	v_fma_f32 v26, v34, v58, -v26
	v_fma_f32 v30, v38, v58, -v64
	v_fma_f32 v31, v46, v58, -v66
	v_sub_f32_e32 v10, v12, v10
	s_waitcnt vmcnt(3)
	v_sub_f32_e32 v13, v19, v27
	v_sub_f32_e32 v19, v21, v65
	s_waitcnt vmcnt(2)
	v_sub_f32_e32 v21, v23, v67
	v_mul_f32_e32 v67, v32, v11
	v_sub_f32_e32 v12, v18, v26
	v_sub_f32_e32 v18, v20, v30
	;; [unrolled: 1-line block ×3, first 2 shown]
	v_mul_f32_e32 v22, v33, v11
	v_fmac_f32_e32 v67, v33, v10
	v_fma_f32 v66, v32, v10, -v22
	v_mul_f32_e32 v11, v36, v67
	v_mul_f32_e32 v10, v37, v67
	v_fmac_f32_e32 v11, v37, v66
	v_mul_f32_e32 v22, v41, v67
	v_mul_f32_e32 v26, v49, v67
	v_fma_f32 v10, v36, v66, -v10
	v_sub_f32_e32 v11, v13, v11
	v_fma_f32 v22, v40, v66, -v22
	v_fma_f32 v26, v48, v66, -v26
	v_sub_f32_e32 v10, v12, v10
	v_mul_f32_e32 v79, v28, v11
	v_mul_f32_e32 v23, v40, v67
	v_sub_f32_e32 v12, v18, v22
	v_sub_f32_e32 v18, v20, v26
	v_mul_f32_e32 v20, v29, v11
	v_fmac_f32_e32 v79, v29, v10
	v_fmac_f32_e32 v23, v41, v66
	v_fma_f32 v78, v28, v10, -v20
	v_mul_f32_e32 v11, v42, v79
	v_sub_f32_e32 v13, v19, v23
	v_mul_f32_e32 v10, v43, v79
	v_fmac_f32_e32 v11, v43, v78
	v_mul_f32_e32 v27, v48, v67
	s_waitcnt lgkmcnt(4)
	v_mul_f32_e32 v20, v51, v79
	v_fma_f32 v10, v42, v78, -v10
	v_sub_f32_e32 v11, v13, v11
	v_fmac_f32_e32 v27, v49, v66
	v_fma_f32 v20, v50, v78, -v20
	v_sub_f32_e32 v10, v12, v10
	v_mul_f32_e32 v81, v44, v11
	v_sub_f32_e32 v19, v21, v27
	v_mul_f32_e32 v21, v50, v79
	;; [unrolled: 2-line block ×3, first 2 shown]
	v_fmac_f32_e32 v81, v45, v10
	v_fmac_f32_e32 v21, v51, v78
	v_fma_f32 v80, v44, v10, -v18
	v_mul_f32_e32 v11, v52, v81
	v_sub_f32_e32 v13, v19, v21
	v_mul_f32_e32 v10, v53, v81
	v_fmac_f32_e32 v11, v53, v80
	v_fma_f32 v10, v52, v80, -v10
	v_sub_f32_e32 v11, v13, v11
	v_sub_f32_e32 v10, v12, v10
	s_waitcnt lgkmcnt(3)
	v_mul_f32_e32 v83, v2, v11
	v_mul_f32_e32 v12, v3, v11
	v_fmac_f32_e32 v83, v3, v10
	s_waitcnt lgkmcnt(2)
	v_mul_f32_e32 v3, v54, v59
	v_mul_f32_e32 v68, v55, v59
	v_fmac_f32_e32 v3, v55, v58
	v_mul_f32_e32 v11, v56, v67
	v_fma_f32 v82, v2, v10, -v12
	v_fma_f32 v2, v54, v58, -v68
	v_sub_f32_e32 v3, v25, v3
	v_mul_f32_e32 v10, v57, v67
	v_fmac_f32_e32 v11, v57, v66
	v_sub_f32_e32 v2, v24, v2
	v_fma_f32 v10, v56, v66, -v10
	v_sub_f32_e32 v3, v3, v11
	s_waitcnt lgkmcnt(1)
	v_mul_f32_e32 v11, v60, v79
	v_sub_f32_e32 v2, v2, v10
	v_mul_f32_e32 v10, v61, v79
	v_fmac_f32_e32 v11, v61, v78
	v_fma_f32 v10, v60, v78, -v10
	v_sub_f32_e32 v3, v3, v11
	v_mul_f32_e32 v11, v62, v81
	v_sub_f32_e32 v2, v2, v10
	v_mul_f32_e32 v10, v63, v81
	v_fmac_f32_e32 v11, v63, v80
	v_fma_f32 v10, v62, v80, -v10
	v_sub_f32_e32 v3, v3, v11
	s_waitcnt lgkmcnt(0)
	v_mul_f32_e32 v11, v14, v83
	v_sub_f32_e32 v2, v2, v10
	v_mul_f32_e32 v10, v15, v83
	v_fmac_f32_e32 v11, v15, v82
	v_fma_f32 v10, v14, v82, -v10
	v_sub_f32_e32 v3, v3, v11
	v_sub_f32_e32 v2, v2, v10
	v_mul_f32_e32 v10, v17, v3
	v_fma_f32 v84, v16, v2, -v10
	ds_read_b128 v[10:13], v86 offset:1536
	v_mul_f32_e32 v85, v16, v3
	v_fmac_f32_e32 v85, v17, v2
	scratch_store_dwordx2 off, v[66:67], off offset:8
	scratch_store_dwordx2 off, v[78:79], off offset:16
	s_waitcnt lgkmcnt(0)
	v_mul_f32_e32 v2, v11, v59
	v_mul_f32_e32 v3, v10, v59
	v_fma_f32 v2, v10, v58, -v2
	v_fmac_f32_e32 v3, v11, v58
	scratch_store_dwordx2 off, v[80:81], off offset:24
	scratch_store_dwordx2 off, v[82:83], off offset:32
	;; [unrolled: 1-line block ×3, first 2 shown]
	s_waitcnt vmcnt(5)
	v_sub_f32_e32 v2, v6, v2
	v_sub_f32_e32 v3, v7, v3
	v_mul_f32_e32 v6, v13, v67
	v_mul_f32_e32 v7, v12, v67
	ds_read_b128 v[14:17], v86 offset:1552
	ds_read_b128 v[18:21], v86 offset:1568
	v_fma_f32 v6, v12, v66, -v6
	v_fmac_f32_e32 v7, v13, v66
	scratch_load_dwordx4 v[10:13], off, off offset:8
	v_sub_f32_e32 v3, v3, v7
	s_waitcnt lgkmcnt(1)
	v_mul_f32_e32 v7, v14, v79
	v_sub_f32_e32 v2, v2, v6
	v_mul_f32_e32 v6, v15, v79
	v_fmac_f32_e32 v7, v15, v78
	v_fma_f32 v6, v14, v78, -v6
	v_sub_f32_e32 v3, v3, v7
	v_mul_f32_e32 v7, v16, v81
	v_sub_f32_e32 v2, v2, v6
	v_mul_f32_e32 v6, v17, v81
	v_fmac_f32_e32 v7, v17, v80
	v_fma_f32 v6, v16, v80, -v6
	v_sub_f32_e32 v3, v3, v7
	s_waitcnt lgkmcnt(0)
	v_mul_f32_e32 v7, v18, v83
	v_sub_f32_e32 v2, v2, v6
	v_mul_f32_e32 v6, v19, v83
	v_fmac_f32_e32 v7, v19, v82
	v_fma_f32 v6, v18, v82, -v6
	v_sub_f32_e32 v3, v3, v7
	v_mul_f32_e32 v7, v20, v85
	v_sub_f32_e32 v2, v2, v6
	v_mul_f32_e32 v6, v21, v85
	v_fmac_f32_e32 v7, v21, v84
	scratch_load_dwordx4 v[14:17], off, off offset:24
	v_fma_f32 v6, v20, v84, -v6
	v_sub_f32_e32 v3, v3, v7
	v_sub_f32_e32 v6, v2, v6
	v_mul_f32_e32 v2, v5, v3
	v_mul_f32_e32 v3, v4, v3
	v_fma_f32 v2, v4, v6, -v2
	v_fmac_f32_e32 v3, v5, v6
	scratch_store_dwordx2 off, v[2:3], off offset:48
	scratch_load_dwordx4 v[4:7], off, off offset:40
	ds_read2_b64 v[18:21], v89 offset1:32
	scratch_store_dwordx2 off, v[58:59], off
	s_waitcnt lgkmcnt(0)
	scratch_store_dwordx4 off, v[18:21], off offset:64
	ds_read_b128 v[18:21], v86 offset:1792
	ds_read_b128 v[22:25], v86 offset:1808
	;; [unrolled: 1-line block ×4, first 2 shown]
	scratch_load_dwordx4 v[34:37], off, off offset:64
	s_waitcnt lgkmcnt(3)
	v_mul_f32_e32 v2, v19, v59
	v_mul_f32_e32 v3, v18, v59
	v_fma_f32 v2, v18, v58, -v2
	v_fmac_f32_e32 v3, v19, v58
	v_sub_f32_e32 v2, v8, v2
	v_sub_f32_e32 v3, v9, v3
	s_waitcnt vmcnt(6)
	v_mul_f32_e32 v8, v21, v11
	v_mul_f32_e32 v9, v20, v11
	v_fma_f32 v8, v20, v10, -v8
	v_fmac_f32_e32 v9, v21, v10
	scratch_load_dwordx4 v[18:21], off, off
	v_sub_f32_e32 v2, v2, v8
	s_waitcnt lgkmcnt(2)
	v_mul_f32_e32 v8, v23, v13
	v_sub_f32_e32 v3, v3, v9
	v_fma_f32 v8, v22, v12, -v8
	v_mul_f32_e32 v9, v22, v13
	v_fmac_f32_e32 v9, v23, v12
	v_sub_f32_e32 v2, v2, v8
	v_sub_f32_e32 v3, v3, v9
	s_waitcnt vmcnt(6)
	v_mul_f32_e32 v8, v25, v15
	v_fma_f32 v8, v24, v14, -v8
	v_mul_f32_e32 v9, v24, v15
	v_fmac_f32_e32 v9, v25, v14
	v_sub_f32_e32 v2, v2, v8
	s_waitcnt lgkmcnt(1)
	v_mul_f32_e32 v8, v27, v17
	v_sub_f32_e32 v3, v3, v9
	scratch_load_dwordx4 v[12:15], off, off offset:16
	v_fma_f32 v8, v26, v16, -v8
	v_mul_f32_e32 v9, v26, v17
	v_fmac_f32_e32 v9, v27, v16
	v_sub_f32_e32 v2, v2, v8
	s_waitcnt vmcnt(5)
	v_mul_f32_e32 v8, v29, v5
	v_mul_f32_e32 v5, v28, v5
	v_sub_f32_e32 v3, v3, v9
	v_fma_f32 v8, v28, v4, -v8
	v_fmac_f32_e32 v5, v29, v4
	s_waitcnt lgkmcnt(0)
	v_mul_f32_e32 v11, v30, v7
	v_sub_f32_e32 v8, v2, v8
	v_sub_f32_e32 v9, v3, v5
	scratch_load_dwordx4 v[2:5], off, off offset:32
	v_mul_f32_e32 v10, v31, v7
	v_fmac_f32_e32 v11, v31, v6
	v_fma_f32 v10, v30, v6, -v10
	v_sub_f32_e32 v9, v9, v11
	v_sub_f32_e32 v8, v8, v10
	v_mul_f32_e32 v10, v33, v9
	v_mul_f32_e32 v39, v32, v9
	v_fma_f32 v38, v32, v8, -v10
	v_fmac_f32_e32 v39, v33, v8
	scratch_store_dwordx2 off, v[38:39], off offset:56
	scratch_load_dwordx4 v[8:11], off, off offset:48
	scratch_load_dwordx4 v[22:25], off, off
	ds_read2_b64 v[26:29], v89 offset0:64 offset1:96
	s_waitcnt lgkmcnt(0)
	scratch_store_dwordx4 off, v[26:29], off offset:80
	ds_read2_b64 v[60:63], v89 offset0:128 offset1:160
	ds_read_b128 v[26:29], v86 offset:2048
	ds_read_b128 v[30:33], v86 offset:2064
	scratch_load_dwordx4 v[40:43], off, off offset:16
	ds_read_b128 v[44:47], v86 offset:2080
	ds_read_b128 v[48:51], v86 offset:2096
	scratch_load_dwordx4 v[52:55], off, off offset:48
	s_waitcnt vmcnt(8) lgkmcnt(3)
	v_mul_f32_e32 v16, v27, v19
	v_mul_f32_e32 v17, v26, v19
	v_fma_f32 v16, v26, v18, -v16
	v_fmac_f32_e32 v17, v27, v18
	v_mul_f32_e32 v18, v29, v21
	v_mul_f32_e32 v19, v28, v21
	v_fma_f32 v18, v28, v20, -v18
	v_fmac_f32_e32 v19, v29, v20
	scratch_load_dwordx4 v[26:29], off, off offset:32
	v_sub_f32_e32 v16, v34, v16
	v_sub_f32_e32 v16, v16, v18
	;; [unrolled: 1-line block ×4, first 2 shown]
	s_waitcnt vmcnt(8) lgkmcnt(2)
	v_mul_f32_e32 v18, v31, v13
	v_fma_f32 v18, v30, v12, -v18
	v_mul_f32_e32 v13, v30, v13
	v_fmac_f32_e32 v13, v31, v12
	v_sub_f32_e32 v12, v16, v18
	v_mul_f32_e32 v16, v33, v15
	v_mul_f32_e32 v15, v32, v15
	v_fma_f32 v16, v32, v14, -v16
	v_fmac_f32_e32 v15, v33, v14
	v_sub_f32_e32 v13, v17, v13
	v_sub_f32_e32 v12, v12, v16
	;; [unrolled: 1-line block ×3, first 2 shown]
	s_waitcnt vmcnt(7) lgkmcnt(1)
	v_mul_f32_e32 v14, v45, v3
	v_fma_f32 v14, v44, v2, -v14
	v_mul_f32_e32 v3, v44, v3
	v_fmac_f32_e32 v3, v45, v2
	v_sub_f32_e32 v2, v12, v14
	v_mul_f32_e32 v12, v47, v5
	v_mul_f32_e32 v5, v46, v5
	v_sub_f32_e32 v3, v13, v3
	v_fmac_f32_e32 v5, v47, v4
	v_sub_f32_e32 v3, v3, v5
	s_waitcnt vmcnt(5) lgkmcnt(0)
	v_mul_f32_e32 v5, v48, v9
	v_fma_f32 v12, v46, v4, -v12
	v_mul_f32_e32 v4, v49, v9
	v_fmac_f32_e32 v5, v49, v8
	v_sub_f32_e32 v2, v2, v12
	v_fma_f32 v4, v48, v8, -v4
	v_sub_f32_e32 v3, v3, v5
	v_add_u32_e64 v5, s7, 0
	v_sub_f32_e32 v2, v2, v4
	v_mul_f32_e32 v4, v51, v39
	ds_read2_b64 v[14:17], v5 offset0:8 offset1:74
	v_mul_f32_e32 v5, v50, v39
	v_fma_f32 v4, v50, v38, -v4
	v_fmac_f32_e32 v5, v51, v38
	v_sub_f32_e32 v12, v2, v4
	v_sub_f32_e32 v9, v3, v5
	ds_read_b128 v[2:5], v86 offset:2304
	s_waitcnt lgkmcnt(1)
	v_mul_f32_e32 v8, v15, v9
	v_mul_f32_e32 v9, v14, v9
	v_fma_f32 v8, v14, v12, -v8
	v_fmac_f32_e32 v9, v15, v12
	s_waitcnt vmcnt(4) lgkmcnt(0)
	v_mul_f32_e32 v12, v3, v23
	v_fma_f32 v12, v2, v22, -v12
	v_mul_f32_e32 v2, v2, v23
	v_fmac_f32_e32 v2, v3, v22
	v_sub_f32_e32 v3, v36, v12
	v_sub_f32_e32 v2, v37, v2
	scratch_load_dwordx4 v[36:39], off, off
	scratch_load_dwordx4 v[20:23], off, off offset:80
	v_mul_f32_e32 v12, v5, v25
	v_fma_f32 v12, v4, v24, -v12
	v_mul_f32_e32 v4, v4, v25
	v_fmac_f32_e32 v4, v5, v24
	scratch_store_dword off, v3, off offset:72
	v_sub_f32_e32 v18, v3, v12
	v_sub_f32_e32 v19, v2, v4
	ds_read_b128 v[2:5], v86 offset:2320
	scratch_store_dwordx2 off, v[8:9], off offset:64
	ds_read_b128 v[12:15], v86 offset:2336
	ds_read_b128 v[44:47], v86 offset:2352
	;; [unrolled: 1-line block ×3, first 2 shown]
	scratch_load_dwordx4 v[32:35], off, off offset:32
	s_movk_i32 s7, 0x1000
	s_waitcnt vmcnt(7) lgkmcnt(3)
	v_mul_f32_e32 v24, v3, v41
	v_fma_f32 v24, v2, v40, -v24
	v_mul_f32_e32 v2, v2, v41
	v_fmac_f32_e32 v2, v3, v40
	v_sub_f32_e32 v3, v18, v24
	v_mul_f32_e32 v18, v5, v43
	v_fma_f32 v18, v4, v42, -v18
	v_mul_f32_e32 v4, v4, v43
	v_sub_f32_e32 v2, v19, v2
	v_fmac_f32_e32 v4, v5, v42
	s_waitcnt vmcnt(5) lgkmcnt(2)
	v_mul_f32_e32 v5, v12, v27
	v_sub_f32_e32 v2, v2, v4
	v_mul_f32_e32 v4, v13, v27
	v_fmac_f32_e32 v5, v13, v26
	v_sub_f32_e32 v3, v3, v18
	v_fma_f32 v4, v12, v26, -v4
	v_sub_f32_e32 v2, v2, v5
	v_mul_f32_e32 v5, v14, v29
	scratch_load_dwordx4 v[40:43], off, off offset:16
	v_sub_f32_e32 v3, v3, v4
	v_mul_f32_e32 v4, v15, v29
	v_fmac_f32_e32 v5, v15, v28
	v_fma_f32 v4, v14, v28, -v4
	v_sub_f32_e32 v2, v2, v5
	s_waitcnt lgkmcnt(1)
	v_mul_f32_e32 v5, v44, v53
	v_sub_f32_e32 v3, v3, v4
	v_mul_f32_e32 v4, v45, v53
	v_fmac_f32_e32 v5, v45, v52
	v_fma_f32 v4, v44, v52, -v4
	v_sub_f32_e32 v2, v2, v5
	v_mul_f32_e32 v5, v46, v55
	v_sub_f32_e32 v3, v3, v4
	v_mul_f32_e32 v4, v47, v55
	v_fmac_f32_e32 v5, v47, v54
	v_fma_f32 v4, v46, v54, -v4
	v_sub_f32_e32 v2, v2, v5
	s_waitcnt lgkmcnt(0)
	v_mul_f32_e32 v5, v48, v9
	v_sub_f32_e32 v3, v3, v4
	v_mul_f32_e32 v4, v49, v9
	v_fmac_f32_e32 v5, v49, v8
	v_fma_f32 v4, v48, v8, -v4
	v_sub_f32_e32 v2, v2, v5
	scratch_load_dwordx4 v[24:27], off, off offset:48
	v_sub_f32_e32 v3, v3, v4
	v_mul_f32_e32 v4, v51, v2
	v_mul_f32_e32 v19, v50, v2
	v_fma_f32 v18, v50, v3, -v4
	v_fmac_f32_e32 v19, v51, v3
	scratch_store_dwordx2 off, v[18:19], off offset:72
	scratch_load_dwordx4 v[12:15], off, off offset:64
	ds_read2_b64 v[2:5], v89 offset0:192 offset1:224
	scratch_store_dwordx4 off, v[60:63], off offset:96
	s_waitcnt lgkmcnt(0)
	scratch_store_dwordx4 off, v[2:5], off offset:112
	ds_read2_b64 v[2:5], v88 offset1:32
	ds_read2_b64 v[28:31], v88 offset0:64 offset1:96
	ds_read2_b64 v[48:51], v88 offset0:128 offset1:160
	ds_read_b128 v[44:47], v86 offset:2560
	s_waitcnt lgkmcnt(3)
	scratch_store_dwordx4 off, v[2:5], off offset:128
	s_waitcnt lgkmcnt(2)
	scratch_store_dwordx4 off, v[28:31], off offset:144
	;; [unrolled: 2-line block ×3, first 2 shown]
	scratch_load_dwordx4 v[28:31], off, off
	s_waitcnt lgkmcnt(0)
	v_mov_b32_e32 v48, v45
	v_mov_b32_e32 v49, v46
	ds_read2_b64 v[2:5], v88 offset0:192 offset1:224
	s_waitcnt vmcnt(14)
	v_mov_b32_e32 v50, v36
	v_mov_b32_e32 v52, v37
	v_pk_mul_f32 v[36:37], v[44:45], v[36:37]
	v_mov_b32_e32 v53, v39
	v_sub_f32_e32 v36, v36, v37
	v_mov_b32_e32 v45, v47
	v_mov_b32_e32 v51, v38
	s_waitcnt vmcnt(13)
	v_sub_f32_e32 v20, v20, v36
	v_pk_mul_f32 v[36:37], v[44:45], v[52:53]
	v_mul_f32_e32 v39, v46, v39
	v_pk_fma_f32 v[44:45], v[48:49], v[50:51], v[36:37] neg_lo:[0,0,1] neg_hi:[0,0,1]
	v_pk_fma_f32 v[36:37], v[48:49], v[50:51], v[36:37]
	scratch_load_dwordx4 v[48:51], off, off offset:8
	v_pk_mov_b32 v[36:37], v[44:45], v[36:37] op_sel:[1,0]
	v_fmac_f32_e32 v39, v47, v38
	v_pk_add_f32 v[20:21], v[20:21], v[36:37] neg_lo:[0,1] neg_hi:[0,1]
	scratch_store_dwordx2 off, v[20:21], off offset:80
	v_sub_f32_e32 v56, v21, v39
	ds_read_b128 v[36:39], v86 offset:2576
	ds_read_b128 v[44:47], v86 offset:2592
	;; [unrolled: 1-line block ×4, first 2 shown]
	scratch_load_dwordx4 v[68:71], off, off offset:24
	s_waitcnt vmcnt(12) lgkmcnt(3)
	v_mul_f32_e32 v21, v37, v41
	v_fma_f32 v21, v36, v40, -v21
	v_mul_f32_e32 v36, v36, v41
	v_fmac_f32_e32 v36, v37, v40
	v_sub_f32_e32 v20, v20, v21
	v_sub_f32_e32 v21, v56, v36
	v_mul_f32_e32 v36, v39, v43
	v_mul_f32_e32 v37, v38, v43
	v_fma_f32 v36, v38, v42, -v36
	v_fmac_f32_e32 v37, v39, v42
	scratch_load_dwordx4 v[40:43], off, off offset:40
	v_sub_f32_e32 v20, v20, v36
	s_waitcnt lgkmcnt(2)
	v_mul_f32_e32 v36, v45, v33
	v_mul_f32_e32 v33, v44, v33
	v_fma_f32 v36, v44, v32, -v36
	v_fmac_f32_e32 v33, v45, v32
	v_mul_f32_e32 v32, v47, v35
	v_sub_f32_e32 v21, v21, v37
	v_sub_f32_e32 v20, v20, v36
	v_fma_f32 v32, v46, v34, -v32
	v_sub_f32_e32 v21, v21, v33
	v_mul_f32_e32 v33, v46, v35
	v_sub_f32_e32 v20, v20, v32
	v_fmac_f32_e32 v33, v47, v34
	s_waitcnt vmcnt(12) lgkmcnt(1)
	v_mul_f32_e32 v32, v53, v25
	v_mul_f32_e32 v25, v52, v25
	v_fma_f32 v32, v52, v24, -v32
	v_fmac_f32_e32 v25, v53, v24
	v_mul_f32_e32 v24, v55, v27
	v_sub_f32_e32 v21, v21, v33
	v_sub_f32_e32 v20, v20, v32
	v_fma_f32 v24, v54, v26, -v24
	v_sub_f32_e32 v21, v21, v25
	v_mul_f32_e32 v25, v54, v27
	v_sub_f32_e32 v20, v20, v24
	s_waitcnt vmcnt(10) lgkmcnt(0)
	v_mul_f32_e32 v24, v61, v13
	v_fmac_f32_e32 v25, v55, v26
	v_fma_f32 v24, v60, v12, -v24
	v_mul_f32_e32 v13, v60, v13
	v_sub_f32_e32 v21, v21, v25
	v_fmac_f32_e32 v13, v61, v12
	v_sub_f32_e32 v12, v20, v24
	scratch_load_dwordx4 v[24:27], off, off offset:56
	v_mul_f32_e32 v20, v63, v19
	v_mul_f32_e32 v19, v62, v19
	v_sub_f32_e32 v13, v21, v13
	v_fmac_f32_e32 v19, v63, v18
	v_fma_f32 v20, v62, v18, -v20
	v_sub_f32_e32 v13, v13, v19
	v_sub_f32_e32 v18, v12, v20
	v_mul_f32_e32 v12, v17, v13
	v_mul_f32_e32 v13, v16, v13
	v_fma_f32 v12, v16, v18, -v12
	v_fmac_f32_e32 v13, v17, v18
	scratch_store_dwordx2 off, v[12:13], off offset:80
	scratch_load_dwordx4 v[18:21], off, off offset:72
	ds_read_b96 v[32:34], v86 offset:2816
	s_waitcnt vmcnt(7)
	v_mov_b32_e32 v36, v28
	v_mov_b32_e32 v37, v30
	;; [unrolled: 1-line block ×4, first 2 shown]
	s_waitcnt lgkmcnt(0)
	v_pk_mul_f32 v[28:29], v[32:33], v[28:29]
	v_mov_b32_e32 v16, v33
	v_sub_f32_e32 v33, v28, v29
	v_mov_b32_e32 v28, 0xb0c
	ds_read2_b32 v[28:29], v28 offset1:1
	ds_read2_b32 v[44:45], v35 offset1:1
	v_sub_f32_e32 v22, v22, v33
	v_mov_b32_e32 v17, v34
	s_waitcnt vmcnt(6)
	v_mov_b32_e32 v38, v48
	s_waitcnt lgkmcnt(1)
	v_mov_b32_e32 v33, v28
	v_pk_mul_f32 v[30:31], v[32:33], v[30:31]
	v_mov_b32_e32 v39, v50
	v_pk_fma_f32 v[32:33], v[16:17], v[36:37], v[30:31] neg_lo:[0,0,1] neg_hi:[0,0,1]
	v_pk_fma_f32 v[16:17], v[16:17], v[36:37], v[30:31]
	v_mov_b32_e32 v48, v51
	v_pk_mov_b32 v[16:17], v[32:33], v[16:17] op_sel:[1,0]
	s_waitcnt lgkmcnt(0)
	v_mov_b32_e32 v30, v44
	v_pk_add_f32 v[16:17], v[22:23], v[16:17] neg_lo:[0,1] neg_hi:[0,1]
	v_pk_mul_f32 v[22:23], v[28:29], v[38:39]
	v_mov_b32_e32 v31, v34
	v_pk_fma_f32 v[32:33], v[30:31], v[48:49], v[22:23] op_sel:[0,0,1] op_sel_hi:[1,1,0] neg_lo:[1,0,0] neg_hi:[1,0,0]
	v_pk_fma_f32 v[22:23], v[30:31], v[48:49], v[22:23] op_sel:[0,0,1] op_sel_hi:[1,1,0]
	v_mul_f32_e32 v28, v29, v51
	v_mov_b32_e32 v22, 0xb1c
	ds_read2_b32 v[46:47], v22 offset1:1
	v_mov_b32_e32 v33, v23
	v_fmac_f32_e32 v28, v44, v50
	v_pk_add_f32 v[22:23], v[16:17], v[32:33] neg_lo:[0,1] neg_hi:[0,1]
	scratch_store_dwordx2 off, v[22:23], off offset:88
	s_waitcnt vmcnt(5) lgkmcnt(0)
	v_mul_f32_e32 v16, v46, v69
	v_sub_f32_e32 v28, v23, v28
	v_fma_f32 v23, v45, v68, -v16
	v_mov_b32_e32 v16, 0xb24
	scratch_load_dwordx4 v[36:39], off, off
	ds_read2_b32 v[16:17], v16 offset1:1
	v_mul_f32_e32 v29, v45, v69
	v_sub_f32_e32 v44, v22, v23
	v_fmac_f32_e32 v29, v46, v68
	v_sub_f32_e32 v45, v28, v29
	s_waitcnt lgkmcnt(0)
	v_mul_f32_e32 v22, v16, v71
	v_fma_f32 v46, v47, v70, -v22
	v_mov_b32_e32 v22, 0xb2c
	scratch_load_dwordx4 v[28:31], off, off offset:96
	scratch_load_dwordx4 v[32:35], off, off offset:8
	ds_read2_b32 v[22:23], v22 offset1:1
	v_mov_b32_e32 v48, 0xb34
	ds_read2_b32 v[48:49], v48 offset1:1
	v_mul_f32_e32 v47, v47, v71
	v_fmac_f32_e32 v47, v16, v70
	v_sub_f32_e32 v16, v44, v46
	s_waitcnt vmcnt(7) lgkmcnt(1)
	v_mul_f32_e32 v44, v22, v41
	v_fma_f32 v51, v17, v40, -v44
	v_mul_f32_e32 v17, v17, v41
	v_fmac_f32_e32 v17, v22, v40
	v_sub_f32_e32 v22, v16, v51
	s_waitcnt lgkmcnt(0)
	v_mul_f32_e32 v16, v48, v43
	v_sub_f32_e32 v50, v45, v47
	v_fma_f32 v41, v23, v42, -v16
	v_mov_b32_e32 v16, 0xb3c
	scratch_load_dwordx4 v[44:47], off, off offset:16
	v_sub_f32_e32 v40, v50, v17
	ds_read2_b32 v[16:17], v16 offset1:1
	v_mul_f32_e32 v23, v23, v43
	v_fmac_f32_e32 v23, v48, v42
	v_sub_f32_e32 v41, v22, v41
	v_sub_f32_e32 v40, v40, v23
	s_waitcnt vmcnt(7) lgkmcnt(0)
	v_mul_f32_e32 v22, v16, v25
	v_mul_f32_e32 v25, v49, v25
	v_fma_f32 v42, v49, v24, -v22
	v_fmac_f32_e32 v25, v16, v24
	v_sub_f32_e32 v16, v41, v42
	v_sub_f32_e32 v48, v40, v25
	scratch_load_dwordx4 v[40:43], off, off offset:32
	v_mov_b32_e32 v22, 0xb44
	ds_read2_b32 v[22:23], v22 offset1:1
	scratch_load_dwordx4 v[52:55], off, off offset:64
	ds_read_b96 v[60:62], v86 offset:3072
	ds_read_b96 v[68:70], v86 offset:3328
	s_waitcnt lgkmcnt(2)
	v_mul_f32_e32 v24, v22, v27
	v_fma_f32 v49, v17, v26, -v24
	v_mul_f32_e32 v17, v17, v27
	v_fmac_f32_e32 v17, v22, v26
	v_sub_f32_e32 v16, v16, v49
	v_sub_f32_e32 v17, v48, v17
	scratch_load_dwordx4 v[48:51], off, off offset:48
	v_mov_b32_e32 v24, 0xb4c
	ds_read2_b32 v[24:25], v24 offset1:1
	v_mov_b32_e32 v26, 0xb54
	ds_read2_b32 v[26:27], v26 offset1:1
	s_waitcnt vmcnt(8) lgkmcnt(1)
	v_mul_f32_e32 v22, v24, v19
	v_fma_f32 v22, v23, v18, -v22
	v_mul_f32_e32 v19, v23, v19
	v_fmac_f32_e32 v19, v24, v18
	v_sub_f32_e32 v18, v16, v22
	s_waitcnt lgkmcnt(0)
	v_mul_f32_e32 v16, v26, v13
	v_fma_f32 v22, v25, v12, -v16
	v_add_u32_e64 v16, s10, 0
	v_sub_f32_e32 v19, v17, v19
	ds_read2_b32 v[16:17], v16 offset0:87 offset1:153
	v_mul_f32_e32 v13, v25, v13
	v_fmac_f32_e32 v13, v26, v12
	v_sub_f32_e32 v13, v19, v13
	v_sub_f32_e32 v18, v18, v22
	s_waitcnt lgkmcnt(0)
	v_mul_f32_e32 v12, v16, v13
	v_mul_f32_e32 v13, v27, v13
	v_fma_f32 v12, v27, v18, -v12
	v_fmac_f32_e32 v13, v16, v18
	scratch_store_dwordx2 off, v[12:13], off offset:88
	scratch_load_dwordx4 v[22:25], off, off offset:80
	v_mov_b32_e32 v16, 0xc1c
	ds_read2_b32 v[26:27], v16 offset1:1
	s_waitcnt vmcnt(8)
	v_mov_b32_e32 v56, v36
	v_mov_b32_e32 v57, v38
	;; [unrolled: 1-line block ×3, first 2 shown]
	v_pk_mul_f32 v[36:37], v[60:61], v[36:37]
	v_mov_b32_e32 v18, v61
	v_sub_f32_e32 v16, v36, v37
	v_mov_b32_e32 v36, 0xc0c
	ds_read2_b32 v[36:37], v36 offset1:1
	v_mov_b32_e32 v19, v62
	s_waitcnt vmcnt(6)
	v_mov_b32_e32 v64, v32
	v_mov_b32_e32 v65, v34
	;; [unrolled: 1-line block ×3, first 2 shown]
	s_waitcnt lgkmcnt(0)
	v_mov_b32_e32 v61, v36
	v_pk_mul_f32 v[34:35], v[60:61], v[38:39]
	v_sub_f32_e32 v28, v28, v16
	v_pk_fma_f32 v[38:39], v[18:19], v[56:57], v[34:35] neg_lo:[0,0,1] neg_hi:[0,0,1]
	v_pk_fma_f32 v[18:19], v[18:19], v[56:57], v[34:35]
	v_mov_b32_e32 v16, 0xc14
	v_pk_mov_b32 v[18:19], v[38:39], v[18:19] op_sel:[1,0]
	v_pk_mul_f32 v[38:39], v[36:37], v[64:65]
	v_pk_add_f32 v[18:19], v[28:29], v[18:19] neg_lo:[0,1] neg_hi:[0,1]
	ds_read2_b32 v[28:29], v16 offset1:1
	v_mov_b32_e32 v57, v62
	v_mov_b32_e32 v36, v26
	s_movk_i32 s10, 0xc00
	s_waitcnt vmcnt(5)
	v_mov_b32_e32 v34, v44
	s_waitcnt lgkmcnt(0)
	v_mov_b32_e32 v56, v28
	v_mul_f32_e32 v16, v29, v47
	v_mov_b32_e32 v35, v46
	v_pk_fma_f32 v[60:61], v[28:29], v[32:33], v[38:39] op_sel:[0,0,1] op_sel_hi:[1,1,0] neg_lo:[1,0,0] neg_hi:[1,0,0]
	v_pk_fma_f32 v[32:33], v[56:57], v[32:33], v[38:39] op_sel:[0,0,1] op_sel_hi:[1,1,0]
	v_fmac_f32_e32 v16, v26, v46
	v_mov_b32_e32 v26, 0xc24
	v_mov_b32_e32 v61, v33
	v_pk_mul_f32 v[32:33], v[28:29], v[34:35]
	ds_read2_b32 v[28:29], v26 offset1:1
	v_mov_b32_e32 v44, v47
	v_pk_fma_f32 v[34:35], v[36:37], v[44:45], v[32:33] op_sel:[0,0,1] op_sel_hi:[1,1,0] neg_lo:[1,0,0] neg_hi:[1,0,0]
	v_pk_fma_f32 v[32:33], v[36:37], v[44:45], v[32:33] op_sel:[0,0,1] op_sel_hi:[1,1,0]
	v_pk_add_f32 v[18:19], v[18:19], v[60:61] neg_lo:[0,1] neg_hi:[0,1]
	v_mov_b32_e32 v35, v33
	v_pk_add_f32 v[18:19], v[18:19], v[34:35] neg_lo:[0,1] neg_hi:[0,1]
	scratch_store_dwordx2 off, v[18:19], off offset:96
	v_sub_f32_e32 v16, v19, v16
	s_waitcnt vmcnt(5) lgkmcnt(0)
	v_mul_f32_e32 v19, v28, v41
	v_mov_b32_e32 v26, 0xc2c
	v_fma_f32 v19, v27, v40, -v19
	v_mul_f32_e32 v41, v27, v41
	ds_read2_b32 v[26:27], v26 offset1:1
	scratch_load_dwordx4 v[32:35], off, off
	v_fmac_f32_e32 v41, v28, v40
	v_sub_f32_e32 v28, v18, v19
	scratch_load_dwordx4 v[36:39], off, off offset:8
	s_waitcnt lgkmcnt(0)
	v_mul_f32_e32 v18, v26, v43
	v_fma_f32 v40, v29, v42, -v18
	v_mov_b32_e32 v18, 0xc34
	ds_read2_b32 v[18:19], v18 offset1:1
	v_mul_f32_e32 v29, v29, v43
	v_fmac_f32_e32 v29, v26, v42
	v_sub_f32_e32 v26, v28, v40
	v_sub_f32_e32 v16, v16, v41
	s_waitcnt vmcnt(5) lgkmcnt(0)
	v_mul_f32_e32 v28, v18, v49
	v_fma_f32 v44, v27, v48, -v28
	v_mov_b32_e32 v28, 0xc3c
	v_sub_f32_e32 v16, v16, v29
	ds_read2_b32 v[28:29], v28 offset1:1
	scratch_load_dwordx4 v[40:43], off, off offset:16
	v_mul_f32_e32 v27, v27, v49
	v_fmac_f32_e32 v27, v18, v48
	v_sub_f32_e32 v18, v26, v44
	s_waitcnt lgkmcnt(0)
	v_mul_f32_e32 v26, v28, v51
	v_fma_f32 v48, v19, v50, -v26
	v_mov_b32_e32 v26, 0xc44
	v_sub_f32_e32 v16, v16, v27
	ds_read2_b32 v[26:27], v26 offset1:1
	scratch_load_dwordx4 v[44:47], off, off offset:24
	v_mul_f32_e32 v19, v19, v51
	v_fmac_f32_e32 v19, v28, v50
	v_sub_f32_e32 v28, v18, v48
	s_waitcnt lgkmcnt(0)
	v_mul_f32_e32 v18, v26, v53
	v_fma_f32 v48, v29, v52, -v18
	v_mov_b32_e32 v18, 0xc4c
	v_sub_f32_e32 v16, v16, v19
	ds_read2_b32 v[18:19], v18 offset1:1
	v_mul_f32_e32 v29, v29, v53
	v_fmac_f32_e32 v29, v26, v52
	v_sub_f32_e32 v28, v28, v48
	v_mul_f32_e32 v48, v27, v55
	v_sub_f32_e32 v16, v16, v29
	s_waitcnt lgkmcnt(0)
	v_fmac_f32_e32 v48, v18, v54
	v_mul_f32_e32 v26, v18, v55
	v_sub_f32_e32 v16, v16, v48
	scratch_load_dwordx4 v[48:51], off, off offset:40
	v_fma_f32 v29, v27, v54, -v26
	v_mov_b32_e32 v26, 0xc54
	ds_read2_b32 v[26:27], v26 offset1:1
	v_sub_f32_e32 v18, v28, v29
	scratch_load_dwordx4 v[60:63], off, off offset:72
	s_waitcnt vmcnt(7) lgkmcnt(0)
	v_mul_f32_e32 v28, v26, v23
	v_fma_f32 v52, v19, v22, -v28
	v_sub_f32_e32 v18, v18, v52
	scratch_load_dwordx4 v[52:55], off, off offset:56
	v_mov_b32_e32 v28, 0xc5c
	ds_read2_b32 v[28:29], v28 offset1:1
	v_mul_f32_e32 v19, v19, v23
	v_fmac_f32_e32 v19, v26, v22
	v_sub_f32_e32 v16, v16, v19
	s_waitcnt lgkmcnt(0)
	v_mul_f32_e32 v19, v28, v13
	v_fma_f32 v19, v27, v12, -v19
	v_mul_f32_e32 v13, v27, v13
	v_fmac_f32_e32 v13, v28, v12
	v_sub_f32_e32 v12, v18, v19
	v_sub_f32_e32 v13, v16, v13
	v_mul_f32_e32 v16, v17, v13
	v_mul_f32_e32 v23, v29, v13
	v_fma_f32 v22, v29, v12, -v16
	v_fmac_f32_e32 v23, v17, v12
	v_mov_b32_e32 v12, v69
	v_mov_b32_e32 v13, v70
	scratch_store_dwordx2 off, v[22:23], off offset:96
	v_mov_b32_e32 v16, 0xd24
	scratch_load_dwordx4 v[26:29], off, off offset:88
	ds_read2_b32 v[16:17], v16 offset1:1
	s_waitcnt vmcnt(8)
	v_mov_b32_e32 v18, v32
	v_mov_b32_e32 v19, v34
	;; [unrolled: 1-line block ×3, first 2 shown]
	v_pk_mul_f32 v[32:33], v[68:69], v[32:33]
	s_waitcnt vmcnt(7)
	v_mov_b32_e32 v56, v36
	v_sub_f32_e32 v32, v32, v33
	v_sub_f32_e32 v30, v30, v32
	v_mov_b32_e32 v32, 0xd0c
	ds_read2_b32 v[32:33], v32 offset1:1
	v_mov_b32_e32 v57, v38
	v_mov_b32_e32 v36, v39
	s_waitcnt lgkmcnt(0)
	v_mov_b32_e32 v69, v32
	v_pk_mul_f32 v[34:35], v[68:69], v[34:35]
	s_nop 0
	v_pk_fma_f32 v[38:39], v[12:13], v[18:19], v[34:35] neg_lo:[0,0,1] neg_hi:[0,0,1]
	v_pk_fma_f32 v[12:13], v[12:13], v[18:19], v[34:35]
	v_mov_b32_e32 v18, 0xd14
	ds_read2_b32 v[18:19], v18 offset1:1
	v_pk_mov_b32 v[12:13], v[38:39], v[12:13] op_sel:[1,0]
	v_pk_mul_f32 v[34:35], v[32:33], v[56:57]
	v_mov_b32_e32 v39, v70
	v_pk_add_f32 v[12:13], v[30:31], v[12:13] neg_lo:[0,1] neg_hi:[0,1]
	s_waitcnt lgkmcnt(0)
	v_mov_b32_e32 v38, v18
	s_waitcnt vmcnt(6)
	v_mov_b32_e32 v30, v40
	v_mov_b32_e32 v31, v42
	;; [unrolled: 1-line block ×3, first 2 shown]
	v_pk_fma_f32 v[42:43], v[18:19], v[36:37], v[34:35] op_sel:[0,0,1] op_sel_hi:[1,1,0] neg_lo:[1,0,0] neg_hi:[1,0,0]
	v_pk_fma_f32 v[34:35], v[38:39], v[36:37], v[34:35] op_sel:[0,0,1] op_sel_hi:[1,1,0]
	v_mov_b32_e32 v32, 0xd1c
	v_mov_b32_e32 v43, v35
	ds_read2_b32 v[34:35], v32 offset1:1
	v_pk_mul_f32 v[30:31], v[18:19], v[30:31]
	s_waitcnt vmcnt(5)
	v_mov_b32_e32 v36, v44
	v_mov_b32_e32 v37, v46
	;; [unrolled: 1-line block ×3, first 2 shown]
	s_waitcnt lgkmcnt(0)
	v_mov_b32_e32 v32, v34
	v_pk_fma_f32 v[38:39], v[34:35], v[40:41], v[30:31] op_sel:[0,0,1] op_sel_hi:[1,1,0] neg_lo:[1,0,0] neg_hi:[1,0,0]
	v_pk_fma_f32 v[30:31], v[32:33], v[40:41], v[30:31] op_sel:[0,0,1] op_sel_hi:[1,1,0]
	v_mov_b32_e32 v18, v16
	v_mov_b32_e32 v39, v31
	v_pk_mul_f32 v[30:31], v[34:35], v[36:37]
	v_pk_add_f32 v[12:13], v[12:13], v[42:43] neg_lo:[0,1] neg_hi:[0,1]
	v_pk_fma_f32 v[32:33], v[18:19], v[44:45], v[30:31] op_sel:[0,0,1] op_sel_hi:[1,1,0] neg_lo:[1,0,0] neg_hi:[1,0,0]
	v_pk_fma_f32 v[18:19], v[18:19], v[44:45], v[30:31] op_sel:[0,0,1] op_sel_hi:[1,1,0]
	v_pk_add_f32 v[12:13], v[12:13], v[38:39] neg_lo:[0,1] neg_hi:[0,1]
	v_mov_b32_e32 v33, v19
	v_mul_f32_e32 v18, v35, v47
	v_mov_b32_e32 v19, 0xd2c
	ds_read2_b32 v[30:31], v19 offset1:1
	v_fmac_f32_e32 v18, v16, v46
	v_pk_add_f32 v[12:13], v[12:13], v[32:33] neg_lo:[0,1] neg_hi:[0,1]
	scratch_store_dwordx2 off, v[12:13], off offset:104
	v_sub_f32_e32 v16, v13, v18
	v_mov_b32_e32 v18, 0xd34
	ds_read2_b32 v[32:33], v18 offset1:1
	s_waitcnt vmcnt(5) lgkmcnt(1)
	v_mul_f32_e32 v13, v30, v49
	scratch_load_dwordx4 v[34:37], off, off
	v_fma_f32 v13, v17, v48, -v13
	v_mul_f32_e32 v17, v17, v49
	v_fmac_f32_e32 v17, v30, v48
	v_sub_f32_e32 v30, v12, v13
	s_waitcnt lgkmcnt(0)
	v_mul_f32_e32 v12, v32, v51
	v_fma_f32 v43, v31, v50, -v12
	v_mov_b32_e32 v12, 0xd3c
	v_sub_f32_e32 v42, v16, v17
	scratch_load_dwordx4 v[16:19], off, off offset:112
	scratch_load_dwordx4 v[38:41], off, off offset:8
	ds_read2_b32 v[12:13], v12 offset1:1
	v_mul_f32_e32 v31, v31, v51
	v_fmac_f32_e32 v31, v32, v50
	v_sub_f32_e32 v32, v30, v43
	v_sub_f32_e32 v46, v42, v31
	s_waitcnt vmcnt(6) lgkmcnt(0)
	v_mul_f32_e32 v30, v12, v53
	v_fma_f32 v47, v33, v52, -v30
	v_mov_b32_e32 v30, 0xd44
	scratch_load_dwordx4 v[42:45], off, off offset:16
	ds_read2_b32 v[30:31], v30 offset1:1
	v_mul_f32_e32 v33, v33, v53
	v_fmac_f32_e32 v33, v12, v52
	v_sub_f32_e32 v32, v32, v47
	v_sub_f32_e32 v33, v46, v33
	s_waitcnt lgkmcnt(0)
	v_mul_f32_e32 v12, v30, v55
	v_fma_f32 v46, v13, v54, -v12
	v_mul_f32_e32 v47, v13, v55
	v_mov_b32_e32 v12, 0xd4c
	ds_read2_b32 v[12:13], v12 offset1:1
	v_fmac_f32_e32 v47, v30, v54
	v_sub_f32_e32 v30, v32, v46
	v_sub_f32_e32 v50, v33, v47
	scratch_load_dwordx4 v[46:49], off, off offset:24
	s_waitcnt lgkmcnt(0)
	v_mul_f32_e32 v32, v12, v61
	v_fma_f32 v51, v31, v60, -v32
	v_mul_f32_e32 v31, v31, v61
	v_fmac_f32_e32 v31, v12, v60
	v_sub_f32_e32 v12, v30, v51
	v_sub_f32_e32 v54, v50, v31
	scratch_load_dwordx4 v[50:53], off, off offset:32
	v_mov_b32_e32 v32, 0xd54
	ds_read2_b32 v[32:33], v32 offset1:1
	ds_read_b96 v[68:70], v86 offset:3584
	s_waitcnt lgkmcnt(1)
	v_mul_f32_e32 v30, v32, v63
	v_fma_f32 v55, v13, v62, -v30
	v_mul_f32_e32 v13, v13, v63
	v_fmac_f32_e32 v13, v32, v62
	v_sub_f32_e32 v13, v54, v13
	v_mov_b32_e32 v54, 0xd64
	v_sub_f32_e32 v12, v12, v55
	ds_read2_b32 v[60:61], v54 offset1:1
	scratch_load_dwordx4 v[54:57], off, off offset:48
	v_mov_b32_e32 v30, 0xd5c
	ds_read2_b32 v[30:31], v30 offset1:1
	s_waitcnt vmcnt(8) lgkmcnt(0)
	v_mul_f32_e32 v32, v30, v27
	v_fma_f32 v32, v33, v26, -v32
	v_mul_f32_e32 v27, v33, v27
	v_fmac_f32_e32 v27, v30, v26
	v_sub_f32_e32 v26, v12, v32
	v_mul_f32_e32 v12, v60, v23
	v_fma_f32 v30, v31, v22, -v12
	v_add_u32_e64 v12, s10, 0
	v_sub_f32_e32 v27, v13, v27
	ds_read2_b32 v[12:13], v12 offset0:91 offset1:157
	v_mul_f32_e32 v23, v31, v23
	v_fmac_f32_e32 v23, v60, v22
	v_sub_f32_e32 v23, v27, v23
	v_sub_f32_e32 v26, v26, v30
	s_waitcnt lgkmcnt(0)
	v_mul_f32_e32 v22, v12, v23
	v_fma_f32 v22, v61, v26, -v22
	v_mul_f32_e32 v23, v61, v23
	scratch_load_dwordx4 v[60:63], off, off offset:64
	v_fmac_f32_e32 v23, v12, v26
	v_mov_b32_e32 v12, 0xe2c
	s_waitcnt vmcnt(7)
	v_mov_b32_e32 v72, v34
	v_mov_b32_e32 v73, v36
	;; [unrolled: 1-line block ×3, first 2 shown]
	v_pk_mul_f32 v[34:35], v[68:69], v[34:35]
	ds_read2_b32 v[64:65], v12 offset1:1
	v_sub_f32_e32 v12, v34, v35
	v_mov_b32_e32 v34, 0xe0c
	ds_read2_b32 v[74:75], v34 offset1:1
	s_waitcnt vmcnt(6)
	v_sub_f32_e32 v16, v16, v12
	v_mov_b32_e32 v12, 0xe14
	s_waitcnt vmcnt(5)
	v_mov_b32_e32 v76, v38
	v_mov_b32_e32 v77, v40
	v_mov_b32_e32 v38, v41
	ds_read2_b32 v[40:41], v12 offset1:1
	v_mov_b32_e32 v26, v69
	s_waitcnt lgkmcnt(1)
	v_mov_b32_e32 v69, v74
	v_mov_b32_e32 v27, v70
	v_pk_mul_f32 v[34:35], v[68:69], v[36:37]
	v_pk_mul_f32 v[68:69], v[74:75], v[76:77]
	v_pk_fma_f32 v[36:37], v[26:27], v[72:73], v[34:35] neg_lo:[0,0,1] neg_hi:[0,0,1]
	v_pk_fma_f32 v[26:27], v[26:27], v[72:73], v[34:35]
	v_mov_b32_e32 v12, 0xe1c
	v_pk_mov_b32 v[26:27], v[36:37], v[26:27] op_sel:[1,0]
	scratch_load_dwordx4 v[34:37], off, off offset:80
	v_pk_add_f32 v[16:17], v[16:17], v[26:27] neg_lo:[0,1] neg_hi:[0,1]
	s_waitcnt vmcnt(5)
	v_mov_b32_e32 v26, v42
	v_mov_b32_e32 v27, v44
	;; [unrolled: 1-line block ×3, first 2 shown]
	s_waitcnt lgkmcnt(0)
	v_mov_b32_e32 v44, v40
	v_mov_b32_e32 v45, v70
	v_pk_fma_f32 v[70:71], v[40:41], v[38:39], v[68:69] op_sel:[0,0,1] op_sel_hi:[1,1,0] neg_lo:[1,0,0] neg_hi:[1,0,0]
	v_pk_fma_f32 v[38:39], v[44:45], v[38:39], v[68:69] op_sel:[0,0,1] op_sel_hi:[1,1,0]
	v_pk_mul_f32 v[26:27], v[40:41], v[26:27]
	v_mov_b32_e32 v71, v39
	ds_read2_b32 v[38:39], v12 offset1:1
	s_waitcnt vmcnt(4)
	v_mov_b32_e32 v44, v46
	v_mov_b32_e32 v45, v48
	;; [unrolled: 1-line block ×4, first 2 shown]
	s_waitcnt lgkmcnt(0)
	v_mov_b32_e32 v74, v38
	v_pk_fma_f32 v[48:49], v[38:39], v[42:43], v[26:27] op_sel:[0,0,1] op_sel_hi:[1,1,0] neg_lo:[1,0,0] neg_hi:[1,0,0]
	v_pk_fma_f32 v[26:27], v[74:75], v[42:43], v[26:27] op_sel:[0,0,1] op_sel_hi:[1,1,0]
	scratch_store_dwordx2 off, v[22:23], off offset:104
	v_mov_b32_e32 v49, v27
	ds_read2_b32 v[26:27], v12 offset1:1
	v_pk_add_f32 v[16:17], v[16:17], v[70:71] neg_lo:[0,1] neg_hi:[0,1]
	v_pk_mul_f32 v[44:45], v[38:39], v[44:45]
	scratch_load_dwordx4 v[30:33], off, off offset:96
	v_pk_add_f32 v[16:17], v[16:17], v[48:49] neg_lo:[0,1] neg_hi:[0,1]
	s_waitcnt lgkmcnt(0)
	v_mov_b32_e32 v40, v26
	s_waitcnt vmcnt(5)
	v_mov_b32_e32 v42, v50
	v_mov_b32_e32 v43, v52
	v_pk_fma_f32 v[48:49], v[26:27], v[46:47], v[44:45] op_sel:[0,0,1] op_sel_hi:[1,1,0] neg_lo:[1,0,0] neg_hi:[1,0,0]
	v_pk_fma_f32 v[40:41], v[40:41], v[46:47], v[44:45] op_sel:[0,0,1] op_sel_hi:[1,1,0]
	v_mov_b32_e32 v50, v53
	v_mov_b32_e32 v49, v41
	v_pk_mul_f32 v[40:41], v[26:27], v[42:43]
	v_mov_b32_e32 v38, v64
	v_pk_fma_f32 v[42:43], v[38:39], v[50:51], v[40:41] op_sel:[0,0,1] op_sel_hi:[1,1,0] neg_lo:[1,0,0] neg_hi:[1,0,0]
	v_pk_fma_f32 v[38:39], v[38:39], v[50:51], v[40:41] op_sel:[0,0,1] op_sel_hi:[1,1,0]
	v_mov_b32_e32 v26, 0xe34
	v_mov_b32_e32 v43, v39
	scratch_load_dwordx4 v[38:41], off, off
	v_pk_add_f32 v[16:17], v[16:17], v[48:49] neg_lo:[0,1] neg_hi:[0,1]
	v_mul_f32_e32 v12, v27, v53
	ds_read2_b32 v[26:27], v26 offset1:1
	v_pk_add_f32 v[16:17], v[16:17], v[42:43] neg_lo:[0,1] neg_hi:[0,1]
	v_mov_b32_e32 v42, 0xe3c
	ds_read2_b32 v[50:51], v42 offset1:1
	v_fmac_f32_e32 v12, v64, v52
	v_sub_f32_e32 v12, v17, v12
	scratch_store_dwordx2 off, v[16:17], off offset:112
	s_waitcnt vmcnt(6) lgkmcnt(1)
	v_mul_f32_e32 v17, v26, v55
	v_fma_f32 v17, v65, v54, -v17
	v_mul_f32_e32 v46, v65, v55
	v_fmac_f32_e32 v46, v26, v54
	v_sub_f32_e32 v26, v16, v17
	s_waitcnt lgkmcnt(0)
	v_mul_f32_e32 v16, v50, v57
	scratch_load_dwordx4 v[42:45], off, off offset:8
	v_sub_f32_e32 v12, v12, v46
	v_fma_f32 v46, v27, v56, -v16
	v_mul_f32_e32 v27, v27, v57
	v_fmac_f32_e32 v27, v50, v56
	v_sub_f32_e32 v50, v26, v46
	scratch_load_dwordx4 v[46:49], off, off offset:16
	v_mov_b32_e32 v16, 0xe44
	ds_read2_b32 v[16:17], v16 offset1:1
	v_sub_f32_e32 v12, v12, v27
	v_mov_b32_e32 v55, 0xe54
	ds_read_b96 v[72:74], v86 offset:3840
	scratch_load_dwordx4 v[68:71], off, off offset:56
	s_waitcnt vmcnt(8) lgkmcnt(1)
	v_mul_f32_e32 v26, v16, v61
	v_fma_f32 v52, v51, v60, -v26
	v_mov_b32_e32 v26, 0xe4c
	ds_read2_b32 v[26:27], v26 offset1:1
	v_mul_f32_e32 v51, v51, v61
	v_fmac_f32_e32 v51, v16, v60
	v_sub_f32_e32 v16, v50, v52
	v_sub_f32_e32 v12, v12, v51
	s_waitcnt lgkmcnt(0)
	v_mul_f32_e32 v50, v26, v63
	v_fma_f32 v54, v17, v62, -v50
	scratch_load_dwordx4 v[50:53], off, off offset:24
	ds_read2_b32 v[60:61], v55 offset1:1
	v_mul_f32_e32 v17, v17, v63
	v_fmac_f32_e32 v17, v26, v62
	v_sub_f32_e32 v26, v16, v54
	v_sub_f32_e32 v12, v12, v17
	s_waitcnt vmcnt(8) lgkmcnt(0)
	v_mul_f32_e32 v16, v60, v35
	v_fma_f32 v54, v27, v34, -v16
	v_mov_b32_e32 v16, 0xe5c
	ds_read2_b32 v[16:17], v16 offset1:1
	v_mul_f32_e32 v27, v27, v35
	v_fmac_f32_e32 v27, v60, v34
	v_sub_f32_e32 v34, v26, v54
	scratch_load_dwordx4 v[54:57], off, off offset:32
	s_waitcnt lgkmcnt(0)
	v_mul_f32_e32 v26, v16, v37
	v_fma_f32 v35, v61, v36, -v26
	v_mov_b32_e32 v26, 0xe64
	v_mul_f32_e32 v37, v61, v37
	scratch_load_dwordx4 v[60:63], off, off offset:40
	v_sub_f32_e32 v12, v12, v27
	ds_read2_b32 v[26:27], v26 offset1:1
	v_fmac_f32_e32 v37, v16, v36
	v_sub_f32_e32 v16, v34, v35
	v_sub_f32_e32 v12, v12, v37
	s_movk_i32 s10, 0xe00
	s_waitcnt vmcnt(8) lgkmcnt(0)
	v_mul_f32_e32 v34, v26, v31
	v_fma_f32 v36, v17, v30, -v34
	v_mov_b32_e32 v34, 0xe6c
	ds_read2_b32 v[34:35], v34 offset1:1
	v_mul_f32_e32 v17, v17, v31
	v_fmac_f32_e32 v17, v26, v30
	v_sub_f32_e32 v12, v12, v17
	v_sub_f32_e32 v16, v16, v36
	s_waitcnt lgkmcnt(0)
	v_mul_f32_e32 v17, v34, v23
	v_mul_f32_e32 v23, v27, v23
	v_fmac_f32_e32 v23, v34, v22
	v_fma_f32 v17, v27, v22, -v17
	v_sub_f32_e32 v12, v12, v23
	v_sub_f32_e32 v16, v16, v17
	v_mul_f32_e32 v17, v13, v12
	s_waitcnt vmcnt(7)
	v_pk_mul_f32 v[30:31], v[72:73], v[38:39]
	v_mov_b32_e32 v26, v38
	v_sub_f32_e32 v38, v30, v31
	v_mov_b32_e32 v30, 0xf0c
	ds_read2_b32 v[30:31], v30 offset1:1
	v_mul_f32_e32 v23, v35, v12
	v_mov_b32_e32 v12, v73
	v_mov_b32_e32 v27, v40
	v_mov_b32_e32 v40, v39
	s_waitcnt lgkmcnt(0)
	v_mov_b32_e32 v73, v30
	v_fmac_f32_e32 v23, v13, v16
	v_mov_b32_e32 v13, v74
	v_sub_f32_e32 v18, v18, v38
	v_pk_mul_f32 v[38:39], v[72:73], v[40:41]
	v_fma_f32 v22, v35, v16, -v17
	v_pk_fma_f32 v[40:41], v[12:13], v[26:27], v[38:39] neg_lo:[0,0,1] neg_hi:[0,0,1]
	v_pk_fma_f32 v[12:13], v[12:13], v[26:27], v[38:39]
	s_waitcnt vmcnt(5)
	v_mov_b32_e32 v64, v42
	v_pk_mov_b32 v[12:13], v[40:41], v[12:13] op_sel:[1,0]
	scratch_load_dwordx4 v[38:41], off, off offset:72
	v_pk_add_f32 v[12:13], v[18:19], v[12:13] neg_lo:[0,1] neg_hi:[0,1]
	v_mov_b32_e32 v18, 0xf14
	ds_read2_b32 v[18:19], v18 offset1:1
	v_mov_b32_e32 v65, v44
	v_mov_b32_e32 v42, v45
	s_waitcnt vmcnt(5)
	v_mov_b32_e32 v26, v46
	v_mov_b32_e32 v27, v48
	v_pk_mul_f32 v[44:45], v[30:31], v[64:65]
	v_mov_b32_e32 v46, v49
	s_waitcnt lgkmcnt(0)
	v_mov_b32_e32 v48, v18
	v_mov_b32_e32 v49, v74
	v_pk_fma_f32 v[64:65], v[18:19], v[42:43], v[44:45] op_sel:[0,0,1] op_sel_hi:[1,1,0] neg_lo:[1,0,0] neg_hi:[1,0,0]
	v_pk_fma_f32 v[42:43], v[48:49], v[42:43], v[44:45] op_sel:[0,0,1] op_sel_hi:[1,1,0]
	v_mov_b32_e32 v30, 0xf1c
	v_mov_b32_e32 v65, v43
	scratch_load_dwordx4 v[42:45], off, off offset:88
	v_pk_add_f32 v[12:13], v[12:13], v[64:65] neg_lo:[0,1] neg_hi:[0,1]
	ds_read2_b32 v[64:65], v30 offset1:1
	v_pk_mul_f32 v[26:27], v[18:19], v[26:27]
	s_waitcnt vmcnt(4)
	v_mov_b32_e32 v48, v50
	v_mov_b32_e32 v49, v52
	;; [unrolled: 1-line block ×3, first 2 shown]
	s_waitcnt lgkmcnt(0)
	v_mov_b32_e32 v30, v64
	v_pk_fma_f32 v[52:53], v[64:65], v[46:47], v[26:27] op_sel:[0,0,1] op_sel_hi:[1,1,0] neg_lo:[1,0,0] neg_hi:[1,0,0]
	v_pk_fma_f32 v[26:27], v[30:31], v[46:47], v[26:27] op_sel:[0,0,1] op_sel_hi:[1,1,0]
	v_mov_b32_e32 v18, 0xf24
	v_mov_b32_e32 v53, v27
	ds_read2_b32 v[26:27], v18 offset1:1
	v_pk_mul_f32 v[46:47], v[64:65], v[48:49]
	scratch_store_dwordx2 off, v[22:23], off offset:112
	scratch_load_dwordx4 v[34:37], off, off offset:104
	v_mov_b32_e32 v16, 0xf34
	s_waitcnt lgkmcnt(0)
	v_mov_b32_e32 v18, v26
	v_pk_fma_f32 v[18:19], v[18:19], v[50:51], v[46:47] op_sel:[0,0,1] op_sel_hi:[1,1,0]
	v_pk_fma_f32 v[48:49], v[26:27], v[50:51], v[46:47] op_sel:[0,0,1] op_sel_hi:[1,1,0] neg_lo:[1,0,0] neg_hi:[1,0,0]
	v_mov_b32_e32 v18, 0xf2c
	v_mov_b32_e32 v49, v19
	ds_read2_b32 v[18:19], v18 offset1:1
	ds_read2_b32 v[16:17], v16 offset1:1
	s_waitcnt vmcnt(5)
	v_mov_b32_e32 v30, v54
	v_mov_b32_e32 v31, v56
	v_pk_add_f32 v[12:13], v[12:13], v[52:53] neg_lo:[0,1] neg_hi:[0,1]
	v_mov_b32_e32 v54, v57
	v_pk_mul_f32 v[30:31], v[26:27], v[30:31]
	s_waitcnt lgkmcnt(1)
	v_mov_b32_e32 v64, v18
	v_pk_add_f32 v[12:13], v[12:13], v[48:49] neg_lo:[0,1] neg_hi:[0,1]
	s_waitcnt vmcnt(4)
	v_mov_b32_e32 v46, v60
	v_mov_b32_e32 v47, v62
	v_pk_fma_f32 v[48:49], v[18:19], v[54:55], v[30:31] op_sel:[0,0,1] op_sel_hi:[1,1,0] neg_lo:[1,0,0] neg_hi:[1,0,0]
	v_pk_fma_f32 v[30:31], v[64:65], v[54:55], v[30:31] op_sel:[0,0,1] op_sel_hi:[1,1,0]
	v_mov_b32_e32 v60, v63
	v_mov_b32_e32 v49, v31
	v_pk_mul_f32 v[30:31], v[18:19], v[46:47]
	s_waitcnt lgkmcnt(0)
	v_mov_b32_e32 v26, v16
	v_pk_fma_f32 v[46:47], v[26:27], v[60:61], v[30:31] op_sel:[0,0,1] op_sel_hi:[1,1,0] neg_lo:[1,0,0] neg_hi:[1,0,0]
	v_pk_fma_f32 v[26:27], v[26:27], v[60:61], v[30:31] op_sel:[0,0,1] op_sel_hi:[1,1,0]
	v_mul_f32_e32 v18, v19, v63
	v_mov_b32_e32 v19, 0xf3c
	v_mov_b32_e32 v47, v27
	ds_read2_b32 v[26:27], v19 offset1:1
	v_pk_add_f32 v[12:13], v[12:13], v[48:49] neg_lo:[0,1] neg_hi:[0,1]
	v_fmac_f32_e32 v18, v16, v62
	v_pk_add_f32 v[12:13], v[12:13], v[46:47] neg_lo:[0,1] neg_hi:[0,1]
	scratch_store_dwordx2 off, v[12:13], off offset:120
	v_sub_f32_e32 v16, v13, v18
	v_mov_b32_e32 v18, 0xf44
	scratch_load_dwordx4 v[46:49], off, off
	scratch_load_dwordx4 v[50:53], off, off offset:8
	ds_read2_b32 v[30:31], v18 offset1:1
	ds_read_b96 v[94:96], v86 offset:4096
	s_waitcnt lgkmcnt(2)
	v_mul_f32_e32 v13, v26, v69
	scratch_load_dword v49, off, off offset:4
	scratch_load_dwordx4 v[60:63], off, off offset:24
	v_fma_f32 v13, v17, v68, -v13
	v_mul_f32_e32 v17, v17, v69
	v_fmac_f32_e32 v17, v26, v68
	s_waitcnt vmcnt(3)
	v_sub_f32_e32 v47, v16, v17
	scratch_load_dwordx4 v[16:19], off, off offset:128
	v_sub_f32_e32 v26, v12, v13
	s_waitcnt lgkmcnt(1)
	v_mul_f32_e32 v12, v30, v71
	v_fma_f32 v54, v27, v70, -v12
	v_mov_b32_e32 v12, 0xf4c
	ds_read2_b32 v[12:13], v12 offset1:1
	v_mul_f32_e32 v27, v27, v71
	v_fmac_f32_e32 v27, v30, v70
	v_sub_f32_e32 v30, v26, v54
	v_sub_f32_e32 v47, v47, v27
	s_waitcnt lgkmcnt(0)
	v_mul_f32_e32 v26, v12, v39
	v_fma_f32 v54, v31, v38, -v26
	v_mov_b32_e32 v26, 0xf54
	ds_read2_b32 v[26:27], v26 offset1:1
	v_mul_f32_e32 v31, v31, v39
	v_fmac_f32_e32 v31, v12, v38
	v_sub_f32_e32 v12, v30, v54
	scratch_load_dwordx4 v[54:57], off, off offset:16
	s_waitcnt lgkmcnt(0)
	v_mul_f32_e32 v30, v26, v41
	v_fma_f32 v39, v13, v40, -v30
	v_mov_b32_e32 v30, 0xf5c
	v_sub_f32_e32 v38, v47, v31
	ds_read2_b32 v[30:31], v30 offset1:1
	v_mul_f32_e32 v13, v13, v41
	v_fmac_f32_e32 v13, v26, v40
	v_sub_f32_e32 v26, v12, v39
	v_sub_f32_e32 v38, v38, v13
	s_waitcnt lgkmcnt(0)
	v_mul_f32_e32 v12, v30, v43
	v_fma_f32 v39, v27, v42, -v12
	v_mov_b32_e32 v12, 0xf64
	ds_read2_b32 v[12:13], v12 offset1:1
	v_mul_f32_e32 v27, v27, v43
	v_fmac_f32_e32 v27, v30, v42
	v_sub_f32_e32 v30, v26, v39
	scratch_load_dwordx4 v[68:71], off, off offset:40
	s_waitcnt lgkmcnt(0)
	v_mul_f32_e32 v26, v12, v45
	v_fma_f32 v39, v31, v44, -v26
	v_mul_f32_e32 v31, v31, v45
	v_fmac_f32_e32 v31, v12, v44
	scratch_load_dwordx4 v[42:45], off, off offset:32
	scratch_load_dwordx4 v[72:75], off, off offset:48
	;; [unrolled: 1-line block ×3, first 2 shown]
	v_mov_b32_e32 v26, 0xf6c
	v_sub_f32_e32 v38, v38, v27
	ds_read2_b32 v[26:27], v26 offset1:1
	v_sub_f32_e32 v12, v30, v39
	v_sub_f32_e32 v38, v38, v31
	s_waitcnt lgkmcnt(0)
	v_mul_f32_e32 v30, v26, v35
	v_fma_f32 v39, v13, v34, -v30
	v_mov_b32_e32 v30, 0xf74
	ds_read2_b32 v[30:31], v30 offset1:1
	v_mul_f32_e32 v13, v13, v35
	v_fmac_f32_e32 v13, v26, v34
	v_sub_f32_e32 v26, v12, v39
	v_sub_f32_e32 v34, v38, v13
	s_waitcnt lgkmcnt(0)
	v_mul_f32_e32 v12, v30, v23
	v_fma_f32 v35, v27, v22, -v12
	v_add_u32_e64 v12, s10, 0
	ds_read2_b32 v[12:13], v12 offset0:95 offset1:161
	v_mul_f32_e32 v23, v27, v23
	v_fmac_f32_e32 v23, v30, v22
	v_sub_f32_e32 v23, v34, v23
	v_sub_f32_e32 v26, v26, v35
	s_waitcnt lgkmcnt(0)
	v_mul_f32_e32 v22, v12, v23
	v_fma_f32 v22, v31, v26, -v22
	v_mul_f32_e32 v23, v31, v23
	v_fmac_f32_e32 v23, v12, v26
	v_mov_b32_e32 v30, v46
	v_mov_b32_e32 v12, 0x103c
	ds_read2_b32 v[26:27], v12 offset1:1
	scratch_store_dwordx2 off, v[22:23], off offset:120
	v_mov_b32_e32 v22, v95
	s_waitcnt vmcnt(8)
	v_mov_b32_e32 v31, v49
	v_pk_mul_f32 v[30:31], v[94:95], v[30:31]
	v_mov_b32_e32 v23, v96
	v_sub_f32_e32 v12, v30, v31
	v_mov_b32_e32 v47, v48
	v_mov_b32_e32 v48, v51
	s_waitcnt vmcnt(6)
	v_sub_f32_e32 v16, v16, v12
	v_mov_b32_e32 v12, 0x100c
	ds_read2_b32 v[34:35], v12 offset1:1
	v_mov_b32_e32 v31, v52
	v_pk_mul_f32 v[22:23], v[22:23], v[46:47]
	v_mov_b32_e32 v52, v51
	v_mov_b32_e32 v47, v94
	s_waitcnt lgkmcnt(0)
	v_mov_b32_e32 v46, v34
	v_mov_b32_e32 v30, v50
	v_pk_fma_f32 v[50:51], v[34:35], v[52:53], v[22:23] op_sel:[0,0,1] op_sel_hi:[1,1,0] neg_lo:[1,0,0] neg_hi:[1,0,0]
	v_pk_fma_f32 v[22:23], v[46:47], v[48:49], v[22:23] op_sel:[0,0,1] op_sel_hi:[1,1,0]
	v_mov_b32_e32 v12, 0x1014
	v_mov_b32_e32 v51, v23
	ds_read2_b32 v[22:23], v12 offset1:1
	scratch_load_dwordx4 v[46:49], off, off offset:80
	v_pk_add_f32 v[16:17], v[16:17], v[50:51] neg_lo:[0,1] neg_hi:[0,1]
	v_pk_mul_f32 v[30:31], v[34:35], v[30:31]
	s_waitcnt vmcnt(6)
	v_mov_b32_e32 v50, v54
	v_mov_b32_e32 v51, v56
	;; [unrolled: 1-line block ×3, first 2 shown]
	s_waitcnt lgkmcnt(0)
	v_mov_b32_e32 v56, v22
	v_mov_b32_e32 v57, v96
	v_pk_fma_f32 v[64:65], v[22:23], v[52:53], v[30:31] op_sel:[0,1,1] op_sel_hi:[1,0,0] neg_lo:[1,0,0] neg_hi:[1,0,0]
	v_pk_fma_f32 v[30:31], v[56:57], v[52:53], v[30:31] op_sel:[0,1,1] op_sel_hi:[1,0,0]
	v_mov_b32_e32 v12, 0x101c
	v_mov_b32_e32 v65, v31
	ds_read2_b32 v[30:31], v12 offset1:1
	v_pk_mul_f32 v[50:51], v[22:23], v[50:51]
	v_pk_add_f32 v[16:17], v[16:17], v[64:65] neg_lo:[0,1] neg_hi:[0,1]
	v_mov_b32_e32 v12, 0x1024
	v_mov_b32_e32 v56, v60
	s_waitcnt lgkmcnt(0)
	v_mov_b32_e32 v34, v30
	v_pk_fma_f32 v[52:53], v[30:31], v[54:55], v[50:51] op_sel:[0,0,1] op_sel_hi:[1,1,0] neg_lo:[1,0,0] neg_hi:[1,0,0]
	v_pk_fma_f32 v[34:35], v[34:35], v[54:55], v[50:51] op_sel:[0,0,1] op_sel_hi:[1,1,0]
	v_mov_b32_e32 v57, v62
	v_mov_b32_e32 v53, v35
	v_pk_add_f32 v[16:17], v[16:17], v[52:53] neg_lo:[0,1] neg_hi:[0,1]
	scratch_load_dwordx4 v[50:53], off, off offset:96
	ds_read2_b32 v[34:35], v12 offset1:1
	v_mov_b32_e32 v60, v63
	v_pk_mul_f32 v[56:57], v[30:31], v[56:57]
	s_waitcnt vmcnt(5)
	v_mov_b32_e32 v54, v42
	v_mov_b32_e32 v55, v44
	s_waitcnt lgkmcnt(0)
	v_mov_b32_e32 v22, v34
	v_mov_b32_e32 v42, v45
	v_pk_fma_f32 v[44:45], v[34:35], v[60:61], v[56:57] op_sel:[0,0,1] op_sel_hi:[1,1,0] neg_lo:[1,0,0] neg_hi:[1,0,0]
	v_pk_fma_f32 v[22:23], v[22:23], v[60:61], v[56:57] op_sel:[0,0,1] op_sel_hi:[1,1,0]
	v_mov_b32_e32 v12, 0x102c
	v_mov_b32_e32 v45, v23
	ds_read2_b32 v[22:23], v12 offset1:1
	scratch_load_dwordx4 v[38:41], off, off offset:112
	v_pk_mul_f32 v[54:55], v[34:35], v[54:55]
	v_mov_b32_e32 v12, 0x1034
	v_pk_add_f32 v[16:17], v[16:17], v[44:45] neg_lo:[0,1] neg_hi:[0,1]
	s_waitcnt lgkmcnt(0)
	v_mov_b32_e32 v30, v22
	v_pk_fma_f32 v[56:57], v[22:23], v[42:43], v[54:55] op_sel:[0,0,1] op_sel_hi:[1,1,0] neg_lo:[1,0,0] neg_hi:[1,0,0]
	v_pk_fma_f32 v[30:31], v[30:31], v[42:43], v[54:55] op_sel:[0,0,1] op_sel_hi:[1,1,0]
	ds_read2_b32 v[42:43], v12 offset1:1
	v_mov_b32_e32 v44, v68
	v_mov_b32_e32 v45, v70
	;; [unrolled: 1-line block ×4, first 2 shown]
	s_waitcnt vmcnt(5)
	v_mov_b32_e32 v30, v72
	v_mov_b32_e32 v31, v74
	v_pk_mul_f32 v[44:45], v[22:23], v[44:45]
	s_waitcnt lgkmcnt(0)
	v_mov_b32_e32 v34, v42
	scratch_load_dwordx2 v[64:65], off, off offset:120
	v_pk_fma_f32 v[54:55], v[42:43], v[68:69], v[44:45] op_sel:[0,0,1] op_sel_hi:[1,1,0] neg_lo:[1,0,0] neg_hi:[1,0,0]
	v_pk_fma_f32 v[34:35], v[34:35], v[68:69], v[44:45] op_sel:[0,0,1] op_sel_hi:[1,1,0]
	v_pk_mul_f32 v[30:31], v[42:43], v[30:31]
	v_mul_f32_e32 v12, v43, v75
	scratch_load_dwordx4 v[42:45], off, off
	v_pk_add_f32 v[16:17], v[16:17], v[56:57] neg_lo:[0,1] neg_hi:[0,1]
	v_mov_b32_e32 v55, v35
	v_pk_add_f32 v[16:17], v[16:17], v[54:55] neg_lo:[0,1] neg_hi:[0,1]
	scratch_load_dwordx4 v[54:57], off, off offset:16
	v_mov_b32_e32 v72, v75
	v_mov_b32_e32 v22, v26
	v_pk_fma_f32 v[34:35], v[22:23], v[72:73], v[30:31] op_sel:[0,0,1] op_sel_hi:[1,1,0] neg_lo:[1,0,0] neg_hi:[1,0,0]
	v_pk_fma_f32 v[22:23], v[22:23], v[72:73], v[30:31] op_sel:[0,0,1] op_sel_hi:[1,1,0]
	v_fmac_f32_e32 v12, v26, v74
	v_mov_b32_e32 v22, 0x1044
	v_mov_b32_e32 v35, v23
	ds_read2_b32 v[22:23], v22 offset1:1
	v_mov_b32_e32 v26, 0x104c
	ds_read2_b32 v[30:31], v26 offset1:1
	v_pk_add_f32 v[16:17], v[16:17], v[34:35] neg_lo:[0,1] neg_hi:[0,1]
	s_waitcnt vmcnt(7)
	v_mul_f32_e32 v26, v27, v91
	v_sub_f32_e32 v12, v17, v12
	s_waitcnt lgkmcnt(1)
	v_mul_f32_e32 v17, v22, v91
	v_fma_f32 v17, v27, v90, -v17
	v_fmac_f32_e32 v26, v22, v90
	v_sub_f32_e32 v22, v16, v17
	s_waitcnt lgkmcnt(0)
	v_mul_f32_e32 v16, v30, v93
	v_sub_f32_e32 v12, v12, v26
	v_fma_f32 v26, v23, v92, -v16
	v_mov_b32_e32 v16, 0x1054
	ds_read2_b32 v[16:17], v16 offset1:1
	v_mul_f32_e32 v23, v23, v93
	v_sub_f32_e32 v26, v22, v26
	v_fmac_f32_e32 v23, v30, v92
	v_sub_f32_e32 v12, v12, v23
	s_waitcnt vmcnt(5) lgkmcnt(0)
	v_mul_f32_e32 v22, v16, v47
	v_fma_f32 v27, v31, v46, -v22
	v_mov_b32_e32 v22, 0x105c
	ds_read2_b32 v[22:23], v22 offset1:1
	v_mul_f32_e32 v30, v31, v47
	v_fmac_f32_e32 v30, v16, v46
	v_sub_f32_e32 v26, v26, v27
	v_sub_f32_e32 v12, v12, v30
	s_waitcnt lgkmcnt(0)
	v_mul_f32_e32 v16, v22, v49
	v_fma_f32 v27, v17, v48, -v16
	v_mov_b32_e32 v16, 0x1064
	v_mul_f32_e32 v30, v17, v49
	ds_read2_b32 v[16:17], v16 offset1:1
	scratch_load_dwordx4 v[60:63], off, off offset:24
	v_fmac_f32_e32 v30, v22, v48
	v_sub_f32_e32 v22, v26, v27
	v_sub_f32_e32 v12, v12, v30
	s_waitcnt vmcnt(5) lgkmcnt(0)
	v_mul_f32_e32 v26, v16, v51
	v_fma_f32 v30, v23, v50, -v26
	v_mov_b32_e32 v26, 0x106c
	ds_read2_b32 v[26:27], v26 offset1:1
	scratch_load_dwordx4 v[68:71], off, off offset:32
	v_mul_f32_e32 v23, v23, v51
	v_fmac_f32_e32 v23, v16, v50
	v_sub_f32_e32 v16, v22, v30
	s_waitcnt lgkmcnt(0)
	v_mul_f32_e32 v22, v26, v53
	v_fma_f32 v30, v17, v52, -v22
	v_mov_b32_e32 v22, 0x1074
	v_sub_f32_e32 v12, v12, v23
	ds_read2_b32 v[22:23], v22 offset1:1
	v_mul_f32_e32 v17, v17, v53
	v_fmac_f32_e32 v17, v26, v52
	scratch_load_dwordx4 v[50:53], off, off offset:40
	v_sub_f32_e32 v26, v16, v30
	s_waitcnt vmcnt(6) lgkmcnt(0)
	v_mul_f32_e32 v16, v22, v39
	v_fma_f32 v30, v27, v38, -v16
	v_mov_b32_e32 v16, 0x107c
	v_sub_f32_e32 v12, v12, v17
	ds_read2_b32 v[16:17], v16 offset1:1
	ds_read_b96 v[96:98], v86 offset:4352
	v_mul_f32_e32 v27, v27, v39
	scratch_load_dwordx4 v[72:75], off, off offset:48
	v_fmac_f32_e32 v27, v22, v38
	v_sub_f32_e32 v22, v26, v30
	s_waitcnt vmcnt(6) lgkmcnt(1)
	v_mul_f32_e32 v26, v16, v65
	scratch_load_dwordx4 v[90:93], off, off offset:56
	v_fma_f32 v26, v23, v64, -v26
	v_mul_f32_e32 v23, v23, v65
	v_sub_f32_e32 v12, v12, v27
	s_waitcnt vmcnt(6) lgkmcnt(0)
	v_pk_mul_f32 v[30:31], v[96:97], v[42:43]
	v_fmac_f32_e32 v23, v16, v64
	v_sub_f32_e32 v34, v30, v31
	v_mov_b32_e32 v30, 0x110c
	ds_read2_b32 v[30:31], v30 offset1:1
	v_sub_f32_e32 v12, v12, v23
	v_sub_f32_e32 v22, v22, v26
	v_mul_f32_e32 v16, v13, v12
	v_fma_f32 v16, v17, v22, -v16
	v_mul_f32_e32 v17, v17, v12
	v_fmac_f32_e32 v17, v13, v22
	scratch_store_dwordx2 off, v[16:17], off offset:128
	v_mov_b32_e32 v16, 0x1144
	v_mov_b32_e32 v26, v45
	;; [unrolled: 1-line block ×3, first 2 shown]
	s_waitcnt lgkmcnt(0)
	v_mov_b32_e32 v38, v30
	v_mov_b32_e32 v39, v96
	;; [unrolled: 1-line block ×4, first 2 shown]
	ds_read2_b32 v[22:23], v16 offset1:1
	v_mov_b32_e32 v16, v44
	v_mov_b32_e32 v17, v42
	v_sub_f32_e32 v18, v18, v34
	v_mov_b32_e32 v34, v44
	s_waitcnt vmcnt(6)
	v_mov_b32_e32 v35, v54
	v_pk_mul_f32 v[26:27], v[38:39], v[26:27]
	scratch_load_dwordx4 v[94:97], off, off offset:72
	v_pk_fma_f32 v[38:39], v[12:13], v[34:35], v[26:27] op_sel:[1,0,0] op_sel_hi:[0,1,1] neg_lo:[0,0,1] neg_hi:[0,0,1]
	v_pk_fma_f32 v[12:13], v[12:13], v[16:17], v[26:27] op_sel:[1,0,0] op_sel_hi:[0,1,1]
	v_mov_b32_e32 v39, v13
	v_mov_b32_e32 v17, 0x1114
	v_pk_add_f32 v[12:13], v[18:19], v[38:39] neg_lo:[0,1] neg_hi:[0,1]
	ds_read2_b32 v[18:19], v17 offset1:1
	v_mov_b32_e32 v44, v55
	v_pk_mul_f32 v[26:27], v[30:31], v[34:35]
	v_mov_b32_e32 v35, v98
	v_mov_b32_e32 v16, v54
	s_waitcnt lgkmcnt(0)
	v_mov_b32_e32 v34, v18
	v_pk_fma_f32 v[38:39], v[18:19], v[44:45], v[26:27] op_sel:[0,0,1] op_sel_hi:[1,1,0] neg_lo:[1,0,0] neg_hi:[1,0,0]
	v_pk_fma_f32 v[26:27], v[34:35], v[44:45], v[26:27] op_sel:[0,0,1] op_sel_hi:[1,1,0]
	scratch_load_dwordx4 v[42:45], off, off offset:88
	v_mov_b32_e32 v26, 0x111c
	v_mov_b32_e32 v39, v27
	ds_read2_b32 v[26:27], v26 offset1:1
	v_mov_b32_e32 v17, v56
	v_mov_b32_e32 v54, v57
	v_pk_mul_f32 v[16:17], v[18:19], v[16:17]
	v_pk_add_f32 v[12:13], v[12:13], v[38:39] neg_lo:[0,1] neg_hi:[0,1]
	s_waitcnt lgkmcnt(0)
	v_mov_b32_e32 v30, v26
	v_pk_fma_f32 v[38:39], v[26:27], v[54:55], v[16:17] op_sel:[0,0,1] op_sel_hi:[1,1,0] neg_lo:[1,0,0] neg_hi:[1,0,0]
	v_pk_fma_f32 v[16:17], v[30:31], v[54:55], v[16:17] op_sel:[0,0,1] op_sel_hi:[1,1,0]
	scratch_load_dwordx4 v[54:57], off, off offset:104
	v_mov_b32_e32 v16, 0x1124
	v_mov_b32_e32 v39, v17
	ds_read2_b32 v[16:17], v16 offset1:1
	s_waitcnt vmcnt(8)
	v_mov_b32_e32 v34, v60
	v_mov_b32_e32 v35, v62
	;; [unrolled: 1-line block ×3, first 2 shown]
	v_pk_mul_f32 v[34:35], v[26:27], v[34:35]
	s_waitcnt lgkmcnt(0)
	v_mov_b32_e32 v18, v16
	v_pk_add_f32 v[12:13], v[12:13], v[38:39] neg_lo:[0,1] neg_hi:[0,1]
	v_pk_fma_f32 v[38:39], v[16:17], v[60:61], v[34:35] op_sel:[0,0,1] op_sel_hi:[1,1,0] neg_lo:[1,0,0] neg_hi:[1,0,0]
	v_pk_fma_f32 v[18:19], v[18:19], v[60:61], v[34:35] op_sel:[0,0,1] op_sel_hi:[1,1,0]
	s_waitcnt vmcnt(7)
	v_mov_b32_e32 v30, v68
	v_mov_b32_e32 v39, v19
	;; [unrolled: 1-line block ×3, first 2 shown]
	ds_read2_b32 v[34:35], v19 offset1:1
	v_mov_b32_e32 v31, v70
	v_mov_b32_e32 v68, v71
	v_pk_mul_f32 v[30:31], v[16:17], v[30:31]
	v_pk_add_f32 v[12:13], v[12:13], v[38:39] neg_lo:[0,1] neg_hi:[0,1]
	s_waitcnt lgkmcnt(0)
	v_mov_b32_e32 v26, v34
	v_pk_fma_f32 v[38:39], v[34:35], v[68:69], v[30:31] op_sel:[0,0,1] op_sel_hi:[1,1,0] neg_lo:[1,0,0] neg_hi:[1,0,0]
	v_pk_fma_f32 v[26:27], v[26:27], v[68:69], v[30:31] op_sel:[0,0,1] op_sel_hi:[1,1,0]
	v_mov_b32_e32 v16, 0x1134
	v_mov_b32_e32 v39, v27
	ds_read2_b32 v[26:27], v16 offset1:1
	scratch_load_dwordx4 v[46:49], off, off offset:120
	s_waitcnt vmcnt(7)
	v_mov_b32_e32 v18, v50
	v_mov_b32_e32 v19, v52
	v_mov_b32_e32 v50, v53
	v_pk_mul_f32 v[18:19], v[34:35], v[18:19]
	s_waitcnt lgkmcnt(0)
	v_mov_b32_e32 v16, v26
	v_pk_add_f32 v[12:13], v[12:13], v[38:39] neg_lo:[0,1] neg_hi:[0,1]
	v_pk_fma_f32 v[38:39], v[26:27], v[50:51], v[18:19] op_sel:[0,0,1] op_sel_hi:[1,1,0] neg_lo:[1,0,0] neg_hi:[1,0,0]
	v_pk_fma_f32 v[16:17], v[16:17], v[50:51], v[18:19] op_sel:[0,0,1] op_sel_hi:[1,1,0]
	s_waitcnt vmcnt(6)
	v_mov_b32_e32 v30, v72
	v_mov_b32_e32 v39, v17
	v_mov_b32_e32 v16, 0x113c
	v_pk_add_f32 v[12:13], v[12:13], v[38:39] neg_lo:[0,1] neg_hi:[0,1]
	ds_read2_b32 v[16:17], v16 offset1:1
	scratch_load_dwordx2 v[38:39], off, off offset:128
	v_mov_b32_e32 v31, v74
	v_mov_b32_e32 v72, v75
	s_waitcnt vmcnt(6)
	v_mov_b32_e32 v18, v90
	v_mov_b32_e32 v19, v92
	v_pk_mul_f32 v[30:31], v[26:27], v[30:31]
	s_waitcnt lgkmcnt(0)
	v_mov_b32_e32 v34, v16
	v_mov_b32_e32 v90, v93
	v_pk_fma_f32 v[50:51], v[16:17], v[72:73], v[30:31] op_sel:[0,0,1] op_sel_hi:[1,1,0] neg_lo:[1,0,0] neg_hi:[1,0,0]
	v_pk_fma_f32 v[30:31], v[34:35], v[72:73], v[30:31] op_sel:[0,0,1] op_sel_hi:[1,1,0]
	v_pk_mul_f32 v[18:19], v[16:17], v[18:19]
	v_mov_b32_e32 v26, v22
	v_mov_b32_e32 v51, v31
	v_pk_fma_f32 v[30:31], v[26:27], v[90:91], v[18:19] op_sel:[0,0,1] op_sel_hi:[1,1,0] neg_lo:[1,0,0] neg_hi:[1,0,0]
	v_pk_fma_f32 v[18:19], v[26:27], v[90:91], v[18:19] op_sel:[0,0,1] op_sel_hi:[1,1,0]
	v_mul_f32_e32 v16, v17, v93
	v_mov_b32_e32 v17, 0x114c
	v_pk_add_f32 v[12:13], v[12:13], v[50:51] neg_lo:[0,1] neg_hi:[0,1]
	v_mov_b32_e32 v31, v19
	ds_read2_b32 v[26:27], v17 offset1:1
	v_pk_add_f32 v[12:13], v[12:13], v[30:31] neg_lo:[0,1] neg_hi:[0,1]
	scratch_load_dwordx4 v[60:63], off, off
	v_mov_b32_e32 v30, 0x1154
	v_fmac_f32_e32 v16, v22, v92
	ds_read2_b32 v[30:31], v30 offset1:1
	v_sub_f32_e32 v22, v13, v16
	scratch_load_dwordx4 v[16:19], off, off offset:144
	scratch_load_dwordx4 v[68:71], off, off offset:16
	s_movk_i32 s10, 0x1600
	scratch_store_dwordx2 off, v[12:13], off offset:136
	s_waitcnt vmcnt(8) lgkmcnt(1)
	v_mul_f32_e32 v13, v26, v95
	v_fma_f32 v13, v23, v94, -v13
	v_mul_f32_e32 v23, v23, v95
	v_fmac_f32_e32 v23, v26, v94
	v_sub_f32_e32 v26, v12, v13
	s_waitcnt lgkmcnt(0)
	v_mul_f32_e32 v12, v30, v97
	v_sub_f32_e32 v22, v22, v23
	v_fma_f32 v23, v27, v96, -v12
	v_mov_b32_e32 v12, 0x115c
	ds_read2_b32 v[12:13], v12 offset1:1
	v_mul_f32_e32 v27, v27, v97
	v_fmac_f32_e32 v27, v30, v96
	v_sub_f32_e32 v23, v26, v23
	v_sub_f32_e32 v26, v22, v27
	s_waitcnt vmcnt(7) lgkmcnt(0)
	v_mul_f32_e32 v22, v12, v43
	v_fma_f32 v22, v31, v42, -v22
	v_mul_f32_e32 v27, v31, v43
	v_fmac_f32_e32 v27, v12, v42
	v_sub_f32_e32 v12, v23, v22
	v_mov_b32_e32 v22, 0x1164
	ds_read2_b32 v[22:23], v22 offset1:1
	v_sub_f32_e32 v27, v26, v27
	scratch_load_dwordx4 v[72:75], off, off offset:24
	scratch_load_dword v26, off, off offset:20
	ds_read_b96 v[102:104], v86 offset:4608
	ds_read_b96 v[106:108], v86 offset:4880
	s_waitcnt lgkmcnt(2)
	v_mul_f32_e32 v30, v22, v45
	v_fma_f32 v34, v13, v44, -v30
	v_mul_f32_e32 v13, v13, v45
	v_fmac_f32_e32 v13, v22, v44
	scratch_load_dwordx4 v[42:45], off, off offset:32
	v_mov_b32_e32 v30, 0x116c
	ds_read2_b32 v[30:31], v30 offset1:1
	v_sub_f32_e32 v22, v12, v34
	v_sub_f32_e32 v27, v27, v13
	scratch_load_dwordx4 v[90:93], off, off offset:48
	scratch_load_dwordx4 v[94:97], off, off offset:56
	s_waitcnt vmcnt(11) lgkmcnt(0)
	v_mul_f32_e32 v12, v30, v55
	v_fma_f32 v34, v23, v54, -v12
	v_mov_b32_e32 v12, 0x1174
	ds_read2_b32 v[12:13], v12 offset1:1
	v_mul_f32_e32 v23, v23, v55
	v_fmac_f32_e32 v23, v30, v54
	v_sub_f32_e32 v30, v22, v34
	v_sub_f32_e32 v27, v27, v23
	s_waitcnt lgkmcnt(0)
	v_mul_f32_e32 v22, v12, v57
	v_fma_f32 v34, v31, v56, -v22
	v_mov_b32_e32 v22, 0x117c
	ds_read2_b32 v[22:23], v22 offset1:1
	v_mul_f32_e32 v31, v31, v57
	v_fmac_f32_e32 v31, v12, v56
	v_sub_f32_e32 v12, v30, v34
	v_sub_f32_e32 v27, v27, v31
	s_waitcnt vmcnt(10) lgkmcnt(0)
	v_mul_f32_e32 v30, v22, v47
	v_fma_f32 v34, v13, v46, -v30
	v_mov_b32_e32 v30, 0x1184
	ds_read2_b32 v[30:31], v30 offset1:1
	v_mul_f32_e32 v13, v13, v47
	v_fmac_f32_e32 v13, v22, v46
	v_sub_f32_e32 v22, v12, v34
	scratch_load_dwordx4 v[54:57], off, off offset:40
	s_waitcnt vmcnt(10) lgkmcnt(0)
	v_mul_f32_e32 v12, v30, v39
	v_fma_f32 v34, v23, v38, -v12
	v_add_u32_e64 v12, s7, 0
	v_sub_f32_e32 v27, v27, v13
	ds_read2_b32 v[12:13], v12 offset0:99 offset1:165
	v_mul_f32_e32 v23, v23, v39
	v_fmac_f32_e32 v23, v30, v38
	v_sub_f32_e32 v23, v27, v23
	v_sub_f32_e32 v30, v22, v34
	s_waitcnt lgkmcnt(0)
	v_mul_f32_e32 v22, v12, v23
	v_mul_f32_e32 v23, v31, v23
	v_fma_f32 v22, v31, v30, -v22
	v_fmac_f32_e32 v23, v12, v30
	v_mov_b32_e32 v12, 0x124c
	scratch_store_dwordx2 off, v[22:23], off offset:136
	ds_read2_b32 v[22:23], v12 offset1:1
	s_waitcnt vmcnt(10)
	v_mul_f32_e32 v12, v103, v61
	v_fma_f32 v12, v102, v60, -v12
	s_waitcnt vmcnt(9)
	v_sub_f32_e32 v16, v16, v12
	v_mov_b32_e32 v12, 0x120c
	ds_read2_b32 v[38:39], v12 offset1:1
	v_mov_b32_e32 v30, v103
	v_mov_b32_e32 v31, v104
	;; [unrolled: 1-line block ×4, first 2 shown]
	v_pk_mul_f32 v[30:31], v[30:31], v[34:35]
	s_waitcnt lgkmcnt(0)
	v_mov_b32_e32 v34, v38
	v_mov_b32_e32 v35, v102
	;; [unrolled: 1-line block ×4, first 2 shown]
	v_pk_fma_f32 v[46:47], v[38:39], v[12:13], v[30:31] op_sel:[0,0,1] op_sel_hi:[1,1,0] neg_lo:[1,0,0] neg_hi:[1,0,0]
	v_pk_fma_f32 v[30:31], v[34:35], v[60:61], v[30:31] op_sel:[0,0,1] op_sel_hi:[1,1,0]
	v_mov_b32_e32 v12, 0x1214
	v_mov_b32_e32 v47, v31
	ds_read2_b32 v[30:31], v12 offset1:1
	scratch_load_dwordx4 v[98:101], off, off offset:64
	v_mov_b32_e32 v27, v63
	v_mov_b32_e32 v61, v104
	s_waitcnt vmcnt(9)
	v_mov_b32_e32 v69, v62
	s_waitcnt lgkmcnt(0)
	v_mov_b32_e32 v60, v30
	v_pk_add_f32 v[16:17], v[16:17], v[46:47] neg_lo:[0,1] neg_hi:[0,1]
	v_mov_b32_e32 v34, v68
	v_mov_b32_e32 v35, v70
	s_waitcnt vmcnt(6)
	v_mov_b32_e32 v47, v26
	v_pk_mul_f32 v[26:27], v[60:61], v[26:27]
	v_mov_b32_e32 v12, 0x121c
	v_pk_fma_f32 v[60:61], v[38:39], v[34:35], v[26:27] op_sel:[1,0,0] op_sel_hi:[0,1,1] neg_lo:[0,0,1] neg_hi:[0,0,1]
	v_pk_fma_f32 v[26:27], v[38:39], v[68:69], v[26:27] op_sel:[1,0,0] op_sel_hi:[0,1,1]
	v_mov_b32_e32 v61, v27
	v_pk_add_f32 v[16:17], v[16:17], v[60:61] neg_lo:[0,1] neg_hi:[0,1]
	scratch_load_dwordx4 v[60:63], off, off offset:80
	ds_read2_b32 v[26:27], v12 offset1:1
	v_mov_b32_e32 v46, v73
	v_pk_mul_f32 v[34:35], v[30:31], v[34:35]
	v_mov_b32_e32 v12, 0x1224
	v_mov_b32_e32 v64, v72
	s_waitcnt lgkmcnt(0)
	v_mov_b32_e32 v38, v26
	v_pk_fma_f32 v[68:69], v[26:27], v[46:47], v[34:35] op_sel:[0,0,1] op_sel_hi:[1,1,0] neg_lo:[1,0,0] neg_hi:[1,0,0]
	v_pk_fma_f32 v[34:35], v[38:39], v[46:47], v[34:35] op_sel:[0,0,1] op_sel_hi:[1,1,0]
	s_waitcnt vmcnt(6)
	v_mov_b32_e32 v38, v42
	v_mov_b32_e32 v39, v44
	;; [unrolled: 1-line block ×3, first 2 shown]
	scratch_load_dwordx4 v[44:47], off, off offset:96
	v_mov_b32_e32 v69, v35
	ds_read2_b32 v[34:35], v12 offset1:1
	v_mov_b32_e32 v65, v74
	v_mov_b32_e32 v72, v75
	v_pk_mul_f32 v[64:65], v[26:27], v[64:65]
	v_pk_add_f32 v[16:17], v[16:17], v[68:69] neg_lo:[0,1] neg_hi:[0,1]
	s_waitcnt lgkmcnt(0)
	v_mov_b32_e32 v30, v34
	v_pk_fma_f32 v[68:69], v[34:35], v[72:73], v[64:65] op_sel:[0,0,1] op_sel_hi:[1,1,0] neg_lo:[1,0,0] neg_hi:[1,0,0]
	v_pk_fma_f32 v[30:31], v[30:31], v[72:73], v[64:65] op_sel:[0,0,1] op_sel_hi:[1,1,0]
	v_mov_b32_e32 v12, 0x122c
	v_mov_b32_e32 v69, v31
	ds_read2_b32 v[30:31], v12 offset1:1
	v_pk_add_f32 v[16:17], v[16:17], v[68:69] neg_lo:[0,1] neg_hi:[0,1]
	v_pk_mul_f32 v[38:39], v[34:35], v[38:39]
	scratch_load_dwordx4 v[68:71], off, off offset:112
	v_mov_b32_e32 v12, 0x1234
	s_waitcnt lgkmcnt(0)
	v_mov_b32_e32 v26, v30
	s_waitcnt vmcnt(5)
	v_mov_b32_e32 v64, v54
	v_mov_b32_e32 v65, v56
	;; [unrolled: 1-line block ×3, first 2 shown]
	v_pk_fma_f32 v[56:57], v[30:31], v[42:43], v[38:39] op_sel:[0,0,1] op_sel_hi:[1,1,0] neg_lo:[1,0,0] neg_hi:[1,0,0]
	v_pk_fma_f32 v[26:27], v[26:27], v[42:43], v[38:39] op_sel:[0,0,1] op_sel_hi:[1,1,0]
	v_pk_mul_f32 v[42:43], v[30:31], v[64:65]
	v_mov_b32_e32 v57, v27
	ds_read2_b32 v[26:27], v12 offset1:1
	v_pk_add_f32 v[16:17], v[16:17], v[56:57] neg_lo:[0,1] neg_hi:[0,1]
	v_mov_b32_e32 v12, 0x123c
	v_mov_b32_e32 v38, v90
	;; [unrolled: 1-line block ×3, first 2 shown]
	s_waitcnt lgkmcnt(0)
	v_mov_b32_e32 v34, v26
	v_pk_fma_f32 v[56:57], v[26:27], v[54:55], v[42:43] op_sel:[0,0,1] op_sel_hi:[1,1,0] neg_lo:[1,0,0] neg_hi:[1,0,0]
	v_pk_fma_f32 v[34:35], v[34:35], v[54:55], v[42:43] op_sel:[0,0,1] op_sel_hi:[1,1,0]
	scratch_load_dwordx4 v[50:53], off, off offset:128
	v_mov_b32_e32 v57, v35
	ds_read2_b32 v[34:35], v12 offset1:1
	v_mov_b32_e32 v90, v93
	v_pk_mul_f32 v[38:39], v[26:27], v[38:39]
	v_mov_b32_e32 v12, 0x1244
	v_pk_add_f32 v[16:17], v[16:17], v[56:57] neg_lo:[0,1] neg_hi:[0,1]
	s_waitcnt lgkmcnt(0)
	v_mov_b32_e32 v30, v34
	v_pk_fma_f32 v[54:55], v[34:35], v[90:91], v[38:39] op_sel:[0,0,1] op_sel_hi:[1,1,0] neg_lo:[1,0,0] neg_hi:[1,0,0]
	v_pk_fma_f32 v[30:31], v[30:31], v[90:91], v[38:39] op_sel:[0,0,1] op_sel_hi:[1,1,0]
	ds_read2_b32 v[38:39], v12 offset1:1
	v_mov_b32_e32 v42, v94
	v_mov_b32_e32 v43, v96
	;; [unrolled: 1-line block ×4, first 2 shown]
	v_pk_add_f32 v[16:17], v[16:17], v[54:55] neg_lo:[0,1] neg_hi:[0,1]
	scratch_load_dwordx2 v[54:55], off, off offset:136
	v_pk_mul_f32 v[42:43], v[34:35], v[42:43]
	s_waitcnt lgkmcnt(0)
	v_mov_b32_e32 v26, v38
	v_pk_fma_f32 v[56:57], v[38:39], v[94:95], v[42:43] op_sel:[0,0,1] op_sel_hi:[1,1,0] neg_lo:[1,0,0] neg_hi:[1,0,0]
	s_waitcnt vmcnt(5)
	v_mov_b32_e32 v30, v98
	v_mov_b32_e32 v31, v100
	v_pk_fma_f32 v[26:27], v[26:27], v[94:95], v[42:43] op_sel:[0,0,1] op_sel_hi:[1,1,0]
	v_mov_b32_e32 v98, v101
	v_mov_b32_e32 v57, v27
	v_pk_mul_f32 v[26:27], v[38:39], v[30:31]
	v_mov_b32_e32 v34, v22
	v_pk_fma_f32 v[30:31], v[34:35], v[98:99], v[26:27] op_sel:[0,0,1] op_sel_hi:[1,1,0] neg_lo:[1,0,0] neg_hi:[1,0,0]
	v_pk_fma_f32 v[26:27], v[34:35], v[98:99], v[26:27] op_sel:[0,0,1] op_sel_hi:[1,1,0]
	v_mov_b32_e32 v12, 0x1254
	v_mov_b32_e32 v31, v27
	scratch_load_dwordx4 v[72:75], off, off
	ds_read2_b32 v[26:27], v12 offset1:1
	v_pk_add_f32 v[16:17], v[16:17], v[56:57] neg_lo:[0,1] neg_hi:[0,1]
	v_mul_f32_e32 v12, v39, v101
	v_fmac_f32_e32 v12, v22, v100
	v_pk_add_f32 v[16:17], v[16:17], v[30:31] neg_lo:[0,1] neg_hi:[0,1]
	v_mov_b32_e32 v22, 0x125c
	v_sub_f32_e32 v12, v17, v12
	s_waitcnt vmcnt(5) lgkmcnt(0)
	v_mul_f32_e32 v17, v26, v61
	v_fma_f32 v17, v23, v60, -v17
	v_mul_f32_e32 v30, v23, v61
	ds_read2_b32 v[22:23], v22 offset1:1
	scratch_load_dwordx4 v[90:93], off, off offset:16
	v_fmac_f32_e32 v30, v26, v60
	v_sub_f32_e32 v26, v16, v17
	v_sub_f32_e32 v12, v12, v30
	s_waitcnt lgkmcnt(0)
	v_mul_f32_e32 v16, v22, v63
	v_fma_f32 v30, v27, v62, -v16
	v_mov_b32_e32 v16, 0x1264
	ds_read2_b32 v[16:17], v16 offset1:1
	v_mul_f32_e32 v27, v27, v63
	v_fmac_f32_e32 v27, v22, v62
	v_sub_f32_e32 v22, v26, v30
	scratch_load_dwordx4 v[60:63], off, off offset:40
	s_waitcnt vmcnt(6) lgkmcnt(0)
	v_mul_f32_e32 v26, v16, v45
	v_fma_f32 v30, v23, v44, -v26
	v_mul_f32_e32 v23, v23, v45
	v_fmac_f32_e32 v23, v16, v44
	scratch_load_dwordx4 v[42:45], off, off offset:32
	v_mov_b32_e32 v26, 0x126c
	v_sub_f32_e32 v12, v12, v27
	ds_read2_b32 v[26:27], v26 offset1:1
	v_sub_f32_e32 v16, v22, v30
	v_sub_f32_e32 v12, v12, v23
	ds_read_b128 v[94:97], v86 offset:4864
	scratch_load_dwordx4 v[98:101], off, off offset:56
	s_waitcnt lgkmcnt(1)
	v_mul_f32_e32 v22, v26, v47
	v_fma_f32 v30, v17, v46, -v22
	v_mov_b32_e32 v22, 0x1274
	ds_read2_b32 v[22:23], v22 offset1:1
	v_mul_f32_e32 v17, v17, v47
	v_fmac_f32_e32 v17, v26, v46
	v_sub_f32_e32 v26, v16, v30
	v_sub_f32_e32 v12, v12, v17
	s_waitcnt vmcnt(7) lgkmcnt(0)
	v_mul_f32_e32 v16, v22, v69
	v_fma_f32 v30, v27, v68, -v16
	v_mov_b32_e32 v16, 0x127c
	ds_read2_b32 v[16:17], v16 offset1:1
	v_mul_f32_e32 v27, v27, v69
	v_fmac_f32_e32 v27, v22, v68
	v_sub_f32_e32 v22, v26, v30
	v_sub_f32_e32 v12, v12, v27
	s_waitcnt lgkmcnt(0)
	v_mul_f32_e32 v26, v16, v71
	v_fma_f32 v30, v23, v70, -v26
	v_mov_b32_e32 v26, 0x1284
	ds_read2_b32 v[26:27], v26 offset1:1
	v_mul_f32_e32 v23, v23, v71
	v_fmac_f32_e32 v23, v16, v70
	v_sub_f32_e32 v16, v22, v30
	v_sub_f32_e32 v12, v12, v23
	s_waitcnt vmcnt(6) lgkmcnt(0)
	v_mul_f32_e32 v22, v26, v51
	v_fma_f32 v30, v17, v50, -v22
	v_mov_b32_e32 v22, 0x128c
	ds_read2_b32 v[22:23], v22 offset1:1
	scratch_load_dwordx4 v[68:71], off, off offset:48
	v_mul_f32_e32 v17, v17, v51
	v_fmac_f32_e32 v17, v26, v50
	s_waitcnt vmcnt(6)
	v_mul_f32_e32 v26, v27, v55
	v_sub_f32_e32 v12, v12, v17
	s_waitcnt lgkmcnt(0)
	v_mul_f32_e32 v17, v22, v55
	v_fmac_f32_e32 v26, v22, v54
	v_sub_f32_e32 v16, v16, v30
	v_fma_f32 v17, v27, v54, -v17
	v_sub_f32_e32 v12, v12, v26
	v_sub_f32_e32 v22, v16, v17
	v_mul_f32_e32 v16, v13, v12
	v_mul_f32_e32 v17, v23, v12
	v_fma_f32 v16, v23, v22, -v16
	v_fmac_f32_e32 v17, v13, v22
	scratch_store_dwordx2 off, v[16:17], off offset:144
	s_waitcnt vmcnt(6)
	v_mul_f32_e32 v12, v95, v73
	v_fma_f32 v12, v94, v72, -v12
	v_mul_f32_e32 v17, v94, v73
	v_mul_f32_e32 v16, v97, v75
	v_fmac_f32_e32 v17, v95, v72
	v_sub_f32_e32 v18, v18, v12
	v_fma_f32 v16, v96, v74, -v16
	v_pk_add_f32 v[26:27], v[18:19], v[16:17] neg_lo:[0,1] neg_hi:[0,1]
	scratch_load_dwordx4 v[16:19], off, off offset:64
	v_mov_b32_e32 v34, v97
	v_mov_b32_e32 v35, v106
	;; [unrolled: 1-line block ×3, first 2 shown]
	s_waitcnt vmcnt(6)
	v_mov_b32_e32 v39, v90
	v_mov_b32_e32 v22, v107
	;; [unrolled: 1-line block ×3, first 2 shown]
	v_pk_mul_f32 v[34:35], v[34:35], v[38:39]
	v_mov_b32_e32 v38, v107
	v_mov_b32_e32 v39, v96
	;; [unrolled: 1-line block ×4, first 2 shown]
	v_pk_fma_f32 v[46:47], v[22:23], v[46:47], v[34:35] op_sel:[0,0,1] op_sel_hi:[1,1,0] neg_lo:[1,0,0] neg_hi:[1,0,0]
	v_pk_fma_f32 v[34:35], v[38:39], v[74:75], v[34:35] op_sel:[0,0,1] op_sel_hi:[1,1,0]
	scratch_load_dwordx4 v[102:105], off, off offset:72
	v_mov_b32_e32 v34, 0x131c
	v_mov_b32_e32 v47, v35
	ds_read2_b32 v[34:35], v34 offset1:1
	v_mov_b32_e32 v31, v90
	v_mov_b32_e32 v90, v93
	v_pk_add_f32 v[26:27], v[26:27], v[46:47] neg_lo:[0,1] neg_hi:[0,1]
	v_mov_b32_e32 v47, v106
	s_waitcnt lgkmcnt(0)
	v_mov_b32_e32 v46, v34
	v_mov_b32_e32 v30, v92
	v_mov_b32_e32 v38, v92
	s_waitcnt vmcnt(5)
	v_mov_b32_e32 v39, v42
	v_pk_mul_f32 v[46:47], v[46:47], v[90:91]
	scratch_load_dwordx4 v[72:75], off, off offset:88
	v_pk_fma_f32 v[50:51], v[22:23], v[38:39], v[46:47] op_sel:[1,0,0] op_sel_hi:[0,1,1] neg_lo:[0,0,1] neg_hi:[0,0,1]
	v_pk_fma_f32 v[22:23], v[22:23], v[30:31], v[46:47] op_sel:[1,0,0] op_sel_hi:[0,1,1]
	v_mov_b32_e32 v51, v23
	v_pk_add_f32 v[22:23], v[26:27], v[50:51] neg_lo:[0,1] neg_hi:[0,1]
	v_mov_b32_e32 v27, 0x1324
	ds_read2_b32 v[30:31], v27 offset1:1
	v_mov_b32_e32 v92, v43
	v_mov_b32_e32 v26, v42
	;; [unrolled: 1-line block ×3, first 2 shown]
	v_pk_mul_f32 v[38:39], v[34:35], v[38:39]
	v_mov_b32_e32 v42, v45
	s_waitcnt lgkmcnt(0)
	v_mov_b32_e32 v44, v30
	v_mov_b32_e32 v45, v108
	v_pk_fma_f32 v[46:47], v[30:31], v[92:93], v[38:39] op_sel:[0,0,1] op_sel_hi:[1,1,0] neg_lo:[1,0,0] neg_hi:[1,0,0]
	v_pk_fma_f32 v[38:39], v[44:45], v[92:93], v[38:39] op_sel:[0,0,1] op_sel_hi:[1,1,0]
	v_mov_b32_e32 v34, 0x132c
	v_mov_b32_e32 v47, v39
	v_pk_add_f32 v[22:23], v[22:23], v[46:47] neg_lo:[0,1] neg_hi:[0,1]
	ds_read2_b32 v[38:39], v34 offset1:1
	scratch_load_dwordx4 v[44:47], off, off offset:104
	v_pk_mul_f32 v[26:27], v[30:31], v[26:27]
	v_mov_b32_e32 v50, v60
	v_mov_b32_e32 v51, v62
	s_waitcnt lgkmcnt(0)
	v_mov_b32_e32 v34, v38
	v_mov_b32_e32 v60, v63
	v_pk_fma_f32 v[62:63], v[38:39], v[42:43], v[26:27] op_sel:[0,0,1] op_sel_hi:[1,1,0] neg_lo:[1,0,0] neg_hi:[1,0,0]
	v_pk_fma_f32 v[26:27], v[34:35], v[42:43], v[26:27] op_sel:[0,0,1] op_sel_hi:[1,1,0]
	v_pk_mul_f32 v[42:43], v[38:39], v[50:51]
	v_mov_b32_e32 v26, 0x1334
	v_mov_b32_e32 v63, v27
	ds_read2_b32 v[26:27], v26 offset1:1
	v_pk_add_f32 v[22:23], v[22:23], v[62:63] neg_lo:[0,1] neg_hi:[0,1]
	s_waitcnt vmcnt(5)
	v_mov_b32_e32 v34, v68
	v_mov_b32_e32 v35, v70
	;; [unrolled: 1-line block ×3, first 2 shown]
	s_waitcnt lgkmcnt(0)
	v_mov_b32_e32 v30, v26
	v_pk_fma_f32 v[50:51], v[26:27], v[60:61], v[42:43] op_sel:[0,0,1] op_sel_hi:[1,1,0] neg_lo:[1,0,0] neg_hi:[1,0,0]
	v_pk_fma_f32 v[30:31], v[30:31], v[60:61], v[42:43] op_sel:[0,0,1] op_sel_hi:[1,1,0]
	scratch_load_dwordx4 v[60:63], off, off offset:120
	v_mov_b32_e32 v30, 0x133c
	v_mov_b32_e32 v51, v31
	ds_read2_b32 v[30:31], v30 offset1:1
	v_pk_mul_f32 v[34:35], v[26:27], v[34:35]
	v_pk_add_f32 v[22:23], v[22:23], v[50:51] neg_lo:[0,1] neg_hi:[0,1]
	v_mov_b32_e32 v26, 0x1344
	v_mov_b32_e32 v42, v98
	s_waitcnt lgkmcnt(0)
	v_mov_b32_e32 v38, v30
	v_pk_fma_f32 v[50:51], v[30:31], v[68:69], v[34:35] op_sel:[0,0,1] op_sel_hi:[1,1,0] neg_lo:[1,0,0] neg_hi:[1,0,0]
	v_pk_fma_f32 v[34:35], v[38:39], v[68:69], v[34:35] op_sel:[0,0,1] op_sel_hi:[1,1,0]
	v_mov_b32_e32 v43, v100
	v_mov_b32_e32 v51, v35
	ds_read2_b32 v[34:35], v26 offset1:1
	v_mov_b32_e32 v98, v101
	v_pk_mul_f32 v[42:43], v[30:31], v[42:43]
	s_waitcnt vmcnt(4)
	v_mov_b32_e32 v38, v16
	v_mov_b32_e32 v39, v18
	s_waitcnt lgkmcnt(0)
	v_mov_b32_e32 v26, v34
	v_mov_b32_e32 v16, v19
	v_pk_fma_f32 v[18:19], v[34:35], v[98:99], v[42:43] op_sel:[0,0,1] op_sel_hi:[1,1,0] neg_lo:[1,0,0] neg_hi:[1,0,0]
	v_pk_fma_f32 v[26:27], v[26:27], v[98:99], v[42:43] op_sel:[0,0,1] op_sel_hi:[1,1,0]
	v_pk_add_f32 v[22:23], v[22:23], v[50:51] neg_lo:[0,1] neg_hi:[0,1]
	v_mov_b32_e32 v19, v27
	v_pk_add_f32 v[18:19], v[22:23], v[18:19] neg_lo:[0,1] neg_hi:[0,1]
	v_mov_b32_e32 v23, 0x134c
	ds_read2_b32 v[26:27], v23 offset1:1
	v_mov_b32_e32 v12, 0x1354
	ds_read2_b32 v[12:13], v12 offset1:1
	scratch_load_dwordx4 v[54:57], off, off offset:136
	v_pk_mul_f32 v[38:39], v[34:35], v[38:39]
	s_waitcnt lgkmcnt(1)
	v_mov_b32_e32 v30, v26
	v_pk_fma_f32 v[42:43], v[26:27], v[16:17], v[38:39] op_sel:[0,0,1] op_sel_hi:[1,1,0] neg_lo:[1,0,0] neg_hi:[1,0,0]
	v_pk_fma_f32 v[16:17], v[30:31], v[16:17], v[38:39] op_sel:[0,0,1] op_sel_hi:[1,1,0]
	s_waitcnt vmcnt(4)
	v_mov_b32_e32 v22, v102
	v_mov_b32_e32 v23, v104
	;; [unrolled: 1-line block ×4, first 2 shown]
	v_pk_add_f32 v[16:17], v[18:19], v[42:43] neg_lo:[0,1] neg_hi:[0,1]
	v_pk_mul_f32 v[18:19], v[26:27], v[22:23]
	s_waitcnt lgkmcnt(0)
	v_mov_b32_e32 v34, v12
	v_pk_fma_f32 v[22:23], v[34:35], v[102:103], v[18:19] op_sel:[0,0,1] op_sel_hi:[1,1,0] neg_lo:[1,0,0] neg_hi:[1,0,0]
	v_pk_fma_f32 v[18:19], v[34:35], v[102:103], v[18:19] op_sel:[0,0,1] op_sel_hi:[1,1,0]
	scratch_load_dwordx2 v[50:51], off, off offset:144
	v_mov_b32_e32 v23, v19
	v_mov_b32_e32 v19, 0x135c
	v_mul_f32_e32 v18, v27, v105
	ds_read2_b32 v[26:27], v19 offset1:1
	v_mov_b32_e32 v30, 0x1364
	ds_read2_b32 v[30:31], v30 offset1:1
	v_fmac_f32_e32 v18, v12, v104
	v_pk_add_f32 v[22:23], v[16:17], v[22:23] neg_lo:[0,1] neg_hi:[0,1]
	s_waitcnt vmcnt(4) lgkmcnt(1)
	v_mul_f32_e32 v16, v26, v73
	v_sub_f32_e32 v12, v23, v18
	v_fma_f32 v23, v13, v72, -v16
	v_mul_f32_e32 v13, v13, v73
	v_fmac_f32_e32 v13, v26, v72
	scratch_load_dwordx4 v[68:71], off, off
	v_sub_f32_e32 v22, v22, v23
	v_sub_f32_e32 v23, v12, v13
	s_waitcnt lgkmcnt(0)
	v_mul_f32_e32 v12, v30, v75
	v_fma_f32 v26, v27, v74, -v12
	v_mov_b32_e32 v12, 0x136c
	scratch_load_dwordx4 v[16:19], off, off offset:160
	ds_read2_b32 v[12:13], v12 offset1:1
	scratch_load_dwordx4 v[90:93], off, off offset:16
	v_mul_f32_e32 v27, v27, v75
	v_sub_f32_e32 v26, v22, v26
	v_fmac_f32_e32 v27, v30, v74
	s_waitcnt vmcnt(6) lgkmcnt(0)
	v_mul_f32_e32 v22, v12, v45
	v_fma_f32 v30, v31, v44, -v22
	v_mov_b32_e32 v22, 0x1374
	v_sub_f32_e32 v27, v23, v27
	ds_read2_b32 v[22:23], v22 offset1:1
	v_mul_f32_e32 v31, v31, v45
	v_fmac_f32_e32 v31, v12, v44
	v_sub_f32_e32 v12, v26, v30
	v_sub_f32_e32 v30, v27, v31
	s_waitcnt lgkmcnt(0)
	v_mul_f32_e32 v26, v22, v47
	v_fma_f32 v31, v13, v46, -v26
	v_mov_b32_e32 v26, 0x137c
	ds_read2_b32 v[26:27], v26 offset1:1
	v_mul_f32_e32 v13, v13, v47
	v_fmac_f32_e32 v13, v22, v46
	v_sub_f32_e32 v22, v12, v31
	scratch_load_dwordx4 v[42:45], off, off offset:32
	s_waitcnt vmcnt(6) lgkmcnt(0)
	v_mul_f32_e32 v12, v26, v61
	v_fma_f32 v34, v23, v60, -v12
	v_mov_b32_e32 v12, 0x1384
	v_sub_f32_e32 v31, v30, v13
	ds_read2_b32 v[12:13], v12 offset1:1
	scratch_load_dwordx4 v[72:75], off, off offset:40
	scratch_load_dword v30, off, off offset:36
	v_mul_f32_e32 v23, v23, v61
	v_fmac_f32_e32 v23, v26, v60
	v_sub_f32_e32 v26, v22, v34
	s_waitcnt lgkmcnt(0)
	v_mul_f32_e32 v22, v12, v63
	v_fma_f32 v34, v27, v62, -v22
	v_mov_b32_e32 v22, 0x138c
	v_sub_f32_e32 v31, v31, v23
	ds_read2_b32 v[22:23], v22 offset1:1
	v_mul_f32_e32 v27, v27, v63
	v_fmac_f32_e32 v27, v12, v62
	v_sub_f32_e32 v12, v26, v34
	v_sub_f32_e32 v31, v31, v27
	scratch_load_dwordx4 v[94:97], off, off offset:48
	scratch_load_dwordx4 v[102:105], off, off offset:56
	s_movk_i32 s7, 0x1200
	ds_read_b128 v[98:101], v86 offset:5120
	ds_read_b96 v[110:112], v86 offset:5136
	s_waitcnt vmcnt(9) lgkmcnt(2)
	v_mul_f32_e32 v26, v22, v55
	v_fma_f32 v34, v13, v54, -v26
	v_mov_b32_e32 v26, 0x1394
	ds_read2_b32 v[26:27], v26 offset1:1
	v_mul_f32_e32 v13, v13, v55
	v_fmac_f32_e32 v13, v22, v54
	v_sub_f32_e32 v22, v12, v34
	v_sub_f32_e32 v31, v31, v13
	scratch_load_dwordx4 v[106:109], off, off offset:64
	s_waitcnt vmcnt(5) lgkmcnt(1)
	v_mov_b32_e32 v45, v112
	s_waitcnt lgkmcnt(0)
	v_mul_f32_e32 v12, v26, v51
	v_fma_f32 v34, v23, v50, -v12
	v_add_u32_e64 v12, s7, 0
	ds_read2_b32 v[12:13], v12 offset0:103 offset1:169
	v_mul_f32_e32 v23, v23, v51
	v_fmac_f32_e32 v23, v26, v50
	v_sub_f32_e32 v23, v31, v23
	v_sub_f32_e32 v26, v22, v34
	s_waitcnt lgkmcnt(0)
	v_mul_f32_e32 v22, v12, v23
	v_mul_f32_e32 v23, v27, v23
	v_fmac_f32_e32 v23, v12, v26
	v_fma_f32 v22, v27, v26, -v22
	scratch_store_dwordx2 off, v[22:23], off offset:152
	scratch_load_dwordx4 v[62:65], off, off offset:144
	v_mul_f32_e32 v12, v99, v69
	v_fma_f32 v12, v98, v68, -v12
	s_movk_i32 s7, 0x1400
	v_sub_f32_e32 v16, v16, v12
	v_mul_f32_e32 v12, v101, v71
	v_fma_f32 v26, v100, v70, -v12
	v_mov_b32_e32 v12, 0x145c
	ds_read2_b32 v[22:23], v12 offset1:1
	v_mul_f32_e32 v12, v111, v91
	v_fma_f32 v34, v110, v90, -v12
	v_mov_b32_e32 v12, 0x141c
	ds_read2_b32 v[38:39], v12 offset1:1
	v_mul_f32_e32 v27, v98, v69
	v_mul_f32_e32 v35, v100, v71
	v_fmac_f32_e32 v27, v99, v68
	v_fmac_f32_e32 v35, v101, v70
	scratch_load_dwordx4 v[68:71], off, off offset:72
	scratch_load_dwordx4 v[98:101], off, off offset:80
	v_pk_add_f32 v[16:17], v[16:17], v[26:27] neg_lo:[0,1] neg_hi:[0,1]
	v_mov_b32_e32 v26, v111
	v_pk_add_f32 v[16:17], v[16:17], v[34:35] neg_lo:[0,1] neg_hi:[0,1]
	v_mov_b32_e32 v27, v112
	v_mov_b32_e32 v34, v90
	v_mov_b32_e32 v35, v92
	v_pk_mul_f32 v[26:27], v[26:27], v[34:35]
	s_waitcnt lgkmcnt(0)
	v_mov_b32_e32 v34, v38
	v_mov_b32_e32 v35, v110
	;; [unrolled: 1-line block ×4, first 2 shown]
	v_pk_fma_f32 v[46:47], v[38:39], v[12:13], v[26:27] op_sel:[0,0,1] op_sel_hi:[1,1,0] neg_lo:[1,0,0] neg_hi:[1,0,0]
	v_pk_fma_f32 v[26:27], v[34:35], v[90:91], v[26:27] op_sel:[0,0,1] op_sel_hi:[1,1,0]
	v_mov_b32_e32 v12, 0x1424
	v_mov_b32_e32 v47, v27
	ds_read2_b32 v[26:27], v12 offset1:1
	v_mov_b32_e32 v31, v93
	v_mov_b32_e32 v35, v44
	v_mov_b32_e32 v43, v92
	v_pk_add_f32 v[16:17], v[16:17], v[46:47] neg_lo:[0,1] neg_hi:[0,1]
	s_waitcnt lgkmcnt(0)
	v_mov_b32_e32 v44, v26
	v_mov_b32_e32 v34, v42
	s_waitcnt vmcnt(7)
	v_mov_b32_e32 v47, v30
	v_pk_mul_f32 v[30:31], v[44:45], v[30:31]
	v_mov_b32_e32 v50, v72
	v_pk_fma_f32 v[44:45], v[38:39], v[34:35], v[30:31] op_sel:[1,0,0] op_sel_hi:[0,1,1] neg_lo:[0,0,1] neg_hi:[0,0,1]
	v_pk_fma_f32 v[30:31], v[38:39], v[42:43], v[30:31] op_sel:[1,0,0] op_sel_hi:[0,1,1]
	v_mov_b32_e32 v45, v31
	v_pk_add_f32 v[16:17], v[16:17], v[44:45] neg_lo:[0,1] neg_hi:[0,1]
	scratch_load_dwordx4 v[42:45], off, off offset:96
	v_mov_b32_e32 v51, v74
	v_mov_b32_e32 v72, v75
	scratch_load_dwordx4 v[74:77], off, off offset:112
	v_mov_b32_e32 v12, 0x142c
	ds_read2_b32 v[30:31], v12 offset1:1
	v_mov_b32_e32 v46, v73
	v_pk_mul_f32 v[34:35], v[26:27], v[34:35]
	scratch_load_dwordx4 v[90:93], off, off offset:128
	v_mov_b32_e32 v12, 0x1434
	s_waitcnt lgkmcnt(0)
	v_mov_b32_e32 v38, v30
	v_pk_fma_f32 v[54:55], v[30:31], v[46:47], v[34:35] op_sel:[0,0,1] op_sel_hi:[1,1,0] neg_lo:[1,0,0] neg_hi:[1,0,0]
	v_pk_fma_f32 v[34:35], v[38:39], v[46:47], v[34:35] op_sel:[0,0,1] op_sel_hi:[1,1,0]
	v_pk_mul_f32 v[46:47], v[30:31], v[50:51]
	v_mov_b32_e32 v55, v35
	ds_read2_b32 v[34:35], v12 offset1:1
	v_mov_b32_e32 v12, 0x143c
	s_waitcnt vmcnt(9)
	v_mov_b32_e32 v38, v94
	v_mov_b32_e32 v39, v96
	v_pk_add_f32 v[16:17], v[16:17], v[54:55] neg_lo:[0,1] neg_hi:[0,1]
	s_waitcnt lgkmcnt(0)
	v_mov_b32_e32 v26, v34
	v_pk_fma_f32 v[50:51], v[34:35], v[72:73], v[46:47] op_sel:[0,0,1] op_sel_hi:[1,1,0] neg_lo:[1,0,0] neg_hi:[1,0,0]
	v_pk_fma_f32 v[26:27], v[26:27], v[72:73], v[46:47] op_sel:[0,0,1] op_sel_hi:[1,1,0]
	v_mov_b32_e32 v94, v97
	v_mov_b32_e32 v51, v27
	ds_read2_b32 v[26:27], v12 offset1:1
	v_pk_mul_f32 v[38:39], v[34:35], v[38:39]
	v_pk_add_f32 v[16:17], v[16:17], v[50:51] neg_lo:[0,1] neg_hi:[0,1]
	v_mov_b32_e32 v12, 0x1444
	s_waitcnt vmcnt(8)
	v_mov_b32_e32 v46, v102
	s_waitcnt lgkmcnt(0)
	v_mov_b32_e32 v30, v26
	v_pk_fma_f32 v[50:51], v[26:27], v[94:95], v[38:39] op_sel:[0,0,1] op_sel_hi:[1,1,0] neg_lo:[1,0,0] neg_hi:[1,0,0]
	v_pk_fma_f32 v[30:31], v[30:31], v[94:95], v[38:39] op_sel:[0,0,1] op_sel_hi:[1,1,0]
	v_mov_b32_e32 v47, v104
	v_mov_b32_e32 v51, v31
	ds_read2_b32 v[30:31], v12 offset1:1
	v_mov_b32_e32 v102, v105
	v_pk_mul_f32 v[46:47], v[26:27], v[46:47]
	v_pk_add_f32 v[16:17], v[16:17], v[50:51] neg_lo:[0,1] neg_hi:[0,1]
	v_mov_b32_e32 v12, 0x144c
	s_waitcnt lgkmcnt(0)
	v_mov_b32_e32 v34, v30
	v_pk_fma_f32 v[50:51], v[30:31], v[102:103], v[46:47] op_sel:[0,0,1] op_sel_hi:[1,1,0] neg_lo:[1,0,0] neg_hi:[1,0,0]
	v_pk_fma_f32 v[34:35], v[34:35], v[102:103], v[46:47] op_sel:[0,0,1] op_sel_hi:[1,1,0]
	s_waitcnt vmcnt(7)
	v_mov_b32_e32 v38, v106
	v_mov_b32_e32 v51, v35
	ds_read2_b32 v[34:35], v12 offset1:1
	v_mov_b32_e32 v39, v108
	v_mov_b32_e32 v106, v109
	v_pk_mul_f32 v[38:39], v[30:31], v[38:39]
	v_mov_b32_e32 v12, 0x1454
	s_waitcnt lgkmcnt(0)
	v_mov_b32_e32 v26, v34
	v_pk_add_f32 v[16:17], v[16:17], v[50:51] neg_lo:[0,1] neg_hi:[0,1]
	v_pk_fma_f32 v[50:51], v[34:35], v[106:107], v[38:39] op_sel:[0,0,1] op_sel_hi:[1,1,0] neg_lo:[1,0,0] neg_hi:[1,0,0]
	v_pk_fma_f32 v[26:27], v[26:27], v[106:107], v[38:39] op_sel:[0,0,1] op_sel_hi:[1,1,0]
	ds_read2_b32 v[38:39], v12 offset1:1
	ds_read_b96 v[106:108], v86 offset:5408
	v_mov_b32_e32 v51, v27
	v_pk_add_f32 v[16:17], v[16:17], v[50:51] neg_lo:[0,1] neg_hi:[0,1]
	scratch_load_dwordx2 v[50:51], off, off offset:152
	s_waitcnt vmcnt(5)
	v_mov_b32_e32 v46, v68
	v_mov_b32_e32 v47, v70
	;; [unrolled: 1-line block ×3, first 2 shown]
	v_pk_mul_f32 v[46:47], v[34:35], v[46:47]
	s_waitcnt lgkmcnt(1)
	v_mov_b32_e32 v30, v38
	v_pk_fma_f32 v[54:55], v[38:39], v[68:69], v[46:47] op_sel:[0,0,1] op_sel_hi:[1,1,0] neg_lo:[1,0,0] neg_hi:[1,0,0]
	v_pk_fma_f32 v[30:31], v[30:31], v[68:69], v[46:47] op_sel:[0,0,1] op_sel_hi:[1,1,0]
	scratch_load_dwordx4 v[68:71], off, off
	s_waitcnt vmcnt(5)
	v_mov_b32_e32 v26, v98
	v_mov_b32_e32 v27, v100
	;; [unrolled: 1-line block ×3, first 2 shown]
	v_pk_mul_f32 v[26:27], v[38:39], v[26:27]
	v_mov_b32_e32 v34, v22
	v_mov_b32_e32 v55, v31
	v_pk_fma_f32 v[30:31], v[34:35], v[98:99], v[26:27] op_sel:[0,0,1] op_sel_hi:[1,1,0] neg_lo:[1,0,0] neg_hi:[1,0,0]
	v_pk_fma_f32 v[26:27], v[34:35], v[98:99], v[26:27] op_sel:[0,0,1] op_sel_hi:[1,1,0]
	v_mov_b32_e32 v12, 0x1464
	v_mov_b32_e32 v31, v27
	ds_read2_b32 v[26:27], v12 offset1:1
	v_pk_add_f32 v[16:17], v[16:17], v[54:55] neg_lo:[0,1] neg_hi:[0,1]
	v_mul_f32_e32 v12, v39, v101
	v_fmac_f32_e32 v12, v22, v100
	v_pk_add_f32 v[16:17], v[16:17], v[30:31] neg_lo:[0,1] neg_hi:[0,1]
	v_mov_b32_e32 v22, 0x146c
	v_sub_f32_e32 v12, v17, v12
	s_waitcnt vmcnt(4) lgkmcnt(0)
	v_mul_f32_e32 v17, v26, v43
	v_fma_f32 v17, v23, v42, -v17
	v_mul_f32_e32 v30, v23, v43
	ds_read2_b32 v[22:23], v22 offset1:1
	scratch_load_dwordx4 v[94:97], off, off offset:16
	v_fmac_f32_e32 v30, v26, v42
	v_sub_f32_e32 v26, v16, v17
	v_sub_f32_e32 v12, v12, v30
	s_waitcnt lgkmcnt(0)
	v_mul_f32_e32 v16, v22, v45
	v_fma_f32 v30, v27, v44, -v16
	v_mul_f32_e32 v27, v27, v45
	v_mov_b32_e32 v16, 0x1474
	v_fmac_f32_e32 v27, v22, v44
	scratch_load_dwordx4 v[42:45], off, off offset:32
	ds_read2_b32 v[16:17], v16 offset1:1
	v_sub_f32_e32 v22, v26, v30
	v_sub_f32_e32 v12, v12, v27
	scratch_load_dwordx4 v[98:101], off, off offset:48
	scratch_load_dwordx4 v[102:105], off, off offset:64
	s_waitcnt vmcnt(7) lgkmcnt(0)
	v_mul_f32_e32 v26, v16, v75
	v_fma_f32 v30, v23, v74, -v26
	v_mov_b32_e32 v26, 0x147c
	ds_read2_b32 v[26:27], v26 offset1:1
	v_mul_f32_e32 v23, v23, v75
	v_fmac_f32_e32 v23, v16, v74
	v_sub_f32_e32 v16, v22, v30
	v_sub_f32_e32 v12, v12, v23
	s_waitcnt lgkmcnt(0)
	v_mul_f32_e32 v22, v26, v77
	v_fma_f32 v30, v17, v76, -v22
	v_mov_b32_e32 v22, 0x1484
	ds_read2_b32 v[22:23], v22 offset1:1
	v_mul_f32_e32 v17, v17, v77
	v_fmac_f32_e32 v17, v26, v76
	v_sub_f32_e32 v26, v16, v30
	v_sub_f32_e32 v12, v12, v17
	s_waitcnt vmcnt(6) lgkmcnt(0)
	v_mul_f32_e32 v16, v22, v91
	v_fma_f32 v30, v27, v90, -v16
	v_mov_b32_e32 v16, 0x148c
	ds_read2_b32 v[16:17], v16 offset1:1
	v_mul_f32_e32 v27, v27, v91
	v_fmac_f32_e32 v27, v22, v90
	v_sub_f32_e32 v22, v26, v30
	v_sub_f32_e32 v12, v12, v27
	s_waitcnt lgkmcnt(0)
	v_mul_f32_e32 v26, v16, v93
	v_fma_f32 v30, v23, v92, -v26
	v_mov_b32_e32 v26, 0x1494
	ds_read2_b32 v[26:27], v26 offset1:1
	v_mul_f32_e32 v23, v23, v93
	v_fmac_f32_e32 v23, v16, v92
	v_sub_f32_e32 v16, v22, v30
	v_sub_f32_e32 v12, v12, v23
	s_waitcnt lgkmcnt(0)
	v_mul_f32_e32 v22, v26, v63
	v_fma_f32 v30, v17, v62, -v22
	v_mul_f32_e32 v17, v17, v63
	v_fmac_f32_e32 v17, v26, v62
	scratch_load_dwordx4 v[60:63], off, off offset:56
	v_mov_b32_e32 v22, 0x149c
	ds_read2_b32 v[22:23], v22 offset1:1
	ds_read_b128 v[90:93], v86 offset:5376
	s_waitcnt vmcnt(6)
	v_mul_f32_e32 v26, v27, v51
	v_sub_f32_e32 v12, v12, v17
	v_sub_f32_e32 v16, v16, v30
	s_waitcnt lgkmcnt(1)
	v_mul_f32_e32 v17, v22, v51
	v_fmac_f32_e32 v26, v22, v50
	v_fma_f32 v17, v27, v50, -v17
	v_sub_f32_e32 v12, v12, v26
	v_sub_f32_e32 v22, v16, v17
	v_mul_f32_e32 v16, v13, v12
	v_mul_f32_e32 v17, v23, v12
	v_fma_f32 v16, v23, v22, -v16
	v_fmac_f32_e32 v17, v13, v22
	s_waitcnt vmcnt(5) lgkmcnt(0)
	v_mul_f32_e32 v12, v91, v69
	v_mul_f32_e32 v13, v90, v69
	v_mul_f32_e32 v22, v93, v71
	v_mul_f32_e32 v23, v92, v71
	v_fma_f32 v12, v90, v68, -v12
	v_fmac_f32_e32 v13, v91, v68
	v_fma_f32 v22, v92, v70, -v22
	v_fmac_f32_e32 v23, v93, v70
	scratch_load_dwordx4 v[68:71], off, off offset:72
	scratch_load_dwordx4 v[90:93], off, off offset:80
	v_sub_f32_e32 v12, v18, v12
	scratch_store_dwordx2 off, v[16:17], off offset:160
	v_sub_f32_e32 v13, v19, v13
	ds_read_b128 v[16:19], v86 offset:5392
	v_sub_f32_e32 v12, v12, v22
	v_mov_b32_e32 v30, v107
	v_mov_b32_e32 v31, v108
	;; [unrolled: 1-line block ×3, first 2 shown]
	s_waitcnt vmcnt(7) lgkmcnt(0)
	v_mul_f32_e32 v22, v17, v95
	v_fma_f32 v22, v16, v94, -v22
	v_mul_f32_e32 v27, v16, v95
	v_mov_b32_e32 v16, 0x1564
	ds_read2_b32 v[34:35], v16 offset1:1
	v_mul_f32_e32 v16, v19, v97
	v_fmac_f32_e32 v27, v17, v94
	v_pk_add_f32 v[12:13], v[12:13], v[22:23] neg_lo:[0,1] neg_hi:[0,1]
	v_fma_f32 v26, v18, v96, -v16
	v_pk_add_f32 v[12:13], v[12:13], v[26:27] neg_lo:[0,1] neg_hi:[0,1]
	v_mov_b32_e32 v16, v19
	v_mov_b32_e32 v17, v106
	;; [unrolled: 1-line block ×3, first 2 shown]
	s_waitcnt vmcnt(6)
	v_mov_b32_e32 v27, v42
	v_pk_mul_f32 v[26:27], v[16:17], v[26:27]
	v_mov_b32_e32 v39, v18
	scratch_load_dwordx4 v[16:19], off, off offset:88
	v_mov_b32_e32 v46, v43
	v_mov_b32_e32 v96, v43
	v_pk_fma_f32 v[46:47], v[30:31], v[46:47], v[26:27] op_sel:[0,0,1] op_sel_hi:[1,1,0] neg_lo:[1,0,0] neg_hi:[1,0,0]
	v_pk_fma_f32 v[26:27], v[38:39], v[96:97], v[26:27] op_sel:[0,0,1] op_sel_hi:[1,1,0]
	scratch_load_dwordx4 v[94:97], off, off offset:104
	v_mov_b32_e32 v26, 0x152c
	v_mov_b32_e32 v47, v27
	ds_read2_b32 v[26:27], v26 offset1:1
	v_mov_b32_e32 v23, v42
	v_mov_b32_e32 v42, v45
	v_pk_add_f32 v[12:13], v[12:13], v[46:47] neg_lo:[0,1] neg_hi:[0,1]
	v_mov_b32_e32 v47, v106
	s_waitcnt lgkmcnt(0)
	v_mov_b32_e32 v46, v26
	v_mov_b32_e32 v22, v44
	v_pk_mul_f32 v[42:43], v[46:47], v[42:43]
	v_mov_b32_e32 v38, v44
	s_waitcnt vmcnt(7)
	v_mov_b32_e32 v39, v98
	v_pk_fma_f32 v[22:23], v[30:31], v[22:23], v[42:43] op_sel:[1,0,0] op_sel_hi:[0,1,1]
	v_pk_fma_f32 v[46:47], v[30:31], v[38:39], v[42:43] op_sel:[1,0,0] op_sel_hi:[0,1,1] neg_lo:[0,0,1] neg_hi:[0,0,1]
	v_mov_b32_e32 v22, 0x1534
	v_mov_b32_e32 v47, v23
	ds_read2_b32 v[22:23], v22 offset1:1
	v_mov_b32_e32 v44, v99
	v_pk_mul_f32 v[38:39], v[26:27], v[38:39]
	v_mov_b32_e32 v43, v108
	v_pk_add_f32 v[12:13], v[12:13], v[46:47] neg_lo:[0,1] neg_hi:[0,1]
	s_waitcnt lgkmcnt(0)
	v_mov_b32_e32 v42, v22
	v_pk_fma_f32 v[46:47], v[22:23], v[44:45], v[38:39] op_sel:[0,0,1] op_sel_hi:[1,1,0] neg_lo:[1,0,0] neg_hi:[1,0,0]
	v_pk_fma_f32 v[38:39], v[42:43], v[44:45], v[38:39] op_sel:[0,0,1] op_sel_hi:[1,1,0]
	v_mov_b32_e32 v26, 0x153c
	v_mov_b32_e32 v47, v39
	scratch_load_dwordx4 v[42:45], off, off offset:120
	v_pk_add_f32 v[12:13], v[12:13], v[46:47] neg_lo:[0,1] neg_hi:[0,1]
	ds_read2_b32 v[46:47], v26 offset1:1
	v_mov_b32_e32 v30, v98
	v_mov_b32_e32 v31, v100
	;; [unrolled: 1-line block ×3, first 2 shown]
	v_pk_mul_f32 v[30:31], v[22:23], v[30:31]
	s_waitcnt lgkmcnt(0)
	v_mov_b32_e32 v26, v46
	v_pk_fma_f32 v[50:51], v[46:47], v[98:99], v[30:31] op_sel:[0,0,1] op_sel_hi:[1,1,0] neg_lo:[1,0,0] neg_hi:[1,0,0]
	v_pk_fma_f32 v[26:27], v[26:27], v[98:99], v[30:31] op_sel:[0,0,1] op_sel_hi:[1,1,0]
	v_mov_b32_e32 v22, 0x1544
	v_mov_b32_e32 v51, v27
	ds_read2_b32 v[26:27], v22 offset1:1
	s_waitcnt vmcnt(6)
	v_mov_b32_e32 v38, v60
	v_mov_b32_e32 v39, v62
	;; [unrolled: 1-line block ×3, first 2 shown]
	v_pk_mul_f32 v[38:39], v[46:47], v[38:39]
	s_waitcnt lgkmcnt(0)
	v_mov_b32_e32 v22, v26
	v_pk_add_f32 v[12:13], v[12:13], v[50:51] neg_lo:[0,1] neg_hi:[0,1]
	v_pk_fma_f32 v[50:51], v[26:27], v[60:61], v[38:39] op_sel:[0,0,1] op_sel_hi:[1,1,0] neg_lo:[1,0,0] neg_hi:[1,0,0]
	v_pk_fma_f32 v[22:23], v[22:23], v[60:61], v[38:39] op_sel:[0,0,1] op_sel_hi:[1,1,0]
	scratch_load_dwordx4 v[60:63], off, off offset:136
	v_mov_b32_e32 v22, 0x154c
	v_mov_b32_e32 v51, v23
	ds_read2_b32 v[22:23], v22 offset1:1
	v_mov_b32_e32 v30, v102
	v_mov_b32_e32 v31, v104
	;; [unrolled: 1-line block ×3, first 2 shown]
	v_pk_mul_f32 v[30:31], v[26:27], v[30:31]
	s_waitcnt lgkmcnt(0)
	v_mov_b32_e32 v46, v22
	v_pk_add_f32 v[12:13], v[12:13], v[50:51] neg_lo:[0,1] neg_hi:[0,1]
	v_pk_fma_f32 v[50:51], v[22:23], v[102:103], v[30:31] op_sel:[0,0,1] op_sel_hi:[1,1,0] neg_lo:[1,0,0] neg_hi:[1,0,0]
	v_pk_fma_f32 v[30:31], v[46:47], v[102:103], v[30:31] op_sel:[0,0,1] op_sel_hi:[1,1,0]
	v_mov_b32_e32 v26, 0x1554
	scratch_load_dwordx4 v[74:77], off, off offset:152
	v_mov_b32_e32 v51, v31
	ds_read2_b32 v[30:31], v26 offset1:1
	s_waitcnt vmcnt(7)
	v_mov_b32_e32 v38, v68
	v_mov_b32_e32 v39, v70
	;; [unrolled: 1-line block ×3, first 2 shown]
	v_pk_mul_f32 v[38:39], v[22:23], v[38:39]
	s_waitcnt lgkmcnt(0)
	v_mov_b32_e32 v26, v30
	v_pk_add_f32 v[12:13], v[12:13], v[50:51] neg_lo:[0,1] neg_hi:[0,1]
	v_pk_fma_f32 v[50:51], v[30:31], v[68:69], v[38:39] op_sel:[0,0,1] op_sel_hi:[1,1,0] neg_lo:[1,0,0] neg_hi:[1,0,0]
	v_pk_fma_f32 v[26:27], v[26:27], v[68:69], v[38:39] op_sel:[0,0,1] op_sel_hi:[1,1,0]
	v_mov_b32_e32 v22, 0x155c
	v_mov_b32_e32 v51, v27
	scratch_load_dwordx2 v[26:27], off, off offset:160
	ds_read2_b32 v[38:39], v22 offset1:1
	s_waitcnt vmcnt(7)
	v_mov_b32_e32 v46, v90
	v_mov_b32_e32 v47, v92
	;; [unrolled: 1-line block ×3, first 2 shown]
	v_pk_mul_f32 v[46:47], v[30:31], v[46:47]
	s_waitcnt lgkmcnt(0)
	v_mov_b32_e32 v22, v38
	v_pk_add_f32 v[12:13], v[12:13], v[50:51] neg_lo:[0,1] neg_hi:[0,1]
	s_waitcnt vmcnt(5)
	v_mov_b32_e32 v50, v16
	v_mov_b32_e32 v51, v18
	v_pk_fma_f32 v[54:55], v[38:39], v[90:91], v[46:47] op_sel:[0,0,1] op_sel_hi:[1,1,0] neg_lo:[1,0,0] neg_hi:[1,0,0]
	v_pk_fma_f32 v[22:23], v[22:23], v[90:91], v[46:47] op_sel:[0,0,1] op_sel_hi:[1,1,0]
	v_mov_b32_e32 v16, v19
	v_mov_b32_e32 v55, v23
	v_pk_mul_f32 v[22:23], v[38:39], v[50:51]
	v_mov_b32_e32 v30, v34
	v_pk_fma_f32 v[46:47], v[30:31], v[16:17], v[22:23] op_sel:[0,0,1] op_sel_hi:[1,1,0] neg_lo:[1,0,0] neg_hi:[1,0,0]
	v_pk_fma_f32 v[16:17], v[30:31], v[16:17], v[22:23] op_sel:[0,0,1] op_sel_hi:[1,1,0]
	v_mul_f32_e32 v19, v39, v19
	v_mov_b32_e32 v16, 0x156c
	v_mov_b32_e32 v47, v17
	ds_read2_b32 v[16:17], v16 offset1:1
	v_pk_add_f32 v[12:13], v[12:13], v[54:55] neg_lo:[0,1] neg_hi:[0,1]
	v_fmac_f32_e32 v19, v34, v18
	v_pk_add_f32 v[12:13], v[12:13], v[46:47] neg_lo:[0,1] neg_hi:[0,1]
	s_waitcnt vmcnt(4)
	v_mul_f32_e32 v23, v35, v95
	s_waitcnt lgkmcnt(0)
	v_mul_f32_e32 v18, v16, v95
	v_fma_f32 v22, v35, v94, -v18
	v_mov_b32_e32 v18, 0x1574
	v_sub_f32_e32 v13, v13, v19
	ds_read2_b32 v[18:19], v18 offset1:1
	v_fmac_f32_e32 v23, v16, v94
	v_sub_f32_e32 v16, v12, v22
	v_sub_f32_e32 v22, v13, v23
	s_waitcnt lgkmcnt(0)
	v_mul_f32_e32 v12, v18, v97
	v_fma_f32 v23, v17, v96, -v12
	v_mov_b32_e32 v12, 0x157c
	ds_read2_b32 v[12:13], v12 offset1:1
	v_mul_f32_e32 v17, v17, v97
	v_fmac_f32_e32 v17, v18, v96
	v_sub_f32_e32 v18, v16, v23
	v_sub_f32_e32 v22, v22, v17
	s_waitcnt vmcnt(3) lgkmcnt(0)
	v_mul_f32_e32 v16, v12, v43
	v_fma_f32 v23, v19, v42, -v16
	v_mov_b32_e32 v16, 0x1584
	ds_read2_b32 v[16:17], v16 offset1:1
	v_mul_f32_e32 v19, v19, v43
	v_fmac_f32_e32 v19, v12, v42
	v_sub_f32_e32 v12, v18, v23
	v_sub_f32_e32 v22, v22, v19
	s_waitcnt lgkmcnt(0)
	v_mul_f32_e32 v18, v16, v45
	v_fma_f32 v23, v13, v44, -v18
	v_mov_b32_e32 v18, 0x158c
	ds_read2_b32 v[18:19], v18 offset1:1
	v_mul_f32_e32 v13, v13, v45
	v_fmac_f32_e32 v13, v16, v44
	v_sub_f32_e32 v16, v12, v23
	v_sub_f32_e32 v22, v22, v13
	s_waitcnt vmcnt(2) lgkmcnt(0)
	v_mul_f32_e32 v12, v18, v61
	v_fma_f32 v23, v17, v60, -v12
	v_mov_b32_e32 v12, 0x1594
	ds_read2_b32 v[12:13], v12 offset1:1
	v_mul_f32_e32 v17, v17, v61
	;; [unrolled: 18-line block ×3, first 2 shown]
	v_fmac_f32_e32 v13, v16, v74
	v_sub_f32_e32 v13, v22, v13
	v_add_u32_e64 v22, s7, 0
	ds_read2_b32 v[50:51], v22 offset0:107 offset1:173
	s_waitcnt vmcnt(0) lgkmcnt(1)
	v_mul_f32_e32 v16, v18, v27
	v_fma_f32 v16, v17, v26, -v16
	v_mul_f32_e32 v17, v17, v27
	v_fmac_f32_e32 v17, v18, v26
	v_sub_f32_e32 v12, v12, v23
	v_sub_f32_e32 v13, v13, v17
	;; [unrolled: 1-line block ×3, first 2 shown]
	s_waitcnt lgkmcnt(0)
	v_mul_f32_e32 v12, v50, v13
	v_mul_f32_e32 v13, v19, v13
	v_fma_f32 v12, v19, v16, -v12
	v_fmac_f32_e32 v13, v50, v16
	scratch_store_dwordx2 off, v[12:13], off offset:168
	scratch_load_dwordx4 v[68:71], off, off offset:160
	scratch_load_dwordx4 v[90:93], off, off
	s_movk_i32 s7, 0x1800
	scratch_store_dwordx2 off, v[2:3], off offset:176
	scratch_load_dwordx2 v[2:3], off, off offset:176
	s_nop 0
	scratch_load_dwordx4 v[94:97], off, off offset:16
	scratch_load_dwordx4 v[98:101], off, off offset:32
	scratch_load_dwordx4 v[102:105], off, off offset:48
	scratch_load_dwordx4 v[106:109], off, off offset:56
	scratch_load_dword v38, off, off offset:52
	ds_read2_b64 v[72:75], v87 offset1:32
	ds_read2_b64 v[60:63], v87 offset0:64 offset1:96
	ds_read2_b64 v[44:47], v87 offset0:128 offset1:160
	;; [unrolled: 1-line block ×3, first 2 shown]
	ds_write2_b64 v1, v[58:59], v[66:67] offset1:32
	ds_write2_b64 v1, v[78:79], v[80:81] offset0:64 offset1:96
	ds_write2_b64 v1, v[82:83], v[84:85] offset0:128 offset1:160
	ds_write2_b64 v1, v[6:7], v[10:11] offset0:192 offset1:224
	ds_write2_b64 v89, v[8:9], v[14:15] offset1:32
	ds_write2_b64 v89, v[20:21], v[24:25] offset0:64 offset1:96
	ds_write2_b64 v89, v[28:29], v[32:33] offset0:128 offset1:160
	;; [unrolled: 1-line block ×3, first 2 shown]
	scratch_load_dwordx4 v[10:13], off, off offset:64
	ds_read_b128 v[6:9], v86 offset:5632
	ds_write2_b64 v88, v[48:49], v[52:53] offset1:32
	ds_write2_b64 v88, v[56:57], v[64:65] offset0:64 offset1:96
	s_waitcnt vmcnt(9)
	ds_write2_b64 v88, v[76:77], v[70:71] offset0:128 offset1:160
	scratch_load_dwordx4 v[24:27], off, off offset:72
	scratch_load_dwordx4 v[28:31], off, off offset:80
	s_waitcnt vmcnt(10) lgkmcnt(3)
	v_mul_f32_e32 v14, v7, v91
	v_fma_f32 v14, v6, v90, -v14
	v_mul_f32_e32 v6, v6, v91
	v_fmac_f32_e32 v6, v7, v90
	ds_read_b128 v[20:23], v86 offset:5648
	s_waitcnt vmcnt(8)
	v_sub_f32_e32 v3, v3, v6
	v_mul_f32_e32 v6, v9, v93
	v_mul_f32_e32 v7, v8, v93
	v_sub_f32_e32 v2, v2, v14
	v_fma_f32 v6, v8, v92, -v6
	v_fmac_f32_e32 v7, v9, v92
	v_sub_f32_e32 v2, v2, v6
	v_sub_f32_e32 v15, v3, v7
	ds_read_b96 v[6:8], v86 offset:5664
	s_waitcnt vmcnt(7) lgkmcnt(1)
	v_mul_f32_e32 v3, v21, v95
	v_fma_f32 v3, v20, v94, -v3
	v_mul_f32_e32 v33, v20, v95
	v_sub_f32_e32 v14, v2, v3
	v_mul_f32_e32 v2, v23, v97
	v_fmac_f32_e32 v33, v21, v94
	v_fma_f32 v32, v22, v96, -v2
	v_mul_f32_e32 v21, v22, v97
	s_waitcnt vmcnt(6) lgkmcnt(0)
	v_mul_f32_e32 v9, v7, v99
	v_fmac_f32_e32 v21, v23, v96
	v_pk_add_f32 v[14:15], v[14:15], v[32:33] neg_lo:[0,1] neg_hi:[0,1]
	v_fma_f32 v20, v6, v98, -v9
	v_pk_add_f32 v[14:15], v[14:15], v[20:21] neg_lo:[0,1] neg_hi:[0,1]
	scratch_load_dwordx4 v[20:23], off, off offset:88
	v_mov_b32_e32 v32, v7
	v_mov_b32_e32 v33, v8
	;; [unrolled: 1-line block ×4, first 2 shown]
	v_pk_mul_f32 v[40:41], v[32:33], v[34:35]
	scratch_load_dwordx4 v[32:35], off, off offset:96
	v_mov_b32_e32 v7, 0x162c
	ds_read2_b32 v[36:37], v7 offset1:1
	v_mov_b32_e32 v43, v6
	v_mov_b32_e32 v6, v101
	;; [unrolled: 1-line block ×4, first 2 shown]
	s_waitcnt lgkmcnt(0)
	v_mov_b32_e32 v42, v36
	v_pk_fma_f32 v[6:7], v[36:37], v[6:7], v[40:41] op_sel:[0,0,1] op_sel_hi:[1,1,0] neg_lo:[1,0,0] neg_hi:[1,0,0]
	v_pk_fma_f32 v[40:41], v[42:43], v[98:99], v[40:41] op_sel:[0,0,1] op_sel_hi:[1,1,0]
	v_mov_b32_e32 v39, v101
	v_mov_b32_e32 v7, v41
	v_pk_add_f32 v[6:7], v[14:15], v[6:7] neg_lo:[0,1] neg_hi:[0,1]
	ds_read2_b32 v[14:15], v9 offset1:1
	v_mov_b32_e32 v49, v8
	s_waitcnt vmcnt(7)
	v_mov_b32_e32 v103, v100
	v_mov_b32_e32 v40, v102
	;; [unrolled: 1-line block ×3, first 2 shown]
	s_waitcnt lgkmcnt(0)
	v_mov_b32_e32 v48, v14
	s_waitcnt vmcnt(5)
	v_pk_mul_f32 v[8:9], v[48:49], v[38:39]
	v_mov_b32_e32 v43, v38
	v_pk_fma_f32 v[38:39], v[36:37], v[40:41], v[8:9] op_sel:[1,0,0] op_sel_hi:[0,1,1] neg_lo:[0,0,1] neg_hi:[0,0,1]
	v_pk_fma_f32 v[8:9], v[36:37], v[102:103], v[8:9] op_sel:[1,0,0] op_sel_hi:[0,1,1]
	v_mov_b32_e32 v39, v9
	v_pk_add_f32 v[38:39], v[6:7], v[38:39] neg_lo:[0,1] neg_hi:[0,1]
	v_mov_b32_e32 v6, 0x163c
	ds_read2_b32 v[48:49], v6 offset1:1
	scratch_load_dwordx4 v[6:9], off, off offset:112
	v_mov_b32_e32 v42, v107
	v_pk_mul_f32 v[40:41], v[14:15], v[40:41]
	v_mov_b32_e32 v52, v106
	s_waitcnt lgkmcnt(0)
	v_mov_b32_e32 v36, v48
	v_pk_fma_f32 v[54:55], v[48:49], v[42:43], v[40:41] op_sel:[0,0,1] op_sel_hi:[1,1,0] neg_lo:[1,0,0] neg_hi:[1,0,0]
	v_pk_fma_f32 v[36:37], v[36:37], v[42:43], v[40:41] op_sel:[0,0,1] op_sel_hi:[1,1,0]
	v_mov_b32_e32 v53, v108
	v_mov_b32_e32 v55, v37
	v_pk_add_f32 v[36:37], v[38:39], v[54:55] neg_lo:[0,1] neg_hi:[0,1]
	v_pk_mul_f32 v[42:43], v[48:49], v[52:53]
	scratch_load_dwordx4 v[52:55], off, off offset:128
	scratch_load_dwordx4 v[64:67], off, off offset:144
	v_mov_b32_e32 v14, 0x1644
	ds_read2_b32 v[38:39], v14 offset1:1
	v_mov_b32_e32 v106, v109
	s_waitcnt vmcnt(7)
	v_mov_b32_e32 v40, v10
	v_mov_b32_e32 v41, v12
	;; [unrolled: 1-line block ×3, first 2 shown]
	s_waitcnt lgkmcnt(0)
	v_mov_b32_e32 v14, v38
	v_pk_fma_f32 v[14:15], v[14:15], v[106:107], v[42:43] op_sel:[0,0,1] op_sel_hi:[1,1,0]
	v_pk_fma_f32 v[12:13], v[38:39], v[106:107], v[42:43] op_sel:[0,0,1] op_sel_hi:[1,1,0] neg_lo:[1,0,0] neg_hi:[1,0,0]
	v_mov_b32_e32 v14, 0x164c
	v_mov_b32_e32 v13, v15
	ds_read2_b32 v[14:15], v14 offset1:1
	v_pk_mul_f32 v[40:41], v[38:39], v[40:41]
	v_pk_add_f32 v[12:13], v[36:37], v[12:13] neg_lo:[0,1] neg_hi:[0,1]
	s_waitcnt vmcnt(6)
	v_mov_b32_e32 v36, v24
	v_mov_b32_e32 v37, v26
	s_waitcnt lgkmcnt(0)
	v_mov_b32_e32 v48, v14
	v_mov_b32_e32 v24, v27
	v_pk_fma_f32 v[26:27], v[14:15], v[10:11], v[40:41] op_sel:[0,0,1] op_sel_hi:[1,1,0] neg_lo:[1,0,0] neg_hi:[1,0,0]
	v_pk_fma_f32 v[10:11], v[48:49], v[10:11], v[40:41] op_sel:[0,0,1] op_sel_hi:[1,1,0]
	v_pk_mul_f32 v[36:37], v[14:15], v[36:37]
	v_mov_b32_e32 v27, v11
	v_pk_add_f32 v[10:11], v[12:13], v[26:27] neg_lo:[0,1] neg_hi:[0,1]
	v_mov_b32_e32 v13, 0x1654
	ds_read2_b32 v[26:27], v13 offset1:1
	s_waitcnt vmcnt(5)
	v_mov_b32_e32 v12, v28
	v_mov_b32_e32 v13, v30
	;; [unrolled: 1-line block ×4, first 2 shown]
	s_waitcnt lgkmcnt(0)
	v_mov_b32_e32 v38, v26
	v_pk_fma_f32 v[30:31], v[26:27], v[24:25], v[36:37] op_sel:[0,0,1] op_sel_hi:[1,1,0] neg_lo:[1,0,0] neg_hi:[1,0,0]
	v_pk_fma_f32 v[24:25], v[38:39], v[24:25], v[36:37] op_sel:[0,0,1] op_sel_hi:[1,1,0]
	v_pk_mul_f32 v[12:13], v[26:27], v[12:13]
	v_mov_b32_e32 v31, v25
	ds_read2_b32 v[24:25], v14 offset1:1
	v_pk_add_f32 v[10:11], v[10:11], v[30:31] neg_lo:[0,1] neg_hi:[0,1]
	s_waitcnt vmcnt(4)
	v_mov_b32_e32 v30, v20
	v_mov_b32_e32 v31, v22
	;; [unrolled: 1-line block ×3, first 2 shown]
	s_waitcnt lgkmcnt(0)
	v_mov_b32_e32 v14, v24
	v_pk_fma_f32 v[22:23], v[24:25], v[28:29], v[12:13] op_sel:[0,0,1] op_sel_hi:[1,1,0] neg_lo:[1,0,0] neg_hi:[1,0,0]
	v_pk_fma_f32 v[12:13], v[14:15], v[28:29], v[12:13] op_sel:[0,0,1] op_sel_hi:[1,1,0]
	v_mov_b32_e32 v2, 0x166c
	v_mov_b32_e32 v12, 0x1664
	;; [unrolled: 1-line block ×3, first 2 shown]
	ds_read2_b32 v[12:13], v12 offset1:1
	ds_read2_b32 v[2:3], v2 offset1:1
	scratch_load_dwordx2 v[48:49], off, off offset:168
	scratch_load_dwordx4 v[40:43], off, off offset:32
	v_pk_add_f32 v[10:11], v[10:11], v[22:23] neg_lo:[0,1] neg_hi:[0,1]
	s_waitcnt vmcnt(5)
	v_mov_b32_e32 v14, v32
	v_mov_b32_e32 v15, v34
	v_pk_mul_f32 v[22:23], v[24:25], v[30:31]
	s_waitcnt lgkmcnt(1)
	v_mov_b32_e32 v26, v12
	v_mov_b32_e32 v32, v35
	v_pk_fma_f32 v[28:29], v[12:13], v[20:21], v[22:23] op_sel:[0,0,1] op_sel_hi:[1,1,0] neg_lo:[1,0,0] neg_hi:[1,0,0]
	v_pk_fma_f32 v[20:21], v[26:27], v[20:21], v[22:23] op_sel:[0,0,1] op_sel_hi:[1,1,0]
	v_pk_mul_f32 v[14:15], v[12:13], v[14:15]
	s_waitcnt lgkmcnt(0)
	v_mov_b32_e32 v24, v2
	v_mov_b32_e32 v29, v21
	v_pk_fma_f32 v[20:21], v[24:25], v[32:33], v[14:15] op_sel:[0,0,1] op_sel_hi:[1,1,0] neg_lo:[1,0,0] neg_hi:[1,0,0]
	v_pk_fma_f32 v[14:15], v[24:25], v[32:33], v[14:15] op_sel:[0,0,1] op_sel_hi:[1,1,0]
	scratch_load_dwordx4 v[24:27], off, off
	v_mov_b32_e32 v21, v15
	scratch_load_dwordx2 v[14:15], off, off
	v_mov_b32_e32 v12, 0x1674
	v_mul_f32_e32 v22, v13, v35
	ds_read2_b32 v[12:13], v12 offset1:1
	v_pk_add_f32 v[10:11], v[10:11], v[28:29] neg_lo:[0,1] neg_hi:[0,1]
	v_fmac_f32_e32 v22, v2, v34
	v_pk_add_f32 v[10:11], v[10:11], v[20:21] neg_lo:[0,1] neg_hi:[0,1]
	v_mov_b32_e32 v20, 0x167c
	ds_read2_b32 v[20:21], v20 offset1:1
	v_sub_f32_e32 v2, v11, v22
	s_waitcnt vmcnt(6) lgkmcnt(1)
	v_mul_f32_e32 v11, v12, v7
	v_fma_f32 v11, v3, v6, -v11
	v_mul_f32_e32 v3, v3, v7
	v_fmac_f32_e32 v3, v12, v6
	v_sub_f32_e32 v10, v10, v11
	v_sub_f32_e32 v11, v2, v3
	s_waitcnt lgkmcnt(0)
	v_mul_f32_e32 v2, v20, v9
	v_fma_f32 v12, v13, v8, -v2
	v_mul_f32_e32 v13, v13, v9
	v_mov_b32_e32 v2, 0x1684
	ds_read2_b32 v[2:3], v2 offset1:1
	v_fmac_f32_e32 v13, v20, v8
	v_mov_b32_e32 v20, 0x168c
	ds_read2_b32 v[56:57], v20 offset1:1
	v_sub_f32_e32 v10, v10, v12
	v_sub_f32_e32 v11, v11, v13
	s_waitcnt vmcnt(5) lgkmcnt(1)
	v_mul_f32_e32 v12, v2, v53
	v_mul_f32_e32 v13, v21, v53
	v_fma_f32 v12, v21, v52, -v12
	v_fmac_f32_e32 v13, v2, v52
	s_waitcnt lgkmcnt(0)
	v_mul_f32_e32 v2, v56, v55
	v_sub_f32_e32 v10, v10, v12
	v_fma_f32 v12, v3, v54, -v2
	v_mov_b32_e32 v2, 0x1694
	scratch_load_dwordx4 v[28:31], off, off offset:8
	v_sub_f32_e32 v11, v11, v13
	v_mul_f32_e32 v13, v3, v55
	ds_read2_b32 v[2:3], v2 offset1:1
	scratch_load_dwordx4 v[32:35], off, off offset:16
	scratch_load_dwordx4 v[36:39], off, off offset:24
	v_fmac_f32_e32 v13, v56, v54
	v_sub_f32_e32 v50, v10, v12
	s_waitcnt vmcnt(7) lgkmcnt(0)
	v_mul_f32_e32 v10, v2, v65
	v_sub_f32_e32 v56, v11, v13
	v_fma_f32 v58, v57, v64, -v10
	scratch_load_dwordx4 v[10:13], off, off offset:48
	scratch_load_dwordx4 v[20:23], off, off offset:40
	v_mov_b32_e32 v59, 0x169c
	ds_read2_b32 v[70:71], v59 offset1:1
	v_mul_f32_e32 v57, v57, v65
	v_fmac_f32_e32 v57, v2, v64
	v_sub_f32_e32 v2, v50, v58
	v_sub_f32_e32 v50, v56, v57
	v_mov_b32_e32 v57, 0x16a4
	ds_read2_b32 v[76:77], v57 offset1:1
	s_waitcnt lgkmcnt(1)
	v_mul_f32_e32 v56, v70, v67
	v_fma_f32 v56, v3, v66, -v56
	v_mul_f32_e32 v3, v3, v67
	v_fmac_f32_e32 v3, v70, v66
	v_sub_f32_e32 v70, v2, v56
	scratch_load_dwordx4 v[56:59], off, off offset:64
	s_waitcnt lgkmcnt(0)
	v_mul_f32_e32 v2, v76, v69
	v_fma_f32 v78, v71, v68, -v2
	v_mov_b32_e32 v2, 0x16ac
	v_sub_f32_e32 v50, v50, v3
	ds_read2_b32 v[2:3], v2 offset1:1
	v_mul_f32_e32 v69, v71, v69
	v_fmac_f32_e32 v69, v76, v68
	v_sub_f32_e32 v50, v50, v69
	v_sub_f32_e32 v68, v70, v78
	s_waitcnt vmcnt(9) lgkmcnt(0)
	v_mul_f32_e32 v69, v2, v49
	v_fma_f32 v69, v77, v48, -v69
	v_mul_f32_e32 v49, v77, v49
	v_fmac_f32_e32 v49, v2, v48
	v_sub_f32_e32 v2, v68, v69
	ds_read_b128 v[68:71], v86 offset:5888
	scratch_load_dwordx4 v[82:85], off, off offset:72
	scratch_load_dwordx4 v[90:93], off, off offset:88
	v_sub_f32_e32 v48, v50, v49
	v_mul_f32_e32 v49, v51, v48
	v_mul_f32_e32 v81, v3, v48
	v_fma_f32 v80, v3, v2, -v49
	v_fmac_f32_e32 v81, v51, v2
	s_waitcnt vmcnt(8) lgkmcnt(0)
	v_mul_f32_e32 v2, v69, v15
	v_fma_f32 v2, v68, v14, -v2
	v_mul_f32_e32 v3, v68, v15
	v_fmac_f32_e32 v3, v69, v14
	v_sub_f32_e32 v14, v4, v2
	v_mul_f32_e32 v2, v71, v27
	v_fma_f32 v68, v70, v26, -v2
	v_mul_f32_e32 v27, v70, v27
	v_fmac_f32_e32 v27, v71, v26
	v_sub_f32_e32 v14, v14, v68
	scratch_load_dwordx4 v[68:71], off, off offset:80
	v_sub_f32_e32 v15, v5, v3
	ds_read_b128 v[2:5], v86 offset:5904
	ds_read_b128 v[76:79], v86 offset:5920
	ds_read_b96 v[102:104], v86 offset:5936
	v_sub_f32_e32 v15, v15, v27
	scratch_load_dwordx4 v[94:97], off, off offset:96
	scratch_load_dwordx4 v[98:101], off, off offset:104
	s_waitcnt vmcnt(10) lgkmcnt(2)
	v_mul_f32_e32 v26, v3, v31
	v_fma_f32 v26, v2, v30, -v26
	v_mul_f32_e32 v2, v2, v31
	v_fmac_f32_e32 v2, v3, v30
	v_sub_f32_e32 v3, v15, v2
	s_waitcnt vmcnt(9)
	v_mul_f32_e32 v2, v5, v35
	v_sub_f32_e32 v14, v14, v26
	v_fma_f32 v2, v4, v34, -v2
	v_mul_f32_e32 v27, v4, v35
	s_waitcnt vmcnt(8) lgkmcnt(1)
	v_mul_f32_e32 v4, v77, v39
	v_fmac_f32_e32 v27, v5, v34
	v_sub_f32_e32 v2, v14, v2
	v_fma_f32 v26, v76, v38, -v4
	v_mov_b32_e32 v4, 0x1774
	v_mul_f32_e32 v5, v76, v39
	ds_read2_b32 v[14:15], v4 offset1:1
	v_pk_add_f32 v[2:3], v[2:3], v[26:27] neg_lo:[0,1] neg_hi:[0,1]
	v_mul_f32_e32 v4, v79, v43
	v_mov_b32_e32 v26, v79
	s_waitcnt lgkmcnt(1)
	v_mov_b32_e32 v27, v102
	v_mov_b32_e32 v34, v42
	s_waitcnt vmcnt(6)
	v_mov_b32_e32 v35, v22
	v_fmac_f32_e32 v5, v77, v38
	v_mov_b32_e32 v30, v103
	v_mov_b32_e32 v31, v104
	v_fma_f32 v4, v78, v42, -v4
	v_pk_mul_f32 v[26:27], v[26:27], v[34:35]
	v_mov_b32_e32 v34, v103
	v_mov_b32_e32 v35, v78
	;; [unrolled: 1-line block ×4, first 2 shown]
	v_pk_fma_f32 v[38:39], v[30:31], v[38:39], v[26:27] op_sel:[0,0,1] op_sel_hi:[1,1,0] neg_lo:[1,0,0] neg_hi:[1,0,0]
	v_pk_fma_f32 v[26:27], v[34:35], v[42:43], v[26:27] op_sel:[0,0,1] op_sel_hi:[1,1,0]
	v_pk_add_f32 v[2:3], v[2:3], v[4:5] neg_lo:[0,1] neg_hi:[0,1]
	v_mov_b32_e32 v26, 0x173c
	v_mov_b32_e32 v39, v27
	ds_read2_b32 v[26:27], v26 offset1:1
	v_mov_b32_e32 v5, v22
	v_mov_b32_e32 v22, v13
	v_pk_add_f32 v[2:3], v[2:3], v[38:39] neg_lo:[0,1] neg_hi:[0,1]
	v_mov_b32_e32 v39, v102
	s_waitcnt lgkmcnt(0)
	v_mov_b32_e32 v38, v26
	v_mov_b32_e32 v4, v12
	;; [unrolled: 1-line block ×3, first 2 shown]
	s_waitcnt vmcnt(5)
	v_mov_b32_e32 v35, v56
	v_pk_mul_f32 v[22:23], v[38:39], v[22:23]
	v_mov_b32_e32 v12, v57
	v_pk_fma_f32 v[38:39], v[30:31], v[34:35], v[22:23] op_sel:[1,0,0] op_sel_hi:[0,1,1] neg_lo:[0,0,1] neg_hi:[0,0,1]
	v_pk_fma_f32 v[4:5], v[30:31], v[4:5], v[22:23] op_sel:[1,0,0] op_sel_hi:[0,1,1]
	v_mov_b32_e32 v39, v5
	v_pk_add_f32 v[22:23], v[2:3], v[38:39] neg_lo:[0,1] neg_hi:[0,1]
	v_mov_b32_e32 v2, 0x1744
	ds_read2_b32 v[30:31], v2 offset1:1
	v_pk_mul_f32 v[2:3], v[26:27], v[34:35]
	v_mov_b32_e32 v5, v104
	v_mov_b32_e32 v38, v56
	;; [unrolled: 1-line block ×3, first 2 shown]
	s_waitcnt lgkmcnt(0)
	v_mov_b32_e32 v4, v30
	v_pk_fma_f32 v[34:35], v[30:31], v[12:13], v[2:3] op_sel:[0,0,1] op_sel_hi:[1,1,0] neg_lo:[1,0,0] neg_hi:[1,0,0]
	v_pk_fma_f32 v[2:3], v[4:5], v[12:13], v[2:3] op_sel:[0,0,1] op_sel_hi:[1,1,0]
	v_mov_b32_e32 v56, v59
	v_mov_b32_e32 v35, v3
	scratch_load_dwordx4 v[2:5], off, off offset:120
	v_pk_add_f32 v[12:13], v[22:23], v[34:35] neg_lo:[0,1] neg_hi:[0,1]
	v_mov_b32_e32 v22, 0x174c
	ds_read2_b32 v[22:23], v22 offset1:1
	v_pk_mul_f32 v[38:39], v[30:31], v[38:39]
	scratch_load_dwordx4 v[76:79], off, off offset:136
	s_waitcnt vmcnt(6)
	v_mov_b32_e32 v34, v82
	v_mov_b32_e32 v35, v84
	s_waitcnt lgkmcnt(0)
	v_mov_b32_e32 v26, v22
	v_pk_fma_f32 v[42:43], v[22:23], v[56:57], v[38:39] op_sel:[0,0,1] op_sel_hi:[1,1,0] neg_lo:[1,0,0] neg_hi:[1,0,0]
	v_pk_fma_f32 v[26:27], v[26:27], v[56:57], v[38:39] op_sel:[0,0,1] op_sel_hi:[1,1,0]
	v_mov_b32_e32 v82, v85
	v_mov_b32_e32 v43, v27
	;; [unrolled: 1-line block ×3, first 2 shown]
	ds_read2_b32 v[38:39], v27 offset1:1
	v_pk_mul_f32 v[34:35], v[22:23], v[34:35]
	v_pk_add_f32 v[12:13], v[12:13], v[42:43] neg_lo:[0,1] neg_hi:[0,1]
	v_mov_b32_e32 v22, 0x175c
	s_waitcnt vmcnt(4)
	v_mov_b32_e32 v26, v68
	s_waitcnt lgkmcnt(0)
	v_mov_b32_e32 v30, v38
	v_pk_fma_f32 v[42:43], v[38:39], v[82:83], v[34:35] op_sel:[0,0,1] op_sel_hi:[1,1,0] neg_lo:[1,0,0] neg_hi:[1,0,0]
	v_pk_fma_f32 v[30:31], v[30:31], v[82:83], v[34:35] op_sel:[0,0,1] op_sel_hi:[1,1,0]
	v_mov_b32_e32 v27, v70
	v_mov_b32_e32 v43, v31
	ds_read2_b32 v[30:31], v22 offset1:1
	v_mov_b32_e32 v68, v71
	v_pk_mul_f32 v[26:27], v[38:39], v[26:27]
	v_pk_add_f32 v[12:13], v[12:13], v[42:43] neg_lo:[0,1] neg_hi:[0,1]
	scratch_load_dwordx4 v[56:59], off, off offset:160
	s_waitcnt lgkmcnt(0)
	v_mov_b32_e32 v22, v30
	v_pk_fma_f32 v[42:43], v[30:31], v[68:69], v[26:27] op_sel:[0,0,1] op_sel_hi:[1,1,0] neg_lo:[1,0,0] neg_hi:[1,0,0]
	v_pk_fma_f32 v[22:23], v[22:23], v[68:69], v[26:27] op_sel:[0,0,1] op_sel_hi:[1,1,0]
	scratch_load_dwordx4 v[68:71], off, off offset:152
	v_mov_b32_e32 v43, v23
	v_mov_b32_e32 v23, 0x1764
	ds_read2_b32 v[26:27], v23 offset1:1
	v_mov_b32_e32 v34, v90
	v_mov_b32_e32 v35, v92
	;; [unrolled: 1-line block ×3, first 2 shown]
	v_pk_mul_f32 v[34:35], v[30:31], v[34:35]
	s_waitcnt lgkmcnt(0)
	v_mov_b32_e32 v38, v26
	v_pk_add_f32 v[12:13], v[12:13], v[42:43] neg_lo:[0,1] neg_hi:[0,1]
	v_pk_fma_f32 v[42:43], v[26:27], v[90:91], v[34:35] op_sel:[0,0,1] op_sel_hi:[1,1,0] neg_lo:[1,0,0] neg_hi:[1,0,0]
	v_pk_fma_f32 v[34:35], v[38:39], v[90:91], v[34:35] op_sel:[0,0,1] op_sel_hi:[1,1,0]
	v_mov_b32_e32 v30, 0x176c
	v_mov_b32_e32 v43, v35
	ds_read2_b32 v[34:35], v30 offset1:1
	s_waitcnt vmcnt(5)
	v_mov_b32_e32 v22, v94
	v_mov_b32_e32 v23, v96
	;; [unrolled: 1-line block ×3, first 2 shown]
	v_pk_mul_f32 v[22:23], v[26:27], v[22:23]
	s_waitcnt lgkmcnt(0)
	v_mov_b32_e32 v30, v34
	v_pk_add_f32 v[12:13], v[12:13], v[42:43] neg_lo:[0,1] neg_hi:[0,1]
	s_waitcnt vmcnt(4)
	v_mov_b32_e32 v38, v98
	v_mov_b32_e32 v39, v100
	v_pk_fma_f32 v[42:43], v[34:35], v[94:95], v[22:23] op_sel:[0,0,1] op_sel_hi:[1,1,0] neg_lo:[1,0,0] neg_hi:[1,0,0]
	v_pk_fma_f32 v[22:23], v[30:31], v[94:95], v[22:23] op_sel:[0,0,1] op_sel_hi:[1,1,0]
	v_mov_b32_e32 v98, v101
	v_mov_b32_e32 v43, v23
	v_pk_mul_f32 v[22:23], v[34:35], v[38:39]
	v_mov_b32_e32 v26, v14
	v_pk_fma_f32 v[30:31], v[26:27], v[98:99], v[22:23] op_sel:[0,0,1] op_sel_hi:[1,1,0] neg_lo:[1,0,0] neg_hi:[1,0,0]
	v_pk_fma_f32 v[22:23], v[26:27], v[98:99], v[22:23] op_sel:[0,0,1] op_sel_hi:[1,1,0]
	v_pk_add_f32 v[12:13], v[12:13], v[42:43] neg_lo:[0,1] neg_hi:[0,1]
	v_mov_b32_e32 v31, v23
	scratch_store_dwordx2 off, v[80:81], off offset:176
	v_pk_add_f32 v[12:13], v[12:13], v[30:31] neg_lo:[0,1] neg_hi:[0,1]
	scratch_load_dwordx2 v[30:31], off, off
	scratch_load_dwordx4 v[48:51], off, off offset:168
	v_mul_f32_e32 v26, v35, v101
	scratch_load_dwordx2 v[34:35], off, off offset:8
	v_mov_b32_e32 v22, 0x177c
	v_fmac_f32_e32 v26, v14, v100
	ds_read2_b32 v[22:23], v22 offset1:1
	v_sub_f32_e32 v13, v13, v26
	v_mov_b32_e32 v26, 0x1784
	ds_read2_b32 v[26:27], v26 offset1:1
	scratch_load_dwordx2 v[38:39], off, off offset:24
	s_waitcnt lgkmcnt(1)
	v_mul_f32_e32 v14, v22, v9
	v_mul_f32_e32 v9, v15, v9
	v_fma_f32 v14, v15, v8, -v14
	v_fmac_f32_e32 v9, v22, v8
	s_waitcnt vmcnt(8) lgkmcnt(0)
	v_mul_f32_e32 v8, v26, v5
	v_sub_f32_e32 v12, v12, v14
	v_fma_f32 v14, v23, v4, -v8
	v_mov_b32_e32 v8, 0x178c
	v_sub_f32_e32 v13, v13, v9
	ds_read2_b32 v[8:9], v8 offset1:1
	v_mul_f32_e32 v5, v23, v5
	v_fmac_f32_e32 v5, v26, v4
	v_sub_f32_e32 v12, v12, v14
	scratch_load_dwordx2 v[22:23], off, off offset:16
	s_waitcnt lgkmcnt(0)
	v_mul_f32_e32 v4, v8, v55
	v_fma_f32 v14, v27, v54, -v4
	v_mov_b32_e32 v4, 0x1794
	v_sub_f32_e32 v13, v13, v5
	ds_read2_b32 v[4:5], v4 offset1:1
	v_mul_f32_e32 v15, v27, v55
	scratch_load_dwordx2 v[26:27], off, off offset:32
	v_fmac_f32_e32 v15, v8, v54
	v_sub_f32_e32 v12, v12, v14
	s_waitcnt vmcnt(9) lgkmcnt(0)
	v_mul_f32_e32 v8, v4, v79
	v_fma_f32 v14, v9, v78, -v8
	v_mov_b32_e32 v8, 0x179c
	scratch_load_dwordx2 v[42:43], off, off offset:40
	v_sub_f32_e32 v13, v13, v15
	v_mul_f32_e32 v15, v9, v79
	ds_read2_b32 v[8:9], v8 offset1:1
	scratch_load_dwordx2 v[54:55], off, off offset:48
	v_fmac_f32_e32 v15, v4, v78
	v_sub_f32_e32 v12, v12, v14
	v_sub_f32_e32 v78, v13, v15
	s_waitcnt lgkmcnt(0)
	v_mul_f32_e32 v4, v8, v67
	v_fma_f32 v13, v5, v66, -v4
	v_mul_f32_e32 v79, v5, v67
	v_mov_b32_e32 v4, 0x17a4
	v_fmac_f32_e32 v79, v8, v66
	ds_read2_b32 v[4:5], v4 offset1:1
	v_sub_f32_e32 v8, v12, v13
	scratch_load_dwordx4 v[12:15], off, off offset:56
	scratch_load_dwordx2 v[66:67], off, off offset:56
	v_sub_f32_e32 v82, v78, v79
	s_waitcnt vmcnt(11) lgkmcnt(0)
	v_mul_f32_e32 v78, v4, v71
	v_fma_f32 v83, v9, v70, -v78
	v_mul_f32_e32 v9, v9, v71
	v_fmac_f32_e32 v9, v4, v70
	v_sub_f32_e32 v4, v8, v83
	v_sub_f32_e32 v70, v82, v9
	scratch_load_dwordx4 v[82:85], off, off offset:72
	v_mov_b32_e32 v78, 0x17ac
	ds_read2_b32 v[78:79], v78 offset1:1
	s_waitcnt lgkmcnt(0)
	v_mul_f32_e32 v8, v78, v59
	v_fma_f32 v71, v5, v58, -v8
	v_mov_b32_e32 v8, 0x17b4
	ds_read2_b32 v[8:9], v8 offset1:1
	v_mul_f32_e32 v5, v5, v59
	v_fmac_f32_e32 v5, v78, v58
	v_sub_f32_e32 v58, v4, v71
	v_sub_f32_e32 v59, v70, v5
	s_waitcnt lgkmcnt(0)
	v_mul_f32_e32 v4, v8, v81
	v_fma_f32 v70, v79, v80, -v4
	v_add_u32_e64 v4, s10, 0
	ds_read2_b32 v[4:5], v4 offset0:111 offset1:177
	v_mul_f32_e32 v71, v79, v81
	v_fmac_f32_e32 v71, v8, v80
	ds_read_b128 v[78:81], v86 offset:6144
	v_sub_f32_e32 v59, v59, v71
	v_sub_f32_e32 v58, v58, v70
	s_waitcnt lgkmcnt(1)
	v_mul_f32_e32 v8, v4, v59
	v_fma_f32 v8, v9, v58, -v8
	v_mul_f32_e32 v9, v9, v59
	v_fmac_f32_e32 v9, v4, v58
	s_waitcnt vmcnt(10) lgkmcnt(0)
	v_mul_f32_e32 v4, v79, v31
	v_mul_f32_e32 v31, v78, v31
	s_waitcnt vmcnt(9)
	ds_write2_b64 v88, v[50:51], v[8:9] offset0:192 offset1:224
	v_fma_f32 v4, v78, v30, -v4
	v_fmac_f32_e32 v31, v79, v30
	ds_read_b128 v[88:91], v86 offset:6160
	ds_read_b128 v[92:95], v86 offset:6176
	ds_read_b96 v[98:100], v86 offset:6192
	v_sub_f32_e32 v4, v72, v4
	v_sub_f32_e32 v30, v73, v31
	scratch_load_dwordx4 v[70:73], off, off offset:80
	s_waitcnt vmcnt(9)
	v_mul_f32_e32 v31, v81, v35
	v_mul_f32_e32 v35, v80, v35
	v_fma_f32 v31, v80, v34, -v31
	v_fmac_f32_e32 v35, v81, v34
	scratch_load_dwordx4 v[78:81], off, off offset:88
	v_sub_f32_e32 v4, v4, v31
	s_waitcnt vmcnt(8) lgkmcnt(2)
	v_mul_f32_e32 v31, v89, v23
	v_mul_f32_e32 v23, v88, v23
	v_sub_f32_e32 v30, v30, v35
	v_fmac_f32_e32 v23, v89, v22
	v_fma_f32 v31, v88, v22, -v31
	v_sub_f32_e32 v22, v30, v23
	v_mul_f32_e32 v30, v90, v39
	v_mul_f32_e32 v23, v91, v39
	v_fmac_f32_e32 v30, v91, v38
	v_sub_f32_e32 v4, v4, v31
	v_fma_f32 v23, v90, v38, -v23
	v_sub_f32_e32 v31, v22, v30
	s_waitcnt vmcnt(7) lgkmcnt(1)
	v_mul_f32_e32 v22, v93, v27
	v_sub_f32_e32 v4, v4, v23
	v_fma_f32 v22, v92, v26, -v22
	v_mul_f32_e32 v27, v92, v27
	v_sub_f32_e32 v30, v4, v22
	s_waitcnt vmcnt(6)
	v_mul_f32_e32 v4, v95, v43
	v_fmac_f32_e32 v27, v93, v26
	v_fma_f32 v26, v94, v42, -v4
	v_mov_b32_e32 v4, 0x187c
	ds_read2_b32 v[22:23], v4 offset1:1
	s_waitcnt vmcnt(5) lgkmcnt(1)
	v_mul_f32_e32 v4, v99, v55
	scratch_load_dwordx4 v[88:91], off, off offset:96
	v_fma_f32 v34, v98, v54, -v4
	v_mov_b32_e32 v4, 0x183c
	ds_read2_b32 v[38:39], v4 offset1:1
	v_mul_f32_e32 v35, v94, v43
	v_fmac_f32_e32 v35, v95, v42
	v_pk_add_f32 v[26:27], v[30:31], v[26:27] neg_lo:[0,1] neg_hi:[0,1]
	v_mov_b32_e32 v42, v54
	v_pk_add_f32 v[26:27], v[26:27], v[34:35] neg_lo:[0,1] neg_hi:[0,1]
	v_mov_b32_e32 v34, v99
	v_mov_b32_e32 v35, v100
	s_waitcnt vmcnt(4)
	v_mov_b32_e32 v43, v66
	scratch_load_dwordx4 v[92:95], off, off offset:104
	v_pk_mul_f32 v[34:35], v[34:35], v[42:43]
	s_waitcnt lgkmcnt(0)
	v_mov_b32_e32 v42, v38
	v_mov_b32_e32 v43, v98
	;; [unrolled: 1-line block ×4, first 2 shown]
	v_pk_fma_f32 v[50:51], v[38:39], v[4:5], v[34:35] op_sel:[0,0,1] op_sel_hi:[1,1,0] neg_lo:[1,0,0] neg_hi:[1,0,0]
	v_pk_fma_f32 v[34:35], v[42:43], v[54:55], v[34:35] op_sel:[0,0,1] op_sel_hi:[1,1,0]
	v_mov_b32_e32 v4, 0x1844
	scratch_load_dwordx4 v[96:99], off, off offset:112
	v_mov_b32_e32 v51, v35
	ds_read2_b32 v[34:35], v4 offset1:1
	v_mov_b32_e32 v31, v66
	v_mov_b32_e32 v66, v15
	v_pk_add_f32 v[26:27], v[26:27], v[50:51] neg_lo:[0,1] neg_hi:[0,1]
	v_mov_b32_e32 v51, v100
	s_waitcnt lgkmcnt(0)
	v_mov_b32_e32 v50, v34
	v_mov_b32_e32 v30, v14
	;; [unrolled: 1-line block ×3, first 2 shown]
	s_waitcnt vmcnt(5)
	v_mov_b32_e32 v43, v82
	v_pk_mul_f32 v[50:51], v[50:51], v[66:67]
	v_mov_b32_e32 v4, 0x184c
	v_pk_fma_f32 v[54:55], v[38:39], v[42:43], v[50:51] op_sel:[1,0,0] op_sel_hi:[0,1,1] neg_lo:[0,0,1] neg_hi:[0,0,1]
	v_pk_fma_f32 v[30:31], v[38:39], v[30:31], v[50:51] op_sel:[1,0,0] op_sel_hi:[0,1,1]
	v_mov_b32_e32 v55, v31
	ds_read2_b32 v[30:31], v4 offset1:1
	v_mov_b32_e32 v14, v83
	v_pk_mul_f32 v[42:43], v[34:35], v[42:43]
	v_pk_add_f32 v[26:27], v[26:27], v[54:55] neg_lo:[0,1] neg_hi:[0,1]
	v_mov_b32_e32 v4, 0x1854
	s_waitcnt lgkmcnt(0)
	v_mov_b32_e32 v38, v30
	v_pk_fma_f32 v[54:55], v[30:31], v[14:15], v[42:43] op_sel:[0,0,1] op_sel_hi:[1,1,0] neg_lo:[1,0,0] neg_hi:[1,0,0]
	v_pk_fma_f32 v[14:15], v[38:39], v[14:15], v[42:43] op_sel:[0,0,1] op_sel_hi:[1,1,0]
	scratch_load_dwordx2 v[38:39], off, off offset:136
	v_mov_b32_e32 v55, v15
	v_pk_add_f32 v[14:15], v[26:27], v[54:55] neg_lo:[0,1] neg_hi:[0,1]
	ds_read2_b32 v[26:27], v4 offset1:1
	v_mov_b32_e32 v50, v82
	v_mov_b32_e32 v51, v84
	;; [unrolled: 1-line block ×3, first 2 shown]
	v_pk_mul_f32 v[50:51], v[30:31], v[50:51]
	s_waitcnt lgkmcnt(0)
	v_mov_b32_e32 v34, v26
	v_pk_fma_f32 v[54:55], v[26:27], v[82:83], v[50:51] op_sel:[0,0,1] op_sel_hi:[1,1,0] neg_lo:[1,0,0] neg_hi:[1,0,0]
	v_pk_fma_f32 v[34:35], v[34:35], v[82:83], v[50:51] op_sel:[0,0,1] op_sel_hi:[1,1,0]
	v_mov_b32_e32 v4, 0x185c
	v_mov_b32_e32 v55, v35
	scratch_load_dwordx2 v[34:35], off, off offset:144
	ds_read2_b32 v[50:51], v4 offset1:1
	scratch_load_dwordx2 v[66:67], off, off offset:152
	s_waitcnt vmcnt(7)
	v_mov_b32_e32 v42, v70
	v_mov_b32_e32 v43, v72
	;; [unrolled: 1-line block ×3, first 2 shown]
	v_pk_mul_f32 v[42:43], v[26:27], v[42:43]
	s_waitcnt lgkmcnt(0)
	v_mov_b32_e32 v30, v50
	v_pk_fma_f32 v[58:59], v[50:51], v[70:71], v[42:43] op_sel:[0,0,1] op_sel_hi:[1,1,0] neg_lo:[1,0,0] neg_hi:[1,0,0]
	v_pk_fma_f32 v[30:31], v[30:31], v[70:71], v[42:43] op_sel:[0,0,1] op_sel_hi:[1,1,0]
	v_pk_add_f32 v[14:15], v[14:15], v[54:55] neg_lo:[0,1] neg_hi:[0,1]
	v_mov_b32_e32 v59, v31
	v_pk_add_f32 v[14:15], v[14:15], v[58:59] neg_lo:[0,1] neg_hi:[0,1]
	v_mov_b32_e32 v4, 0x1864
	scratch_load_dwordx2 v[58:59], off, off offset:160
	ds_read2_b32 v[42:43], v4 offset1:1
	s_waitcnt vmcnt(7)
	v_mov_b32_e32 v54, v78
	v_mov_b32_e32 v55, v80
	;; [unrolled: 1-line block ×3, first 2 shown]
	v_pk_mul_f32 v[54:55], v[50:51], v[54:55]
	s_waitcnt lgkmcnt(0)
	v_mov_b32_e32 v26, v42
	v_pk_fma_f32 v[70:71], v[42:43], v[78:79], v[54:55] op_sel:[0,0,1] op_sel_hi:[1,1,0] neg_lo:[1,0,0] neg_hi:[1,0,0]
	v_pk_fma_f32 v[26:27], v[26:27], v[78:79], v[54:55] op_sel:[0,0,1] op_sel_hi:[1,1,0]
	scratch_load_dwordx2 v[54:55], off, off offset:168
	v_mov_b32_e32 v4, 0x186c
	v_mov_b32_e32 v71, v27
	ds_read2_b32 v[26:27], v4 offset1:1
	s_waitcnt vmcnt(7)
	v_mov_b32_e32 v30, v88
	v_mov_b32_e32 v31, v90
	;; [unrolled: 1-line block ×3, first 2 shown]
	v_pk_mul_f32 v[30:31], v[42:43], v[30:31]
	s_waitcnt lgkmcnt(0)
	v_mov_b32_e32 v50, v26
	v_mov_b32_e32 v4, 0x1874
	v_pk_fma_f32 v[72:73], v[26:27], v[88:89], v[30:31] op_sel:[0,0,1] op_sel_hi:[1,1,0] neg_lo:[1,0,0] neg_hi:[1,0,0]
	v_pk_fma_f32 v[30:31], v[50:51], v[88:89], v[30:31] op_sel:[0,0,1] op_sel_hi:[1,1,0]
	ds_read2_b32 v[50:51], v4 offset1:1
	v_pk_add_f32 v[14:15], v[14:15], v[70:71] neg_lo:[0,1] neg_hi:[0,1]
	s_waitcnt vmcnt(6)
	v_mov_b32_e32 v70, v92
	v_mov_b32_e32 v71, v94
	;; [unrolled: 1-line block ×4, first 2 shown]
	scratch_load_dwordx2 v[30:31], off, off offset:176
	v_pk_mul_f32 v[70:71], v[26:27], v[70:71]
	s_waitcnt lgkmcnt(0)
	v_mov_b32_e32 v42, v50
	v_pk_add_f32 v[14:15], v[14:15], v[72:73] neg_lo:[0,1] neg_hi:[0,1]
	s_waitcnt vmcnt(6)
	v_mov_b32_e32 v72, v96
	v_mov_b32_e32 v73, v98
	v_pk_fma_f32 v[78:79], v[50:51], v[92:93], v[70:71] op_sel:[0,0,1] op_sel_hi:[1,1,0] neg_lo:[1,0,0] neg_hi:[1,0,0]
	v_pk_fma_f32 v[42:43], v[42:43], v[92:93], v[70:71] op_sel:[0,0,1] op_sel_hi:[1,1,0]
	v_mov_b32_e32 v96, v99
	v_mov_b32_e32 v79, v43
	v_pk_mul_f32 v[42:43], v[50:51], v[72:73]
	v_mov_b32_e32 v26, v22
	v_pk_fma_f32 v[70:71], v[26:27], v[96:97], v[42:43] op_sel:[0,0,1] op_sel_hi:[1,1,0] neg_lo:[1,0,0] neg_hi:[1,0,0]
	v_pk_fma_f32 v[26:27], v[26:27], v[96:97], v[42:43] op_sel:[0,0,1] op_sel_hi:[1,1,0]
	v_mov_b32_e32 v4, 0x1884
	v_mov_b32_e32 v71, v27
	ds_read2_b32 v[26:27], v4 offset1:1
	v_pk_add_f32 v[14:15], v[14:15], v[78:79] neg_lo:[0,1] neg_hi:[0,1]
	v_mul_f32_e32 v4, v51, v99
	v_fmac_f32_e32 v4, v22, v98
	v_pk_add_f32 v[14:15], v[14:15], v[70:71] neg_lo:[0,1] neg_hi:[0,1]
	v_mov_b32_e32 v22, 0x188c
	v_sub_f32_e32 v4, v15, v4
	s_waitcnt lgkmcnt(0)
	v_mul_f32_e32 v15, v26, v53
	scratch_load_dwordx2 v[42:43], off, off
	scratch_load_dwordx2 v[96:97], off, off offset:8
	v_fma_f32 v15, v23, v52, -v15
	v_mul_f32_e32 v50, v23, v53
	ds_read2_b32 v[22:23], v22 offset1:1
	v_fmac_f32_e32 v50, v26, v52
	v_sub_f32_e32 v26, v14, v15
	v_sub_f32_e32 v4, v4, v50
	scratch_load_dwordx2 v[98:99], off, off offset:16
	s_waitcnt vmcnt(8) lgkmcnt(0)
	v_mul_f32_e32 v14, v22, v39
	v_fma_f32 v50, v27, v38, -v14
	v_mul_f32_e32 v27, v27, v39
	v_fmac_f32_e32 v27, v22, v38
	v_sub_f32_e32 v38, v26, v50
	v_sub_f32_e32 v4, v4, v27
	scratch_load_dwordx2 v[26:27], off, off offset:24
	v_mov_b32_e32 v14, 0x1894
	ds_read2_b32 v[14:15], v14 offset1:1
	s_waitcnt vmcnt(8)
	v_mul_f32_e32 v50, v23, v35
	scratch_load_dwordx2 v[100:101], off, off offset:40
	s_waitcnt lgkmcnt(0)
	v_mul_f32_e32 v22, v14, v35
	v_fma_f32 v39, v23, v34, -v22
	v_mov_b32_e32 v22, 0x189c
	ds_read2_b32 v[22:23], v22 offset1:1
	v_fmac_f32_e32 v50, v14, v34
	v_sub_f32_e32 v14, v38, v39
	v_sub_f32_e32 v4, v4, v50
	scratch_load_dwordx2 v[34:35], off, off offset:32
	s_waitcnt vmcnt(9) lgkmcnt(0)
	v_mul_f32_e32 v38, v22, v67
	v_fma_f32 v50, v15, v66, -v38
	v_mov_b32_e32 v38, 0x18a4
	ds_read2_b32 v[38:39], v38 offset1:1
	v_mul_f32_e32 v15, v15, v67
	v_fmac_f32_e32 v15, v22, v66
	v_sub_f32_e32 v22, v14, v50
	v_sub_f32_e32 v4, v4, v15
	s_waitcnt vmcnt(8) lgkmcnt(0)
	v_mul_f32_e32 v14, v38, v59
	v_fma_f32 v50, v23, v58, -v14
	v_mov_b32_e32 v14, 0x18ac
	ds_read2_b32 v[14:15], v14 offset1:1
	scratch_load_dwordx2 v[66:67], off, off offset:48
	v_mul_f32_e32 v23, v23, v59
	v_fmac_f32_e32 v23, v38, v58
	v_sub_f32_e32 v38, v22, v50
	s_waitcnt vmcnt(8) lgkmcnt(0)
	v_mul_f32_e32 v22, v14, v55
	v_sub_f32_e32 v4, v4, v23
	v_fma_f32 v70, v39, v54, -v22
	scratch_load_dwordx2 v[22:23], off, off offset:56
	v_mov_b32_e32 v50, 0x18b4
	ds_read2_b32 v[58:59], v50 offset1:1
	scratch_load_dwordx4 v[50:53], off, off offset:64
	scratch_load_dwordx2 v[102:103], off, off offset:64
	v_mul_f32_e32 v39, v39, v55
	v_fmac_f32_e32 v39, v14, v54
	v_sub_f32_e32 v14, v38, v70
	scratch_load_dwordx4 v[70:73], off, off offset:80
	s_waitcnt vmcnt(11) lgkmcnt(0)
	v_mul_f32_e32 v38, v58, v31
	v_fma_f32 v54, v15, v30, -v38
	v_mov_b32_e32 v38, 0x18bc
	v_sub_f32_e32 v4, v4, v39
	ds_read2_b32 v[38:39], v38 offset1:1
	v_mul_f32_e32 v15, v15, v31
	ds_read_b128 v[78:81], v86 offset:6400
	v_fmac_f32_e32 v15, v58, v30
	v_mul_f32_e32 v30, v59, v9
	v_sub_f32_e32 v4, v4, v15
	s_waitcnt lgkmcnt(1)
	v_mul_f32_e32 v15, v38, v9
	v_fmac_f32_e32 v30, v38, v8
	v_sub_f32_e32 v14, v14, v54
	v_fma_f32 v15, v59, v8, -v15
	v_sub_f32_e32 v4, v4, v30
	v_sub_f32_e32 v31, v14, v15
	v_mul_f32_e32 v14, v5, v4
	v_mul_f32_e32 v15, v39, v4
	v_fma_f32 v14, v39, v31, -v14
	v_fmac_f32_e32 v15, v5, v31
	ds_read_b128 v[82:85], v86 offset:6416
	ds_read_b128 v[88:91], v86 offset:6432
	;; [unrolled: 1-line block ×3, first 2 shown]
	ds_read_b96 v[104:106], v86 offset:6464
	scratch_load_dwordx2 v[58:59], off, off offset:160
	s_waitcnt vmcnt(11) lgkmcnt(4)
	v_mul_f32_e32 v4, v79, v43
	v_mul_f32_e32 v5, v78, v43
	s_waitcnt vmcnt(10)
	v_mul_f32_e32 v30, v81, v97
	v_mul_f32_e32 v31, v80, v97
	v_fma_f32 v4, v78, v42, -v4
	v_fmac_f32_e32 v5, v79, v42
	v_fma_f32 v30, v80, v96, -v30
	v_fmac_f32_e32 v31, v81, v96
	scratch_load_dwordx4 v[78:81], off, off offset:88
	v_sub_f32_e32 v4, v74, v4
	v_sub_f32_e32 v4, v4, v30
	s_waitcnt vmcnt(10) lgkmcnt(3)
	v_mul_f32_e32 v30, v83, v99
	v_sub_f32_e32 v5, v75, v5
	v_fma_f32 v30, v82, v98, -v30
	v_sub_f32_e32 v5, v5, v31
	v_mul_f32_e32 v31, v82, v99
	v_sub_f32_e32 v4, v4, v30
	s_waitcnt vmcnt(9)
	v_mul_f32_e32 v30, v85, v27
	v_mul_f32_e32 v27, v84, v27
	v_fmac_f32_e32 v31, v83, v98
	v_fma_f32 v30, v84, v26, -v30
	v_fmac_f32_e32 v27, v85, v26
	scratch_load_dwordx4 v[82:85], off, off offset:96
	v_sub_f32_e32 v5, v5, v31
	v_sub_f32_e32 v5, v5, v27
	;; [unrolled: 1-line block ×3, first 2 shown]
	v_mov_b32_e32 v30, 0x1984
	ds_read2_b32 v[38:39], v30 offset1:1
	scratch_load_dwordx4 v[96:99], off, off offset:112
	s_waitcnt vmcnt(9) lgkmcnt(3)
	v_mul_f32_e32 v26, v89, v35
	v_mul_f32_e32 v27, v88, v35
	v_fma_f32 v26, v88, v34, -v26
	v_fmac_f32_e32 v27, v89, v34
	v_sub_f32_e32 v4, v4, v26
	v_sub_f32_e32 v5, v5, v27
	v_mul_f32_e32 v26, v91, v101
	v_mul_f32_e32 v27, v90, v101
	v_fma_f32 v26, v90, v100, -v26
	v_fmac_f32_e32 v27, v91, v100
	scratch_load_dwordx4 v[88:91], off, off offset:104
	v_sub_f32_e32 v4, v4, v26
	s_waitcnt lgkmcnt(1)
	v_mov_b32_e32 v34, v105
	s_waitcnt vmcnt(9)
	v_mul_f32_e32 v26, v93, v67
	v_fma_f32 v26, v92, v66, -v26
	v_mul_f32_e32 v31, v92, v67
	v_pk_add_f32 v[4:5], v[4:5], v[26:27] neg_lo:[0,1] neg_hi:[0,1]
	v_fmac_f32_e32 v31, v93, v66
	v_mov_b32_e32 v35, v106
	s_waitcnt vmcnt(8)
	v_mul_f32_e32 v26, v95, v23
	v_fma_f32 v30, v94, v22, -v26
	v_pk_add_f32 v[4:5], v[4:5], v[30:31] neg_lo:[0,1] neg_hi:[0,1]
	v_mov_b32_e32 v30, v95
	v_mov_b32_e32 v31, v104
	;; [unrolled: 1-line block ×3, first 2 shown]
	s_waitcnt vmcnt(6)
	v_mov_b32_e32 v43, v102
	v_pk_mul_f32 v[30:31], v[30:31], v[42:43]
	v_mov_b32_e32 v43, v94
	scratch_load_dwordx4 v[92:95], off, off offset:120
	v_mov_b32_e32 v42, v105
	v_mov_b32_e32 v22, v103
	;; [unrolled: 1-line block ×3, first 2 shown]
	v_pk_fma_f32 v[22:23], v[42:43], v[22:23], v[30:31] op_sel:[0,0,1] op_sel_hi:[1,1,0]
	v_pk_fma_f32 v[54:55], v[34:35], v[54:55], v[30:31] op_sel:[0,0,1] op_sel_hi:[1,1,0] neg_lo:[1,0,0] neg_hi:[1,0,0]
	v_mov_b32_e32 v22, 0x194c
	v_mov_b32_e32 v55, v23
	ds_read2_b32 v[22:23], v22 offset1:1
	v_mov_b32_e32 v27, v102
	v_mov_b32_e32 v102, v53
	;; [unrolled: 1-line block ×4, first 2 shown]
	s_waitcnt lgkmcnt(0)
	v_mov_b32_e32 v42, v22
	v_pk_mul_f32 v[42:43], v[42:43], v[102:103]
	v_mov_b32_e32 v30, v52
	s_waitcnt vmcnt(6)
	v_mov_b32_e32 v31, v70
	v_pk_fma_f32 v[26:27], v[34:35], v[26:27], v[42:43] op_sel:[1,0,0] op_sel_hi:[0,1,1]
	v_pk_add_f32 v[4:5], v[4:5], v[54:55] neg_lo:[0,1] neg_hi:[0,1]
	v_pk_fma_f32 v[54:55], v[34:35], v[30:31], v[42:43] op_sel:[1,0,0] op_sel_hi:[0,1,1] neg_lo:[0,0,1] neg_hi:[0,0,1]
	v_mov_b32_e32 v26, 0x1954
	v_mov_b32_e32 v55, v27
	ds_read2_b32 v[26:27], v26 offset1:1
	v_mov_b32_e32 v52, v71
	v_pk_mul_f32 v[30:31], v[22:23], v[30:31]
	v_mov_b32_e32 v43, v106
	v_pk_add_f32 v[4:5], v[4:5], v[54:55] neg_lo:[0,1] neg_hi:[0,1]
	s_waitcnt lgkmcnt(0)
	v_mov_b32_e32 v42, v26
	v_pk_fma_f32 v[54:55], v[26:27], v[52:53], v[30:31] op_sel:[0,0,1] op_sel_hi:[1,1,0] neg_lo:[1,0,0] neg_hi:[1,0,0]
	v_pk_fma_f32 v[30:31], v[42:43], v[52:53], v[30:31] op_sel:[0,0,1] op_sel_hi:[1,1,0]
	v_mov_b32_e32 v22, 0x195c
	v_mov_b32_e32 v55, v31
	scratch_load_dwordx2 v[30:31], off, off offset:144
	ds_read2_b32 v[42:43], v22 offset1:1
	v_mov_b32_e32 v34, v70
	v_mov_b32_e32 v35, v72
	;; [unrolled: 1-line block ×3, first 2 shown]
	v_pk_mul_f32 v[34:35], v[26:27], v[34:35]
	s_waitcnt lgkmcnt(0)
	v_mov_b32_e32 v22, v42
	v_pk_add_f32 v[4:5], v[4:5], v[54:55] neg_lo:[0,1] neg_hi:[0,1]
	v_pk_fma_f32 v[54:55], v[42:43], v[70:71], v[34:35] op_sel:[0,0,1] op_sel_hi:[1,1,0] neg_lo:[1,0,0] neg_hi:[1,0,0]
	v_pk_fma_f32 v[22:23], v[22:23], v[70:71], v[34:35] op_sel:[0,0,1] op_sel_hi:[1,1,0]
	scratch_load_dwordx2 v[34:35], off, off offset:152
	v_mov_b32_e32 v55, v23
	v_mov_b32_e32 v23, 0x1964
	v_pk_add_f32 v[4:5], v[4:5], v[54:55] neg_lo:[0,1] neg_hi:[0,1]
	ds_read2_b32 v[54:55], v23 offset1:1
	s_waitcnt vmcnt(6)
	v_mov_b32_e32 v52, v78
	v_mov_b32_e32 v53, v80
	;; [unrolled: 1-line block ×3, first 2 shown]
	v_pk_mul_f32 v[52:53], v[42:43], v[52:53]
	s_waitcnt lgkmcnt(0)
	v_mov_b32_e32 v26, v54
	v_pk_fma_f32 v[66:67], v[54:55], v[78:79], v[52:53] op_sel:[0,0,1] op_sel_hi:[1,1,0] neg_lo:[1,0,0] neg_hi:[1,0,0]
	v_pk_fma_f32 v[26:27], v[26:27], v[78:79], v[52:53] op_sel:[0,0,1] op_sel_hi:[1,1,0]
	s_waitcnt vmcnt(5)
	v_mov_b32_e32 v22, v82
	v_mov_b32_e32 v67, v27
	;; [unrolled: 1-line block ×3, first 2 shown]
	v_pk_add_f32 v[4:5], v[4:5], v[66:67] neg_lo:[0,1] neg_hi:[0,1]
	ds_read2_b32 v[52:53], v27 offset1:1
	scratch_load_dwordx2 v[66:67], off, off offset:168
	v_mov_b32_e32 v23, v84
	v_mov_b32_e32 v82, v85
	v_pk_mul_f32 v[22:23], v[54:55], v[22:23]
	s_waitcnt lgkmcnt(0)
	v_mov_b32_e32 v42, v52
	v_pk_fma_f32 v[70:71], v[52:53], v[82:83], v[22:23] op_sel:[0,0,1] op_sel_hi:[1,1,0] neg_lo:[1,0,0] neg_hi:[1,0,0]
	v_pk_fma_f32 v[22:23], v[42:43], v[82:83], v[22:23] op_sel:[0,0,1] op_sel_hi:[1,1,0]
	v_mov_b32_e32 v42, 0x1974
	v_mov_b32_e32 v71, v23
	scratch_load_dwordx2 v[22:23], off, off offset:176
	ds_read2_b32 v[42:43], v42 offset1:1
	s_waitcnt vmcnt(5)
	v_mov_b32_e32 v26, v88
	v_mov_b32_e32 v27, v90
	;; [unrolled: 1-line block ×3, first 2 shown]
	v_pk_mul_f32 v[26:27], v[52:53], v[26:27]
	s_waitcnt lgkmcnt(0)
	v_mov_b32_e32 v54, v42
	v_pk_fma_f32 v[72:73], v[42:43], v[88:89], v[26:27] op_sel:[0,0,1] op_sel_hi:[1,1,0] neg_lo:[1,0,0] neg_hi:[1,0,0]
	v_pk_fma_f32 v[26:27], v[54:55], v[88:89], v[26:27] op_sel:[0,0,1] op_sel_hi:[1,1,0]
	v_pk_add_f32 v[4:5], v[4:5], v[70:71] neg_lo:[0,1] neg_hi:[0,1]
	v_mov_b32_e32 v26, 0x197c
	v_mov_b32_e32 v73, v27
	ds_read2_b32 v[26:27], v26 offset1:1
	v_mov_b32_e32 v70, v96
	v_mov_b32_e32 v71, v98
	;; [unrolled: 1-line block ×3, first 2 shown]
	v_pk_mul_f32 v[70:71], v[42:43], v[70:71]
	s_waitcnt lgkmcnt(0)
	v_mov_b32_e32 v52, v26
	v_pk_add_f32 v[4:5], v[4:5], v[72:73] neg_lo:[0,1] neg_hi:[0,1]
	s_waitcnt vmcnt(4)
	v_mov_b32_e32 v54, v92
	v_mov_b32_e32 v55, v94
	v_pk_fma_f32 v[72:73], v[26:27], v[96:97], v[70:71] op_sel:[0,0,1] op_sel_hi:[1,1,0] neg_lo:[1,0,0] neg_hi:[1,0,0]
	v_pk_fma_f32 v[52:53], v[52:53], v[96:97], v[70:71] op_sel:[0,0,1] op_sel_hi:[1,1,0]
	v_mov_b32_e32 v92, v95
	v_mov_b32_e32 v73, v53
	v_pk_mul_f32 v[52:53], v[26:27], v[54:55]
	v_mov_b32_e32 v42, v38
	v_pk_fma_f32 v[54:55], v[42:43], v[92:93], v[52:53] op_sel:[0,0,1] op_sel_hi:[1,1,0] neg_lo:[1,0,0] neg_hi:[1,0,0]
	v_pk_fma_f32 v[42:43], v[42:43], v[92:93], v[52:53] op_sel:[0,0,1] op_sel_hi:[1,1,0]
	v_mov_b32_e32 v26, 0x198c
	v_mov_b32_e32 v55, v43
	ds_read2_b32 v[42:43], v26 offset1:1
	v_pk_add_f32 v[4:5], v[4:5], v[72:73] neg_lo:[0,1] neg_hi:[0,1]
	v_mul_f32_e32 v26, v27, v95
	v_fmac_f32_e32 v26, v38, v94
	v_pk_add_f32 v[4:5], v[4:5], v[54:55] neg_lo:[0,1] neg_hi:[0,1]
	v_mul_f32_e32 v53, v39, v77
	v_sub_f32_e32 v5, v5, v26
	s_waitcnt lgkmcnt(0)
	v_mul_f32_e32 v26, v42, v77
	v_fma_f32 v52, v39, v76, -v26
	scratch_load_dwordx2 v[38:39], off, off
	scratch_load_dwordx2 v[92:93], off, off offset:8
	v_mov_b32_e32 v26, 0x1994
	ds_read2_b32 v[26:27], v26 offset1:1
	v_fmac_f32_e32 v53, v42, v76
	v_sub_f32_e32 v42, v4, v52
	v_sub_f32_e32 v52, v5, v53
	scratch_load_dwordx2 v[94:95], off, off offset:24
	s_waitcnt vmcnt(6) lgkmcnt(0)
	v_mul_f32_e32 v4, v26, v31
	v_fma_f32 v53, v43, v30, -v4
	v_mov_b32_e32 v4, 0x199c
	ds_read2_b32 v[4:5], v4 offset1:1
	v_mul_f32_e32 v43, v43, v31
	v_fmac_f32_e32 v43, v26, v30
	v_sub_f32_e32 v26, v42, v53
	v_sub_f32_e32 v52, v52, v43
	s_waitcnt vmcnt(5) lgkmcnt(0)
	v_mul_f32_e32 v42, v4, v35
	v_fma_f32 v53, v27, v34, -v42
	v_mov_b32_e32 v42, 0x19a4
	ds_read2_b32 v[42:43], v42 offset1:1
	v_mul_f32_e32 v27, v27, v35
	v_fmac_f32_e32 v27, v4, v34
	v_sub_f32_e32 v35, v52, v27
	v_sub_f32_e32 v34, v26, v53
	s_waitcnt lgkmcnt(0)
	v_mul_f32_e32 v4, v42, v59
	v_fma_f32 v52, v5, v58, -v4
	v_mov_b32_e32 v4, 0x19ac
	v_mul_f32_e32 v53, v5, v59
	ds_read2_b32 v[4:5], v4 offset1:1
	scratch_load_dwordx2 v[30:31], off, off offset:16
	v_fmac_f32_e32 v53, v42, v58
	v_sub_f32_e32 v52, v34, v52
	s_waitcnt vmcnt(5)
	v_mul_f32_e32 v55, v43, v67
	s_waitcnt lgkmcnt(0)
	v_mul_f32_e32 v42, v4, v67
	v_fma_f32 v54, v43, v66, -v42
	v_mov_b32_e32 v42, 0x19b4
	ds_read2_b32 v[42:43], v42 offset1:1
	v_fmac_f32_e32 v55, v4, v66
	v_sub_f32_e32 v4, v52, v54
	v_mov_b32_e32 v54, 0x19bc
	scratch_load_dwordx2 v[26:27], off, off offset:32
	ds_read2_b32 v[58:59], v54 offset1:1
	v_sub_f32_e32 v53, v35, v53
	scratch_load_dwordx2 v[34:35], off, off offset:40
	v_sub_f32_e32 v52, v53, v55
	s_waitcnt vmcnt(6) lgkmcnt(1)
	v_mul_f32_e32 v53, v42, v23
	scratch_load_dwordx2 v[96:97], off, off offset:48
	v_fma_f32 v53, v5, v22, -v53
	v_mul_f32_e32 v5, v5, v23
	v_fmac_f32_e32 v5, v42, v22
	s_waitcnt lgkmcnt(0)
	v_mul_f32_e32 v22, v58, v9
	scratch_load_dwordx2 v[66:67], off, off offset:56
	v_fma_f32 v42, v43, v8, -v22
	v_mov_b32_e32 v22, 0x19c4
	v_sub_f32_e32 v4, v4, v53
	v_sub_f32_e32 v5, v52, v5
	scratch_load_dwordx2 v[98:99], off, off offset:64
	scratch_load_dwordx4 v[52:55], off, off offset:72
	scratch_load_dwordx2 v[100:101], off, off offset:72
	ds_read2_b32 v[22:23], v22 offset1:1
	v_mul_f32_e32 v43, v43, v9
	v_sub_f32_e32 v42, v4, v42
	v_fmac_f32_e32 v43, v58, v8
	v_sub_f32_e32 v43, v5, v43
	s_waitcnt lgkmcnt(0)
	v_mul_f32_e32 v4, v22, v15
	v_fma_f32 v58, v59, v14, -v4
	v_add_u32_e64 v4, s7, 0
	ds_read2_b32 v[4:5], v4 offset0:115 offset1:181
	v_mul_f32_e32 v59, v59, v15
	v_fmac_f32_e32 v59, v22, v14
	v_sub_f32_e32 v43, v43, v59
	v_sub_f32_e32 v42, v42, v58
	s_waitcnt lgkmcnt(0)
	v_mul_f32_e32 v22, v4, v43
	v_fma_f32 v22, v23, v42, -v22
	v_mul_f32_e32 v23, v23, v43
	v_fmac_f32_e32 v23, v4, v42
	ds_write2_b64 v87, v[14:15], v[22:23] offset1:32
	ds_read_b128 v[70:73], v86 offset:6656
	ds_read_b128 v[74:77], v86 offset:6672
	;; [unrolled: 1-line block ×3, first 2 shown]
	scratch_load_dwordx4 v[82:85], off, off offset:88
	ds_read_b128 v[88:91], v86 offset:6704
	s_movk_i32 s7, 0x1a00
	s_waitcnt vmcnt(11) lgkmcnt(3)
	v_mul_f32_e32 v4, v71, v39
	v_mul_f32_e32 v39, v70, v39
	v_fma_f32 v4, v70, v38, -v4
	v_fmac_f32_e32 v39, v71, v38
	v_sub_f32_e32 v4, v60, v4
	v_sub_f32_e32 v38, v61, v39
	s_waitcnt vmcnt(10)
	v_mul_f32_e32 v39, v73, v93
	v_mul_f32_e32 v42, v72, v93
	scratch_load_dwordx4 v[58:61], off, off offset:96
	v_fma_f32 v39, v72, v92, -v39
	v_fmac_f32_e32 v42, v73, v92
	scratch_load_dwordx4 v[70:73], off, off offset:104
	v_sub_f32_e32 v4, v4, v39
	v_sub_f32_e32 v38, v38, v42
	s_waitcnt vmcnt(10) lgkmcnt(2)
	v_mul_f32_e32 v39, v75, v31
	v_mul_f32_e32 v31, v74, v31
	v_fmac_f32_e32 v31, v75, v30
	v_fma_f32 v39, v74, v30, -v39
	v_sub_f32_e32 v30, v38, v31
	v_mul_f32_e32 v31, v77, v95
	v_sub_f32_e32 v4, v4, v39
	v_fma_f32 v31, v76, v94, -v31
	v_mul_f32_e32 v38, v76, v95
	v_fmac_f32_e32 v38, v77, v94
	v_sub_f32_e32 v4, v4, v31
	s_waitcnt vmcnt(9) lgkmcnt(1)
	v_mul_f32_e32 v31, v79, v27
	v_mul_f32_e32 v27, v78, v27
	v_sub_f32_e32 v30, v30, v38
	v_fmac_f32_e32 v27, v79, v26
	v_fma_f32 v31, v78, v26, -v31
	v_sub_f32_e32 v26, v30, v27
	s_waitcnt vmcnt(8)
	v_mul_f32_e32 v30, v80, v35
	v_mul_f32_e32 v27, v81, v35
	v_fmac_f32_e32 v30, v81, v34
	scratch_load_dwordx4 v[74:77], off, off offset:112
	ds_read_b96 v[92:94], v86 offset:6720
	v_sub_f32_e32 v4, v4, v31
	v_fma_f32 v27, v80, v34, -v27
	v_sub_f32_e32 v31, v26, v30
	s_waitcnt vmcnt(8) lgkmcnt(1)
	v_mul_f32_e32 v26, v89, v97
	v_sub_f32_e32 v4, v4, v27
	v_fma_f32 v26, v88, v96, -v26
	v_sub_f32_e32 v30, v4, v26
	s_waitcnt vmcnt(7)
	v_mul_f32_e32 v4, v91, v67
	v_fma_f32 v34, v90, v66, -v4
	v_mov_b32_e32 v4, 0x1a8c
	ds_read2_b32 v[26:27], v4 offset1:1
	s_waitcnt vmcnt(6) lgkmcnt(1)
	v_mul_f32_e32 v4, v93, v99
	v_fma_f32 v38, v92, v98, -v4
	v_mov_b32_e32 v4, 0x1a4c
	ds_read2_b32 v[42:43], v4 offset1:1
	v_mul_f32_e32 v35, v88, v97
	v_fmac_f32_e32 v35, v89, v96
	v_mul_f32_e32 v39, v90, v67
	v_fmac_f32_e32 v39, v91, v66
	v_pk_add_f32 v[30:31], v[30:31], v[34:35] neg_lo:[0,1] neg_hi:[0,1]
	v_mov_b32_e32 v66, v98
	v_pk_add_f32 v[30:31], v[30:31], v[38:39] neg_lo:[0,1] neg_hi:[0,1]
	v_mov_b32_e32 v38, v93
	v_mov_b32_e32 v39, v94
	s_waitcnt vmcnt(4)
	v_mov_b32_e32 v67, v100
	scratch_load_dwordx4 v[78:81], off, off offset:120
	v_pk_mul_f32 v[38:39], v[38:39], v[66:67]
	s_waitcnt lgkmcnt(0)
	v_mov_b32_e32 v66, v42
	v_mov_b32_e32 v67, v92
	;; [unrolled: 1-line block ×4, first 2 shown]
	v_pk_fma_f32 v[92:93], v[42:43], v[4:5], v[38:39] op_sel:[0,0,1] op_sel_hi:[1,1,0] neg_lo:[1,0,0] neg_hi:[1,0,0]
	v_pk_fma_f32 v[38:39], v[66:67], v[98:99], v[38:39] op_sel:[0,0,1] op_sel_hi:[1,1,0]
	v_mov_b32_e32 v4, 0x1a54
	scratch_load_dwordx4 v[88:91], off, off offset:128
	v_mov_b32_e32 v93, v39
	ds_read2_b32 v[38:39], v4 offset1:1
	v_mov_b32_e32 v35, v100
	v_mov_b32_e32 v100, v55
	v_pk_add_f32 v[30:31], v[30:31], v[92:93] neg_lo:[0,1] neg_hi:[0,1]
	v_mov_b32_e32 v93, v94
	s_waitcnt lgkmcnt(0)
	v_mov_b32_e32 v92, v38
	v_mov_b32_e32 v34, v54
	;; [unrolled: 1-line block ×3, first 2 shown]
	s_waitcnt vmcnt(5)
	v_mov_b32_e32 v67, v82
	v_pk_mul_f32 v[92:93], v[92:93], v[100:101]
	v_mov_b32_e32 v4, 0x1a5c
	v_pk_fma_f32 v[94:95], v[42:43], v[66:67], v[92:93] op_sel:[1,0,0] op_sel_hi:[0,1,1] neg_lo:[0,0,1] neg_hi:[0,0,1]
	v_pk_fma_f32 v[34:35], v[42:43], v[34:35], v[92:93] op_sel:[1,0,0] op_sel_hi:[0,1,1]
	v_mov_b32_e32 v95, v35
	ds_read2_b32 v[34:35], v4 offset1:1
	v_mov_b32_e32 v54, v83
	v_pk_mul_f32 v[66:67], v[38:39], v[66:67]
	v_mov_b32_e32 v92, v82
	v_mov_b32_e32 v93, v84
	s_waitcnt lgkmcnt(0)
	v_mov_b32_e32 v42, v34
	v_mov_b32_e32 v82, v85
	v_pk_fma_f32 v[84:85], v[34:35], v[54:55], v[66:67] op_sel:[0,0,1] op_sel_hi:[1,1,0] neg_lo:[1,0,0] neg_hi:[1,0,0]
	v_pk_fma_f32 v[42:43], v[42:43], v[54:55], v[66:67] op_sel:[0,0,1] op_sel_hi:[1,1,0]
	v_pk_add_f32 v[30:31], v[30:31], v[94:95] neg_lo:[0,1] neg_hi:[0,1]
	v_mov_b32_e32 v85, v43
	scratch_load_dwordx2 v[42:43], off, off offset:152
	v_mov_b32_e32 v4, 0x1a64
	v_pk_add_f32 v[30:31], v[30:31], v[84:85] neg_lo:[0,1] neg_hi:[0,1]
	ds_read2_b32 v[54:55], v4 offset1:1
	v_pk_mul_f32 v[84:85], v[34:35], v[92:93]
	scratch_load_dwordx2 v[92:93], off, off offset:160
	s_waitcnt vmcnt(6)
	v_mov_b32_e32 v66, v58
	v_mov_b32_e32 v67, v60
	s_waitcnt lgkmcnt(0)
	v_mov_b32_e32 v38, v54
	v_mov_b32_e32 v58, v61
	v_pk_fma_f32 v[60:61], v[54:55], v[82:83], v[84:85] op_sel:[0,0,1] op_sel_hi:[1,1,0] neg_lo:[1,0,0] neg_hi:[1,0,0]
	v_pk_fma_f32 v[38:39], v[38:39], v[82:83], v[84:85] op_sel:[0,0,1] op_sel_hi:[1,1,0]
	v_mov_b32_e32 v4, 0x1a6c
	v_mov_b32_e32 v61, v39
	s_waitcnt vmcnt(5)
	v_mov_b32_e32 v38, v70
	v_mov_b32_e32 v39, v72
	;; [unrolled: 1-line block ×3, first 2 shown]
	scratch_load_dwordx2 v[72:73], off, off offset:168
	v_pk_add_f32 v[30:31], v[30:31], v[60:61] neg_lo:[0,1] neg_hi:[0,1]
	ds_read2_b32 v[60:61], v4 offset1:1
	v_pk_mul_f32 v[66:67], v[54:55], v[66:67]
	v_mov_b32_e32 v4, 0x1a74
	scratch_load_dwordx2 v[84:85], off, off offset:40
	scratch_load_dwordx2 v[94:95], off, off offset:72
	s_waitcnt lgkmcnt(0)
	v_mov_b32_e32 v34, v60
	v_pk_fma_f32 v[82:83], v[60:61], v[58:59], v[66:67] op_sel:[0,0,1] op_sel_hi:[1,1,0] neg_lo:[1,0,0] neg_hi:[1,0,0]
	v_pk_fma_f32 v[34:35], v[34:35], v[58:59], v[66:67] op_sel:[0,0,1] op_sel_hi:[1,1,0]
	scratch_load_dwordx2 v[66:67], off, off offset:176
	ds_read2_b32 v[58:59], v4 offset1:1
	v_pk_mul_f32 v[38:39], v[60:61], v[38:39]
	v_mov_b32_e32 v83, v35
	s_waitcnt vmcnt(8)
	v_mov_b32_e32 v34, v74
	v_mov_b32_e32 v35, v76
	s_waitcnt lgkmcnt(0)
	v_mov_b32_e32 v54, v58
	v_mov_b32_e32 v74, v77
	v_pk_fma_f32 v[76:77], v[58:59], v[70:71], v[38:39] op_sel:[0,0,1] op_sel_hi:[1,1,0] neg_lo:[1,0,0] neg_hi:[1,0,0]
	v_pk_fma_f32 v[38:39], v[54:55], v[70:71], v[38:39] op_sel:[0,0,1] op_sel_hi:[1,1,0]
	v_mov_b32_e32 v4, 0x1a7c
	v_mov_b32_e32 v77, v39
	ds_read2_b32 v[38:39], v4 offset1:1
	v_pk_mul_f32 v[34:35], v[58:59], v[34:35]
	v_mov_b32_e32 v4, 0x1a84
	v_pk_add_f32 v[30:31], v[30:31], v[82:83] neg_lo:[0,1] neg_hi:[0,1]
	scratch_load_dwordx2 v[82:83], off, off offset:32
	s_waitcnt lgkmcnt(0)
	v_mov_b32_e32 v60, v38
	v_pk_fma_f32 v[70:71], v[38:39], v[74:75], v[34:35] op_sel:[0,0,1] op_sel_hi:[1,1,0] neg_lo:[1,0,0] neg_hi:[1,0,0]
	v_pk_fma_f32 v[34:35], v[60:61], v[74:75], v[34:35] op_sel:[0,0,1] op_sel_hi:[1,1,0]
	s_waitcnt vmcnt(8)
	v_mov_b32_e32 v54, v78
	v_mov_b32_e32 v71, v35
	ds_read2_b32 v[34:35], v4 offset1:1
	v_mov_b32_e32 v55, v80
	v_pk_add_f32 v[30:31], v[30:31], v[76:77] neg_lo:[0,1] neg_hi:[0,1]
	v_mov_b32_e32 v78, v81
	v_pk_mul_f32 v[54:55], v[38:39], v[54:55]
	s_waitcnt lgkmcnt(0)
	v_mov_b32_e32 v58, v34
	v_pk_add_f32 v[30:31], v[30:31], v[70:71] neg_lo:[0,1] neg_hi:[0,1]
	s_waitcnt vmcnt(7)
	v_mov_b32_e32 v60, v88
	v_mov_b32_e32 v61, v90
	v_pk_fma_f32 v[70:71], v[34:35], v[78:79], v[54:55] op_sel:[0,0,1] op_sel_hi:[1,1,0] neg_lo:[1,0,0] neg_hi:[1,0,0]
	v_pk_fma_f32 v[54:55], v[58:59], v[78:79], v[54:55] op_sel:[0,0,1] op_sel_hi:[1,1,0]
	v_mov_b32_e32 v88, v91
	v_mov_b32_e32 v71, v55
	v_pk_mul_f32 v[54:55], v[34:35], v[60:61]
	v_mov_b32_e32 v38, v26
	v_pk_fma_f32 v[58:59], v[38:39], v[88:89], v[54:55] op_sel:[0,0,1] op_sel_hi:[1,1,0] neg_lo:[1,0,0] neg_hi:[1,0,0]
	v_pk_fma_f32 v[38:39], v[38:39], v[88:89], v[54:55] op_sel:[0,0,1] op_sel_hi:[1,1,0]
	v_mov_b32_e32 v4, 0x1a94
	v_mov_b32_e32 v59, v39
	ds_read2_b32 v[38:39], v4 offset1:1
	v_pk_add_f32 v[30:31], v[30:31], v[70:71] neg_lo:[0,1] neg_hi:[0,1]
	v_mul_f32_e32 v4, v35, v91
	v_fmac_f32_e32 v4, v26, v90
	v_pk_add_f32 v[30:31], v[30:31], v[58:59] neg_lo:[0,1] neg_hi:[0,1]
	s_waitcnt lgkmcnt(0)
	v_mul_f32_e32 v26, v38, v65
	v_sub_f32_e32 v4, v31, v4
	v_fma_f32 v31, v27, v64, -v26
	v_mov_b32_e32 v26, 0x1a9c
	scratch_load_dwordx2 v[34:35], off, off
	v_mul_f32_e32 v54, v27, v65
	ds_read2_b32 v[26:27], v26 offset1:1
	v_fmac_f32_e32 v54, v38, v64
	v_sub_f32_e32 v58, v30, v31
	scratch_load_dwordx2 v[30:31], off, off offset:8
	v_sub_f32_e32 v4, v4, v54
	s_waitcnt vmcnt(8) lgkmcnt(0)
	v_mul_f32_e32 v38, v26, v43
	v_fma_f32 v59, v39, v42, -v38
	v_mov_b32_e32 v38, 0x1aa4
	v_mul_f32_e32 v43, v39, v43
	ds_read2_b32 v[38:39], v38 offset1:1
	v_fmac_f32_e32 v43, v26, v42
	v_sub_f32_e32 v58, v58, v59
	s_waitcnt vmcnt(7)
	v_mul_f32_e32 v60, v27, v93
	scratch_load_dwordx2 v[54:55], off, off offset:16
	s_waitcnt lgkmcnt(0)
	v_mul_f32_e32 v26, v38, v93
	v_fma_f32 v59, v27, v92, -v26
	v_mov_b32_e32 v26, 0x1aac
	ds_read2_b32 v[26:27], v26 offset1:1
	v_sub_f32_e32 v4, v4, v43
	scratch_load_dwordx2 v[42:43], off, off offset:24
	v_fmac_f32_e32 v60, v38, v92
	v_sub_f32_e32 v58, v58, v59
	s_waitcnt vmcnt(8) lgkmcnt(0)
	v_mul_f32_e32 v38, v26, v73
	v_fma_f32 v59, v39, v72, -v38
	v_mov_b32_e32 v38, 0x1ab4
	v_sub_f32_e32 v4, v4, v60
	v_mul_f32_e32 v60, v39, v73
	ds_read2_b32 v[38:39], v38 offset1:1
	v_fmac_f32_e32 v60, v26, v72
	v_sub_f32_e32 v58, v58, v59
	v_sub_f32_e32 v4, v4, v60
	s_waitcnt vmcnt(5)
	v_mul_f32_e32 v60, v27, v67
	s_waitcnt lgkmcnt(0)
	v_mul_f32_e32 v26, v38, v67
	v_fma_f32 v59, v27, v66, -v26
	v_mov_b32_e32 v26, 0x1abc
	ds_read2_b32 v[26:27], v26 offset1:1
	v_fmac_f32_e32 v60, v38, v66
	v_sub_f32_e32 v58, v58, v59
	v_sub_f32_e32 v4, v4, v60
	v_mul_f32_e32 v60, v39, v9
	s_waitcnt lgkmcnt(0)
	v_mul_f32_e32 v38, v26, v9
	v_fma_f32 v59, v39, v8, -v38
	v_mov_b32_e32 v38, 0x1ac4
	ds_read2_b32 v[38:39], v38 offset1:1
	scratch_load_dwordx2 v[88:89], off, off offset:48
	scratch_load_dwordx2 v[90:91], off, off offset:56
	v_fmac_f32_e32 v60, v26, v8
	v_sub_f32_e32 v58, v58, v59
	s_waitcnt lgkmcnt(0)
	v_mul_f32_e32 v26, v38, v15
	v_fma_f32 v59, v27, v14, -v26
	v_mov_b32_e32 v26, 0x1acc
	v_sub_f32_e32 v4, v4, v60
	v_mul_f32_e32 v60, v27, v15
	ds_read2_b32 v[26:27], v26 offset1:1
	scratch_load_dwordx2 v[92:93], off, off offset:64
	v_fmac_f32_e32 v60, v38, v14
	v_sub_f32_e32 v38, v58, v59
	v_sub_f32_e32 v4, v4, v60
	s_waitcnt lgkmcnt(0)
	v_mul_f32_e32 v58, v26, v23
	v_fma_f32 v64, v39, v22, -v58
	scratch_load_dwordx4 v[58:61], off, off offset:80
	scratch_load_dwordx2 v[96:97], off, off offset:80
	v_mul_f32_e32 v39, v39, v23
	v_sub_f32_e32 v38, v38, v64
	ds_read_b128 v[64:67], v86 offset:6912
	v_fmac_f32_e32 v39, v26, v22
	v_sub_f32_e32 v4, v4, v39
	v_mul_f32_e32 v26, v5, v4
	v_fma_f32 v26, v27, v38, -v26
	v_mul_f32_e32 v27, v27, v4
	v_fmac_f32_e32 v27, v5, v38
	ds_read_b128 v[70:73], v86 offset:6928
	ds_read_b128 v[74:77], v86 offset:6944
	;; [unrolled: 1-line block ×3, first 2 shown]
	ds_read_b96 v[98:100], v86 offset:6992
	s_waitcnt lgkmcnt(0)
	v_mov_b32_e32 v38, v99
	v_mov_b32_e32 v39, v100
	s_waitcnt vmcnt(8)
	v_mul_f32_e32 v4, v65, v35
	v_mul_f32_e32 v5, v64, v35
	v_fma_f32 v4, v64, v34, -v4
	v_fmac_f32_e32 v5, v65, v34
	v_sub_f32_e32 v4, v62, v4
	v_sub_f32_e32 v5, v63, v5
	scratch_load_dwordx4 v[62:65], off, off offset:96
	s_waitcnt vmcnt(8)
	v_mul_f32_e32 v34, v67, v31
	v_mul_f32_e32 v31, v66, v31
	v_fmac_f32_e32 v31, v67, v30
	v_fma_f32 v34, v66, v30, -v34
	v_sub_f32_e32 v5, v5, v31
	v_sub_f32_e32 v4, v4, v34
	v_mov_b32_e32 v34, 0x1b94
	s_waitcnt vmcnt(7)
	v_mul_f32_e32 v30, v71, v55
	v_mul_f32_e32 v31, v70, v55
	v_fma_f32 v30, v70, v54, -v30
	v_fmac_f32_e32 v31, v71, v54
	v_sub_f32_e32 v4, v4, v30
	v_sub_f32_e32 v5, v5, v31
	s_waitcnt vmcnt(6)
	v_mul_f32_e32 v30, v73, v43
	v_mul_f32_e32 v31, v72, v43
	v_fma_f32 v30, v72, v42, -v30
	v_fmac_f32_e32 v31, v73, v42
	scratch_load_dwordx4 v[70:73], off, off offset:104
	v_sub_f32_e32 v4, v4, v30
	v_sub_f32_e32 v5, v5, v31
	v_mul_f32_e32 v30, v75, v83
	v_mul_f32_e32 v31, v74, v83
	v_fma_f32 v30, v74, v82, -v30
	v_fmac_f32_e32 v31, v75, v82
	v_sub_f32_e32 v4, v4, v30
	v_sub_f32_e32 v5, v5, v31
	v_mul_f32_e32 v30, v77, v85
	v_mul_f32_e32 v31, v76, v85
	v_fma_f32 v30, v76, v84, -v30
	v_fmac_f32_e32 v31, v77, v84
	scratch_load_dwordx4 v[74:77], off, off offset:112
	v_sub_f32_e32 v4, v4, v30
	v_sub_f32_e32 v5, v5, v31
	ds_read_b128 v[82:85], v86 offset:6976
	ds_read2_b32 v[42:43], v34 offset1:1
	v_mov_b32_e32 v54, v94
	s_waitcnt vmcnt(7)
	v_mul_f32_e32 v30, v79, v89
	v_mul_f32_e32 v31, v78, v89
	v_fma_f32 v30, v78, v88, -v30
	v_fmac_f32_e32 v31, v79, v88
	v_sub_f32_e32 v4, v4, v30
	v_sub_f32_e32 v5, v5, v31
	s_waitcnt vmcnt(6)
	v_mul_f32_e32 v30, v81, v91
	v_mul_f32_e32 v31, v80, v91
	v_fma_f32 v30, v80, v90, -v30
	v_fmac_f32_e32 v31, v81, v90
	scratch_load_dwordx4 v[78:81], off, off offset:120
	scratch_load_dwordx4 v[88:91], off, off offset:128
	v_sub_f32_e32 v4, v4, v30
	s_waitcnt vmcnt(7) lgkmcnt(1)
	v_mul_f32_e32 v30, v83, v93
	v_fma_f32 v30, v82, v92, -v30
	v_mul_f32_e32 v35, v82, v93
	v_pk_add_f32 v[4:5], v[4:5], v[30:31] neg_lo:[0,1] neg_hi:[0,1]
	v_mul_f32_e32 v30, v85, v95
	v_fmac_f32_e32 v35, v83, v92
	v_fma_f32 v34, v84, v94, -v30
	v_pk_add_f32 v[4:5], v[4:5], v[34:35] neg_lo:[0,1] neg_hi:[0,1]
	v_mov_b32_e32 v34, v85
	v_mov_b32_e32 v35, v98
	s_waitcnt vmcnt(5)
	v_mov_b32_e32 v55, v96
	v_pk_mul_f32 v[34:35], v[34:35], v[54:55]
	v_mov_b32_e32 v55, v84
	scratch_load_dwordx4 v[82:85], off, off offset:136
	v_mov_b32_e32 v54, v99
	v_mov_b32_e32 v66, v97
	;; [unrolled: 1-line block ×3, first 2 shown]
	v_pk_fma_f32 v[66:67], v[38:39], v[66:67], v[34:35] op_sel:[0,0,1] op_sel_hi:[1,1,0] neg_lo:[1,0,0] neg_hi:[1,0,0]
	v_pk_fma_f32 v[34:35], v[54:55], v[94:95], v[34:35] op_sel:[0,0,1] op_sel_hi:[1,1,0]
	v_mov_b32_e32 v31, v96
	v_mov_b32_e32 v34, 0x1b5c
	;; [unrolled: 1-line block ×3, first 2 shown]
	ds_read2_b32 v[34:35], v34 offset1:1
	v_mov_b32_e32 v96, v61
	v_pk_add_f32 v[4:5], v[4:5], v[66:67] neg_lo:[0,1] neg_hi:[0,1]
	v_mov_b32_e32 v67, v98
	v_mov_b32_e32 v30, v60
	s_waitcnt lgkmcnt(0)
	v_mov_b32_e32 v66, v34
	v_pk_mul_f32 v[66:67], v[66:67], v[96:97]
	v_mov_b32_e32 v54, v60
	s_waitcnt vmcnt(5)
	v_mov_b32_e32 v55, v62
	v_pk_fma_f32 v[30:31], v[38:39], v[30:31], v[66:67] op_sel:[1,0,0] op_sel_hi:[0,1,1]
	v_pk_fma_f32 v[92:93], v[38:39], v[54:55], v[66:67] op_sel:[1,0,0] op_sel_hi:[0,1,1] neg_lo:[0,0,1] neg_hi:[0,0,1]
	v_mov_b32_e32 v30, 0x1b64
	v_mov_b32_e32 v93, v31
	ds_read2_b32 v[30:31], v30 offset1:1
	v_mov_b32_e32 v60, v63
	v_mov_b32_e32 v38, v62
	;; [unrolled: 1-line block ×3, first 2 shown]
	v_pk_mul_f32 v[54:55], v[34:35], v[54:55]
	v_mov_b32_e32 v62, v65
	s_waitcnt lgkmcnt(0)
	v_mov_b32_e32 v64, v30
	v_mov_b32_e32 v65, v100
	v_pk_fma_f32 v[66:67], v[30:31], v[60:61], v[54:55] op_sel:[0,0,1] op_sel_hi:[1,1,0] neg_lo:[1,0,0] neg_hi:[1,0,0]
	v_pk_fma_f32 v[54:55], v[64:65], v[60:61], v[54:55] op_sel:[0,0,1] op_sel_hi:[1,1,0]
	scratch_load_dwordx2 v[60:61], off, off offset:160
	v_mov_b32_e32 v34, 0x1b6c
	ds_read2_b32 v[64:65], v34 offset1:1
	v_pk_add_f32 v[4:5], v[4:5], v[92:93] neg_lo:[0,1] neg_hi:[0,1]
	v_mov_b32_e32 v67, v55
	v_pk_add_f32 v[4:5], v[4:5], v[66:67] neg_lo:[0,1] neg_hi:[0,1]
	scratch_load_dwordx2 v[66:67], off, off offset:168
	v_pk_mul_f32 v[38:39], v[30:31], v[38:39]
	s_waitcnt lgkmcnt(0)
	v_mov_b32_e32 v34, v64
	v_mov_b32_e32 v30, 0x1b74
	s_waitcnt vmcnt(6)
	v_mov_b32_e32 v54, v70
	v_mov_b32_e32 v55, v72
	;; [unrolled: 1-line block ×3, first 2 shown]
	v_pk_fma_f32 v[72:73], v[64:65], v[62:63], v[38:39] op_sel:[0,0,1] op_sel_hi:[1,1,0] neg_lo:[1,0,0] neg_hi:[1,0,0]
	v_pk_fma_f32 v[34:35], v[34:35], v[62:63], v[38:39] op_sel:[0,0,1] op_sel_hi:[1,1,0]
	ds_read2_b32 v[38:39], v30 offset1:1
	scratch_load_dwordx2 v[62:63], off, off offset:176
	v_pk_mul_f32 v[54:55], v[64:65], v[54:55]
	v_mov_b32_e32 v73, v35
	v_pk_add_f32 v[4:5], v[4:5], v[72:73] neg_lo:[0,1] neg_hi:[0,1]
	s_waitcnt lgkmcnt(0)
	v_mov_b32_e32 v30, v38
	v_pk_fma_f32 v[30:31], v[30:31], v[70:71], v[54:55] op_sel:[0,0,1] op_sel_hi:[1,1,0]
	v_pk_fma_f32 v[72:73], v[38:39], v[70:71], v[54:55] op_sel:[0,0,1] op_sel_hi:[1,1,0] neg_lo:[1,0,0] neg_hi:[1,0,0]
	v_mov_b32_e32 v30, 0x1b7c
	v_mov_b32_e32 v73, v31
	ds_read2_b32 v[30:31], v30 offset1:1
	s_waitcnt vmcnt(6)
	v_mov_b32_e32 v34, v74
	v_mov_b32_e32 v35, v76
	;; [unrolled: 1-line block ×3, first 2 shown]
	v_pk_mul_f32 v[34:35], v[38:39], v[34:35]
	s_waitcnt lgkmcnt(0)
	v_mov_b32_e32 v64, v30
	v_pk_fma_f32 v[70:71], v[30:31], v[74:75], v[34:35] op_sel:[0,0,1] op_sel_hi:[1,1,0] neg_lo:[1,0,0] neg_hi:[1,0,0]
	v_pk_fma_f32 v[34:35], v[64:65], v[74:75], v[34:35] op_sel:[0,0,1] op_sel_hi:[1,1,0]
	s_waitcnt vmcnt(5)
	v_mov_b32_e32 v54, v78
	v_mov_b32_e32 v34, 0x1b84
	;; [unrolled: 1-line block ×3, first 2 shown]
	ds_read2_b32 v[34:35], v34 offset1:1
	v_mov_b32_e32 v55, v80
	v_pk_add_f32 v[4:5], v[4:5], v[72:73] neg_lo:[0,1] neg_hi:[0,1]
	v_mov_b32_e32 v78, v81
	v_pk_mul_f32 v[54:55], v[30:31], v[54:55]
	s_waitcnt lgkmcnt(0)
	v_mov_b32_e32 v38, v34
	v_pk_add_f32 v[4:5], v[4:5], v[70:71] neg_lo:[0,1] neg_hi:[0,1]
	v_pk_fma_f32 v[70:71], v[34:35], v[78:79], v[54:55] op_sel:[0,0,1] op_sel_hi:[1,1,0] neg_lo:[1,0,0] neg_hi:[1,0,0]
	v_pk_fma_f32 v[38:39], v[38:39], v[78:79], v[54:55] op_sel:[0,0,1] op_sel_hi:[1,1,0]
	v_mov_b32_e32 v30, 0x1b8c
	v_mov_b32_e32 v71, v39
	ds_read2_b32 v[38:39], v30 offset1:1
	s_waitcnt vmcnt(4)
	v_mov_b32_e32 v64, v88
	v_mov_b32_e32 v65, v90
	;; [unrolled: 1-line block ×3, first 2 shown]
	v_pk_mul_f32 v[64:65], v[34:35], v[64:65]
	s_waitcnt lgkmcnt(0)
	v_mov_b32_e32 v30, v38
	v_pk_add_f32 v[4:5], v[4:5], v[70:71] neg_lo:[0,1] neg_hi:[0,1]
	s_waitcnt vmcnt(3)
	v_mov_b32_e32 v54, v82
	v_mov_b32_e32 v55, v84
	v_pk_fma_f32 v[70:71], v[38:39], v[88:89], v[64:65] op_sel:[0,0,1] op_sel_hi:[1,1,0] neg_lo:[1,0,0] neg_hi:[1,0,0]
	v_pk_fma_f32 v[30:31], v[30:31], v[88:89], v[64:65] op_sel:[0,0,1] op_sel_hi:[1,1,0]
	v_mov_b32_e32 v82, v85
	v_mov_b32_e32 v71, v31
	v_pk_mul_f32 v[30:31], v[38:39], v[54:55]
	v_mov_b32_e32 v34, v42
	v_pk_fma_f32 v[54:55], v[34:35], v[82:83], v[30:31] op_sel:[0,0,1] op_sel_hi:[1,1,0] neg_lo:[1,0,0] neg_hi:[1,0,0]
	v_pk_fma_f32 v[30:31], v[34:35], v[82:83], v[30:31] op_sel:[0,0,1] op_sel_hi:[1,1,0]
	v_pk_add_f32 v[4:5], v[4:5], v[70:71] neg_lo:[0,1] neg_hi:[0,1]
	v_mov_b32_e32 v30, 0x1b9c
	v_mov_b32_e32 v55, v31
	ds_read2_b32 v[30:31], v30 offset1:1
	v_mul_f32_e32 v34, v39, v85
	v_fmac_f32_e32 v34, v42, v84
	v_pk_add_f32 v[4:5], v[4:5], v[54:55] neg_lo:[0,1] neg_hi:[0,1]
	v_mul_f32_e32 v42, v43, v69
	v_sub_f32_e32 v5, v5, v34
	s_waitcnt lgkmcnt(0)
	v_mul_f32_e32 v34, v30, v69
	v_fma_f32 v38, v43, v68, -v34
	v_fmac_f32_e32 v42, v30, v68
	v_sub_f32_e32 v30, v4, v38
	scratch_load_dwordx2 v[38:39], off, off
	v_sub_f32_e32 v54, v5, v42
	scratch_load_dwordx2 v[42:43], off, off offset:8
	v_mov_b32_e32 v34, 0x1ba4
	ds_read2_b32 v[34:35], v34 offset1:1
	scratch_load_dwordx2 v[80:81], off, off offset:32
	scratch_load_dwordx2 v[82:83], off, off offset:40
	;; [unrolled: 1-line block ×4, first 2 shown]
	s_waitcnt vmcnt(8) lgkmcnt(0)
	v_mul_f32_e32 v4, v34, v61
	v_fma_f32 v55, v31, v60, -v4
	v_mov_b32_e32 v4, 0x1bac
	ds_read2_b32 v[4:5], v4 offset1:1
	v_mul_f32_e32 v31, v31, v61
	v_fmac_f32_e32 v31, v34, v60
	v_sub_f32_e32 v34, v30, v55
	v_sub_f32_e32 v60, v54, v31
	s_waitcnt vmcnt(7) lgkmcnt(0)
	v_mul_f32_e32 v30, v4, v67
	v_fma_f32 v61, v35, v66, -v30
	v_mov_b32_e32 v30, 0x1bb4
	ds_read2_b32 v[30:31], v30 offset1:1
	v_mul_f32_e32 v64, v35, v67
	v_fmac_f32_e32 v64, v4, v66
	v_sub_f32_e32 v64, v60, v64
	scratch_load_dwordx2 v[54:55], off, off offset:16
	s_waitcnt vmcnt(7) lgkmcnt(0)
	v_mul_f32_e32 v60, v30, v63
	v_fma_f32 v65, v5, v62, -v60
	v_mov_b32_e32 v60, 0x1bbc
	v_sub_f32_e32 v4, v34, v61
	ds_read2_b32 v[60:61], v60 offset1:1
	scratch_load_dwordx2 v[34:35], off, off offset:24
	v_mul_f32_e32 v5, v5, v63
	v_fmac_f32_e32 v5, v30, v62
	v_sub_f32_e32 v30, v4, v65
	s_waitcnt lgkmcnt(0)
	v_mul_f32_e32 v4, v60, v9
	v_fma_f32 v63, v31, v8, -v4
	v_mov_b32_e32 v4, 0x1bc4
	v_sub_f32_e32 v62, v64, v5
	ds_read2_b32 v[4:5], v4 offset1:1
	v_mul_f32_e32 v31, v31, v9
	v_fmac_f32_e32 v31, v60, v8
	v_sub_f32_e32 v60, v30, v63
	scratch_load_dwordx2 v[90:91], off, off offset:64
	s_waitcnt lgkmcnt(0)
	v_mul_f32_e32 v30, v4, v15
	v_fma_f32 v63, v61, v14, -v30
	v_mov_b32_e32 v30, 0x1bcc
	v_mul_f32_e32 v61, v61, v15
	v_sub_f32_e32 v62, v62, v31
	ds_read2_b32 v[30:31], v30 offset1:1
	v_fmac_f32_e32 v61, v4, v14
	v_sub_f32_e32 v4, v60, v63
	v_sub_f32_e32 v60, v62, v61
	v_mov_b32_e32 v62, 0x1bd4
	ds_read2_b32 v[64:65], v62 offset1:1
	scratch_load_dwordx2 v[92:93], off, off offset:72
	s_waitcnt lgkmcnt(1)
	v_mul_f32_e32 v61, v30, v23
	scratch_load_dwordx2 v[94:95], off, off offset:80
	v_fma_f32 v61, v5, v22, -v61
	v_mul_f32_e32 v5, v5, v23
	v_fmac_f32_e32 v5, v30, v22
	v_sub_f32_e32 v30, v4, v61
	s_waitcnt lgkmcnt(0)
	v_mul_f32_e32 v4, v64, v27
	v_fma_f32 v61, v31, v26, -v4
	v_add_u32_e64 v4, s7, 0
	v_sub_f32_e32 v60, v60, v5
	ds_read2_b32 v[4:5], v4 offset0:119 offset1:185
	v_mul_f32_e32 v31, v31, v27
	v_fmac_f32_e32 v31, v64, v26
	v_sub_f32_e32 v64, v30, v61
	v_sub_f32_e32 v31, v60, v31
	scratch_load_dwordx4 v[60:63], off, off offset:88
	scratch_load_dwordx2 v[96:97], off, off offset:88
	s_waitcnt lgkmcnt(0)
	v_mul_f32_e32 v30, v4, v31
	v_mul_f32_e32 v31, v65, v31
	v_fma_f32 v30, v65, v64, -v30
	v_fmac_f32_e32 v31, v4, v64
	ds_read_b128 v[64:67], v86 offset:7168
	ds_write2_b64 v87, v[26:27], v[30:31] offset0:64 offset1:96
	ds_read_b128 v[68:71], v86 offset:7184
	ds_read_b128 v[72:75], v86 offset:7200
	;; [unrolled: 1-line block ×3, first 2 shown]
	s_movk_i32 s7, 0x1c00
	s_waitcnt vmcnt(12) lgkmcnt(4)
	v_mul_f32_e32 v4, v65, v39
	v_mul_f32_e32 v39, v64, v39
	v_fmac_f32_e32 v39, v65, v38
	v_fma_f32 v4, v64, v38, -v4
	v_sub_f32_e32 v38, v45, v39
	s_waitcnt vmcnt(11)
	v_mul_f32_e32 v39, v67, v43
	v_mul_f32_e32 v43, v66, v43
	v_fmac_f32_e32 v43, v67, v42
	v_sub_f32_e32 v4, v44, v4
	v_fma_f32 v39, v66, v42, -v39
	v_sub_f32_e32 v38, v38, v43
	scratch_load_dwordx4 v[42:45], off, off offset:104
	scratch_load_dwordx4 v[64:67], off, off offset:112
	v_sub_f32_e32 v4, v4, v39
	s_waitcnt vmcnt(8) lgkmcnt(2)
	v_mul_f32_e32 v39, v69, v55
	v_fma_f32 v39, v68, v54, -v39
	v_mul_f32_e32 v55, v68, v55
	v_fmac_f32_e32 v55, v69, v54
	v_sub_f32_e32 v4, v4, v39
	v_sub_f32_e32 v38, v38, v55
	s_waitcnt vmcnt(7)
	v_mul_f32_e32 v39, v71, v35
	v_mul_f32_e32 v35, v70, v35
	v_fmac_f32_e32 v35, v71, v34
	v_fma_f32 v39, v70, v34, -v39
	v_sub_f32_e32 v34, v38, v35
	s_waitcnt lgkmcnt(1)
	v_mul_f32_e32 v35, v73, v81
	v_mul_f32_e32 v38, v72, v81
	v_sub_f32_e32 v4, v4, v39
	v_fma_f32 v35, v72, v80, -v35
	v_fmac_f32_e32 v38, v73, v80
	v_sub_f32_e32 v4, v4, v35
	v_sub_f32_e32 v34, v34, v38
	v_mul_f32_e32 v35, v75, v83
	v_mul_f32_e32 v38, v74, v83
	v_fma_f32 v35, v74, v82, -v35
	v_fmac_f32_e32 v38, v75, v82
	scratch_load_dwordx4 v[72:75], off, off offset:120
	ds_read_b128 v[68:71], v86 offset:7232
	v_sub_f32_e32 v34, v34, v38
	s_waitcnt lgkmcnt(1)
	v_mul_f32_e32 v38, v76, v85
	v_fmac_f32_e32 v38, v77, v84
	v_sub_f32_e32 v4, v4, v35
	v_mul_f32_e32 v35, v77, v85
	v_sub_f32_e32 v34, v34, v38
	v_mul_f32_e32 v38, v78, v89
	v_fma_f32 v35, v76, v84, -v35
	v_fmac_f32_e32 v38, v79, v88
	v_sub_f32_e32 v4, v4, v35
	v_mul_f32_e32 v35, v79, v89
	v_sub_f32_e32 v39, v34, v38
	s_waitcnt vmcnt(7) lgkmcnt(0)
	v_mul_f32_e32 v34, v69, v91
	v_mul_f32_e32 v55, v68, v91
	v_fma_f32 v35, v78, v88, -v35
	v_fma_f32 v34, v68, v90, -v34
	v_fmac_f32_e32 v55, v69, v90
	ds_read_b96 v[88:90], v86 offset:7248
	v_sub_f32_e32 v4, v4, v35
	v_sub_f32_e32 v38, v4, v34
	s_waitcnt vmcnt(6)
	v_mul_f32_e32 v4, v71, v93
	v_fma_f32 v54, v70, v92, -v4
	v_mov_b32_e32 v4, 0x1c9c
	scratch_load_dwordx4 v[76:79], off, off offset:128
	v_mul_f32_e32 v69, v70, v93
	ds_read2_b32 v[34:35], v4 offset1:1
	s_waitcnt vmcnt(6) lgkmcnt(1)
	v_mul_f32_e32 v4, v89, v95
	v_fmac_f32_e32 v69, v71, v92
	v_pk_add_f32 v[38:39], v[38:39], v[54:55] neg_lo:[0,1] neg_hi:[0,1]
	v_fma_f32 v68, v88, v94, -v4
	v_pk_add_f32 v[38:39], v[38:39], v[68:69] neg_lo:[0,1] neg_hi:[0,1]
	scratch_load_dwordx4 v[68:71], off, off offset:136
	v_mov_b32_e32 v4, 0x1c5c
	ds_read2_b32 v[84:85], v4 offset1:1
	v_mov_b32_e32 v80, v89
	v_mov_b32_e32 v81, v90
	;; [unrolled: 1-line block ×3, first 2 shown]
	s_waitcnt vmcnt(5)
	v_mov_b32_e32 v83, v96
	v_pk_mul_f32 v[92:93], v[80:81], v[82:83]
	scratch_load_dwordx4 v[80:83], off, off offset:144
	s_waitcnt lgkmcnt(0)
	v_mov_b32_e32 v98, v84
	v_mov_b32_e32 v99, v88
	;; [unrolled: 1-line block ×4, first 2 shown]
	v_pk_fma_f32 v[88:89], v[84:85], v[4:5], v[92:93] op_sel:[0,0,1] op_sel_hi:[1,1,0] neg_lo:[1,0,0] neg_hi:[1,0,0]
	v_pk_fma_f32 v[92:93], v[98:99], v[94:95], v[92:93] op_sel:[0,0,1] op_sel_hi:[1,1,0]
	v_mov_b32_e32 v4, 0x1c64
	v_mov_b32_e32 v89, v93
	ds_read2_b32 v[92:93], v4 offset1:1
	v_mov_b32_e32 v55, v96
	v_mov_b32_e32 v96, v63
	;; [unrolled: 1-line block ×4, first 2 shown]
	s_waitcnt lgkmcnt(0)
	v_mov_b32_e32 v94, v92
	v_pk_add_f32 v[38:39], v[38:39], v[88:89] neg_lo:[0,1] neg_hi:[0,1]
	v_mov_b32_e32 v88, v62
	s_waitcnt vmcnt(5)
	v_mov_b32_e32 v89, v42
	v_pk_mul_f32 v[90:91], v[94:95], v[96:97]
	v_mov_b32_e32 v4, 0x1c6c
	v_pk_fma_f32 v[94:95], v[84:85], v[88:89], v[90:91] op_sel:[1,0,0] op_sel_hi:[0,1,1] neg_lo:[0,0,1] neg_hi:[0,0,1]
	v_pk_fma_f32 v[54:55], v[84:85], v[54:55], v[90:91] op_sel:[1,0,0] op_sel_hi:[0,1,1]
	v_mov_b32_e32 v95, v55
	ds_read2_b32 v[54:55], v4 offset1:1
	v_pk_add_f32 v[38:39], v[38:39], v[94:95] neg_lo:[0,1] neg_hi:[0,1]
	scratch_load_dwordx2 v[94:95], off, off offset:168
	v_mov_b32_e32 v62, v43
	v_pk_mul_f32 v[88:89], v[92:93], v[88:89]
	s_waitcnt lgkmcnt(0)
	v_mov_b32_e32 v84, v54
	v_mov_b32_e32 v90, v42
	;; [unrolled: 1-line block ×4, first 2 shown]
	v_pk_fma_f32 v[44:45], v[54:55], v[62:63], v[88:89] op_sel:[0,0,1] op_sel_hi:[1,1,0] neg_lo:[1,0,0] neg_hi:[1,0,0]
	v_pk_fma_f32 v[62:63], v[84:85], v[62:63], v[88:89] op_sel:[0,0,1] op_sel_hi:[1,1,0]
	v_mov_b32_e32 v4, 0x1c74
	v_mov_b32_e32 v45, v63
	v_pk_add_f32 v[38:39], v[38:39], v[44:45] neg_lo:[0,1] neg_hi:[0,1]
	s_waitcnt vmcnt(5)
	v_mov_b32_e32 v44, v64
	v_mov_b32_e32 v45, v66
	;; [unrolled: 1-line block ×3, first 2 shown]
	scratch_load_dwordx2 v[66:67], off, off offset:176
	ds_read2_b32 v[62:63], v4 offset1:1
	v_pk_mul_f32 v[84:85], v[54:55], v[90:91]
	v_mov_b32_e32 v4, 0x1c7c
	scratch_load_dwordx2 v[90:91], off, off offset:64
	s_waitcnt lgkmcnt(0)
	v_mov_b32_e32 v92, v62
	v_pk_fma_f32 v[88:89], v[62:63], v[42:43], v[84:85] op_sel:[0,0,1] op_sel_hi:[1,1,0] neg_lo:[1,0,0] neg_hi:[1,0,0]
	v_pk_fma_f32 v[42:43], v[92:93], v[42:43], v[84:85] op_sel:[0,0,1] op_sel_hi:[1,1,0]
	v_pk_mul_f32 v[44:45], v[62:63], v[44:45]
	v_mov_b32_e32 v89, v43
	ds_read2_b32 v[42:43], v4 offset1:1
	s_waitcnt vmcnt(6)
	v_mov_b32_e32 v84, v72
	v_mov_b32_e32 v85, v74
	v_mov_b32_e32 v72, v75
	v_mov_b32_e32 v4, 0x1c84
	s_waitcnt lgkmcnt(0)
	v_mov_b32_e32 v54, v42
	v_pk_fma_f32 v[74:75], v[42:43], v[64:65], v[44:45] op_sel:[0,0,1] op_sel_hi:[1,1,0] neg_lo:[1,0,0] neg_hi:[1,0,0]
	v_pk_fma_f32 v[44:45], v[54:55], v[64:65], v[44:45] op_sel:[0,0,1] op_sel_hi:[1,1,0]
	v_pk_add_f32 v[38:39], v[38:39], v[88:89] neg_lo:[0,1] neg_hi:[0,1]
	v_mov_b32_e32 v75, v45
	ds_read2_b32 v[44:45], v4 offset1:1
	v_pk_mul_f32 v[64:65], v[42:43], v[84:85]
	v_pk_add_f32 v[38:39], v[38:39], v[74:75] neg_lo:[0,1] neg_hi:[0,1]
	v_mov_b32_e32 v4, 0x1c8c
	s_waitcnt vmcnt(5)
	v_mov_b32_e32 v54, v76
	s_waitcnt lgkmcnt(0)
	v_mov_b32_e32 v62, v44
	v_pk_fma_f32 v[74:75], v[44:45], v[72:73], v[64:65] op_sel:[0,0,1] op_sel_hi:[1,1,0] neg_lo:[1,0,0] neg_hi:[1,0,0]
	v_pk_fma_f32 v[62:63], v[62:63], v[72:73], v[64:65] op_sel:[0,0,1] op_sel_hi:[1,1,0]
	v_mov_b32_e32 v55, v78
	v_mov_b32_e32 v75, v63
	ds_read2_b32 v[62:63], v4 offset1:1
	v_mov_b32_e32 v76, v79
	v_pk_mul_f32 v[54:55], v[44:45], v[54:55]
	s_waitcnt vmcnt(4)
	v_mov_b32_e32 v64, v68
	v_mov_b32_e32 v65, v70
	s_waitcnt lgkmcnt(0)
	v_mov_b32_e32 v42, v62
	v_mov_b32_e32 v68, v71
	v_pk_fma_f32 v[70:71], v[62:63], v[76:77], v[54:55] op_sel:[0,0,1] op_sel_hi:[1,1,0] neg_lo:[1,0,0] neg_hi:[1,0,0]
	v_pk_fma_f32 v[42:43], v[42:43], v[76:77], v[54:55] op_sel:[0,0,1] op_sel_hi:[1,1,0]
	v_mov_b32_e32 v4, 0x1c94
	v_mov_b32_e32 v71, v43
	ds_read2_b32 v[42:43], v4 offset1:1
	v_pk_add_f32 v[38:39], v[38:39], v[74:75] neg_lo:[0,1] neg_hi:[0,1]
	v_pk_mul_f32 v[64:65], v[62:63], v[64:65]
	v_pk_add_f32 v[38:39], v[38:39], v[70:71] neg_lo:[0,1] neg_hi:[0,1]
	s_waitcnt vmcnt(3)
	v_mov_b32_e32 v54, v80
	s_waitcnt lgkmcnt(0)
	v_mov_b32_e32 v44, v42
	v_mov_b32_e32 v55, v82
	v_pk_fma_f32 v[70:71], v[42:43], v[68:69], v[64:65] op_sel:[0,0,1] op_sel_hi:[1,1,0] neg_lo:[1,0,0] neg_hi:[1,0,0]
	v_pk_fma_f32 v[44:45], v[44:45], v[68:69], v[64:65] op_sel:[0,0,1] op_sel_hi:[1,1,0]
	v_mov_b32_e32 v80, v83
	v_mov_b32_e32 v71, v45
	v_pk_mul_f32 v[44:45], v[42:43], v[54:55]
	v_mov_b32_e32 v62, v34
	v_pk_fma_f32 v[54:55], v[62:63], v[80:81], v[44:45] op_sel:[0,0,1] op_sel_hi:[1,1,0] neg_lo:[1,0,0] neg_hi:[1,0,0]
	v_pk_fma_f32 v[44:45], v[62:63], v[80:81], v[44:45] op_sel:[0,0,1] op_sel_hi:[1,1,0]
	v_mov_b32_e32 v4, 0x1ca4
	v_mov_b32_e32 v55, v45
	ds_read2_b32 v[44:45], v4 offset1:1
	v_pk_add_f32 v[38:39], v[38:39], v[70:71] neg_lo:[0,1] neg_hi:[0,1]
	v_mul_f32_e32 v4, v43, v83
	v_fmac_f32_e32 v4, v34, v82
	v_pk_add_f32 v[38:39], v[38:39], v[54:55] neg_lo:[0,1] neg_hi:[0,1]
	scratch_load_dwordx2 v[74:75], off, off
	v_sub_f32_e32 v4, v39, v4
	v_mov_b32_e32 v39, 0x1cac
	s_waitcnt lgkmcnt(0)
	v_mul_f32_e32 v34, v44, v57
	ds_read2_b32 v[42:43], v39 offset1:1
	v_fma_f32 v34, v35, v56, -v34
	v_mul_f32_e32 v35, v35, v57
	v_fmac_f32_e32 v35, v44, v56
	v_sub_f32_e32 v44, v38, v34
	scratch_load_dwordx2 v[38:39], off, off offset:8
	s_waitcnt vmcnt(4) lgkmcnt(0)
	v_mul_f32_e32 v34, v42, v95
	v_fma_f32 v54, v45, v94, -v34
	v_mov_b32_e32 v34, 0x1cb4
	v_sub_f32_e32 v4, v4, v35
	ds_read2_b32 v[34:35], v34 offset1:1
	v_mul_f32_e32 v45, v45, v95
	v_fmac_f32_e32 v45, v42, v94
	v_sub_f32_e32 v42, v44, v54
	v_sub_f32_e32 v4, v4, v45
	s_waitcnt vmcnt(3) lgkmcnt(0)
	v_mul_f32_e32 v44, v34, v67
	v_fma_f32 v54, v43, v66, -v44
	v_mov_b32_e32 v44, 0x1cbc
	ds_read2_b32 v[44:45], v44 offset1:1
	v_mul_f32_e32 v43, v43, v67
	v_fmac_f32_e32 v43, v34, v66
	v_sub_f32_e32 v4, v4, v43
	scratch_load_dwordx2 v[76:77], off, off offset:16
	s_waitcnt lgkmcnt(0)
	v_mul_f32_e32 v34, v44, v9
	v_fma_f32 v43, v35, v8, -v34
	v_mov_b32_e32 v34, 0x1cc4
	v_sub_f32_e32 v42, v42, v54
	v_mul_f32_e32 v54, v35, v9
	ds_read2_b32 v[34:35], v34 offset1:1
	scratch_load_dwordx2 v[78:79], off, off offset:24
	v_fmac_f32_e32 v54, v44, v8
	v_sub_f32_e32 v44, v42, v43
	v_sub_f32_e32 v4, v4, v54
	s_waitcnt lgkmcnt(0)
	v_mul_f32_e32 v42, v34, v15
	v_fma_f32 v54, v45, v14, -v42
	v_mov_b32_e32 v42, 0x1ccc
	ds_read2_b32 v[42:43], v42 offset1:1
	scratch_load_dwordx2 v[80:81], off, off offset:32
	v_mul_f32_e32 v45, v45, v15
	scratch_load_dwordx2 v[82:83], off, off offset:40
	v_fmac_f32_e32 v45, v34, v14
	s_waitcnt lgkmcnt(0)
	v_mul_f32_e32 v34, v42, v23
	v_sub_f32_e32 v4, v4, v45
	v_fma_f32 v45, v35, v22, -v34
	v_mov_b32_e32 v34, 0x1cd4
	scratch_load_dwordx2 v[84:85], off, off offset:48
	v_sub_f32_e32 v44, v44, v54
	v_mul_f32_e32 v54, v35, v23
	ds_read2_b32 v[34:35], v34 offset1:1
	scratch_load_dwordx2 v[88:89], off, off offset:56
	v_fmac_f32_e32 v54, v42, v22
	v_sub_f32_e32 v44, v44, v45
	v_sub_f32_e32 v4, v4, v54
	s_waitcnt lgkmcnt(0)
	v_mul_f32_e32 v42, v34, v27
	v_fma_f32 v45, v43, v26, -v42
	v_mov_b32_e32 v42, 0x1cdc
	v_mul_f32_e32 v54, v43, v27
	ds_read2_b32 v[42:43], v42 offset1:1
	scratch_load_dwordx2 v[92:93], off, off offset:72
	v_fmac_f32_e32 v54, v34, v26
	v_sub_f32_e32 v34, v44, v45
	v_sub_f32_e32 v4, v4, v54
	s_waitcnt lgkmcnt(0)
	v_mul_f32_e32 v44, v42, v31
	v_fma_f32 v44, v35, v30, -v44
	v_mul_f32_e32 v35, v35, v31
	v_fmac_f32_e32 v35, v42, v30
	scratch_load_dwordx2 v[94:95], off, off offset:80
	v_sub_f32_e32 v4, v4, v35
	v_sub_f32_e32 v42, v34, v44
	v_mul_f32_e32 v35, v43, v4
	v_mul_f32_e32 v34, v5, v4
	v_fmac_f32_e32 v35, v5, v42
	ds_read_b128 v[54:57], v86 offset:7424
	ds_read_b128 v[62:65], v86 offset:7440
	scratch_load_dwordx2 v[4:5], off, off offset:88
	v_fma_f32 v34, v43, v42, -v34
	ds_read_b128 v[66:69], v86 offset:7456
	ds_read_b128 v[70:73], v86 offset:7472
	scratch_load_dwordx4 v[42:45], off, off offset:96
	scratch_load_dwordx2 v[96:97], off, off offset:96
	s_waitcnt vmcnt(12) lgkmcnt(3)
	v_mul_f32_e32 v98, v55, v75
	v_fma_f32 v98, v54, v74, -v98
	v_mul_f32_e32 v54, v54, v75
	v_fmac_f32_e32 v54, v55, v74
	v_sub_f32_e32 v47, v47, v54
	v_sub_f32_e32 v46, v46, v98
	ds_read_b96 v[98:100], v86 offset:7520
	s_waitcnt vmcnt(11)
	v_mul_f32_e32 v54, v57, v39
	v_fma_f32 v54, v56, v38, -v54
	v_mul_f32_e32 v39, v56, v39
	v_fmac_f32_e32 v39, v57, v38
	v_sub_f32_e32 v38, v46, v54
	scratch_load_dwordx4 v[54:57], off, off offset:112
	v_sub_f32_e32 v39, v47, v39
	s_waitcnt vmcnt(11) lgkmcnt(3)
	v_mul_f32_e32 v46, v63, v77
	v_mul_f32_e32 v47, v62, v77
	v_fma_f32 v46, v62, v76, -v46
	v_fmac_f32_e32 v47, v63, v76
	v_sub_f32_e32 v38, v38, v46
	v_sub_f32_e32 v39, v39, v47
	ds_read_b128 v[74:77], v86 offset:7504
	s_waitcnt vmcnt(10)
	v_mul_f32_e32 v46, v65, v79
	v_mul_f32_e32 v47, v64, v79
	v_fma_f32 v46, v64, v78, -v46
	v_fmac_f32_e32 v47, v65, v78
	scratch_load_dwordx4 v[62:65], off, off offset:120
	v_sub_f32_e32 v38, v38, v46
	v_sub_f32_e32 v39, v39, v47
	v_mov_b32_e32 v78, 0x1da4
	s_waitcnt vmcnt(10) lgkmcnt(3)
	v_mul_f32_e32 v46, v67, v81
	v_mul_f32_e32 v47, v66, v81
	v_fma_f32 v46, v66, v80, -v46
	v_fmac_f32_e32 v47, v67, v80
	v_sub_f32_e32 v38, v38, v46
	v_sub_f32_e32 v39, v39, v47
	s_waitcnt vmcnt(9)
	v_mul_f32_e32 v46, v69, v83
	v_mul_f32_e32 v47, v68, v83
	v_fma_f32 v46, v68, v82, -v46
	v_fmac_f32_e32 v47, v69, v82
	v_sub_f32_e32 v38, v38, v46
	v_sub_f32_e32 v39, v39, v47
	s_waitcnt vmcnt(8) lgkmcnt(2)
	v_mul_f32_e32 v46, v71, v85
	v_mul_f32_e32 v47, v70, v85
	v_fma_f32 v46, v70, v84, -v46
	v_fmac_f32_e32 v47, v71, v84
	v_sub_f32_e32 v38, v38, v46
	v_sub_f32_e32 v39, v39, v47
	s_waitcnt vmcnt(7)
	v_mul_f32_e32 v46, v73, v89
	ds_read_b128 v[66:69], v86 offset:7488
	v_mul_f32_e32 v47, v72, v89
	v_fma_f32 v46, v72, v88, -v46
	v_fmac_f32_e32 v47, v73, v88
	scratch_load_dwordx4 v[70:73], off, off offset:128
	v_sub_f32_e32 v38, v38, v46
	v_sub_f32_e32 v39, v39, v47
	s_waitcnt lgkmcnt(0)
	v_mul_f32_e32 v46, v67, v91
	v_mul_f32_e32 v47, v66, v91
	v_fma_f32 v46, v66, v90, -v46
	v_fmac_f32_e32 v47, v67, v90
	v_sub_f32_e32 v38, v38, v46
	v_sub_f32_e32 v39, v39, v47
	s_waitcnt vmcnt(7)
	v_mul_f32_e32 v46, v69, v93
	v_mul_f32_e32 v47, v68, v93
	v_fma_f32 v46, v68, v92, -v46
	v_fmac_f32_e32 v47, v69, v92
	scratch_load_dwordx4 v[66:69], off, off offset:136
	v_sub_f32_e32 v38, v38, v46
	s_waitcnt vmcnt(7)
	v_mul_f32_e32 v46, v75, v95
	v_fma_f32 v46, v74, v94, -v46
	v_mul_f32_e32 v83, v74, v95
	v_pk_add_f32 v[38:39], v[38:39], v[46:47] neg_lo:[0,1] neg_hi:[0,1]
	s_waitcnt vmcnt(6)
	v_mul_f32_e32 v46, v77, v5
	v_fmac_f32_e32 v83, v75, v94
	ds_read2_b32 v[88:89], v78 offset1:1
	scratch_load_dwordx4 v[78:81], off, off offset:144
	v_fma_f32 v82, v76, v4, -v46
	v_pk_add_f32 v[38:39], v[38:39], v[82:83] neg_lo:[0,1] neg_hi:[0,1]
	v_mov_b32_e32 v82, v77
	v_mov_b32_e32 v83, v98
	;; [unrolled: 1-line block ×3, first 2 shown]
	s_waitcnt vmcnt(5)
	v_mov_b32_e32 v85, v96
	v_pk_mul_f32 v[90:91], v[82:83], v[84:85]
	scratch_load_dwordx4 v[82:85], off, off offset:152
	v_mov_b32_e32 v92, v99
	v_mov_b32_e32 v93, v76
	;; [unrolled: 1-line block ×6, first 2 shown]
	v_pk_fma_f32 v[4:5], v[92:93], v[4:5], v[90:91] op_sel:[0,0,1] op_sel_hi:[1,1,0]
	v_pk_fma_f32 v[76:77], v[74:75], v[76:77], v[90:91] op_sel:[0,0,1] op_sel_hi:[1,1,0] neg_lo:[1,0,0] neg_hi:[1,0,0]
	v_mov_b32_e32 v4, 0x1d6c
	v_mov_b32_e32 v77, v5
	ds_read2_b32 v[4:5], v4 offset1:1
	v_mov_b32_e32 v47, v96
	v_mov_b32_e32 v96, v45
	;; [unrolled: 1-line block ×4, first 2 shown]
	s_waitcnt lgkmcnt(0)
	v_mov_b32_e32 v90, v4
	v_pk_add_f32 v[38:39], v[38:39], v[76:77] neg_lo:[0,1] neg_hi:[0,1]
	v_mov_b32_e32 v76, v44
	s_waitcnt vmcnt(5)
	v_mov_b32_e32 v77, v54
	v_pk_mul_f32 v[90:91], v[90:91], v[96:97]
	v_mov_b32_e32 v44, v55
	v_pk_fma_f32 v[92:93], v[74:75], v[76:77], v[90:91] op_sel:[1,0,0] op_sel_hi:[0,1,1] neg_lo:[0,0,1] neg_hi:[0,0,1]
	v_pk_fma_f32 v[46:47], v[74:75], v[46:47], v[90:91] op_sel:[1,0,0] op_sel_hi:[0,1,1]
	scratch_load_dwordx2 v[90:91], off, off offset:176
	v_mov_b32_e32 v46, 0x1d74
	v_mov_b32_e32 v93, v47
	ds_read2_b32 v[46:47], v46 offset1:1
	v_mov_b32_e32 v74, v54
	v_mov_b32_e32 v75, v56
	v_pk_mul_f32 v[76:77], v[4:5], v[76:77]
	v_mov_b32_e32 v54, v57
	s_waitcnt lgkmcnt(0)
	v_mov_b32_e32 v56, v46
	v_mov_b32_e32 v57, v100
	v_pk_add_f32 v[38:39], v[38:39], v[92:93] neg_lo:[0,1] neg_hi:[0,1]
	v_pk_fma_f32 v[92:93], v[46:47], v[44:45], v[76:77] op_sel:[0,0,1] op_sel_hi:[1,1,0] neg_lo:[1,0,0] neg_hi:[1,0,0]
	v_pk_fma_f32 v[44:45], v[56:57], v[44:45], v[76:77] op_sel:[0,0,1] op_sel_hi:[1,1,0]
	v_mov_b32_e32 v4, 0x1d7c
	v_mov_b32_e32 v93, v45
	ds_read2_b32 v[44:45], v4 offset1:1
	v_pk_mul_f32 v[74:75], v[46:47], v[74:75]
	s_waitcnt vmcnt(5)
	v_mov_b32_e32 v56, v62
	v_mov_b32_e32 v57, v64
	;; [unrolled: 1-line block ×3, first 2 shown]
	s_waitcnt lgkmcnt(0)
	v_mov_b32_e32 v4, v44
	v_pk_fma_f32 v[64:65], v[44:45], v[54:55], v[74:75] op_sel:[0,0,1] op_sel_hi:[1,1,0] neg_lo:[1,0,0] neg_hi:[1,0,0]
	v_pk_fma_f32 v[4:5], v[4:5], v[54:55], v[74:75] op_sel:[0,0,1] op_sel_hi:[1,1,0]
	v_pk_add_f32 v[38:39], v[38:39], v[92:93] neg_lo:[0,1] neg_hi:[0,1]
	v_mov_b32_e32 v65, v5
	v_pk_add_f32 v[4:5], v[38:39], v[64:65] neg_lo:[0,1] neg_hi:[0,1]
	v_mov_b32_e32 v38, 0x1d84
	ds_read2_b32 v[38:39], v38 offset1:1
	v_pk_mul_f32 v[56:57], v[44:45], v[56:57]
	v_mov_b32_e32 v44, 0x1d8c
	s_waitcnt vmcnt(4)
	v_mov_b32_e32 v54, v70
	v_mov_b32_e32 v55, v72
	s_waitcnt lgkmcnt(0)
	v_mov_b32_e32 v46, v38
	v_pk_fma_f32 v[64:65], v[38:39], v[62:63], v[56:57] op_sel:[0,0,1] op_sel_hi:[1,1,0] neg_lo:[1,0,0] neg_hi:[1,0,0]
	v_pk_fma_f32 v[46:47], v[46:47], v[62:63], v[56:57] op_sel:[0,0,1] op_sel_hi:[1,1,0]
	v_mov_b32_e32 v70, v73
	v_mov_b32_e32 v65, v47
	ds_read2_b32 v[46:47], v44 offset1:1
	v_pk_mul_f32 v[54:55], v[38:39], v[54:55]
	v_mov_b32_e32 v38, 0x1d94
	s_waitcnt vmcnt(3)
	v_mov_b32_e32 v56, v66
	v_mov_b32_e32 v57, v68
	s_waitcnt lgkmcnt(0)
	v_mov_b32_e32 v44, v46
	v_pk_fma_f32 v[62:63], v[46:47], v[70:71], v[54:55] op_sel:[0,0,1] op_sel_hi:[1,1,0] neg_lo:[1,0,0] neg_hi:[1,0,0]
	v_pk_fma_f32 v[44:45], v[44:45], v[70:71], v[54:55] op_sel:[0,0,1] op_sel_hi:[1,1,0]
	v_mov_b32_e32 v66, v69
	v_mov_b32_e32 v63, v45
	ds_read2_b32 v[44:45], v38 offset1:1
	v_pk_mul_f32 v[56:57], v[46:47], v[56:57]
	v_pk_add_f32 v[4:5], v[4:5], v[64:65] neg_lo:[0,1] neg_hi:[0,1]
	s_waitcnt vmcnt(2)
	v_mov_b32_e32 v54, v78
	v_pk_add_f32 v[4:5], v[4:5], v[62:63] neg_lo:[0,1] neg_hi:[0,1]
	s_waitcnt lgkmcnt(0)
	v_mov_b32_e32 v38, v44
	v_pk_fma_f32 v[38:39], v[38:39], v[66:67], v[56:57] op_sel:[0,0,1] op_sel_hi:[1,1,0]
	v_pk_fma_f32 v[62:63], v[44:45], v[66:67], v[56:57] op_sel:[0,0,1] op_sel_hi:[1,1,0] neg_lo:[1,0,0] neg_hi:[1,0,0]
	v_mov_b32_e32 v38, 0x1d9c
	v_mov_b32_e32 v63, v39
	ds_read2_b32 v[38:39], v38 offset1:1
	v_mov_b32_e32 v55, v80
	v_mov_b32_e32 v78, v81
	v_pk_mul_f32 v[54:55], v[44:45], v[54:55]
	v_pk_add_f32 v[4:5], v[4:5], v[62:63] neg_lo:[0,1] neg_hi:[0,1]
	s_waitcnt lgkmcnt(0)
	v_mov_b32_e32 v46, v38
	s_waitcnt vmcnt(1)
	v_mov_b32_e32 v56, v82
	v_mov_b32_e32 v57, v84
	v_pk_fma_f32 v[62:63], v[38:39], v[78:79], v[54:55] op_sel:[0,0,1] op_sel_hi:[1,1,0] neg_lo:[1,0,0] neg_hi:[1,0,0]
	v_pk_fma_f32 v[46:47], v[46:47], v[78:79], v[54:55] op_sel:[0,0,1] op_sel_hi:[1,1,0]
	v_mov_b32_e32 v82, v85
	v_mov_b32_e32 v63, v47
	v_pk_mul_f32 v[46:47], v[38:39], v[56:57]
	v_mov_b32_e32 v44, v88
	v_pk_fma_f32 v[54:55], v[44:45], v[82:83], v[46:47] op_sel:[0,0,1] op_sel_hi:[1,1,0] neg_lo:[1,0,0] neg_hi:[1,0,0]
	v_pk_fma_f32 v[44:45], v[44:45], v[82:83], v[46:47] op_sel:[0,0,1] op_sel_hi:[1,1,0]
	scratch_load_dwordx2 v[46:47], off, off
	scratch_load_dwordx2 v[82:83], off, off offset:40
	scratch_load_dwordx2 v[74:75], off, off offset:8
	;; [unrolled: 1-line block ×4, first 2 shown]
	v_mov_b32_e32 v38, 0x1dac
	v_mov_b32_e32 v55, v45
	ds_read2_b32 v[44:45], v38 offset1:1
	v_pk_add_f32 v[4:5], v[4:5], v[62:63] neg_lo:[0,1] neg_hi:[0,1]
	v_mul_f32_e32 v38, v39, v85
	v_fmac_f32_e32 v38, v88, v84
	v_pk_add_f32 v[4:5], v[4:5], v[54:55] neg_lo:[0,1] neg_hi:[0,1]
	scratch_load_dwordx2 v[80:81], off, off offset:32
	v_sub_f32_e32 v5, v5, v38
	s_waitcnt lgkmcnt(0)
	v_mul_f32_e32 v38, v44, v49
	v_fma_f32 v54, v89, v48, -v38
	v_mov_b32_e32 v38, 0x1db4
	ds_read2_b32 v[38:39], v38 offset1:1
	v_mul_f32_e32 v49, v89, v49
	v_fmac_f32_e32 v49, v44, v48
	v_sub_f32_e32 v44, v4, v54
	v_sub_f32_e32 v48, v5, v49
	s_waitcnt vmcnt(6) lgkmcnt(0)
	v_mul_f32_e32 v4, v38, v91
	v_fma_f32 v49, v45, v90, -v4
	v_mov_b32_e32 v4, 0x1dbc
	ds_read2_b32 v[4:5], v4 offset1:1
	v_mul_f32_e32 v45, v45, v91
	v_fmac_f32_e32 v45, v38, v90
	v_sub_f32_e32 v45, v48, v45
	v_sub_f32_e32 v44, v44, v49
	s_waitcnt lgkmcnt(0)
	v_mul_f32_e32 v38, v4, v9
	v_fma_f32 v48, v39, v8, -v38
	v_mov_b32_e32 v38, 0x1dc4
	v_mul_f32_e32 v49, v39, v9
	ds_read2_b32 v[38:39], v38 offset1:1
	v_fmac_f32_e32 v49, v4, v8
	v_sub_f32_e32 v44, v44, v48
	v_sub_f32_e32 v45, v45, v49
	v_mul_f32_e32 v49, v5, v15
	s_waitcnt lgkmcnt(0)
	v_mul_f32_e32 v4, v38, v15
	v_fma_f32 v48, v5, v14, -v4
	v_mov_b32_e32 v4, 0x1dcc
	ds_read2_b32 v[4:5], v4 offset1:1
	v_fmac_f32_e32 v49, v38, v14
	v_sub_f32_e32 v44, v44, v48
	v_sub_f32_e32 v45, v45, v49
	v_mul_f32_e32 v49, v39, v23
	s_waitcnt lgkmcnt(0)
	v_mul_f32_e32 v38, v4, v23
	v_fma_f32 v48, v39, v22, -v38
	v_mov_b32_e32 v38, 0x1dd4
	ds_read2_b32 v[38:39], v38 offset1:1
	v_fmac_f32_e32 v49, v4, v22
	v_sub_f32_e32 v44, v44, v48
	scratch_load_dwordx2 v[84:85], off, off offset:48
	v_sub_f32_e32 v45, v45, v49
	s_waitcnt lgkmcnt(0)
	v_mul_f32_e32 v4, v38, v27
	v_fma_f32 v48, v5, v26, -v4
	v_mov_b32_e32 v4, 0x1ddc
	v_mul_f32_e32 v49, v5, v27
	ds_read2_b32 v[4:5], v4 offset1:1
	scratch_load_dwordx2 v[88:89], off, off offset:56
	v_fmac_f32_e32 v49, v38, v26
	v_sub_f32_e32 v38, v44, v48
	v_sub_f32_e32 v48, v45, v49
	s_waitcnt lgkmcnt(0)
	v_mul_f32_e32 v44, v4, v31
	v_fma_f32 v49, v39, v30, -v44
	v_mov_b32_e32 v44, 0x1de4
	scratch_load_dwordx2 v[90:91], off, off offset:64
	ds_read2_b32 v[44:45], v44 offset1:1
	scratch_load_dwordx2 v[92:93], off, off offset:72
	v_mul_f32_e32 v39, v39, v31
	v_fmac_f32_e32 v39, v4, v30
	v_sub_f32_e32 v4, v38, v49
	v_sub_f32_e32 v38, v48, v39
	s_waitcnt lgkmcnt(0)
	v_mul_f32_e32 v39, v44, v35
	v_fma_f32 v39, v5, v34, -v39
	v_mul_f32_e32 v54, v5, v35
	v_add_u32_e64 v5, s7, 0
	ds_read2_b32 v[48:49], v5 offset0:123 offset1:189
	v_fmac_f32_e32 v54, v44, v34
	v_sub_f32_e32 v44, v4, v39
	scratch_load_dwordx2 v[4:5], off, off offset:80
	v_sub_f32_e32 v39, v38, v54
	ds_read_b128 v[54:57], v86 offset:7680
	s_waitcnt lgkmcnt(1)
	v_mul_f32_e32 v38, v48, v39
	v_mul_f32_e32 v39, v45, v39
	v_fma_f32 v38, v45, v44, -v38
	v_fmac_f32_e32 v39, v48, v44
	scratch_load_dwordx2 v[94:95], off, off offset:88
	ds_write2_b64 v87, v[34:35], v[38:39] offset0:128 offset1:160
	ds_read_b128 v[62:65], v86 offset:7696
	ds_read_b128 v[66:69], v86 offset:7712
	ds_read_b128 v[70:73], v86 offset:7728
	s_waitcnt vmcnt(11) lgkmcnt(4)
	v_mul_f32_e32 v44, v55, v47
	scratch_load_dwordx2 v[96:97], off, off offset:96
	v_fma_f32 v44, v54, v46, -v44
	v_mul_f32_e32 v48, v54, v47
	v_fmac_f32_e32 v48, v55, v46
	v_sub_f32_e32 v16, v16, v44
	scratch_load_dwordx4 v[44:47], off, off offset:104
	scratch_load_dwordx2 v[98:99], off, off offset:104
	s_waitcnt vmcnt(12)
	v_mul_f32_e32 v54, v56, v75
	v_sub_f32_e32 v17, v17, v48
	v_fmac_f32_e32 v54, v57, v74
	v_sub_f32_e32 v17, v17, v54
	s_waitcnt vmcnt(11) lgkmcnt(2)
	v_mul_f32_e32 v54, v62, v77
	v_fmac_f32_e32 v54, v63, v76
	v_sub_f32_e32 v17, v17, v54
	s_waitcnt vmcnt(10)
	v_mul_f32_e32 v54, v64, v79
	v_mul_f32_e32 v48, v57, v75
	v_fmac_f32_e32 v54, v65, v78
	v_fma_f32 v48, v56, v74, -v48
	v_sub_f32_e32 v17, v17, v54
	scratch_load_dwordx4 v[54:57], off, off offset:120
	v_sub_f32_e32 v16, v16, v48
	v_mul_f32_e32 v48, v63, v77
	v_fma_f32 v48, v62, v76, -v48
	v_sub_f32_e32 v16, v16, v48
	v_mul_f32_e32 v48, v65, v79
	v_fma_f32 v48, v64, v78, -v48
	v_sub_f32_e32 v16, v16, v48
	s_waitcnt vmcnt(10) lgkmcnt(1)
	v_mul_f32_e32 v48, v67, v81
	v_mul_f32_e32 v62, v66, v81
	v_fma_f32 v48, v66, v80, -v48
	v_fmac_f32_e32 v62, v67, v80
	v_sub_f32_e32 v16, v16, v48
	v_sub_f32_e32 v17, v17, v62
	v_mul_f32_e32 v48, v69, v83
	v_mul_f32_e32 v62, v68, v83
	v_fma_f32 v48, v68, v82, -v48
	v_fmac_f32_e32 v62, v69, v82
	scratch_load_dwordx4 v[66:69], off, off offset:128
	v_sub_f32_e32 v17, v17, v62
	v_sub_f32_e32 v16, v16, v48
	ds_read_b128 v[74:77], v86 offset:7760
	s_waitcnt vmcnt(10) lgkmcnt(1)
	v_mul_f32_e32 v62, v70, v85
	v_mul_f32_e32 v48, v71, v85
	v_fmac_f32_e32 v62, v71, v84
	v_fma_f32 v48, v70, v84, -v48
	v_sub_f32_e32 v17, v17, v62
	ds_read_b128 v[62:65], v86 offset:7744
	v_sub_f32_e32 v16, v16, v48
	s_waitcnt vmcnt(9)
	v_mul_f32_e32 v70, v72, v89
	v_mul_f32_e32 v48, v73, v89
	v_fmac_f32_e32 v70, v73, v88
	v_fma_f32 v48, v72, v88, -v48
	v_sub_f32_e32 v17, v17, v70
	scratch_load_dwordx4 v[70:73], off, off offset:136
	v_sub_f32_e32 v16, v16, v48
	s_waitcnt vmcnt(9) lgkmcnt(0)
	v_mul_f32_e32 v48, v63, v91
	v_fma_f32 v48, v62, v90, -v48
	v_mul_f32_e32 v62, v62, v91
	v_fmac_f32_e32 v62, v63, v90
	v_sub_f32_e32 v17, v17, v62
	s_waitcnt vmcnt(8)
	v_mul_f32_e32 v62, v64, v93
	v_sub_f32_e32 v16, v16, v48
	v_mul_f32_e32 v48, v65, v93
	v_fmac_f32_e32 v62, v65, v92
	v_fma_f32 v48, v64, v92, -v48
	v_sub_f32_e32 v17, v17, v62
	scratch_load_dwordx4 v[62:65], off, off offset:144
	v_sub_f32_e32 v16, v16, v48
	ds_read_b96 v[82:84], v86 offset:7776
	s_waitcnt vmcnt(8)
	v_mul_f32_e32 v48, v75, v5
	v_fma_f32 v48, v74, v4, -v48
	v_sub_f32_e32 v16, v16, v48
	v_mov_b32_e32 v48, 0x1eac
	v_mul_f32_e32 v5, v74, v5
	ds_read2_b32 v[88:89], v48 offset1:1
	v_mov_b32_e32 v48, 0x1e6c
	v_fmac_f32_e32 v5, v75, v4
	s_waitcnt vmcnt(7)
	v_mul_f32_e32 v4, v77, v95
	ds_read2_b32 v[90:91], v48 offset1:1
	v_fma_f32 v4, v76, v94, -v4
	v_mul_f32_e32 v79, v76, v95
	v_pk_add_f32 v[4:5], v[16:17], v[4:5] neg_lo:[0,1] neg_hi:[0,1]
	s_waitcnt vmcnt(6) lgkmcnt(2)
	v_mul_f32_e32 v16, v83, v97
	v_fmac_f32_e32 v79, v77, v94
	v_fma_f32 v78, v82, v96, -v16
	scratch_load_dwordx4 v[74:77], off, off offset:152
	v_pk_add_f32 v[4:5], v[4:5], v[78:79] neg_lo:[0,1] neg_hi:[0,1]
	v_mov_b32_e32 v78, v83
	v_mov_b32_e32 v79, v84
	;; [unrolled: 1-line block ×3, first 2 shown]
	s_waitcnt vmcnt(5)
	v_mov_b32_e32 v81, v98
	v_pk_mul_f32 v[92:93], v[78:79], v[80:81]
	scratch_load_dwordx4 v[78:81], off, off offset:160
	s_waitcnt lgkmcnt(0)
	v_mov_b32_e32 v94, v90
	v_mov_b32_e32 v95, v82
	v_mov_b32_e32 v48, v99
	v_mov_b32_e32 v96, v99
	v_pk_fma_f32 v[82:83], v[90:91], v[48:49], v[92:93] op_sel:[0,0,1] op_sel_hi:[1,1,0] neg_lo:[1,0,0] neg_hi:[1,0,0]
	v_pk_fma_f32 v[92:93], v[94:95], v[96:97], v[92:93] op_sel:[0,0,1] op_sel_hi:[1,1,0]
	v_mov_b32_e32 v48, 0x1e74
	v_mov_b32_e32 v83, v93
	ds_read2_b32 v[92:93], v48 offset1:1
	v_mov_b32_e32 v17, v98
	v_mov_b32_e32 v98, v47
	;; [unrolled: 1-line block ×4, first 2 shown]
	s_waitcnt lgkmcnt(0)
	v_mov_b32_e32 v94, v92
	v_pk_add_f32 v[4:5], v[4:5], v[82:83] neg_lo:[0,1] neg_hi:[0,1]
	v_mov_b32_e32 v82, v46
	s_waitcnt vmcnt(5)
	v_mov_b32_e32 v83, v54
	v_pk_mul_f32 v[84:85], v[94:95], v[98:99]
	v_mov_b32_e32 v46, v55
	v_pk_fma_f32 v[94:95], v[90:91], v[82:83], v[84:85] op_sel:[1,0,0] op_sel_hi:[0,1,1] neg_lo:[0,0,1] neg_hi:[0,0,1]
	v_pk_fma_f32 v[16:17], v[90:91], v[16:17], v[84:85] op_sel:[1,0,0] op_sel_hi:[0,1,1]
	scratch_load_dwordx2 v[84:85], off, off offset:176
	v_mov_b32_e32 v16, 0x1e7c
	v_mov_b32_e32 v95, v17
	ds_read2_b32 v[16:17], v16 offset1:1
	v_pk_mul_f32 v[82:83], v[92:93], v[82:83]
	v_pk_add_f32 v[4:5], v[4:5], v[94:95] neg_lo:[0,1] neg_hi:[0,1]
	v_mov_b32_e32 v94, v54
	v_mov_b32_e32 v95, v56
	s_waitcnt lgkmcnt(0)
	v_mov_b32_e32 v90, v16
	v_mov_b32_e32 v54, v57
	v_pk_fma_f32 v[56:57], v[16:17], v[46:47], v[82:83] op_sel:[0,0,1] op_sel_hi:[1,1,0] neg_lo:[1,0,0] neg_hi:[1,0,0]
	v_pk_fma_f32 v[46:47], v[90:91], v[46:47], v[82:83] op_sel:[0,0,1] op_sel_hi:[1,1,0]
	v_pk_mul_f32 v[82:83], v[16:17], v[94:95]
	v_mov_b32_e32 v46, 0x1e84
	v_mov_b32_e32 v57, v47
	ds_read2_b32 v[46:47], v46 offset1:1
	v_pk_add_f32 v[4:5], v[4:5], v[56:57] neg_lo:[0,1] neg_hi:[0,1]
	s_waitcnt vmcnt(5)
	v_mov_b32_e32 v56, v66
	v_mov_b32_e32 v57, v68
	;; [unrolled: 1-line block ×3, first 2 shown]
	s_waitcnt lgkmcnt(0)
	v_mov_b32_e32 v92, v46
	v_pk_fma_f32 v[68:69], v[46:47], v[54:55], v[82:83] op_sel:[0,0,1] op_sel_hi:[1,1,0] neg_lo:[1,0,0] neg_hi:[1,0,0]
	v_pk_fma_f32 v[54:55], v[92:93], v[54:55], v[82:83] op_sel:[0,0,1] op_sel_hi:[1,1,0]
	v_mov_b32_e32 v16, 0x1e8c
	v_mov_b32_e32 v69, v55
	ds_read2_b32 v[54:55], v16 offset1:1
	v_pk_mul_f32 v[56:57], v[46:47], v[56:57]
	v_pk_add_f32 v[4:5], v[4:5], v[68:69] neg_lo:[0,1] neg_hi:[0,1]
	s_waitcnt vmcnt(4)
	v_mov_b32_e32 v68, v70
	v_mov_b32_e32 v69, v72
	s_waitcnt lgkmcnt(0)
	v_mov_b32_e32 v16, v54
	v_pk_fma_f32 v[16:17], v[16:17], v[66:67], v[56:57] op_sel:[0,0,1] op_sel_hi:[1,1,0]
	v_mov_b32_e32 v70, v73
	v_pk_fma_f32 v[72:73], v[54:55], v[66:67], v[56:57] op_sel:[0,0,1] op_sel_hi:[1,1,0] neg_lo:[1,0,0] neg_hi:[1,0,0]
	v_mov_b32_e32 v16, 0x1e94
	v_mov_b32_e32 v73, v17
	ds_read2_b32 v[16:17], v16 offset1:1
	v_pk_mul_f32 v[66:67], v[54:55], v[68:69]
	s_waitcnt vmcnt(3)
	v_mov_b32_e32 v56, v62
	v_mov_b32_e32 v57, v64
	;; [unrolled: 1-line block ×3, first 2 shown]
	s_waitcnt lgkmcnt(0)
	v_mov_b32_e32 v46, v16
	v_pk_fma_f32 v[46:47], v[46:47], v[70:71], v[66:67] op_sel:[0,0,1] op_sel_hi:[1,1,0]
	v_pk_fma_f32 v[64:65], v[16:17], v[70:71], v[66:67] op_sel:[0,0,1] op_sel_hi:[1,1,0] neg_lo:[1,0,0] neg_hi:[1,0,0]
	v_mov_b32_e32 v46, 0x1e9c
	v_mov_b32_e32 v65, v47
	ds_read2_b32 v[46:47], v46 offset1:1
	v_pk_mul_f32 v[56:57], v[16:17], v[56:57]
	v_mov_b32_e32 v16, 0x1ea4
	v_pk_add_f32 v[4:5], v[4:5], v[72:73] neg_lo:[0,1] neg_hi:[0,1]
	s_waitcnt lgkmcnt(0)
	v_mov_b32_e32 v54, v46
	v_pk_fma_f32 v[66:67], v[46:47], v[62:63], v[56:57] op_sel:[0,0,1] op_sel_hi:[1,1,0] neg_lo:[1,0,0] neg_hi:[1,0,0]
	v_pk_fma_f32 v[54:55], v[54:55], v[62:63], v[56:57] op_sel:[0,0,1] op_sel_hi:[1,1,0]
	v_pk_add_f32 v[4:5], v[4:5], v[64:65] neg_lo:[0,1] neg_hi:[0,1]
	v_mov_b32_e32 v67, v55
	ds_read2_b32 v[54:55], v16 offset1:1
	s_waitcnt vmcnt(2)
	v_mov_b32_e32 v64, v74
	v_mov_b32_e32 v65, v76
	;; [unrolled: 1-line block ×3, first 2 shown]
	v_pk_mul_f32 v[62:63], v[46:47], v[64:65]
	s_waitcnt lgkmcnt(0)
	v_mov_b32_e32 v16, v54
	s_waitcnt vmcnt(1)
	v_mov_b32_e32 v56, v78
	v_mov_b32_e32 v57, v80
	v_pk_fma_f32 v[64:65], v[54:55], v[74:75], v[62:63] op_sel:[0,0,1] op_sel_hi:[1,1,0] neg_lo:[1,0,0] neg_hi:[1,0,0]
	v_pk_fma_f32 v[16:17], v[16:17], v[74:75], v[62:63] op_sel:[0,0,1] op_sel_hi:[1,1,0]
	v_mov_b32_e32 v78, v81
	v_mov_b32_e32 v65, v17
	v_pk_mul_f32 v[16:17], v[54:55], v[56:57]
	v_mov_b32_e32 v46, v88
	v_pk_fma_f32 v[56:57], v[46:47], v[78:79], v[16:17] op_sel:[0,0,1] op_sel_hi:[1,1,0] neg_lo:[1,0,0] neg_hi:[1,0,0]
	v_pk_fma_f32 v[16:17], v[46:47], v[78:79], v[16:17] op_sel:[0,0,1] op_sel_hi:[1,1,0]
	v_pk_add_f32 v[4:5], v[4:5], v[66:67] neg_lo:[0,1] neg_hi:[0,1]
	v_mov_b32_e32 v16, 0x1eb4
	v_mov_b32_e32 v57, v17
	ds_read2_b32 v[16:17], v16 offset1:1
	v_pk_add_f32 v[4:5], v[4:5], v[64:65] neg_lo:[0,1] neg_hi:[0,1]
	v_mul_f32_e32 v46, v55, v81
	v_fmac_f32_e32 v46, v88, v80
	v_pk_add_f32 v[4:5], v[4:5], v[56:57] neg_lo:[0,1] neg_hi:[0,1]
	s_waitcnt vmcnt(0)
	v_mul_f32_e32 v54, v89, v85
	v_sub_f32_e32 v5, v5, v46
	s_waitcnt lgkmcnt(0)
	v_mul_f32_e32 v46, v16, v85
	v_fma_f32 v48, v89, v84, -v46
	v_mov_b32_e32 v46, 0x1ebc
	ds_read2_b32 v[46:47], v46 offset1:1
	v_fmac_f32_e32 v54, v16, v84
	v_sub_f32_e32 v16, v4, v48
	v_sub_f32_e32 v48, v5, v54
	s_waitcnt lgkmcnt(0)
	v_mul_f32_e32 v4, v46, v9
	v_fma_f32 v54, v17, v8, -v4
	v_mov_b32_e32 v4, 0x1ec4
	ds_read2_b32 v[4:5], v4 offset1:1
	v_mul_f32_e32 v17, v17, v9
	v_fmac_f32_e32 v17, v46, v8
	v_sub_f32_e32 v46, v16, v54
	v_sub_f32_e32 v48, v48, v17
	s_waitcnt lgkmcnt(0)
	v_mul_f32_e32 v16, v4, v15
	v_fma_f32 v54, v47, v14, -v16
	v_mov_b32_e32 v16, 0x1ecc
	ds_read2_b32 v[16:17], v16 offset1:1
	v_mul_f32_e32 v47, v47, v15
	;; [unrolled: 9-line block ×6, first 2 shown]
	v_fmac_f32_e32 v5, v16, v34
	v_sub_f32_e32 v4, v4, v54
	ds_read_b128 v[54:57], v86 offset:7936
	s_waitcnt lgkmcnt(1)
	v_mul_f32_e32 v16, v46, v39
	v_fma_f32 v16, v17, v38, -v16
	v_mul_f32_e32 v17, v17, v39
	v_sub_f32_e32 v5, v48, v5
	v_fmac_f32_e32 v17, v46, v38
	v_sub_f32_e32 v5, v5, v17
	v_sub_f32_e32 v16, v4, v16
	v_mul_f32_e32 v4, v49, v5
	v_mul_f32_e32 v5, v47, v5
	v_fma_f32 v4, v47, v16, -v4
	v_fmac_f32_e32 v5, v49, v16
	s_waitcnt lgkmcnt(0)
	v_mul_f32_e32 v16, v55, v25
	v_mul_f32_e32 v17, v54, v25
	ds_read_b128 v[46:49], v86 offset:7952
	ds_read_b128 v[62:65], v86 offset:7968
	;; [unrolled: 1-line block ×3, first 2 shown]
	v_fma_f32 v16, v54, v24, -v16
	v_fmac_f32_e32 v17, v55, v24
	v_sub_f32_e32 v16, v18, v16
	v_sub_f32_e32 v17, v19, v17
	v_mul_f32_e32 v18, v57, v29
	v_mul_f32_e32 v19, v56, v29
	v_fma_f32 v18, v56, v28, -v18
	v_fmac_f32_e32 v19, v57, v28
	v_sub_f32_e32 v16, v16, v18
	v_sub_f32_e32 v17, v17, v19
	s_waitcnt lgkmcnt(2)
	v_mul_f32_e32 v18, v47, v33
	v_mul_f32_e32 v19, v46, v33
	v_fma_f32 v18, v46, v32, -v18
	v_fmac_f32_e32 v19, v47, v32
	v_sub_f32_e32 v16, v16, v18
	v_sub_f32_e32 v17, v17, v19
	v_mul_f32_e32 v18, v49, v37
	v_mul_f32_e32 v19, v48, v37
	v_fma_f32 v18, v48, v36, -v18
	v_fmac_f32_e32 v19, v49, v36
	v_sub_f32_e32 v16, v16, v18
	v_sub_f32_e32 v17, v17, v19
	s_waitcnt lgkmcnt(1)
	v_mul_f32_e32 v18, v63, v41
	v_mul_f32_e32 v19, v62, v41
	v_fma_f32 v18, v62, v40, -v18
	v_fmac_f32_e32 v19, v63, v40
	v_sub_f32_e32 v24, v16, v18
	v_sub_f32_e32 v25, v17, v19
	scratch_load_dwordx4 v[16:19], off, off offset:128
	v_mul_f32_e32 v28, v65, v21
	v_fma_f32 v28, v64, v20, -v28
	v_mul_f32_e32 v21, v64, v21
	ds_read_b128 v[46:49], v86 offset:8000
	v_fmac_f32_e32 v21, v65, v20
	v_sub_f32_e32 v20, v24, v28
	s_waitcnt lgkmcnt(1)
	v_mul_f32_e32 v24, v67, v11
	v_fma_f32 v24, v66, v10, -v24
	v_mul_f32_e32 v11, v66, v11
	v_fmac_f32_e32 v11, v67, v10
	v_sub_f32_e32 v10, v20, v24
	v_mul_f32_e32 v20, v69, v13
	v_sub_f32_e32 v21, v25, v21
	v_fma_f32 v20, v68, v12, -v20
	v_mul_f32_e32 v13, v68, v13
	v_sub_f32_e32 v11, v21, v11
	v_fmac_f32_e32 v13, v69, v12
	v_sub_f32_e32 v20, v10, v20
	s_waitcnt lgkmcnt(0)
	v_mul_f32_e32 v10, v47, v51
	v_sub_f32_e32 v21, v11, v13
	v_fma_f32 v24, v46, v50, -v10
	scratch_load_dwordx4 v[10:13], off, off offset:136
	v_mul_f32_e32 v25, v46, v51
	v_fmac_f32_e32 v25, v47, v50
	v_sub_f32_e32 v20, v20, v24
	v_sub_f32_e32 v21, v21, v25
	v_mul_f32_e32 v24, v49, v53
	v_mul_f32_e32 v25, v48, v53
	v_fma_f32 v24, v48, v52, -v24
	v_fmac_f32_e32 v25, v49, v52
	scratch_load_dwordx4 v[46:49], off, off offset:144
	ds_read_b128 v[54:57], v86 offset:8016
	scratch_load_dwordx4 v[62:65], off, off offset:152
	ds_read_b128 v[50:53], v86 offset:8032
	v_sub_f32_e32 v20, v20, v24
	v_sub_f32_e32 v21, v21, v25
	s_waitcnt lgkmcnt(1)
	v_mul_f32_e32 v24, v55, v59
	v_fma_f32 v24, v54, v58, -v24
	v_sub_f32_e32 v20, v20, v24
	v_mul_f32_e32 v24, v57, v61
	v_fma_f32 v24, v56, v60, -v24
	v_sub_f32_e32 v20, v20, v24
	s_waitcnt lgkmcnt(0)
	v_mul_f32_e32 v24, v51, v43
	v_mul_f32_e32 v29, v50, v43
	v_fma_f32 v24, v50, v42, -v24
	v_fmac_f32_e32 v29, v51, v42
	scratch_load_dwordx4 v[40:43], off, off offset:160
	v_mul_f32_e32 v25, v54, v59
	v_fmac_f32_e32 v25, v55, v58
	v_sub_f32_e32 v21, v21, v25
	v_mul_f32_e32 v25, v56, v61
	v_fmac_f32_e32 v25, v57, v60
	scratch_load_dwordx4 v[54:57], off, off offset:168
	ds_read_b96 v[58:60], v86 offset:8048
	v_pk_add_f32 v[20:21], v[20:21], v[24:25] neg_lo:[0,1] neg_hi:[0,1]
	v_mul_f32_e32 v24, v53, v45
	v_fma_f32 v28, v52, v44, -v24
	v_pk_add_f32 v[20:21], v[20:21], v[28:29] neg_lo:[0,1] neg_hi:[0,1]
	v_mov_b32_e32 v28, v53
	s_waitcnt lgkmcnt(0)
	v_mov_b32_e32 v29, v58
	v_mov_b32_e32 v36, v44
	;; [unrolled: 1-line block ×5, first 2 shown]
	v_pk_mul_f32 v[28:29], v[28:29], v[36:37]
	v_mov_b32_e32 v36, v59
	v_mov_b32_e32 v37, v52
	;; [unrolled: 1-line block ×4, first 2 shown]
	v_pk_fma_f32 v[50:51], v[32:33], v[50:51], v[28:29] op_sel:[0,0,1] op_sel_hi:[1,1,0] neg_lo:[1,0,0] neg_hi:[1,0,0]
	v_pk_fma_f32 v[28:29], v[36:37], v[44:45], v[28:29] op_sel:[0,0,1] op_sel_hi:[1,1,0]
	v_mov_b32_e32 v25, v6
	v_mov_b32_e32 v28, 0x1f7c
	;; [unrolled: 1-line block ×3, first 2 shown]
	ds_read2_b32 v[28:29], v28 offset1:1
	v_mov_b32_e32 v6, v3
	v_mov_b32_e32 v45, v58
	;; [unrolled: 1-line block ×4, first 2 shown]
	s_waitcnt lgkmcnt(0)
	v_mov_b32_e32 v44, v28
	s_waitcnt vmcnt(5)
	v_mov_b32_e32 v37, v16
	v_pk_mul_f32 v[6:7], v[44:45], v[6:7]
	v_pk_add_f32 v[20:21], v[20:21], v[50:51] neg_lo:[0,1] neg_hi:[0,1]
	v_pk_fma_f32 v[44:45], v[32:33], v[36:37], v[6:7] op_sel:[1,0,0] op_sel_hi:[0,1,1] neg_lo:[0,0,1] neg_hi:[0,0,1]
	v_pk_fma_f32 v[6:7], v[32:33], v[24:25], v[6:7] op_sel:[1,0,0] op_sel_hi:[0,1,1]
	v_mov_b32_e32 v45, v7
	v_pk_add_f32 v[6:7], v[20:21], v[44:45] neg_lo:[0,1] neg_hi:[0,1]
	v_mov_b32_e32 v20, 0x1f84
	ds_read2_b32 v[20:21], v20 offset1:1
	v_mov_b32_e32 v2, v17
	v_mov_b32_e32 v24, v16
	;; [unrolled: 1-line block ×3, first 2 shown]
	v_pk_mul_f32 v[32:33], v[28:29], v[36:37]
	v_mov_b32_e32 v16, v19
	s_waitcnt lgkmcnt(0)
	v_mov_b32_e32 v18, v20
	v_mov_b32_e32 v19, v60
	v_pk_fma_f32 v[36:37], v[20:21], v[2:3], v[32:33] op_sel:[0,0,1] op_sel_hi:[1,1,0] neg_lo:[1,0,0] neg_hi:[1,0,0]
	v_pk_fma_f32 v[2:3], v[18:19], v[2:3], v[32:33] op_sel:[0,0,1] op_sel_hi:[1,1,0]
	v_pk_mul_f32 v[24:25], v[20:21], v[24:25]
	v_mov_b32_e32 v37, v3
	v_pk_add_f32 v[2:3], v[6:7], v[36:37] neg_lo:[0,1] neg_hi:[0,1]
	v_mov_b32_e32 v6, 0x1f8c
	ds_read2_b32 v[6:7], v6 offset1:1
	s_waitcnt vmcnt(4)
	v_mov_b32_e32 v18, v10
	v_mov_b32_e32 v19, v12
	;; [unrolled: 1-line block ×3, first 2 shown]
	s_waitcnt lgkmcnt(0)
	v_mov_b32_e32 v28, v6
	v_pk_fma_f32 v[12:13], v[6:7], v[16:17], v[24:25] op_sel:[0,0,1] op_sel_hi:[1,1,0] neg_lo:[1,0,0] neg_hi:[1,0,0]
	v_pk_fma_f32 v[16:17], v[28:29], v[16:17], v[24:25] op_sel:[0,0,1] op_sel_hi:[1,1,0]
	v_pk_mul_f32 v[18:19], v[6:7], v[18:19]
	v_mov_b32_e32 v13, v17
	v_pk_add_f32 v[2:3], v[2:3], v[12:13] neg_lo:[0,1] neg_hi:[0,1]
	v_mov_b32_e32 v12, 0x1f94
	ds_read2_b32 v[12:13], v12 offset1:1
	v_mov_b32_e32 v6, 0x1f9c
	s_waitcnt vmcnt(3)
	v_mov_b32_e32 v16, v46
	v_mov_b32_e32 v17, v48
	;; [unrolled: 1-line block ×3, first 2 shown]
	s_waitcnt lgkmcnt(0)
	v_mov_b32_e32 v20, v12
	v_pk_fma_f32 v[24:25], v[12:13], v[10:11], v[18:19] op_sel:[0,0,1] op_sel_hi:[1,1,0] neg_lo:[1,0,0] neg_hi:[1,0,0]
	v_pk_fma_f32 v[10:11], v[20:21], v[10:11], v[18:19] op_sel:[0,0,1] op_sel_hi:[1,1,0]
	v_pk_mul_f32 v[16:17], v[12:13], v[16:17]
	v_mov_b32_e32 v25, v11
	ds_read2_b32 v[10:11], v6 offset1:1
	s_waitcnt vmcnt(2)
	v_mov_b32_e32 v18, v62
	v_mov_b32_e32 v19, v64
	v_pk_add_f32 v[2:3], v[2:3], v[24:25] neg_lo:[0,1] neg_hi:[0,1]
	v_mov_b32_e32 v62, v65
	s_waitcnt lgkmcnt(0)
	v_mov_b32_e32 v6, v10
	v_pk_fma_f32 v[6:7], v[6:7], v[46:47], v[16:17] op_sel:[0,0,1] op_sel_hi:[1,1,0]
	v_pk_fma_f32 v[20:21], v[10:11], v[46:47], v[16:17] op_sel:[0,0,1] op_sel_hi:[1,1,0] neg_lo:[1,0,0] neg_hi:[1,0,0]
	v_mov_b32_e32 v6, 0x1fa4
	v_mov_b32_e32 v21, v7
	ds_read2_b32 v[6:7], v6 offset1:1
	v_pk_mul_f32 v[18:19], v[10:11], v[18:19]
	v_pk_add_f32 v[2:3], v[2:3], v[20:21] neg_lo:[0,1] neg_hi:[0,1]
	v_mov_b32_e32 v10, 0x1fac
	s_waitcnt vmcnt(1)
	v_mov_b32_e32 v16, v40
	s_waitcnt lgkmcnt(0)
	v_mov_b32_e32 v12, v6
	v_pk_fma_f32 v[20:21], v[6:7], v[62:63], v[18:19] op_sel:[0,0,1] op_sel_hi:[1,1,0] neg_lo:[1,0,0] neg_hi:[1,0,0]
	v_pk_fma_f32 v[12:13], v[12:13], v[62:63], v[18:19] op_sel:[0,0,1] op_sel_hi:[1,1,0]
	v_mov_b32_e32 v17, v42
	v_mov_b32_e32 v21, v13
	ds_read2_b32 v[12:13], v10 offset1:1
	v_mov_b32_e32 v40, v43
	v_pk_mul_f32 v[16:17], v[6:7], v[16:17]
	v_mov_b32_e32 v6, 0x1fbc
	v_pk_add_f32 v[2:3], v[2:3], v[20:21] neg_lo:[0,1] neg_hi:[0,1]
	s_waitcnt lgkmcnt(0)
	v_mov_b32_e32 v10, v12
	v_pk_fma_f32 v[20:21], v[12:13], v[40:41], v[16:17] op_sel:[0,0,1] op_sel_hi:[1,1,0] neg_lo:[1,0,0] neg_hi:[1,0,0]
	v_pk_fma_f32 v[10:11], v[10:11], v[40:41], v[16:17] op_sel:[0,0,1] op_sel_hi:[1,1,0]
	ds_read2_b32 v[16:17], v6 offset1:1
	v_mov_b32_e32 v6, 0x1fb4
	ds_read2_b32 v[24:25], v6 offset1:1
	s_waitcnt vmcnt(0)
	v_mov_b32_e32 v18, v54
	v_mov_b32_e32 v19, v56
	;; [unrolled: 1-line block ×4, first 2 shown]
	v_pk_mul_f32 v[10:11], v[12:13], v[18:19]
	s_waitcnt lgkmcnt(0)
	v_mov_b32_e32 v6, v24
	v_pk_fma_f32 v[18:19], v[24:25], v[54:55], v[10:11] op_sel:[0,0,1] op_sel_hi:[1,1,0] neg_lo:[1,0,0] neg_hi:[1,0,0]
	v_pk_fma_f32 v[6:7], v[6:7], v[54:55], v[10:11] op_sel:[0,0,1] op_sel_hi:[1,1,0]
	v_mov_b32_e32 v10, v57
	v_mov_b32_e32 v19, v7
	;; [unrolled: 1-line block ×5, first 2 shown]
	v_mul_f32_e32 v12, v16, v9
	v_pk_mul_f32 v[6:7], v[6:7], v[10:11]
	v_mov_b32_e32 v10, v24
	v_mov_b32_e32 v11, v16
	v_mov_b32_e32 v57, v8
	v_mov_b32_e32 v9, 0x1fc4
	v_pk_fma_f32 v[6:7], v[10:11], v[56:57], v[6:7]
	ds_read2_b32 v[10:11], v9 offset1:1
	v_pk_add_f32 v[2:3], v[2:3], v[20:21] neg_lo:[0,1] neg_hi:[0,1]
	v_fma_f32 v8, v25, v8, -v12
	v_pk_add_f32 v[2:3], v[2:3], v[18:19] neg_lo:[0,1] neg_hi:[0,1]
	v_mul_f32_e32 v9, v17, v15
	v_sub_f32_e32 v8, v2, v8
	v_sub_f32_e32 v2, v3, v6
	;; [unrolled: 1-line block ×3, first 2 shown]
	s_waitcnt lgkmcnt(0)
	v_mul_f32_e32 v2, v10, v15
	v_fma_f32 v7, v17, v14, -v2
	v_mov_b32_e32 v2, 0x1fcc
	ds_read2_b32 v[2:3], v2 offset1:1
	v_fmac_f32_e32 v9, v10, v14
	v_sub_f32_e32 v9, v6, v9
	v_sub_f32_e32 v8, v8, v7
	s_waitcnt lgkmcnt(0)
	v_mul_f32_e32 v6, v2, v23
	v_fma_f32 v10, v11, v22, -v6
	v_mov_b32_e32 v6, 0x1fd4
	ds_read2_b32 v[6:7], v6 offset1:1
	v_mul_f32_e32 v11, v11, v23
	v_fmac_f32_e32 v11, v2, v22
	v_sub_f32_e32 v2, v8, v10
	v_sub_f32_e32 v10, v9, v11
	s_waitcnt lgkmcnt(0)
	v_mul_f32_e32 v8, v6, v27
	v_fma_f32 v11, v3, v26, -v8
	v_mov_b32_e32 v8, 0x1fdc
	v_mul_f32_e32 v3, v3, v27
	ds_read2_b32 v[8:9], v8 offset1:1
	v_fmac_f32_e32 v3, v6, v26
	v_sub_f32_e32 v3, v10, v3
	v_mov_b32_e32 v10, 0x1fe4
	v_sub_f32_e32 v2, v2, v11
	ds_read2_b32 v[10:11], v10 offset1:1
	s_waitcnt lgkmcnt(1)
	v_mul_f32_e32 v6, v8, v31
	v_fma_f32 v6, v7, v30, -v6
	v_mul_f32_e32 v7, v7, v31
	v_sub_f32_e32 v6, v2, v6
	s_waitcnt lgkmcnt(0)
	v_mul_f32_e32 v2, v10, v35
	v_fmac_f32_e32 v7, v8, v30
	v_fma_f32 v8, v9, v34, -v2
	v_mov_b32_e32 v2, 0x1fec
	v_sub_f32_e32 v7, v3, v7
	ds_read2_b32 v[2:3], v2 offset1:1
	v_mul_f32_e32 v9, v9, v35
	v_fmac_f32_e32 v9, v10, v34
	v_sub_f32_e32 v6, v6, v8
	v_sub_f32_e32 v7, v7, v9
	s_waitcnt lgkmcnt(0)
	v_mul_f32_e32 v8, v2, v39
	v_fma_f32 v9, v11, v38, -v8
	ds_read_b32 v8, v86 offset:8180
	v_mul_f32_e32 v10, v11, v39
	v_fmac_f32_e32 v10, v2, v38
	v_sub_f32_e32 v2, v6, v9
	v_sub_f32_e32 v9, v7, v10
	s_waitcnt lgkmcnt(0)
	v_mul_f32_e32 v6, v8, v5
	v_fma_f32 v10, v3, v4, -v6
	ds_read_b64 v[6:7], v86 offset:8184
	v_mul_f32_e32 v3, v3, v5
	v_fmac_f32_e32 v3, v8, v4
	v_sub_f32_e32 v8, v9, v3
	v_sub_f32_e32 v2, v2, v10
	s_waitcnt lgkmcnt(0)
	v_pk_mul_f32 v[8:9], v[6:7], v[8:9] op_sel:[1,0] op_sel_hi:[0,0]
	v_pk_fma_f32 v[10:11], v[6:7], v[2:3], v[8:9] neg_lo:[0,0,1] neg_hi:[0,0,1]
	v_pk_fma_f32 v[2:3], v[6:7], v[2:3], v[8:9] op_sel_hi:[1,0,1]
	s_nop 0
	v_mov_b32_e32 v11, v3
	ds_write2_b64 v87, v[4:5], v[10:11] offset0:192 offset1:224
.LBB168_26:
	s_cmp_lt_i32 s11, s28
	s_cbranch_scc0 .LBB168_42
; %bb.27:
	s_or_b32 s7, s11, 27
	s_cmp_ge_u32 s7, s28
	s_cbranch_scc1 .LBB168_35
; %bb.28:
	s_lshl_b32 s12, s11, 8
	v_add_u32_e32 v63, s12, v1
	ds_read2_b64 v[10:13], v63 offset1:32
	ds_read2_b64 v[14:17], v63 offset0:64 offset1:96
	ds_read2_b64 v[18:21], v63 offset0:128 offset1:160
	;; [unrolled: 1-line block ×3, first 2 shown]
	v_add_u32_e32 v2, 0x800, v63
	s_waitcnt lgkmcnt(3)
	scratch_store_dwordx4 off, v[10:13], off
	ds_read2_b64 v[26:29], v2 offset1:32
	ds_read2_b64 v[30:33], v2 offset0:64 offset1:96
	s_lshl_b32 s10, s7, 8
	v_add_u32_e32 v62, s10, v1
	s_andn2_b64 vcc, exec, s[4:5]
	s_waitcnt lgkmcnt(4)
	scratch_store_dwordx4 off, v[14:17], off offset:16
	s_waitcnt lgkmcnt(3)
	scratch_store_dwordx4 off, v[18:21], off offset:32
	;; [unrolled: 2-line block ×5, first 2 shown]
	ds_read2_b64 v[34:37], v2 offset0:128 offset1:160
	ds_read2_b64 v[38:41], v2 offset0:192 offset1:224
	v_add_u32_e32 v2, 0x1000, v63
	ds_read2_b64 v[42:45], v2 offset1:32
	ds_read2_b64 v[46:49], v2 offset0:64 offset1:96
	ds_read2_b64 v[50:53], v2 offset0:128 offset1:160
	s_waitcnt lgkmcnt(4)
	scratch_store_dwordx4 off, v[34:37], off offset:96
	s_waitcnt lgkmcnt(3)
	scratch_store_dwordx4 off, v[38:41], off offset:112
	s_waitcnt lgkmcnt(2)
	scratch_store_dwordx4 off, v[42:45], off offset:128
	s_waitcnt lgkmcnt(1)
	scratch_store_dwordx4 off, v[46:49], off offset:144
	s_waitcnt lgkmcnt(0)
	scratch_store_dwordx4 off, v[50:53], off offset:160
	ds_read2_b64 v[6:9], v2 offset0:192 offset1:224
	v_add_u32_e32 v2, 0x1800, v63
	ds_read2_b64 v[2:5], v2 offset1:32
	ds_read_b64 v[60:61], v63 offset:6656
	ds_read_b64 v[58:59], v62
	s_waitcnt lgkmcnt(3)
	scratch_store_dwordx2 off, v[6:7], off offset:176
	s_cbranch_vccnz .LBB168_30
; %bb.29:
	scratch_load_dwordx4 v[54:57], off, off
	scratch_load_dwordx2 v[10:11], off, off offset:16
	s_cbranch_execz .LBB168_31
	s_branch .LBB168_34
.LBB168_30:
                                        ; implicit-def: $vgpr55
                                        ; implicit-def: $vgpr10
.LBB168_31:
	scratch_load_dwordx2 v[10:11], off, off
	s_waitcnt vmcnt(2)
	v_mov_b32_e32 v54, 0x2000
	v_lshl_or_b32 v56, v0, 3, v54
	s_mov_b32 s4, s12
	s_mov_b32 s5, s11
.LBB168_32:                             ; =>This Inner Loop Header: Depth=1
	ds_read_b64 v[54:55], v56
	v_mov_b32_e32 v57, s4
	ds_read2_b64 v[64:67], v57 offset1:32
	ds_read2_b64 v[68:71], v57 offset0:64 offset1:96
	ds_read2_b64 v[72:75], v57 offset0:128 offset1:160
	;; [unrolled: 1-line block ×3, first 2 shown]
	v_add_u32_e32 v92, 0x800, v57
	v_add_u32_e32 v108, 0x1000, v57
	;; [unrolled: 1-line block ×3, first 2 shown]
	ds_read2_b64 v[80:83], v92 offset1:32
	ds_read2_b64 v[84:87], v92 offset0:64 offset1:96
	ds_read2_b64 v[88:91], v92 offset0:128 offset1:160
	;; [unrolled: 1-line block ×3, first 2 shown]
	ds_read2_b64 v[96:99], v108 offset1:32
	ds_read2_b64 v[100:103], v108 offset0:64 offset1:96
	ds_read2_b64 v[104:107], v108 offset0:128 offset1:160
	;; [unrolled: 1-line block ×3, first 2 shown]
	ds_read2_b64 v[112:115], v57 offset1:32
	ds_read2_b64 v[116:119], v57 offset0:64 offset1:96
	s_waitcnt lgkmcnt(13)
	v_pk_mul_f32 v[120:121], v[64:65], v[54:55] op_sel:[0,1]
	v_pk_mul_f32 v[122:123], v[66:67], v[54:55] op_sel:[0,1]
	s_waitcnt lgkmcnt(12)
	v_pk_mul_f32 v[124:125], v[68:69], v[54:55] op_sel:[0,1]
	v_pk_mul_f32 v[126:127], v[70:71], v[54:55] op_sel:[0,1]
	s_waitcnt lgkmcnt(11)
	v_pk_mul_f32 v[128:129], v[72:73], v[54:55] op_sel:[0,1]
	v_pk_mul_f32 v[130:131], v[74:75], v[54:55] op_sel:[0,1]
	s_waitcnt lgkmcnt(10)
	v_pk_mul_f32 v[132:133], v[76:77], v[54:55] op_sel:[0,1]
	v_pk_mul_f32 v[134:135], v[78:79], v[54:55] op_sel:[0,1]
	v_pk_fma_f32 v[136:137], v[64:65], v[54:55], v[120:121] op_sel:[0,0,1] op_sel_hi:[1,1,0] neg_lo:[0,0,1] neg_hi:[0,0,1]
	v_pk_fma_f32 v[64:65], v[64:65], v[54:55], v[120:121] op_sel:[0,0,1] op_sel_hi:[1,0,0]
	v_pk_fma_f32 v[120:121], v[66:67], v[54:55], v[122:123] op_sel:[0,0,1] op_sel_hi:[1,1,0] neg_lo:[0,0,1] neg_hi:[0,0,1]
	v_pk_fma_f32 v[66:67], v[66:67], v[54:55], v[122:123] op_sel:[0,0,1] op_sel_hi:[1,0,0]
	;; [unrolled: 2-line block ×8, first 2 shown]
	s_waitcnt lgkmcnt(9)
	v_pk_mul_f32 v[134:135], v[80:81], v[54:55] op_sel:[0,1]
	v_pk_mul_f32 v[138:139], v[82:83], v[54:55] op_sel:[0,1]
	s_waitcnt lgkmcnt(8)
	v_pk_mul_f32 v[140:141], v[84:85], v[54:55] op_sel:[0,1]
	v_pk_mul_f32 v[142:143], v[86:87], v[54:55] op_sel:[0,1]
	;; [unrolled: 3-line block ×8, first 2 shown]
	v_mov_b32_e32 v137, v65
	s_waitcnt lgkmcnt(1)
	v_pk_mul_f32 v[64:65], v[112:113], v[54:55] op_sel:[0,1]
	v_mov_b32_e32 v121, v67
	v_pk_mul_f32 v[66:67], v[114:115], v[54:55] op_sel:[0,1]
	v_mov_b32_e32 v123, v69
	s_waitcnt lgkmcnt(0)
	v_pk_mul_f32 v[68:69], v[116:117], v[54:55] op_sel:[0,1]
	v_mov_b32_e32 v125, v71
	v_pk_mul_f32 v[70:71], v[118:119], v[54:55] op_sel:[0,1]
	v_mov_b32_e32 v127, v73
	v_mov_b32_e32 v129, v75
	;; [unrolled: 1-line block ×4, first 2 shown]
	v_pk_fma_f32 v[72:73], v[80:81], v[54:55], v[134:135] op_sel:[0,0,1] op_sel_hi:[1,1,0] neg_lo:[0,0,1] neg_hi:[0,0,1]
	v_pk_fma_f32 v[74:75], v[80:81], v[54:55], v[134:135] op_sel:[0,0,1] op_sel_hi:[1,0,0]
	v_pk_fma_f32 v[76:77], v[82:83], v[54:55], v[138:139] op_sel:[0,0,1] op_sel_hi:[1,1,0] neg_lo:[0,0,1] neg_hi:[0,0,1]
	v_pk_fma_f32 v[78:79], v[82:83], v[54:55], v[138:139] op_sel:[0,0,1] op_sel_hi:[1,0,0]
	;; [unrolled: 2-line block ×20, first 2 shown]
	s_add_i32 s5, s5, -1
	s_add_i32 s4, s4, 8
	v_mov_b32_e32 v73, v75
	v_mov_b32_e32 v77, v79
	;; [unrolled: 1-line block ×20, first 2 shown]
	v_add_u32_e32 v56, 0x100, v56
	s_cmp_lg_u32 s5, 0
	s_waitcnt vmcnt(0)
	v_pk_add_f32 v[10:11], v[10:11], v[136:137] neg_lo:[0,1] neg_hi:[0,1]
	v_pk_add_f32 v[12:13], v[12:13], v[120:121] neg_lo:[0,1] neg_hi:[0,1]
	;; [unrolled: 1-line block ×28, first 2 shown]
	s_cbranch_scc1 .LBB168_32
; %bb.33:
	scratch_store_dwordx4 off, v[10:13], off
	scratch_store_dwordx4 off, v[14:17], off offset:16
	scratch_store_dwordx4 off, v[18:21], off offset:32
	;; [unrolled: 1-line block ×10, first 2 shown]
	scratch_store_dwordx2 off, v[6:7], off offset:176
	v_mov_b32_e32 v55, v11
	v_mov_b32_e32 v54, v10
	;; [unrolled: 1-line block ×6, first 2 shown]
.LBB168_34:
	s_lshl_b32 s5, s11, 3
	s_add_i32 s13, s5, s12
	v_mov_b32_e32 v22, s13
	ds_read2_b64 v[16:19], v22 offset1:66
	s_or_b32 s13, s12, 0x100
	s_add_i32 s14, s5, s13
	v_mov_b32_e32 v12, s14
	s_or_b32 s4, s11, 28
	s_waitcnt vmcnt(1) lgkmcnt(0)
	v_mul_f32_e32 v6, v17, v55
	v_mul_f32_e32 v7, v16, v55
	v_fma_f32 v6, v16, v54, -v6
	v_fmac_f32_e32 v7, v17, v54
	ds_read_b128 v[14:17], v12
	scratch_store_dwordx2 off, v[6:7], off
	ds_write_b64 v63, v[6:7]
	s_waitcnt lgkmcnt(1)
	v_mul_f32_e32 v13, v14, v7
	v_mul_f32_e32 v12, v15, v7
	v_fmac_f32_e32 v13, v15, v6
	v_fma_f32 v12, v14, v6, -v12
	v_sub_f32_e32 v13, v57, v13
	v_sub_f32_e32 v12, v56, v12
	v_mul_f32_e32 v14, v17, v13
	v_mul_f32_e32 v15, v16, v13
	v_fma_f32 v14, v16, v12, -v14
	v_fmac_f32_e32 v15, v17, v12
	v_add_u32_e32 v12, s13, v1
	s_or_b32 s13, s12, 0x200
	s_add_i32 s14, s5, s13
	ds_write_b64 v12, v[14:15]
	v_mov_b32_e32 v12, s14
	ds_read_b128 v[24:27], v12
	scratch_store_dwordx2 off, v[14:15], off offset:8
	s_waitcnt lgkmcnt(0)
	v_mul_f32_e32 v13, v24, v7
	v_mul_f32_e32 v12, v25, v7
	v_fmac_f32_e32 v13, v25, v6
	v_fma_f32 v12, v24, v6, -v12
	s_waitcnt vmcnt(2)
	v_sub_f32_e32 v11, v11, v13
	v_mul_f32_e32 v13, v26, v15
	v_sub_f32_e32 v10, v10, v12
	v_mul_f32_e32 v12, v27, v15
	v_fmac_f32_e32 v13, v27, v14
	v_fma_f32 v12, v26, v14, -v12
	v_sub_f32_e32 v11, v11, v13
	v_sub_f32_e32 v10, v10, v12
	v_mul_f32_e32 v12, v19, v11
	v_mul_f32_e32 v17, v18, v11
	v_fma_f32 v16, v18, v10, -v12
	v_fmac_f32_e32 v17, v19, v10
	v_add_u32_e32 v10, s13, v1
	ds_write_b64 v10, v[16:17]
	scratch_load_dwordx4 v[10:13], off, off offset:24
	s_or_b32 s13, s12, 0x300
	s_add_i32 s14, s5, s13
	scratch_store_dwordx2 off, v[16:17], off offset:16
	v_mov_b32_e32 v23, s14
	ds_read_b128 v[18:21], v23
	ds_read_b128 v[24:27], v23 offset:16
	s_waitcnt lgkmcnt(1)
	v_mul_f32_e32 v23, v19, v7
	v_fma_f32 v23, v18, v6, -v23
	v_mul_f32_e32 v18, v18, v7
	v_fmac_f32_e32 v18, v19, v6
	v_mul_f32_e32 v19, v20, v15
	v_fmac_f32_e32 v19, v21, v14
	s_waitcnt vmcnt(1)
	v_sub_f32_e32 v11, v11, v18
	v_mul_f32_e32 v18, v21, v15
	v_sub_f32_e32 v10, v10, v23
	v_fma_f32 v18, v20, v14, -v18
	v_sub_f32_e32 v11, v11, v19
	s_waitcnt lgkmcnt(0)
	v_mul_f32_e32 v19, v24, v17
	v_sub_f32_e32 v10, v10, v18
	v_mul_f32_e32 v18, v25, v17
	v_fmac_f32_e32 v19, v25, v16
	v_fma_f32 v18, v24, v16, -v18
	v_sub_f32_e32 v11, v11, v19
	v_sub_f32_e32 v10, v10, v18
	v_mul_f32_e32 v18, v27, v11
	v_mul_f32_e32 v19, v26, v11
	v_fma_f32 v18, v26, v10, -v18
	v_fmac_f32_e32 v19, v27, v10
	v_add_u32_e32 v10, s13, v1
	s_or_b32 s13, s12, 0x400
	s_add_i32 s14, s5, s13
	scratch_store_dwordx2 off, v[18:19], off offset:24
	ds_write_b64 v10, v[18:19]
	v_mov_b32_e32 v10, s14
	ds_read_b128 v[24:27], v10
	ds_read_b128 v[28:31], v10 offset:16
	s_waitcnt lgkmcnt(1)
	v_mul_f32_e32 v10, v25, v7
	v_mul_f32_e32 v11, v24, v7
	v_fma_f32 v10, v24, v6, -v10
	v_fmac_f32_e32 v11, v25, v6
	v_sub_f32_e32 v10, v12, v10
	v_sub_f32_e32 v11, v13, v11
	v_mul_f32_e32 v12, v27, v15
	v_mul_f32_e32 v13, v26, v15
	v_fma_f32 v12, v26, v14, -v12
	v_fmac_f32_e32 v13, v27, v14
	scratch_load_dwordx4 v[24:27], off, off offset:40
	v_sub_f32_e32 v10, v10, v12
	v_sub_f32_e32 v11, v11, v13
	s_waitcnt lgkmcnt(0)
	v_mul_f32_e32 v12, v29, v17
	v_mul_f32_e32 v13, v28, v17
	v_fma_f32 v12, v28, v16, -v12
	v_fmac_f32_e32 v13, v29, v16
	v_sub_f32_e32 v10, v10, v12
	v_sub_f32_e32 v11, v11, v13
	v_mul_f32_e32 v12, v31, v19
	v_mul_f32_e32 v13, v30, v19
	v_fma_f32 v12, v30, v18, -v12
	v_fmac_f32_e32 v13, v31, v18
	v_sub_f32_e32 v23, v10, v12
	v_sub_f32_e32 v21, v11, v13
	ds_read2_b64 v[10:13], v22 offset0:132 offset1:198
	s_waitcnt lgkmcnt(0)
	v_mul_f32_e32 v20, v11, v21
	v_fma_f32 v20, v10, v23, -v20
	v_mul_f32_e32 v21, v10, v21
	v_add_u32_e32 v10, s13, v1
	s_or_b32 s13, s12, 0x500
	v_fmac_f32_e32 v21, v11, v23
	s_add_i32 s14, s5, s13
	scratch_store_dwordx2 off, v[20:21], off offset:32
	ds_write_b64 v10, v[20:21]
	v_mov_b32_e32 v10, s14
	ds_read_b128 v[28:31], v10
	ds_read_b128 v[32:35], v10 offset:16
	ds_read_b128 v[36:39], v10 offset:32
	s_waitcnt lgkmcnt(2)
	v_mul_f32_e32 v10, v29, v7
	v_mul_f32_e32 v7, v28, v7
	v_fma_f32 v10, v28, v6, -v10
	v_fmac_f32_e32 v7, v29, v6
	v_mul_f32_e32 v11, v30, v15
	v_fmac_f32_e32 v11, v31, v14
	s_waitcnt vmcnt(1)
	v_sub_f32_e32 v6, v24, v10
	v_sub_f32_e32 v7, v25, v7
	v_mul_f32_e32 v10, v31, v15
	v_fma_f32 v10, v30, v14, -v10
	v_sub_f32_e32 v7, v7, v11
	s_waitcnt lgkmcnt(1)
	v_mul_f32_e32 v11, v32, v17
	v_sub_f32_e32 v6, v6, v10
	v_mul_f32_e32 v10, v33, v17
	v_fmac_f32_e32 v11, v33, v16
	v_fma_f32 v10, v32, v16, -v10
	v_sub_f32_e32 v7, v7, v11
	v_mul_f32_e32 v11, v34, v19
	v_sub_f32_e32 v6, v6, v10
	v_mul_f32_e32 v10, v35, v19
	v_fmac_f32_e32 v11, v35, v18
	v_fma_f32 v10, v34, v18, -v10
	v_sub_f32_e32 v7, v7, v11
	s_waitcnt lgkmcnt(0)
	v_mul_f32_e32 v11, v36, v21
	v_sub_f32_e32 v6, v6, v10
	v_mul_f32_e32 v10, v37, v21
	v_fmac_f32_e32 v11, v37, v20
	v_fma_f32 v10, v36, v20, -v10
	v_sub_f32_e32 v7, v7, v11
	v_sub_f32_e32 v10, v6, v10
	v_mul_f32_e32 v6, v39, v7
	v_mul_f32_e32 v7, v38, v7
	v_fma_f32 v6, v38, v10, -v6
	v_fmac_f32_e32 v7, v39, v10
	scratch_store_dwordx2 off, v[6:7], off offset:40
	scratch_load_dwordx4 v[14:17], off, off offset:32
	scratch_load_dwordx4 v[18:21], off, off
	v_add_u32_e32 v6, s13, v1
	s_or_b32 s13, s12, 0x600
	s_add_i32 s14, s5, s13
	s_waitcnt vmcnt(1)
	ds_write_b64 v6, v[16:17]
	v_mov_b32_e32 v6, s14
	ds_read_b128 v[28:31], v6
	ds_read_b128 v[32:35], v6 offset:16
	ds_read_b128 v[36:39], v6 offset:32
	s_waitcnt vmcnt(0) lgkmcnt(2)
	v_mul_f32_e32 v6, v29, v19
	v_mul_f32_e32 v7, v28, v19
	;; [unrolled: 1-line block ×4, first 2 shown]
	v_fma_f32 v6, v28, v18, -v6
	v_fmac_f32_e32 v7, v29, v18
	v_fma_f32 v10, v30, v20, -v10
	v_fmac_f32_e32 v11, v31, v20
	scratch_load_dwordx4 v[18:21], off, off offset:16
	v_sub_f32_e32 v7, v27, v7
	v_sub_f32_e32 v6, v26, v6
	;; [unrolled: 1-line block ×4, first 2 shown]
	s_waitcnt vmcnt(0) lgkmcnt(1)
	v_mul_f32_e32 v11, v32, v19
	v_mul_f32_e32 v10, v33, v19
	v_fmac_f32_e32 v11, v33, v18
	v_fma_f32 v10, v32, v18, -v10
	v_sub_f32_e32 v7, v7, v11
	v_mul_f32_e32 v11, v34, v21
	v_sub_f32_e32 v6, v6, v10
	v_mul_f32_e32 v10, v35, v21
	v_fmac_f32_e32 v11, v35, v20
	v_fma_f32 v10, v34, v20, -v10
	v_sub_f32_e32 v7, v7, v11
	s_waitcnt lgkmcnt(0)
	v_mul_f32_e32 v11, v36, v15
	v_sub_f32_e32 v6, v6, v10
	v_mul_f32_e32 v10, v37, v15
	v_fmac_f32_e32 v11, v37, v14
	v_fma_f32 v10, v36, v14, -v10
	v_sub_f32_e32 v7, v7, v11
	v_mul_f32_e32 v11, v38, v17
	v_sub_f32_e32 v6, v6, v10
	v_mul_f32_e32 v10, v39, v17
	v_fmac_f32_e32 v11, v39, v16
	v_fma_f32 v10, v38, v16, -v10
	v_sub_f32_e32 v7, v7, v11
	v_sub_f32_e32 v10, v6, v10
	v_mul_f32_e32 v6, v13, v7
	v_mul_f32_e32 v7, v12, v7
	v_fma_f32 v6, v12, v10, -v6
	v_fmac_f32_e32 v7, v13, v10
	v_add_u32_e32 v10, s13, v1
	scratch_store_dwordx2 off, v[6:7], off offset:48
	ds_write_b64 v10, v[6:7]
	scratch_load_dwordx4 v[10:13], off, off offset:56
	scratch_load_dwordx4 v[18:21], off, off
	s_or_b32 s13, s12, 0x700
	s_add_i32 s14, s5, s13
	v_mov_b32_e32 v23, s14
	ds_read_b128 v[24:27], v23
	ds_read_b128 v[28:31], v23 offset:16
	ds_read_b128 v[32:35], v23 offset:32
	ds_read_b128 v[36:39], v23 offset:48
	s_waitcnt vmcnt(0) lgkmcnt(3)
	v_mul_f32_e32 v23, v25, v19
	v_mul_f32_e32 v19, v24, v19
	v_fmac_f32_e32 v19, v25, v18
	v_fma_f32 v23, v24, v18, -v23
	v_sub_f32_e32 v11, v11, v19
	v_mul_f32_e32 v18, v27, v21
	v_mul_f32_e32 v19, v26, v21
	v_sub_f32_e32 v10, v10, v23
	v_fma_f32 v18, v26, v20, -v18
	v_fmac_f32_e32 v19, v27, v20
	v_sub_f32_e32 v10, v10, v18
	v_sub_f32_e32 v11, v11, v19
	scratch_load_dwordx4 v[18:21], off, off offset:16
	s_waitcnt vmcnt(0) lgkmcnt(2)
	v_mul_f32_e32 v23, v29, v19
	v_mul_f32_e32 v19, v28, v19
	v_fma_f32 v23, v28, v18, -v23
	v_fmac_f32_e32 v19, v29, v18
	v_mul_f32_e32 v18, v31, v21
	v_sub_f32_e32 v10, v10, v23
	v_sub_f32_e32 v11, v11, v19
	v_fma_f32 v18, v30, v20, -v18
	v_mul_f32_e32 v19, v30, v21
	v_fmac_f32_e32 v19, v31, v20
	v_sub_f32_e32 v10, v10, v18
	s_waitcnt lgkmcnt(1)
	v_mul_f32_e32 v18, v33, v15
	v_mul_f32_e32 v15, v32, v15
	v_sub_f32_e32 v11, v11, v19
	v_fma_f32 v18, v32, v14, -v18
	v_fmac_f32_e32 v15, v33, v14
	v_mul_f32_e32 v14, v35, v17
	v_sub_f32_e32 v10, v10, v18
	v_sub_f32_e32 v11, v11, v15
	v_fma_f32 v14, v34, v16, -v14
	v_mul_f32_e32 v15, v34, v17
	v_fmac_f32_e32 v15, v35, v16
	v_sub_f32_e32 v10, v10, v14
	s_waitcnt lgkmcnt(0)
	v_mul_f32_e32 v14, v37, v7
	v_mul_f32_e32 v7, v36, v7
	v_sub_f32_e32 v11, v11, v15
	v_fmac_f32_e32 v7, v37, v6
	v_fma_f32 v14, v36, v6, -v14
	v_sub_f32_e32 v7, v11, v7
	v_sub_f32_e32 v10, v10, v14
	v_mul_f32_e32 v6, v39, v7
	v_mul_f32_e32 v7, v38, v7
	v_fma_f32 v6, v38, v10, -v6
	v_fmac_f32_e32 v7, v39, v10
	scratch_store_dwordx2 off, v[6:7], off offset:56
	scratch_load_dwordx4 v[14:17], off, off offset:48
	v_add_u32_e32 v10, s13, v1
	s_or_b32 s13, s12, 0x800
	s_add_i32 s14, s5, s13
	s_waitcnt vmcnt(0)
	ds_write_b64 v10, v[16:17]
	scratch_load_dwordx4 v[16:19], off, off
	v_mov_b32_e32 v10, s14
	ds_read_b128 v[24:27], v10
	ds_read_b128 v[28:31], v10 offset:16
	ds_read_b128 v[32:35], v10 offset:32
	;; [unrolled: 1-line block ×3, first 2 shown]
	s_waitcnt vmcnt(0) lgkmcnt(3)
	v_mul_f32_e32 v10, v25, v17
	v_mul_f32_e32 v11, v24, v17
	v_fma_f32 v10, v24, v16, -v10
	v_fmac_f32_e32 v11, v25, v16
	v_sub_f32_e32 v10, v12, v10
	v_sub_f32_e32 v11, v13, v11
	v_mul_f32_e32 v12, v27, v19
	v_mul_f32_e32 v13, v26, v19
	v_fma_f32 v12, v26, v18, -v12
	v_fmac_f32_e32 v13, v27, v18
	v_sub_f32_e32 v16, v10, v12
	v_sub_f32_e32 v17, v11, v13
	scratch_load_dwordx4 v[10:13], off, off offset:16
	s_waitcnt vmcnt(0) lgkmcnt(2)
	v_mul_f32_e32 v18, v29, v11
	v_fma_f32 v18, v28, v10, -v18
	v_mul_f32_e32 v11, v28, v11
	v_fmac_f32_e32 v11, v29, v10
	v_sub_f32_e32 v10, v16, v18
	v_mul_f32_e32 v16, v31, v13
	v_mul_f32_e32 v13, v30, v13
	v_sub_f32_e32 v11, v17, v11
	v_fma_f32 v16, v30, v12, -v16
	v_fmac_f32_e32 v13, v31, v12
	v_sub_f32_e32 v16, v10, v16
	v_sub_f32_e32 v17, v11, v13
	scratch_load_dwordx4 v[10:13], off, off offset:32
	s_waitcnt vmcnt(0) lgkmcnt(1)
	v_mul_f32_e32 v18, v33, v11
	v_fma_f32 v18, v32, v10, -v18
	v_mul_f32_e32 v11, v32, v11
	v_fmac_f32_e32 v11, v33, v10
	v_sub_f32_e32 v10, v16, v18
	v_mul_f32_e32 v16, v35, v13
	v_mul_f32_e32 v13, v34, v13
	v_sub_f32_e32 v11, v17, v11
	v_fma_f32 v16, v34, v12, -v16
	v_fmac_f32_e32 v13, v35, v12
	s_waitcnt lgkmcnt(0)
	v_mul_f32_e32 v12, v37, v15
	v_sub_f32_e32 v10, v10, v16
	v_sub_f32_e32 v11, v11, v13
	v_fma_f32 v12, v36, v14, -v12
	v_mul_f32_e32 v13, v36, v15
	v_fmac_f32_e32 v13, v37, v14
	v_sub_f32_e32 v10, v10, v12
	v_mul_f32_e32 v12, v39, v7
	v_mul_f32_e32 v7, v38, v7
	v_sub_f32_e32 v11, v11, v13
	v_fma_f32 v12, v38, v6, -v12
	v_fmac_f32_e32 v7, v39, v6
	v_add_u32_e32 v6, 0x800, v22
	v_sub_f32_e32 v14, v10, v12
	v_sub_f32_e32 v7, v11, v7
	ds_read2_b64 v[10:13], v6 offset0:8 offset1:74
	s_waitcnt lgkmcnt(0)
	v_mul_f32_e32 v6, v11, v7
	v_mul_f32_e32 v7, v10, v7
	v_fma_f32 v6, v10, v14, -v6
	v_fmac_f32_e32 v7, v11, v14
	v_add_u32_e32 v10, s13, v1
	scratch_store_dwordx2 off, v[6:7], off offset:64
	ds_write_b64 v10, v[6:7]
	scratch_load_dwordx4 v[14:17], off, off offset:72
	scratch_load_dwordx4 v[18:21], off, off
	s_or_b32 s13, s12, 0x900
	s_add_i32 s14, s5, s13
	v_mov_b32_e32 v10, s14
	ds_read_b128 v[24:27], v10
	s_waitcnt vmcnt(0) lgkmcnt(0)
	v_mul_f32_e32 v11, v25, v19
	v_mul_f32_e32 v19, v24, v19
	v_fma_f32 v11, v24, v18, -v11
	v_fmac_f32_e32 v19, v25, v18
	v_mul_f32_e32 v18, v26, v21
	v_sub_f32_e32 v11, v14, v11
	v_sub_f32_e32 v14, v15, v19
	v_mul_f32_e32 v15, v27, v21
	v_fmac_f32_e32 v18, v27, v20
	v_fma_f32 v15, v26, v20, -v15
	v_sub_f32_e32 v14, v14, v18
	scratch_load_dwordx4 v[18:21], off, off offset:16
	s_nop 0
	scratch_store_dword off, v11, off offset:72
	ds_read_b128 v[24:27], v10 offset:16
	ds_read_b128 v[28:31], v10 offset:32
	;; [unrolled: 1-line block ×4, first 2 shown]
	v_sub_f32_e32 v11, v11, v15
	s_waitcnt vmcnt(1) lgkmcnt(3)
	v_mul_f32_e32 v10, v25, v19
	v_mul_f32_e32 v15, v24, v19
	v_fma_f32 v10, v24, v18, -v10
	v_fmac_f32_e32 v15, v25, v18
	v_sub_f32_e32 v10, v11, v10
	v_sub_f32_e32 v11, v14, v15
	v_mul_f32_e32 v14, v27, v21
	v_mul_f32_e32 v15, v26, v21
	v_fma_f32 v14, v26, v20, -v14
	v_fmac_f32_e32 v15, v27, v20
	scratch_load_dwordx4 v[18:21], off, off offset:32
	v_sub_f32_e32 v10, v10, v14
	v_sub_f32_e32 v11, v11, v15
	s_waitcnt vmcnt(0) lgkmcnt(2)
	v_mul_f32_e32 v14, v29, v19
	v_mul_f32_e32 v15, v28, v19
	v_fma_f32 v14, v28, v18, -v14
	v_fmac_f32_e32 v15, v29, v18
	v_sub_f32_e32 v10, v10, v14
	v_sub_f32_e32 v11, v11, v15
	v_mul_f32_e32 v14, v31, v21
	v_mul_f32_e32 v15, v30, v21
	v_fma_f32 v14, v30, v20, -v14
	v_fmac_f32_e32 v15, v31, v20
	scratch_load_dwordx4 v[18:21], off, off offset:48
	scratch_load_dwordx4 v[28:31], off, off
	v_sub_f32_e32 v10, v10, v14
	v_sub_f32_e32 v11, v11, v15
	s_waitcnt vmcnt(1) lgkmcnt(1)
	v_mul_f32_e32 v14, v33, v19
	v_fma_f32 v14, v32, v18, -v14
	v_mul_f32_e32 v15, v32, v19
	v_fmac_f32_e32 v15, v33, v18
	v_sub_f32_e32 v10, v10, v14
	v_mul_f32_e32 v14, v35, v21
	v_sub_f32_e32 v11, v11, v15
	v_fma_f32 v14, v34, v20, -v14
	v_mul_f32_e32 v15, v34, v21
	v_fmac_f32_e32 v15, v35, v20
	v_sub_f32_e32 v10, v10, v14
	s_waitcnt lgkmcnt(0)
	v_mul_f32_e32 v14, v37, v7
	v_mul_f32_e32 v7, v36, v7
	v_sub_f32_e32 v11, v11, v15
	v_fmac_f32_e32 v7, v37, v6
	v_fma_f32 v14, v36, v6, -v14
	v_sub_f32_e32 v7, v11, v7
	v_sub_f32_e32 v10, v10, v14
	v_mul_f32_e32 v6, v39, v7
	v_mul_f32_e32 v7, v38, v7
	v_fma_f32 v6, v38, v10, -v6
	v_fmac_f32_e32 v7, v39, v10
	scratch_store_dwordx2 off, v[6:7], off offset:72
	scratch_load_dwordx4 v[18:21], off, off offset:64
	v_add_u32_e32 v10, s13, v1
	s_or_b32 s13, s12, 0xa00
	s_add_i32 s14, s5, s13
	v_mov_b32_e32 v23, s14
	ds_read_b128 v[24:27], v23
	s_waitcnt vmcnt(2)
	v_mov_b32_e32 v14, v28
	v_mov_b32_e32 v15, v30
	s_waitcnt lgkmcnt(0)
	v_mov_b32_e32 v11, v26
	s_waitcnt vmcnt(0)
	ds_write_b64 v10, v[20:21]
	v_mov_b32_e32 v20, v29
	v_pk_mul_f32 v[28:29], v[24:25], v[28:29]
	v_mov_b32_e32 v10, v25
	v_sub_f32_e32 v25, v28, v29
	v_mov_b32_e32 v21, v31
	v_sub_f32_e32 v16, v16, v25
	v_mov_b32_e32 v25, v27
	v_pk_mul_f32 v[20:21], v[24:25], v[20:21]
	s_nop 0
	v_pk_fma_f32 v[24:25], v[10:11], v[14:15], v[20:21] neg_lo:[0,0,1] neg_hi:[0,0,1]
	v_pk_fma_f32 v[10:11], v[10:11], v[14:15], v[20:21]
	v_mul_f32_e32 v14, v26, v31
	v_pk_mov_b32 v[10:11], v[24:25], v[10:11] op_sel:[1,0]
	v_fmac_f32_e32 v14, v27, v30
	v_pk_add_f32 v[10:11], v[16:17], v[10:11] neg_lo:[0,1] neg_hi:[0,1]
	scratch_store_dwordx2 off, v[10:11], off offset:80
	v_sub_f32_e32 v20, v11, v14
	scratch_load_dwordx4 v[14:17], off, off offset:16
	ds_read_b128 v[24:27], v23 offset:16
	ds_read_b128 v[28:31], v23 offset:32
	;; [unrolled: 1-line block ×4, first 2 shown]
	s_waitcnt vmcnt(0) lgkmcnt(3)
	v_mul_f32_e32 v11, v25, v15
	v_mul_f32_e32 v15, v24, v15
	v_fma_f32 v11, v24, v14, -v11
	v_fmac_f32_e32 v15, v25, v14
	v_sub_f32_e32 v10, v10, v11
	v_sub_f32_e32 v11, v20, v15
	v_mul_f32_e32 v14, v27, v17
	v_mul_f32_e32 v15, v26, v17
	v_fma_f32 v14, v26, v16, -v14
	v_fmac_f32_e32 v15, v27, v16
	v_sub_f32_e32 v10, v10, v14
	v_sub_f32_e32 v11, v11, v15
	scratch_load_dwordx4 v[14:17], off, off offset:32
	s_waitcnt vmcnt(0) lgkmcnt(2)
	v_mul_f32_e32 v20, v29, v15
	v_mul_f32_e32 v15, v28, v15
	v_fmac_f32_e32 v15, v29, v14
	v_fma_f32 v20, v28, v14, -v20
	v_sub_f32_e32 v11, v11, v15
	v_mul_f32_e32 v14, v31, v17
	v_mul_f32_e32 v15, v30, v17
	v_sub_f32_e32 v10, v10, v20
	v_fma_f32 v14, v30, v16, -v14
	v_fmac_f32_e32 v15, v31, v16
	v_sub_f32_e32 v10, v10, v14
	v_sub_f32_e32 v11, v11, v15
	scratch_load_dwordx4 v[14:17], off, off offset:48
	s_waitcnt vmcnt(0) lgkmcnt(1)
	v_mul_f32_e32 v20, v33, v15
	v_mul_f32_e32 v15, v32, v15
	v_fma_f32 v20, v32, v14, -v20
	v_fmac_f32_e32 v15, v33, v14
	v_mul_f32_e32 v14, v35, v17
	v_sub_f32_e32 v10, v10, v20
	v_sub_f32_e32 v11, v11, v15
	v_fma_f32 v14, v34, v16, -v14
	v_mul_f32_e32 v15, v34, v17
	v_fmac_f32_e32 v15, v35, v16
	v_sub_f32_e32 v10, v10, v14
	s_waitcnt lgkmcnt(0)
	v_mul_f32_e32 v14, v37, v19
	v_sub_f32_e32 v11, v11, v15
	v_fma_f32 v14, v36, v18, -v14
	v_mul_f32_e32 v15, v36, v19
	v_fmac_f32_e32 v15, v37, v18
	v_sub_f32_e32 v10, v10, v14
	v_mul_f32_e32 v14, v39, v7
	v_mul_f32_e32 v7, v38, v7
	v_sub_f32_e32 v11, v11, v15
	v_fmac_f32_e32 v7, v39, v6
	v_fma_f32 v14, v38, v6, -v14
	v_sub_f32_e32 v7, v11, v7
	v_sub_f32_e32 v10, v10, v14
	v_mul_f32_e32 v6, v13, v7
	v_mul_f32_e32 v7, v12, v7
	v_fma_f32 v6, v12, v10, -v6
	v_fmac_f32_e32 v7, v13, v10
	scratch_store_dwordx2 off, v[6:7], off offset:80
	scratch_load_dwordx4 v[10:13], off, off offset:72
	v_add_u32_e32 v14, s13, v1
	s_or_b32 s13, s12, 0xb00
	s_add_i32 s14, s5, s13
	v_mov_b32_e32 v23, s14
	ds_read_b96 v[28:30], v23
	ds_read2_b32 v[32:33], v23 offset0:5 offset1:6
	s_waitcnt lgkmcnt(1)
	v_mov_b32_e32 v20, v29
	v_mov_b32_e32 v21, v30
	s_waitcnt vmcnt(0)
	ds_write_b64 v14, v[12:13]
	scratch_load_dwordx4 v[12:15], off, off offset:88
	scratch_load_dwordx4 v[16:19], off, off
	scratch_load_dwordx4 v[24:27], off, off offset:8
	ds_read2_b32 v[36:37], v23 offset0:3 offset1:4
	s_waitcnt vmcnt(1)
	v_mov_b32_e32 v34, v16
	v_mov_b32_e32 v35, v18
	;; [unrolled: 1-line block ×3, first 2 shown]
	v_pk_mul_f32 v[16:17], v[28:29], v[16:17]
	s_waitcnt lgkmcnt(0)
	v_mov_b32_e32 v29, v36
	v_pk_mul_f32 v[18:19], v[28:29], v[18:19]
	v_sub_f32_e32 v16, v16, v17
	v_pk_fma_f32 v[28:29], v[20:21], v[34:35], v[18:19] neg_lo:[0,0,1] neg_hi:[0,0,1]
	v_pk_fma_f32 v[18:19], v[20:21], v[34:35], v[18:19]
	v_sub_f32_e32 v12, v12, v16
	s_waitcnt vmcnt(0)
	v_mov_b32_e32 v16, v24
	v_mov_b32_e32 v17, v26
	v_pk_mov_b32 v[18:19], v[28:29], v[18:19] op_sel:[1,0]
	v_mov_b32_e32 v24, v27
	v_pk_add_f32 v[12:13], v[12:13], v[18:19] neg_lo:[0,1] neg_hi:[0,1]
	v_pk_mul_f32 v[16:17], v[36:37], v[16:17]
	v_mov_b32_e32 v18, v32
	v_mov_b32_e32 v19, v30
	v_pk_fma_f32 v[20:21], v[18:19], v[24:25], v[16:17] op_sel:[0,0,1] op_sel_hi:[1,1,0] neg_lo:[1,0,0] neg_hi:[1,0,0]
	v_pk_fma_f32 v[16:17], v[18:19], v[24:25], v[16:17] op_sel:[0,0,1] op_sel_hi:[1,1,0]
	s_nop 0
	v_mov_b32_e32 v21, v17
	v_mul_f32_e32 v16, v37, v27
	v_fmac_f32_e32 v16, v32, v26
	v_pk_add_f32 v[12:13], v[12:13], v[20:21] neg_lo:[0,1] neg_hi:[0,1]
	ds_read2_b32 v[20:21], v23 offset0:7 offset1:8
	v_sub_f32_e32 v24, v13, v16
	scratch_load_dwordx4 v[16:19], off, off offset:24
	s_nop 0
	scratch_store_dwordx2 off, v[12:13], off offset:88
	s_waitcnt vmcnt(1) lgkmcnt(0)
	v_mul_f32_e32 v13, v20, v17
	v_fma_f32 v13, v33, v16, -v13
	v_mul_f32_e32 v17, v33, v17
	v_fmac_f32_e32 v17, v20, v16
	v_sub_f32_e32 v16, v12, v13
	ds_read2_b32 v[12:13], v23 offset0:9 offset1:10
	v_sub_f32_e32 v17, v24, v17
	s_waitcnt lgkmcnt(0)
	v_mul_f32_e32 v20, v12, v19
	v_mul_f32_e32 v19, v21, v19
	v_fma_f32 v20, v21, v18, -v20
	v_fmac_f32_e32 v19, v12, v18
	v_sub_f32_e32 v12, v16, v20
	v_sub_f32_e32 v24, v17, v19
	scratch_load_dwordx4 v[16:19], off, off offset:40
	ds_read2_b32 v[20:21], v23 offset0:11 offset1:12
	s_waitcnt vmcnt(0) lgkmcnt(0)
	v_mul_f32_e32 v25, v20, v17
	v_fma_f32 v25, v13, v16, -v25
	v_mul_f32_e32 v13, v13, v17
	v_fmac_f32_e32 v13, v20, v16
	v_sub_f32_e32 v16, v12, v25
	v_sub_f32_e32 v17, v24, v13
	ds_read2_b32 v[12:13], v23 offset0:13 offset1:14
	s_waitcnt lgkmcnt(0)
	v_mul_f32_e32 v20, v12, v19
	v_mul_f32_e32 v19, v21, v19
	v_fma_f32 v20, v21, v18, -v20
	v_fmac_f32_e32 v19, v12, v18
	v_sub_f32_e32 v12, v16, v20
	v_sub_f32_e32 v24, v17, v19
	scratch_load_dwordx4 v[16:19], off, off offset:56
	ds_read2_b32 v[20:21], v23 offset0:15 offset1:16
	s_waitcnt vmcnt(0) lgkmcnt(0)
	v_mul_f32_e32 v25, v20, v17
	v_fma_f32 v25, v13, v16, -v25
	v_mul_f32_e32 v13, v13, v17
	v_fmac_f32_e32 v13, v20, v16
	v_sub_f32_e32 v16, v12, v25
	v_sub_f32_e32 v17, v24, v13
	ds_read2_b32 v[12:13], v23 offset0:17 offset1:18
	s_waitcnt lgkmcnt(0)
	v_mul_f32_e32 v20, v12, v19
	v_mul_f32_e32 v19, v21, v19
	v_fma_f32 v20, v21, v18, -v20
	v_fmac_f32_e32 v19, v12, v18
	v_sub_f32_e32 v12, v16, v20
	v_sub_f32_e32 v18, v17, v19
	ds_read2_b32 v[16:17], v23 offset0:19 offset1:20
	s_waitcnt lgkmcnt(0)
	v_mul_f32_e32 v19, v16, v11
	v_mul_f32_e32 v11, v13, v11
	v_fmac_f32_e32 v11, v16, v10
	v_fma_f32 v19, v13, v10, -v19
	v_sub_f32_e32 v13, v18, v11
	ds_read2_b32 v[10:11], v23 offset0:21 offset1:22
	v_sub_f32_e32 v12, v12, v19
	s_waitcnt lgkmcnt(0)
	v_mul_f32_e32 v16, v10, v7
	v_mul_f32_e32 v7, v17, v7
	v_fma_f32 v16, v17, v6, -v16
	v_fmac_f32_e32 v7, v10, v6
	v_add_u32_e32 v6, 0xa00, v22
	v_sub_f32_e32 v10, v12, v16
	v_sub_f32_e32 v12, v13, v7
	ds_read2_b32 v[6:7], v6 offset0:87 offset1:153
	v_mul_f32_e32 v17, v11, v12
	s_waitcnt lgkmcnt(0)
	v_mul_f32_e32 v13, v6, v12
	v_fma_f32 v16, v11, v10, -v13
	v_fmac_f32_e32 v17, v6, v10
	scratch_store_dwordx2 off, v[16:17], off offset:88
	scratch_load_dwordx4 v[10:13], off, off offset:80
	v_add_u32_e32 v6, s13, v1
	s_or_b32 s13, s12, 0xc00
	s_add_i32 s14, s5, s13
	s_waitcnt vmcnt(0)
	ds_write_b64 v6, v[12:13]
	v_mov_b32_e32 v6, s14
	ds_read_b96 v[32:34], v6
	ds_read2_b32 v[36:37], v6 offset0:7 offset1:8
	scratch_load_dwordx4 v[18:21], off, off
	scratch_load_dwordx4 v[24:27], off, off offset:8
	scratch_load_dwordx4 v[28:31], off, off offset:16
	ds_read2_b32 v[40:41], v6 offset0:3 offset1:4
	s_waitcnt lgkmcnt(2)
	v_mov_b32_e32 v12, v33
	v_mov_b32_e32 v13, v34
	s_waitcnt vmcnt(2)
	v_mov_b32_e32 v38, v18
	v_mov_b32_e32 v39, v20
	;; [unrolled: 1-line block ×3, first 2 shown]
	v_pk_mul_f32 v[18:19], v[32:33], v[18:19]
	s_waitcnt lgkmcnt(0)
	v_mov_b32_e32 v33, v40
	v_sub_f32_e32 v18, v18, v19
	v_pk_mul_f32 v[20:21], v[32:33], v[20:21]
	v_sub_f32_e32 v14, v14, v18
	s_waitcnt vmcnt(1)
	v_mov_b32_e32 v18, v24
	v_mov_b32_e32 v19, v26
	;; [unrolled: 1-line block ×3, first 2 shown]
	v_pk_fma_f32 v[26:27], v[12:13], v[38:39], v[20:21] neg_lo:[0,0,1] neg_hi:[0,0,1]
	v_pk_fma_f32 v[12:13], v[12:13], v[38:39], v[20:21]
	ds_read2_b32 v[20:21], v6 offset0:5 offset1:6
	v_pk_mov_b32 v[12:13], v[26:27], v[12:13] op_sel:[1,0]
	v_pk_mul_f32 v[18:19], v[40:41], v[18:19]
	v_pk_add_f32 v[12:13], v[14:15], v[12:13] neg_lo:[0,1] neg_hi:[0,1]
	s_waitcnt vmcnt(0)
	v_mov_b32_e32 v14, v28
	v_mov_b32_e32 v15, v30
	s_waitcnt lgkmcnt(0)
	v_mov_b32_e32 v26, v20
	v_mov_b32_e32 v27, v34
	;; [unrolled: 1-line block ×3, first 2 shown]
	v_pk_fma_f32 v[32:33], v[20:21], v[24:25], v[18:19] op_sel:[0,0,1] op_sel_hi:[1,1,0] neg_lo:[1,0,0] neg_hi:[1,0,0]
	v_pk_fma_f32 v[18:19], v[26:27], v[24:25], v[18:19] op_sel:[0,0,1] op_sel_hi:[1,1,0]
	v_pk_mul_f32 v[14:15], v[20:21], v[14:15]
	v_mov_b32_e32 v40, v36
	v_mov_b32_e32 v33, v19
	v_pk_fma_f32 v[18:19], v[40:41], v[28:29], v[14:15] op_sel:[0,0,1] op_sel_hi:[1,1,0] neg_lo:[1,0,0] neg_hi:[1,0,0]
	v_pk_fma_f32 v[14:15], v[40:41], v[28:29], v[14:15] op_sel:[0,0,1] op_sel_hi:[1,1,0]
	v_pk_add_f32 v[12:13], v[12:13], v[32:33] neg_lo:[0,1] neg_hi:[0,1]
	v_mov_b32_e32 v19, v15
	v_mul_f32_e32 v14, v21, v31
	v_fmac_f32_e32 v14, v36, v30
	v_pk_add_f32 v[18:19], v[12:13], v[18:19] neg_lo:[0,1] neg_hi:[0,1]
	ds_read2_b32 v[20:21], v6 offset0:9 offset1:10
	v_sub_f32_e32 v23, v19, v14
	scratch_load_dwordx4 v[12:15], off, off offset:32
	s_nop 0
	scratch_store_dwordx2 off, v[18:19], off offset:96
	s_waitcnt vmcnt(1) lgkmcnt(0)
	v_mul_f32_e32 v19, v20, v13
	v_fma_f32 v19, v37, v12, -v19
	v_mul_f32_e32 v13, v37, v13
	v_fmac_f32_e32 v13, v20, v12
	v_sub_f32_e32 v12, v18, v19
	ds_read2_b32 v[18:19], v6 offset0:11 offset1:12
	v_sub_f32_e32 v13, v23, v13
	s_waitcnt lgkmcnt(0)
	v_mul_f32_e32 v20, v18, v15
	v_mul_f32_e32 v15, v21, v15
	v_fma_f32 v20, v21, v14, -v20
	v_fmac_f32_e32 v15, v18, v14
	v_sub_f32_e32 v18, v12, v20
	v_sub_f32_e32 v23, v13, v15
	scratch_load_dwordx4 v[12:15], off, off offset:48
	ds_read2_b32 v[20:21], v6 offset0:13 offset1:14
	s_waitcnt vmcnt(0) lgkmcnt(0)
	v_mul_f32_e32 v24, v20, v13
	v_fma_f32 v24, v19, v12, -v24
	v_mul_f32_e32 v13, v19, v13
	v_fmac_f32_e32 v13, v20, v12
	v_sub_f32_e32 v12, v18, v24
	ds_read2_b32 v[18:19], v6 offset0:15 offset1:16
	v_sub_f32_e32 v13, v23, v13
	s_waitcnt lgkmcnt(0)
	v_mul_f32_e32 v20, v18, v15
	v_mul_f32_e32 v15, v21, v15
	v_fma_f32 v20, v21, v14, -v20
	v_fmac_f32_e32 v15, v18, v14
	v_sub_f32_e32 v18, v12, v20
	v_sub_f32_e32 v23, v13, v15
	scratch_load_dwordx4 v[12:15], off, off offset:64
	ds_read2_b32 v[20:21], v6 offset0:17 offset1:18
	s_waitcnt vmcnt(0) lgkmcnt(0)
	v_mul_f32_e32 v24, v20, v13
	v_mul_f32_e32 v13, v19, v13
	v_fmac_f32_e32 v13, v20, v12
	v_fma_f32 v24, v19, v12, -v24
	v_sub_f32_e32 v19, v23, v13
	ds_read2_b32 v[12:13], v6 offset0:19 offset1:20
	v_sub_f32_e32 v18, v18, v24
	s_waitcnt lgkmcnt(0)
	v_mul_f32_e32 v20, v12, v15
	v_mul_f32_e32 v15, v21, v15
	v_fma_f32 v20, v21, v14, -v20
	v_fmac_f32_e32 v15, v12, v14
	v_sub_f32_e32 v12, v18, v20
	v_sub_f32_e32 v18, v19, v15
	ds_read2_b32 v[14:15], v6 offset0:21 offset1:22
	s_waitcnt lgkmcnt(0)
	v_mul_f32_e32 v19, v14, v11
	v_mul_f32_e32 v11, v13, v11
	v_fmac_f32_e32 v11, v14, v10
	v_fma_f32 v19, v13, v10, -v19
	v_sub_f32_e32 v13, v18, v11
	ds_read2_b32 v[10:11], v6 offset0:23 offset1:24
	v_mul_f32_e32 v14, v15, v17
	v_sub_f32_e32 v12, v12, v19
	s_waitcnt lgkmcnt(0)
	v_mul_f32_e32 v6, v10, v17
	v_fmac_f32_e32 v14, v10, v16
	v_fma_f32 v6, v15, v16, -v6
	v_sub_f32_e32 v10, v13, v14
	v_sub_f32_e32 v6, v12, v6
	v_mul_f32_e32 v12, v7, v10
	v_mul_f32_e32 v17, v11, v10
	v_fma_f32 v16, v11, v6, -v12
	v_fmac_f32_e32 v17, v7, v6
	scratch_store_dwordx2 off, v[16:17], off offset:96
	scratch_load_dwordx4 v[10:13], off, off offset:88
	v_add_u32_e32 v6, s13, v1
	s_or_b32 s13, s12, 0xd00
	s_add_i32 s14, s5, s13
	v_mov_b32_e32 v23, s14
	ds_read_b96 v[36:38], v23
	ds_read2_b32 v[40:41], v23 offset0:9 offset1:10
	s_or_b32 s12, s12, 0xe00
	s_waitcnt lgkmcnt(1)
	v_mov_b32_e32 v7, v38
	s_waitcnt vmcnt(0)
	ds_write_b64 v6, v[12:13]
	scratch_load_dwordx4 v[12:15], off, off offset:104
	scratch_load_dwordx4 v[18:21], off, off
	scratch_load_dwordx4 v[24:27], off, off offset:8
	scratch_load_dwordx4 v[28:31], off, off offset:16
	;; [unrolled: 1-line block ×3, first 2 shown]
	ds_read2_b32 v[44:45], v23 offset0:3 offset1:4
	v_mov_b32_e32 v6, v37
	s_waitcnt vmcnt(3)
	v_mov_b32_e32 v42, v18
	v_mov_b32_e32 v43, v20
	;; [unrolled: 1-line block ×3, first 2 shown]
	v_pk_mul_f32 v[18:19], v[36:37], v[18:19]
	s_waitcnt lgkmcnt(0)
	v_mov_b32_e32 v37, v44
	v_sub_f32_e32 v18, v18, v19
	v_pk_mul_f32 v[20:21], v[36:37], v[20:21]
	v_sub_f32_e32 v12, v12, v18
	s_waitcnt vmcnt(2)
	v_mov_b32_e32 v18, v24
	v_mov_b32_e32 v19, v26
	;; [unrolled: 1-line block ×3, first 2 shown]
	v_pk_fma_f32 v[26:27], v[6:7], v[42:43], v[20:21] neg_lo:[0,0,1] neg_hi:[0,0,1]
	v_pk_fma_f32 v[6:7], v[6:7], v[42:43], v[20:21]
	ds_read2_b32 v[20:21], v23 offset0:5 offset1:6
	v_pk_mov_b32 v[6:7], v[26:27], v[6:7] op_sel:[1,0]
	v_pk_mul_f32 v[18:19], v[44:45], v[18:19]
	v_mov_b32_e32 v27, v38
	v_pk_add_f32 v[6:7], v[12:13], v[6:7] neg_lo:[0,1] neg_hi:[0,1]
	s_waitcnt lgkmcnt(0)
	v_mov_b32_e32 v26, v20
	s_waitcnt vmcnt(1)
	v_mov_b32_e32 v12, v28
	v_mov_b32_e32 v13, v30
	v_mov_b32_e32 v28, v31
	v_pk_fma_f32 v[30:31], v[20:21], v[24:25], v[18:19] op_sel:[0,0,1] op_sel_hi:[1,1,0] neg_lo:[1,0,0] neg_hi:[1,0,0]
	v_pk_fma_f32 v[18:19], v[26:27], v[24:25], v[18:19] op_sel:[0,0,1] op_sel_hi:[1,1,0]
	ds_read2_b32 v[24:25], v23 offset0:7 offset1:8
	v_pk_mul_f32 v[12:13], v[20:21], v[12:13]
	v_mov_b32_e32 v31, v19
	s_waitcnt vmcnt(0)
	v_mov_b32_e32 v18, v32
	v_mov_b32_e32 v19, v34
	s_waitcnt lgkmcnt(0)
	v_mov_b32_e32 v44, v24
	v_pk_fma_f32 v[26:27], v[24:25], v[28:29], v[12:13] op_sel:[0,0,1] op_sel_hi:[1,1,0] neg_lo:[1,0,0] neg_hi:[1,0,0]
	v_pk_fma_f32 v[12:13], v[44:45], v[28:29], v[12:13] op_sel:[0,0,1] op_sel_hi:[1,1,0]
	v_mov_b32_e32 v32, v35
	v_mov_b32_e32 v27, v13
	v_pk_mul_f32 v[12:13], v[24:25], v[18:19]
	v_mov_b32_e32 v20, v40
	v_pk_add_f32 v[6:7], v[6:7], v[30:31] neg_lo:[0,1] neg_hi:[0,1]
	v_pk_fma_f32 v[18:19], v[20:21], v[32:33], v[12:13] op_sel:[0,0,1] op_sel_hi:[1,1,0] neg_lo:[1,0,0] neg_hi:[1,0,0]
	v_pk_fma_f32 v[12:13], v[20:21], v[32:33], v[12:13] op_sel:[0,0,1] op_sel_hi:[1,1,0]
	v_pk_add_f32 v[6:7], v[6:7], v[26:27] neg_lo:[0,1] neg_hi:[0,1]
	v_mov_b32_e32 v19, v13
	v_pk_add_f32 v[6:7], v[6:7], v[18:19] neg_lo:[0,1] neg_hi:[0,1]
	scratch_load_dwordx4 v[18:21], off, off offset:40
	v_mul_f32_e32 v12, v25, v35
	v_fmac_f32_e32 v12, v40, v34
	v_sub_f32_e32 v24, v7, v12
	ds_read2_b32 v[12:13], v23 offset0:11 offset1:12
	scratch_store_dwordx2 off, v[6:7], off offset:104
	s_waitcnt vmcnt(1) lgkmcnt(0)
	v_mul_f32_e32 v7, v12, v19
	v_fma_f32 v7, v41, v18, -v7
	v_mul_f32_e32 v19, v41, v19
	v_fmac_f32_e32 v19, v12, v18
	v_sub_f32_e32 v12, v6, v7
	ds_read2_b32 v[6:7], v23 offset0:13 offset1:14
	v_sub_f32_e32 v18, v24, v19
	s_waitcnt lgkmcnt(0)
	v_mul_f32_e32 v19, v6, v21
	v_fma_f32 v19, v13, v20, -v19
	v_mul_f32_e32 v13, v13, v21
	v_fmac_f32_e32 v13, v6, v20
	v_sub_f32_e32 v6, v12, v19
	v_sub_f32_e32 v24, v18, v13
	scratch_load_dwordx4 v[18:21], off, off offset:56
	ds_read2_b32 v[12:13], v23 offset0:15 offset1:16
	s_waitcnt vmcnt(0) lgkmcnt(0)
	v_mul_f32_e32 v25, v12, v19
	v_fma_f32 v25, v7, v18, -v25
	v_mul_f32_e32 v7, v7, v19
	v_fmac_f32_e32 v7, v12, v18
	v_sub_f32_e32 v12, v6, v25
	v_sub_f32_e32 v18, v24, v7
	ds_read2_b32 v[6:7], v23 offset0:17 offset1:18
	s_waitcnt lgkmcnt(0)
	v_mul_f32_e32 v19, v6, v21
	v_fma_f32 v19, v13, v20, -v19
	v_mul_f32_e32 v13, v13, v21
	v_fmac_f32_e32 v13, v6, v20
	v_sub_f32_e32 v6, v12, v19
	v_sub_f32_e32 v24, v18, v13
	scratch_load_dwordx4 v[18:21], off, off offset:72
	ds_read2_b32 v[12:13], v23 offset0:19 offset1:20
	s_waitcnt vmcnt(0) lgkmcnt(0)
	v_mul_f32_e32 v25, v12, v19
	v_fma_f32 v25, v7, v18, -v25
	v_mul_f32_e32 v7, v7, v19
	v_fmac_f32_e32 v7, v12, v18
	v_sub_f32_e32 v12, v6, v25
	v_sub_f32_e32 v18, v24, v7
	ds_read2_b32 v[6:7], v23 offset0:21 offset1:22
	s_waitcnt lgkmcnt(0)
	v_mul_f32_e32 v19, v6, v21
	v_fma_f32 v19, v13, v20, -v19
	v_mul_f32_e32 v13, v13, v21
	v_fmac_f32_e32 v13, v6, v20
	v_sub_f32_e32 v6, v12, v19
	v_sub_f32_e32 v18, v18, v13
	ds_read2_b32 v[12:13], v23 offset0:23 offset1:24
	s_waitcnt lgkmcnt(0)
	;; [unrolled: 8-line block ×3, first 2 shown]
	v_mul_f32_e32 v12, v6, v17
	v_fma_f32 v12, v13, v16, -v12
	v_mul_f32_e32 v13, v13, v17
	v_fmac_f32_e32 v13, v6, v16
	v_add_u32_e32 v6, 0xc00, v22
	ds_read2_b32 v[38:39], v6 offset0:91 offset1:157
	v_sub_f32_e32 v11, v11, v13
	v_sub_f32_e32 v10, v10, v12
	v_add_u32_e32 v16, s13, v1
	s_add_i32 s13, s5, s12
	s_waitcnt lgkmcnt(0)
	v_mul_f32_e32 v6, v38, v11
	v_fma_f32 v6, v7, v10, -v6
	v_mul_f32_e32 v7, v7, v11
	v_fmac_f32_e32 v7, v38, v10
	scratch_store_dwordx2 off, v[6:7], off offset:104
	scratch_load_dwordx4 v[10:13], off, off offset:96
	v_mov_b32_e32 v46, s13
	ds_read_b96 v[36:38], v46
	ds_read2_b32 v[40:41], v46 offset0:11 offset1:12
	s_waitcnt vmcnt(0)
	ds_write_b64 v16, v[12:13]
	scratch_load_dwordx4 v[16:19], off, off
	scratch_load_dwordx4 v[20:23], off, off offset:8
	scratch_load_dwordx4 v[24:27], off, off offset:16
	;; [unrolled: 1-line block ×4, first 2 shown]
	ds_read2_b32 v[44:45], v46 offset0:3 offset1:4
	s_waitcnt lgkmcnt(3)
	v_mov_b32_e32 v12, v37
	v_mov_b32_e32 v13, v38
	s_waitcnt vmcnt(4)
	v_mov_b32_e32 v42, v16
	v_mov_b32_e32 v43, v18
	;; [unrolled: 1-line block ×3, first 2 shown]
	v_pk_mul_f32 v[16:17], v[36:37], v[16:17]
	s_waitcnt lgkmcnt(0)
	v_mov_b32_e32 v37, v44
	v_sub_f32_e32 v16, v16, v17
	v_pk_mul_f32 v[18:19], v[36:37], v[18:19]
	v_sub_f32_e32 v14, v14, v16
	s_waitcnt vmcnt(3)
	v_mov_b32_e32 v16, v20
	v_mov_b32_e32 v17, v22
	;; [unrolled: 1-line block ×3, first 2 shown]
	v_pk_fma_f32 v[22:23], v[12:13], v[42:43], v[18:19] neg_lo:[0,0,1] neg_hi:[0,0,1]
	v_pk_fma_f32 v[12:13], v[12:13], v[42:43], v[18:19]
	ds_read2_b32 v[18:19], v46 offset0:5 offset1:6
	v_pk_mov_b32 v[12:13], v[22:23], v[12:13] op_sel:[1,0]
	v_pk_mul_f32 v[16:17], v[44:45], v[16:17]
	v_mov_b32_e32 v23, v38
	v_pk_add_f32 v[12:13], v[14:15], v[12:13] neg_lo:[0,1] neg_hi:[0,1]
	s_waitcnt lgkmcnt(0)
	v_mov_b32_e32 v22, v18
	s_waitcnt vmcnt(2)
	v_mov_b32_e32 v14, v24
	v_mov_b32_e32 v15, v26
	;; [unrolled: 1-line block ×3, first 2 shown]
	v_pk_fma_f32 v[26:27], v[18:19], v[20:21], v[16:17] op_sel:[0,0,1] op_sel_hi:[1,1,0] neg_lo:[1,0,0] neg_hi:[1,0,0]
	v_pk_fma_f32 v[16:17], v[22:23], v[20:21], v[16:17] op_sel:[0,0,1] op_sel_hi:[1,1,0]
	ds_read2_b32 v[20:21], v46 offset0:7 offset1:8
	v_pk_mul_f32 v[14:15], v[18:19], v[14:15]
	v_mov_b32_e32 v27, v17
	v_pk_add_f32 v[12:13], v[12:13], v[26:27] neg_lo:[0,1] neg_hi:[0,1]
	s_waitcnt vmcnt(1)
	v_mov_b32_e32 v16, v28
	s_waitcnt lgkmcnt(0)
	v_mov_b32_e32 v44, v20
	v_pk_fma_f32 v[22:23], v[20:21], v[24:25], v[14:15] op_sel:[0,0,1] op_sel_hi:[1,1,0] neg_lo:[1,0,0] neg_hi:[1,0,0]
	v_pk_fma_f32 v[14:15], v[44:45], v[24:25], v[14:15] op_sel:[0,0,1] op_sel_hi:[1,1,0]
	v_mov_b32_e32 v17, v30
	v_mov_b32_e32 v23, v15
	v_pk_add_f32 v[12:13], v[12:13], v[22:23] neg_lo:[0,1] neg_hi:[0,1]
	ds_read2_b32 v[22:23], v46 offset0:9 offset1:10
	v_mov_b32_e32 v28, v31
	s_waitcnt vmcnt(0)
	v_mov_b32_e32 v14, v32
	v_mov_b32_e32 v15, v34
	v_pk_mul_f32 v[16:17], v[20:21], v[16:17]
	s_waitcnt lgkmcnt(0)
	v_mov_b32_e32 v18, v22
	v_mov_b32_e32 v32, v35
	v_pk_fma_f32 v[24:25], v[22:23], v[28:29], v[16:17] op_sel:[0,0,1] op_sel_hi:[1,1,0] neg_lo:[1,0,0] neg_hi:[1,0,0]
	v_pk_fma_f32 v[16:17], v[18:19], v[28:29], v[16:17] op_sel:[0,0,1] op_sel_hi:[1,1,0]
	v_pk_mul_f32 v[14:15], v[22:23], v[14:15]
	v_mov_b32_e32 v20, v40
	v_mov_b32_e32 v25, v17
	v_pk_fma_f32 v[16:17], v[20:21], v[32:33], v[14:15] op_sel:[0,0,1] op_sel_hi:[1,1,0] neg_lo:[1,0,0] neg_hi:[1,0,0]
	v_pk_fma_f32 v[14:15], v[20:21], v[32:33], v[14:15] op_sel:[0,0,1] op_sel_hi:[1,1,0]
	v_pk_add_f32 v[12:13], v[12:13], v[24:25] neg_lo:[0,1] neg_hi:[0,1]
	v_mov_b32_e32 v17, v15
	v_mul_f32_e32 v14, v23, v35
	v_fmac_f32_e32 v14, v40, v34
	v_pk_add_f32 v[16:17], v[12:13], v[16:17] neg_lo:[0,1] neg_hi:[0,1]
	ds_read2_b32 v[18:19], v46 offset0:13 offset1:14
	v_sub_f32_e32 v20, v17, v14
	scratch_load_dwordx4 v[12:15], off, off offset:48
	s_nop 0
	scratch_store_dwordx2 off, v[16:17], off offset:112
	s_waitcnt vmcnt(1) lgkmcnt(0)
	v_mul_f32_e32 v17, v18, v13
	v_fma_f32 v17, v41, v12, -v17
	v_mul_f32_e32 v13, v41, v13
	v_fmac_f32_e32 v13, v18, v12
	v_sub_f32_e32 v12, v16, v17
	ds_read2_b32 v[16:17], v46 offset0:15 offset1:16
	v_sub_f32_e32 v13, v20, v13
	s_waitcnt lgkmcnt(0)
	v_mul_f32_e32 v18, v16, v15
	v_mul_f32_e32 v15, v19, v15
	v_fma_f32 v18, v19, v14, -v18
	v_fmac_f32_e32 v15, v16, v14
	v_sub_f32_e32 v16, v12, v18
	v_sub_f32_e32 v20, v13, v15
	scratch_load_dwordx4 v[12:15], off, off offset:64
	ds_read2_b32 v[18:19], v46 offset0:17 offset1:18
	s_waitcnt vmcnt(0) lgkmcnt(0)
	v_mul_f32_e32 v21, v18, v13
	v_fma_f32 v21, v17, v12, -v21
	v_mul_f32_e32 v13, v17, v13
	v_fmac_f32_e32 v13, v18, v12
	v_sub_f32_e32 v12, v16, v21
	ds_read2_b32 v[16:17], v46 offset0:19 offset1:20
	v_sub_f32_e32 v13, v20, v13
	s_waitcnt lgkmcnt(0)
	v_mul_f32_e32 v18, v16, v15
	v_mul_f32_e32 v15, v19, v15
	v_fma_f32 v18, v19, v14, -v18
	v_fmac_f32_e32 v15, v16, v14
	v_sub_f32_e32 v16, v12, v18
	v_sub_f32_e32 v20, v13, v15
	scratch_load_dwordx4 v[12:15], off, off offset:80
	ds_read2_b32 v[18:19], v46 offset0:21 offset1:22
	s_waitcnt vmcnt(0) lgkmcnt(0)
	v_mul_f32_e32 v21, v18, v13
	v_mul_f32_e32 v13, v17, v13
	v_fmac_f32_e32 v13, v18, v12
	v_fma_f32 v21, v17, v12, -v21
	v_sub_f32_e32 v17, v20, v13
	ds_read2_b32 v[12:13], v46 offset0:23 offset1:24
	v_sub_f32_e32 v16, v16, v21
	s_waitcnt lgkmcnt(0)
	v_mul_f32_e32 v18, v12, v15
	v_mul_f32_e32 v15, v19, v15
	v_fma_f32 v18, v19, v14, -v18
	v_fmac_f32_e32 v15, v12, v14
	v_sub_f32_e32 v12, v16, v18
	v_sub_f32_e32 v16, v17, v15
	ds_read2_b32 v[14:15], v46 offset0:25 offset1:26
	s_waitcnt lgkmcnt(0)
	v_mul_f32_e32 v17, v14, v11
	v_mul_f32_e32 v11, v13, v11
	v_fmac_f32_e32 v11, v14, v10
	v_fma_f32 v17, v13, v10, -v17
	v_sub_f32_e32 v13, v16, v11
	ds_read2_b32 v[10:11], v46 offset0:27 offset1:28
	v_sub_f32_e32 v12, v12, v17
	s_waitcnt lgkmcnt(0)
	v_mul_f32_e32 v14, v10, v7
	v_mul_f32_e32 v7, v15, v7
	v_fmac_f32_e32 v7, v10, v6
	v_fma_f32 v14, v15, v6, -v14
	v_sub_f32_e32 v7, v13, v7
	v_sub_f32_e32 v10, v12, v14
	v_mul_f32_e32 v6, v39, v7
	v_mul_f32_e32 v7, v11, v7
	v_fma_f32 v6, v11, v10, -v6
	v_fmac_f32_e32 v7, v39, v10
	scratch_store_dwordx2 off, v[6:7], off offset:112
	scratch_load_dwordx4 v[10:13], off, off offset:104
	v_add_u32_e32 v6, s12, v1
	s_or_b32 s12, s11, 15
	s_lshl_b32 s13, s12, 8
	s_add_i32 s14, s5, s13
	v_mov_b32_e32 v46, s14
	ds_read_b96 v[36:38], v46
	ds_read2_b32 v[40:41], v46 offset0:13 offset1:14
	s_mulk_i32 s12, 0x108
	s_waitcnt lgkmcnt(1)
	v_mov_b32_e32 v7, v38
	s_waitcnt vmcnt(0)
	ds_write_b64 v6, v[12:13]
	scratch_load_dwordx4 v[12:15], off, off offset:120
	scratch_load_dwordx4 v[16:19], off, off
	scratch_load_dwordx4 v[20:23], off, off offset:8
	scratch_load_dwordx4 v[24:27], off, off offset:16
	;; [unrolled: 1-line block ×4, first 2 shown]
	ds_read2_b32 v[44:45], v46 offset0:3 offset1:4
	v_mov_b32_e32 v6, v37
	s_waitcnt vmcnt(4)
	v_mov_b32_e32 v42, v16
	v_mov_b32_e32 v43, v18
	;; [unrolled: 1-line block ×3, first 2 shown]
	v_pk_mul_f32 v[16:17], v[36:37], v[16:17]
	s_waitcnt lgkmcnt(0)
	v_mov_b32_e32 v37, v44
	v_sub_f32_e32 v16, v16, v17
	v_pk_mul_f32 v[18:19], v[36:37], v[18:19]
	v_sub_f32_e32 v12, v12, v16
	s_waitcnt vmcnt(3)
	v_mov_b32_e32 v16, v20
	v_mov_b32_e32 v17, v22
	;; [unrolled: 1-line block ×3, first 2 shown]
	v_pk_fma_f32 v[22:23], v[6:7], v[42:43], v[18:19] neg_lo:[0,0,1] neg_hi:[0,0,1]
	v_pk_fma_f32 v[6:7], v[6:7], v[42:43], v[18:19]
	ds_read2_b32 v[36:37], v46 offset0:5 offset1:6
	v_pk_mov_b32 v[6:7], v[22:23], v[6:7] op_sel:[1,0]
	v_pk_mul_f32 v[22:23], v[44:45], v[16:17]
	scratch_load_dwordx4 v[16:19], off, off offset:40
	v_pk_add_f32 v[6:7], v[12:13], v[6:7] neg_lo:[0,1] neg_hi:[0,1]
	s_waitcnt vmcnt(3)
	v_mov_b32_e32 v12, v24
	v_mov_b32_e32 v13, v26
	;; [unrolled: 1-line block ×3, first 2 shown]
	s_waitcnt lgkmcnt(0)
	v_mov_b32_e32 v26, v36
	v_mov_b32_e32 v27, v38
	v_pk_fma_f32 v[38:39], v[36:37], v[20:21], v[22:23] op_sel:[0,0,1] op_sel_hi:[1,1,0] neg_lo:[1,0,0] neg_hi:[1,0,0]
	v_pk_fma_f32 v[20:21], v[26:27], v[20:21], v[22:23] op_sel:[0,0,1] op_sel_hi:[1,1,0]
	ds_read2_b32 v[22:23], v46 offset0:7 offset1:8
	v_pk_mul_f32 v[12:13], v[36:37], v[12:13]
	v_mov_b32_e32 v39, v21
	s_waitcnt vmcnt(2)
	v_mov_b32_e32 v20, v28
	v_mov_b32_e32 v21, v30
	s_waitcnt lgkmcnt(0)
	v_mov_b32_e32 v44, v22
	v_pk_fma_f32 v[26:27], v[22:23], v[24:25], v[12:13] op_sel:[0,0,1] op_sel_hi:[1,1,0] neg_lo:[1,0,0] neg_hi:[1,0,0]
	v_pk_fma_f32 v[12:13], v[44:45], v[24:25], v[12:13] op_sel:[0,0,1] op_sel_hi:[1,1,0]
	ds_read2_b32 v[24:25], v46 offset0:9 offset1:10
	v_pk_add_f32 v[6:7], v[6:7], v[38:39] neg_lo:[0,1] neg_hi:[0,1]
	v_mov_b32_e32 v28, v31
	v_mov_b32_e32 v27, v13
	v_pk_mul_f32 v[20:21], v[22:23], v[20:21]
	s_waitcnt lgkmcnt(0)
	v_mov_b32_e32 v36, v24
	v_pk_add_f32 v[6:7], v[6:7], v[26:27] neg_lo:[0,1] neg_hi:[0,1]
	v_pk_fma_f32 v[26:27], v[24:25], v[28:29], v[20:21] op_sel:[0,0,1] op_sel_hi:[1,1,0] neg_lo:[1,0,0] neg_hi:[1,0,0]
	v_pk_fma_f32 v[20:21], v[36:37], v[28:29], v[20:21] op_sel:[0,0,1] op_sel_hi:[1,1,0]
	s_waitcnt vmcnt(1)
	v_mov_b32_e32 v12, v32
	v_mov_b32_e32 v27, v21
	v_pk_add_f32 v[6:7], v[6:7], v[26:27] neg_lo:[0,1] neg_hi:[0,1]
	ds_read2_b32 v[26:27], v46 offset0:11 offset1:12
	v_mov_b32_e32 v13, v34
	v_mov_b32_e32 v32, v35
	v_pk_mul_f32 v[12:13], v[24:25], v[12:13]
	v_mov_b32_e32 v24, v40
	s_waitcnt lgkmcnt(0)
	v_mov_b32_e32 v22, v26
	v_pk_fma_f32 v[28:29], v[26:27], v[32:33], v[12:13] op_sel:[0,0,1] op_sel_hi:[1,1,0] neg_lo:[1,0,0] neg_hi:[1,0,0]
	v_pk_fma_f32 v[12:13], v[22:23], v[32:33], v[12:13] op_sel:[0,0,1] op_sel_hi:[1,1,0]
	s_waitcnt vmcnt(0)
	v_mov_b32_e32 v20, v16
	v_mov_b32_e32 v21, v18
	;; [unrolled: 1-line block ×4, first 2 shown]
	v_pk_mul_f32 v[12:13], v[26:27], v[20:21]
	v_pk_add_f32 v[6:7], v[6:7], v[28:29] neg_lo:[0,1] neg_hi:[0,1]
	v_pk_fma_f32 v[20:21], v[24:25], v[16:17], v[12:13] op_sel:[0,0,1] op_sel_hi:[1,1,0] neg_lo:[1,0,0] neg_hi:[1,0,0]
	v_pk_fma_f32 v[12:13], v[24:25], v[16:17], v[12:13] op_sel:[0,0,1] op_sel_hi:[1,1,0]
	s_nop 0
	v_mul_f32_e32 v12, v27, v19
	v_fmac_f32_e32 v12, v40, v18
	scratch_load_dwordx4 v[16:19], off, off offset:56
	v_mov_b32_e32 v21, v13
	v_pk_add_f32 v[6:7], v[6:7], v[20:21] neg_lo:[0,1] neg_hi:[0,1]
	scratch_store_dwordx2 off, v[6:7], off offset:120
	v_sub_f32_e32 v20, v7, v12
	ds_read2_b32 v[12:13], v46 offset0:15 offset1:16
	s_waitcnt vmcnt(1) lgkmcnt(0)
	v_mul_f32_e32 v7, v12, v17
	v_fma_f32 v7, v41, v16, -v7
	v_mul_f32_e32 v17, v41, v17
	v_fmac_f32_e32 v17, v12, v16
	v_sub_f32_e32 v12, v6, v7
	ds_read2_b32 v[6:7], v46 offset0:17 offset1:18
	v_sub_f32_e32 v16, v20, v17
	s_waitcnt lgkmcnt(0)
	v_mul_f32_e32 v17, v6, v19
	v_fma_f32 v17, v13, v18, -v17
	v_mul_f32_e32 v13, v13, v19
	v_fmac_f32_e32 v13, v6, v18
	v_sub_f32_e32 v6, v12, v17
	v_sub_f32_e32 v20, v16, v13
	scratch_load_dwordx4 v[16:19], off, off offset:72
	ds_read2_b32 v[12:13], v46 offset0:19 offset1:20
	s_waitcnt vmcnt(0) lgkmcnt(0)
	v_mul_f32_e32 v21, v12, v17
	v_fma_f32 v21, v7, v16, -v21
	v_mul_f32_e32 v7, v7, v17
	v_fmac_f32_e32 v7, v12, v16
	v_sub_f32_e32 v12, v6, v21
	v_sub_f32_e32 v16, v20, v7
	ds_read2_b32 v[6:7], v46 offset0:21 offset1:22
	s_waitcnt lgkmcnt(0)
	v_mul_f32_e32 v17, v6, v19
	v_fma_f32 v17, v13, v18, -v17
	v_mul_f32_e32 v13, v13, v19
	v_fmac_f32_e32 v13, v6, v18
	v_sub_f32_e32 v6, v12, v17
	v_sub_f32_e32 v20, v16, v13
	scratch_load_dwordx4 v[16:19], off, off offset:88
	ds_read2_b32 v[12:13], v46 offset0:23 offset1:24
	s_waitcnt vmcnt(0) lgkmcnt(0)
	v_mul_f32_e32 v21, v12, v17
	v_fma_f32 v21, v7, v16, -v21
	v_mul_f32_e32 v7, v7, v17
	v_fmac_f32_e32 v7, v12, v16
	v_sub_f32_e32 v12, v6, v21
	v_sub_f32_e32 v16, v20, v7
	ds_read2_b32 v[6:7], v46 offset0:25 offset1:26
	s_waitcnt lgkmcnt(0)
	v_mul_f32_e32 v17, v6, v19
	v_fma_f32 v17, v13, v18, -v17
	v_mul_f32_e32 v13, v13, v19
	v_fmac_f32_e32 v13, v6, v18
	v_sub_f32_e32 v6, v12, v17
	v_sub_f32_e32 v16, v16, v13
	ds_read2_b32 v[12:13], v46 offset0:27 offset1:28
	s_waitcnt lgkmcnt(0)
	v_mul_f32_e32 v17, v12, v11
	v_fma_f32 v17, v7, v10, -v17
	v_mul_f32_e32 v7, v7, v11
	v_fmac_f32_e32 v7, v12, v10
	v_sub_f32_e32 v12, v6, v17
	v_sub_f32_e32 v16, v16, v7
	scratch_load_dwordx2 v[6:7], off, off offset:112
	ds_read2_b32 v[10:11], v46 offset0:29 offset1:30
	s_waitcnt vmcnt(0) lgkmcnt(0)
	v_mul_f32_e32 v17, v10, v7
	v_mul_f32_e32 v7, v13, v7
	v_fma_f32 v17, v13, v6, -v17
	v_fmac_f32_e32 v7, v10, v6
	v_mov_b32_e32 v6, s12
	v_sub_f32_e32 v10, v12, v17
	ds_read_b32 v12, v6 offset:4
	v_sub_f32_e32 v7, v16, v7
	s_or_b32 s12, s11, 16
	s_waitcnt lgkmcnt(0)
	v_mul_f32_e32 v6, v12, v7
	v_mul_f32_e32 v7, v11, v7
	v_fma_f32 v6, v11, v10, -v6
	v_fmac_f32_e32 v7, v12, v10
	scratch_store_dwordx2 off, v[6:7], off offset:120
	scratch_load_dwordx4 v[10:13], off, off offset:112
	v_add_u32_e32 v6, s13, v1
	s_lshl_b32 s13, s12, 8
	s_add_i32 s14, s5, s13
	scratch_load_dword v7, off, off offset:4
	v_mov_b32_e32 v42, s14
	ds_read_b96 v[32:34], v42
	ds_read2_b32 v[36:37], v42 offset0:15 offset1:16
	s_mulk_i32 s12, 0x108
	s_waitcnt vmcnt(1)
	ds_write_b64 v6, v[12:13]
	scratch_load_dwordx4 v[16:19], off, off offset:8
	scratch_load_dwordx4 v[20:23], off, off
	scratch_load_dwordx4 v[24:27], off, off offset:16
	scratch_load_dwordx4 v[28:31], off, off offset:24
	s_waitcnt lgkmcnt(2)
	v_mov_b32_e32 v12, v33
	s_waitcnt vmcnt(2)
	v_mov_b32_e32 v23, v7
	v_mov_b32_e32 v13, v34
	ds_read2_b32 v[40:41], v42 offset0:3 offset1:4
	v_mov_b32_e32 v6, v17
	v_mov_b32_e32 v21, v22
	;; [unrolled: 1-line block ×3, first 2 shown]
	v_pk_mul_f32 v[22:23], v[32:33], v[22:23]
	v_pk_mul_f32 v[12:13], v[12:13], v[20:21]
	v_sub_f32_e32 v22, v22, v23
	v_sub_f32_e32 v14, v14, v22
	scratch_load_dwordx4 v[20:23], off, off offset:32
	v_mov_b32_e32 v38, v16
	v_mov_b32_e32 v39, v18
	v_mov_b32_e32 v18, v17
	s_waitcnt lgkmcnt(0)
	v_mov_b32_e32 v16, v40
	v_mov_b32_e32 v17, v32
	v_pk_fma_f32 v[32:33], v[40:41], v[18:19], v[12:13] op_sel:[0,0,1] op_sel_hi:[1,1,0] neg_lo:[1,0,0] neg_hi:[1,0,0]
	v_pk_fma_f32 v[6:7], v[16:17], v[6:7], v[12:13] op_sel:[0,0,1] op_sel_hi:[1,1,0]
	s_waitcnt vmcnt(2)
	v_mov_b32_e32 v16, v24
	v_mov_b32_e32 v33, v7
	v_pk_add_f32 v[6:7], v[14:15], v[32:33] neg_lo:[0,1] neg_hi:[0,1]
	v_pk_mul_f32 v[32:33], v[40:41], v[38:39]
	ds_read2_b32 v[38:39], v42 offset0:5 offset1:6
	scratch_load_dwordx4 v[12:15], off, off offset:40
	v_mov_b32_e32 v17, v26
	v_mov_b32_e32 v24, v27
	;; [unrolled: 1-line block ×3, first 2 shown]
	s_waitcnt lgkmcnt(0)
	v_mov_b32_e32 v26, v38
	v_pk_fma_f32 v[34:35], v[38:39], v[18:19], v[32:33] op_sel:[0,1,1] op_sel_hi:[1,0,0] neg_lo:[1,0,0] neg_hi:[1,0,0]
	v_pk_fma_f32 v[18:19], v[26:27], v[18:19], v[32:33] op_sel:[0,1,1] op_sel_hi:[1,0,0]
	v_pk_mul_f32 v[32:33], v[38:39], v[16:17]
	v_mov_b32_e32 v35, v19
	scratch_load_dwordx4 v[16:19], off, off offset:48
	v_pk_add_f32 v[6:7], v[6:7], v[34:35] neg_lo:[0,1] neg_hi:[0,1]
	ds_read2_b32 v[34:35], v42 offset0:7 offset1:8
	s_waitcnt vmcnt(3)
	v_mov_b32_e32 v26, v28
	v_mov_b32_e32 v27, v30
	;; [unrolled: 1-line block ×3, first 2 shown]
	s_waitcnt lgkmcnt(0)
	v_mov_b32_e32 v40, v34
	v_pk_fma_f32 v[30:31], v[34:35], v[24:25], v[32:33] op_sel:[0,0,1] op_sel_hi:[1,1,0] neg_lo:[1,0,0] neg_hi:[1,0,0]
	v_pk_fma_f32 v[24:25], v[40:41], v[24:25], v[32:33] op_sel:[0,0,1] op_sel_hi:[1,1,0]
	v_pk_mul_f32 v[26:27], v[34:35], v[26:27]
	v_mov_b32_e32 v31, v25
	v_pk_add_f32 v[6:7], v[6:7], v[30:31] neg_lo:[0,1] neg_hi:[0,1]
	ds_read2_b32 v[30:31], v42 offset0:9 offset1:10
	s_waitcnt lgkmcnt(0)
	v_mov_b32_e32 v38, v30
	s_waitcnt vmcnt(2)
	v_mov_b32_e32 v24, v20
	v_mov_b32_e32 v25, v22
	;; [unrolled: 1-line block ×3, first 2 shown]
	v_pk_fma_f32 v[22:23], v[30:31], v[28:29], v[26:27] op_sel:[0,0,1] op_sel_hi:[1,1,0] neg_lo:[1,0,0] neg_hi:[1,0,0]
	v_pk_fma_f32 v[26:27], v[38:39], v[28:29], v[26:27] op_sel:[0,0,1] op_sel_hi:[1,1,0]
	v_pk_mul_f32 v[24:25], v[30:31], v[24:25]
	v_mov_b32_e32 v23, v27
	ds_read2_b32 v[26:27], v42 offset0:11 offset1:12
	v_pk_add_f32 v[6:7], v[6:7], v[22:23] neg_lo:[0,1] neg_hi:[0,1]
	s_waitcnt lgkmcnt(0)
	v_mov_b32_e32 v34, v26
	s_waitcnt vmcnt(1)
	v_mov_b32_e32 v22, v12
	v_mov_b32_e32 v23, v14
	;; [unrolled: 1-line block ×3, first 2 shown]
	v_pk_fma_f32 v[14:15], v[26:27], v[20:21], v[24:25] op_sel:[0,0,1] op_sel_hi:[1,1,0] neg_lo:[1,0,0] neg_hi:[1,0,0]
	v_pk_fma_f32 v[20:21], v[34:35], v[20:21], v[24:25] op_sel:[0,0,1] op_sel_hi:[1,1,0]
	s_nop 0
	v_mov_b32_e32 v15, v21
	v_pk_mul_f32 v[20:21], v[26:27], v[22:23]
	ds_read2_b32 v[22:23], v42 offset0:13 offset1:14
	v_pk_add_f32 v[6:7], v[6:7], v[14:15] neg_lo:[0,1] neg_hi:[0,1]
	s_waitcnt vmcnt(0)
	v_mov_b32_e32 v14, v16
	v_mov_b32_e32 v15, v18
	;; [unrolled: 1-line block ×3, first 2 shown]
	s_waitcnt lgkmcnt(0)
	v_mov_b32_e32 v30, v22
	v_pk_fma_f32 v[24:25], v[22:23], v[12:13], v[20:21] op_sel:[0,0,1] op_sel_hi:[1,1,0] neg_lo:[1,0,0] neg_hi:[1,0,0]
	v_pk_fma_f32 v[12:13], v[30:31], v[12:13], v[20:21] op_sel:[0,0,1] op_sel_hi:[1,1,0]
	v_mov_b32_e32 v26, v36
	v_mov_b32_e32 v25, v13
	v_pk_mul_f32 v[12:13], v[22:23], v[14:15]
	v_pk_add_f32 v[6:7], v[6:7], v[24:25] neg_lo:[0,1] neg_hi:[0,1]
	v_pk_fma_f32 v[14:15], v[26:27], v[16:17], v[12:13] op_sel:[0,0,1] op_sel_hi:[1,1,0] neg_lo:[1,0,0] neg_hi:[1,0,0]
	v_pk_fma_f32 v[12:13], v[26:27], v[16:17], v[12:13] op_sel:[0,0,1] op_sel_hi:[1,1,0]
	ds_read2_b32 v[16:17], v42 offset0:17 offset1:18
	v_mov_b32_e32 v15, v13
	v_mul_f32_e32 v12, v23, v19
	v_fmac_f32_e32 v12, v36, v18
	v_pk_add_f32 v[6:7], v[6:7], v[14:15] neg_lo:[0,1] neg_hi:[0,1]
	scratch_store_dwordx2 off, v[6:7], off offset:128
	v_sub_f32_e32 v18, v7, v12
	scratch_load_dwordx4 v[12:15], off, off offset:64
	s_waitcnt vmcnt(0) lgkmcnt(0)
	v_mul_f32_e32 v7, v16, v13
	v_fma_f32 v7, v37, v12, -v7
	v_mul_f32_e32 v13, v37, v13
	v_fmac_f32_e32 v13, v16, v12
	v_sub_f32_e32 v12, v6, v7
	ds_read2_b32 v[6:7], v42 offset0:19 offset1:20
	v_sub_f32_e32 v13, v18, v13
	s_waitcnt lgkmcnt(0)
	v_mul_f32_e32 v16, v6, v15
	v_mul_f32_e32 v15, v17, v15
	v_fma_f32 v16, v17, v14, -v16
	v_fmac_f32_e32 v15, v6, v14
	v_sub_f32_e32 v6, v12, v16
	v_sub_f32_e32 v18, v13, v15
	scratch_load_dwordx4 v[12:15], off, off offset:80
	ds_read2_b32 v[16:17], v42 offset0:21 offset1:22
	s_waitcnt vmcnt(0) lgkmcnt(0)
	v_mul_f32_e32 v19, v16, v13
	v_fma_f32 v19, v7, v12, -v19
	v_mul_f32_e32 v7, v7, v13
	v_fmac_f32_e32 v7, v16, v12
	v_sub_f32_e32 v12, v6, v19
	v_sub_f32_e32 v13, v18, v7
	ds_read2_b32 v[6:7], v42 offset0:23 offset1:24
	s_waitcnt lgkmcnt(0)
	v_mul_f32_e32 v16, v6, v15
	v_mul_f32_e32 v15, v17, v15
	v_fma_f32 v16, v17, v14, -v16
	v_fmac_f32_e32 v15, v6, v14
	v_sub_f32_e32 v6, v12, v16
	v_sub_f32_e32 v18, v13, v15
	scratch_load_dwordx4 v[12:15], off, off offset:96
	ds_read2_b32 v[16:17], v42 offset0:25 offset1:26
	s_waitcnt vmcnt(0) lgkmcnt(0)
	v_mul_f32_e32 v19, v16, v13
	v_fma_f32 v19, v7, v12, -v19
	v_mul_f32_e32 v7, v7, v13
	v_fmac_f32_e32 v7, v16, v12
	v_sub_f32_e32 v12, v6, v19
	v_sub_f32_e32 v13, v18, v7
	ds_read2_b32 v[6:7], v42 offset0:27 offset1:28
	s_waitcnt lgkmcnt(0)
	v_mul_f32_e32 v16, v6, v15
	v_mul_f32_e32 v15, v17, v15
	v_fma_f32 v16, v17, v14, -v16
	v_fmac_f32_e32 v15, v6, v14
	v_sub_f32_e32 v6, v12, v16
	v_sub_f32_e32 v14, v13, v15
	ds_read2_b32 v[12:13], v42 offset0:29 offset1:30
	s_waitcnt lgkmcnt(0)
	v_mul_f32_e32 v15, v12, v11
	v_fma_f32 v15, v7, v10, -v15
	v_mul_f32_e32 v7, v7, v11
	v_fmac_f32_e32 v7, v12, v10
	v_sub_f32_e32 v12, v6, v15
	v_sub_f32_e32 v14, v14, v7
	scratch_load_dwordx2 v[6:7], off, off offset:120
	ds_read2_b32 v[10:11], v42 offset0:31 offset1:32
	s_waitcnt vmcnt(0) lgkmcnt(0)
	v_mul_f32_e32 v15, v10, v7
	v_mul_f32_e32 v7, v13, v7
	v_fma_f32 v15, v13, v6, -v15
	v_fmac_f32_e32 v7, v10, v6
	v_mov_b32_e32 v6, s12
	v_sub_f32_e32 v10, v12, v15
	ds_read_b32 v12, v6 offset:4
	v_sub_f32_e32 v7, v14, v7
	s_or_b32 s12, s11, 17
	s_waitcnt lgkmcnt(0)
	v_mul_f32_e32 v6, v12, v7
	v_mul_f32_e32 v7, v11, v7
	v_fma_f32 v6, v11, v10, -v6
	v_fmac_f32_e32 v7, v12, v10
	scratch_store_dwordx2 off, v[6:7], off offset:128
	scratch_load_dwordx4 v[10:13], off, off offset:120
	v_add_u32_e32 v6, s13, v1
	s_lshl_b32 s13, s12, 8
	s_add_i32 s14, s5, s13
	v_mov_b32_e32 v46, s14
	s_mulk_i32 s12, 0x108
	s_waitcnt vmcnt(0)
	ds_write_b64 v6, v[12:13]
	scratch_load_dwordx4 v[12:15], off, off offset:136
	scratch_load_dwordx4 v[16:19], off, off
	scratch_load_dwordx4 v[20:23], off, off offset:16
	scratch_load_dwordx4 v[24:27], off, off offset:24
	ds_read_b96 v[34:36], v46
	ds_read2_b32 v[42:43], v46 offset0:3 offset1:4
	scratch_load_dwordx4 v[28:31], off, off offset:32
	ds_read2_b32 v[38:39], v46 offset0:17 offset1:18
	s_waitcnt lgkmcnt(2)
	v_mov_b32_e32 v45, v34
	s_waitcnt lgkmcnt(1)
	v_mov_b32_e32 v44, v42
	v_mov_b32_e32 v6, v35
	;; [unrolled: 1-line block ×3, first 2 shown]
	s_waitcnt vmcnt(3)
	v_mov_b32_e32 v33, v16
	v_mov_b32_e32 v41, v17
	v_pk_mul_f32 v[16:17], v[34:35], v[16:17]
	v_mov_b32_e32 v40, v19
	v_sub_f32_e32 v16, v16, v17
	v_mov_b32_e32 v32, v18
	v_sub_f32_e32 v12, v12, v16
	v_mov_b32_e32 v16, v18
	s_waitcnt vmcnt(2)
	v_mov_b32_e32 v17, v20
	v_pk_mul_f32 v[34:35], v[44:45], v[40:41]
	v_mov_b32_e32 v18, v21
	v_pk_fma_f32 v[40:41], v[6:7], v[16:17], v[34:35] op_sel:[1,0,0] op_sel_hi:[0,1,1] neg_lo:[0,0,1] neg_hi:[0,0,1]
	v_pk_fma_f32 v[6:7], v[6:7], v[32:33], v[34:35] op_sel:[1,0,0] op_sel_hi:[0,1,1]
	v_mov_b32_e32 v41, v7
	v_pk_add_f32 v[6:7], v[12:13], v[40:41] neg_lo:[0,1] neg_hi:[0,1]
	ds_read2_b32 v[40:41], v46 offset0:5 offset1:6
	v_mov_b32_e32 v12, v20
	v_mov_b32_e32 v13, v22
	v_pk_mul_f32 v[16:17], v[42:43], v[16:17]
	v_mov_b32_e32 v20, v23
	s_waitcnt lgkmcnt(0)
	v_mov_b32_e32 v22, v40
	v_mov_b32_e32 v23, v36
	v_pk_fma_f32 v[36:37], v[40:41], v[18:19], v[16:17] op_sel:[0,0,1] op_sel_hi:[1,1,0] neg_lo:[1,0,0] neg_hi:[1,0,0]
	v_pk_fma_f32 v[16:17], v[22:23], v[18:19], v[16:17] op_sel:[0,0,1] op_sel_hi:[1,1,0]
	scratch_load_dwordx4 v[32:35], off, off offset:40
	v_mov_b32_e32 v37, v17
	v_pk_add_f32 v[6:7], v[6:7], v[36:37] neg_lo:[0,1] neg_hi:[0,1]
	ds_read2_b32 v[36:37], v46 offset0:7 offset1:8
	scratch_load_dwordx4 v[16:19], off, off offset:48
	v_pk_mul_f32 v[12:13], v[40:41], v[12:13]
	s_waitcnt vmcnt(3)
	v_mov_b32_e32 v22, v24
	v_mov_b32_e32 v23, v26
	s_waitcnt lgkmcnt(0)
	v_mov_b32_e32 v42, v36
	v_mov_b32_e32 v24, v27
	v_pk_fma_f32 v[26:27], v[36:37], v[20:21], v[12:13] op_sel:[0,0,1] op_sel_hi:[1,1,0] neg_lo:[1,0,0] neg_hi:[1,0,0]
	v_pk_fma_f32 v[12:13], v[42:43], v[20:21], v[12:13] op_sel:[0,0,1] op_sel_hi:[1,1,0]
	ds_read2_b32 v[42:43], v46 offset0:9 offset1:10
	v_mov_b32_e32 v27, v13
	v_pk_add_f32 v[6:7], v[6:7], v[26:27] neg_lo:[0,1] neg_hi:[0,1]
	v_pk_mul_f32 v[26:27], v[36:37], v[22:23]
	scratch_load_dwordx4 v[20:23], off, off offset:56
	s_waitcnt lgkmcnt(0)
	v_mov_b32_e32 v40, v42
	s_waitcnt vmcnt(3)
	v_mov_b32_e32 v12, v28
	v_mov_b32_e32 v13, v30
	v_mov_b32_e32 v28, v31
	v_pk_fma_f32 v[30:31], v[42:43], v[24:25], v[26:27] op_sel:[0,0,1] op_sel_hi:[1,1,0] neg_lo:[1,0,0] neg_hi:[1,0,0]
	v_pk_fma_f32 v[24:25], v[40:41], v[24:25], v[26:27] op_sel:[0,0,1] op_sel_hi:[1,1,0]
	ds_read2_b32 v[26:27], v46 offset0:11 offset1:12
	v_mov_b32_e32 v31, v25
	v_pk_mul_f32 v[12:13], v[42:43], v[12:13]
	v_pk_add_f32 v[6:7], v[6:7], v[30:31] neg_lo:[0,1] neg_hi:[0,1]
	s_waitcnt lgkmcnt(0)
	v_mov_b32_e32 v36, v26
	v_pk_fma_f32 v[30:31], v[26:27], v[28:29], v[12:13] op_sel:[0,0,1] op_sel_hi:[1,1,0] neg_lo:[1,0,0] neg_hi:[1,0,0]
	v_pk_fma_f32 v[12:13], v[36:37], v[28:29], v[12:13] op_sel:[0,0,1] op_sel_hi:[1,1,0]
	ds_read2_b32 v[28:29], v46 offset0:13 offset1:14
	v_mov_b32_e32 v31, v13
	v_pk_add_f32 v[6:7], v[6:7], v[30:31] neg_lo:[0,1] neg_hi:[0,1]
	s_waitcnt lgkmcnt(0)
	v_mov_b32_e32 v42, v28
	s_waitcnt vmcnt(2)
	v_mov_b32_e32 v24, v32
	v_mov_b32_e32 v25, v34
	;; [unrolled: 1-line block ×3, first 2 shown]
	v_pk_mul_f32 v[24:25], v[26:27], v[24:25]
	s_waitcnt vmcnt(1)
	v_mov_b32_e32 v12, v16
	v_mov_b32_e32 v13, v18
	;; [unrolled: 1-line block ×3, first 2 shown]
	v_pk_fma_f32 v[18:19], v[28:29], v[32:33], v[24:25] op_sel:[0,0,1] op_sel_hi:[1,1,0] neg_lo:[1,0,0] neg_hi:[1,0,0]
	v_pk_fma_f32 v[24:25], v[42:43], v[32:33], v[24:25] op_sel:[0,0,1] op_sel_hi:[1,1,0]
	v_pk_mul_f32 v[12:13], v[28:29], v[12:13]
	v_mov_b32_e32 v19, v25
	ds_read2_b32 v[24:25], v46 offset0:15 offset1:16
	v_pk_add_f32 v[6:7], v[6:7], v[18:19] neg_lo:[0,1] neg_hi:[0,1]
	v_mov_b32_e32 v28, v38
	s_waitcnt lgkmcnt(0)
	v_mov_b32_e32 v26, v24
	s_waitcnt vmcnt(0)
	v_mov_b32_e32 v18, v20
	v_mov_b32_e32 v19, v22
	v_pk_fma_f32 v[30:31], v[24:25], v[16:17], v[12:13] op_sel:[0,0,1] op_sel_hi:[1,1,0] neg_lo:[1,0,0] neg_hi:[1,0,0]
	v_pk_fma_f32 v[12:13], v[26:27], v[16:17], v[12:13] op_sel:[0,0,1] op_sel_hi:[1,1,0]
	v_mov_b32_e32 v20, v23
	v_mov_b32_e32 v31, v13
	v_pk_mul_f32 v[12:13], v[24:25], v[18:19]
	v_pk_add_f32 v[6:7], v[6:7], v[30:31] neg_lo:[0,1] neg_hi:[0,1]
	v_pk_fma_f32 v[16:17], v[28:29], v[20:21], v[12:13] op_sel:[0,0,1] op_sel_hi:[1,1,0] neg_lo:[1,0,0] neg_hi:[1,0,0]
	v_pk_fma_f32 v[12:13], v[28:29], v[20:21], v[12:13] op_sel:[0,0,1] op_sel_hi:[1,1,0]
	s_nop 0
	v_mov_b32_e32 v17, v13
	v_pk_add_f32 v[6:7], v[6:7], v[16:17] neg_lo:[0,1] neg_hi:[0,1]
	scratch_load_dwordx4 v[16:19], off, off offset:72
	v_mul_f32_e32 v12, v25, v23
	v_fmac_f32_e32 v12, v38, v22
	v_sub_f32_e32 v7, v7, v12
	ds_read2_b32 v[12:13], v46 offset0:19 offset1:20
	s_waitcnt vmcnt(0) lgkmcnt(0)
	v_mul_f32_e32 v20, v12, v17
	v_mul_f32_e32 v17, v39, v17
	v_fma_f32 v20, v39, v16, -v20
	v_fmac_f32_e32 v17, v12, v16
	v_sub_f32_e32 v12, v6, v20
	v_sub_f32_e32 v16, v7, v17
	ds_read2_b32 v[6:7], v46 offset0:21 offset1:22
	s_waitcnt lgkmcnt(0)
	v_mul_f32_e32 v17, v6, v19
	v_fma_f32 v17, v13, v18, -v17
	v_mul_f32_e32 v13, v13, v19
	v_fmac_f32_e32 v13, v6, v18
	v_sub_f32_e32 v6, v12, v17
	v_sub_f32_e32 v20, v16, v13
	scratch_load_dwordx4 v[16:19], off, off offset:88
	ds_read2_b32 v[12:13], v46 offset0:23 offset1:24
	s_waitcnt vmcnt(0) lgkmcnt(0)
	v_mul_f32_e32 v21, v12, v17
	v_fma_f32 v21, v7, v16, -v21
	v_mul_f32_e32 v7, v7, v17
	v_fmac_f32_e32 v7, v12, v16
	v_sub_f32_e32 v12, v6, v21
	v_sub_f32_e32 v16, v20, v7
	ds_read2_b32 v[6:7], v46 offset0:25 offset1:26
	s_waitcnt lgkmcnt(0)
	v_mul_f32_e32 v17, v6, v19
	v_fma_f32 v17, v13, v18, -v17
	v_mul_f32_e32 v13, v13, v19
	v_fmac_f32_e32 v13, v6, v18
	v_sub_f32_e32 v6, v12, v17
	v_sub_f32_e32 v20, v16, v13
	scratch_load_dwordx4 v[16:19], off, off offset:104
	ds_read2_b32 v[12:13], v46 offset0:27 offset1:28
	s_waitcnt vmcnt(0) lgkmcnt(0)
	v_mul_f32_e32 v21, v12, v17
	v_fma_f32 v21, v7, v16, -v21
	v_mul_f32_e32 v7, v7, v17
	v_fmac_f32_e32 v7, v12, v16
	v_sub_f32_e32 v12, v6, v21
	v_sub_f32_e32 v16, v20, v7
	ds_read2_b32 v[6:7], v46 offset0:29 offset1:30
	s_waitcnt lgkmcnt(0)
	v_mul_f32_e32 v17, v6, v19
	v_fma_f32 v17, v13, v18, -v17
	v_mul_f32_e32 v13, v13, v19
	v_fmac_f32_e32 v13, v6, v18
	v_sub_f32_e32 v6, v12, v17
	v_sub_f32_e32 v16, v16, v13
	ds_read2_b32 v[12:13], v46 offset0:31 offset1:32
	s_waitcnt lgkmcnt(0)
	v_mul_f32_e32 v17, v12, v11
	v_fma_f32 v17, v7, v10, -v17
	v_mul_f32_e32 v7, v7, v11
	v_fmac_f32_e32 v7, v12, v10
	v_sub_f32_e32 v12, v6, v17
	v_sub_f32_e32 v16, v16, v7
	scratch_load_dwordx2 v[6:7], off, off offset:128
	ds_read2_b32 v[10:11], v46 offset0:33 offset1:34
	s_waitcnt vmcnt(0) lgkmcnt(0)
	v_mul_f32_e32 v17, v10, v7
	v_mul_f32_e32 v7, v13, v7
	v_fma_f32 v17, v13, v6, -v17
	v_fmac_f32_e32 v7, v10, v6
	v_mov_b32_e32 v6, s12
	v_sub_f32_e32 v10, v12, v17
	ds_read_b32 v12, v6 offset:4
	v_sub_f32_e32 v7, v16, v7
	scratch_load_dwordx4 v[16:19], off, off
	s_or_b32 s12, s11, 18
	s_waitcnt lgkmcnt(0)
	v_mul_f32_e32 v6, v12, v7
	v_mul_f32_e32 v7, v11, v7
	v_fma_f32 v6, v11, v10, -v6
	v_fmac_f32_e32 v7, v12, v10
	scratch_store_dwordx2 off, v[6:7], off offset:136
	scratch_load_dwordx4 v[10:13], off, off offset:128
	v_add_u32_e32 v6, s13, v1
	s_lshl_b32 s13, s12, 8
	s_add_i32 s14, s5, s13
	v_mov_b32_e32 v42, s14
	ds_read_b96 v[32:34], v42
	ds_read2_b32 v[36:37], v42 offset0:19 offset1:20
	s_mulk_i32 s12, 0x108
	s_waitcnt lgkmcnt(1)
	v_mov_b32_e32 v41, v32
	s_waitcnt vmcnt(2)
	v_mov_b32_e32 v28, v16
	v_mov_b32_e32 v29, v18
	v_mul_f32_e32 v7, v33, v17
	v_fma_f32 v7, v32, v16, -v7
	v_mov_b32_e32 v16, v19
	v_sub_f32_e32 v14, v14, v7
	v_mov_b32_e32 v7, v19
	s_waitcnt vmcnt(0)
	ds_write_b64 v6, v[12:13]
	scratch_load_dword v6, off, off offset:20
	scratch_load_dwordx4 v[20:23], off, off offset:24
	scratch_load_dwordx4 v[24:27], off, off offset:16
	v_mov_b32_e32 v12, v33
	v_mov_b32_e32 v13, v34
	v_pk_mul_f32 v[12:13], v[12:13], v[28:29]
	scratch_load_dwordx4 v[28:31], off, off offset:32
	ds_read2_b32 v[38:39], v42 offset0:3 offset1:4
	s_waitcnt vmcnt(1)
	v_mov_b32_e32 v25, v18
	v_mov_b32_e32 v18, v19
	s_waitcnt lgkmcnt(0)
	v_mov_b32_e32 v40, v38
	v_pk_fma_f32 v[18:19], v[38:39], v[18:19], v[12:13] op_sel:[0,0,1] op_sel_hi:[1,1,0] neg_lo:[1,0,0] neg_hi:[1,0,0]
	v_pk_fma_f32 v[12:13], v[40:41], v[16:17], v[12:13] op_sel:[0,0,1] op_sel_hi:[1,1,0]
	v_mov_b32_e32 v41, v34
	v_mov_b32_e32 v19, v13
	v_pk_add_f32 v[16:17], v[14:15], v[18:19] neg_lo:[0,1] neg_hi:[0,1]
	scratch_load_dwordx4 v[12:15], off, off offset:40
	v_mov_b32_e32 v33, v6
	v_mov_b32_e32 v19, v26
	ds_read2_b32 v[26:27], v42 offset0:5 offset1:6
	v_mov_b32_e32 v18, v24
	v_mov_b32_e32 v32, v21
	s_waitcnt lgkmcnt(0)
	v_mov_b32_e32 v40, v26
	v_pk_mul_f32 v[6:7], v[40:41], v[6:7]
	ds_read2_b32 v[40:41], v42 offset0:7 offset1:8
	v_pk_fma_f32 v[34:35], v[38:39], v[18:19], v[6:7] op_sel:[1,0,0] op_sel_hi:[0,1,1] neg_lo:[0,0,1] neg_hi:[0,0,1]
	v_pk_fma_f32 v[6:7], v[38:39], v[24:25], v[6:7] op_sel:[1,0,0] op_sel_hi:[0,1,1]
	v_mov_b32_e32 v35, v7
	v_pk_add_f32 v[6:7], v[16:17], v[34:35] neg_lo:[0,1] neg_hi:[0,1]
	v_pk_mul_f32 v[34:35], v[26:27], v[18:19]
	scratch_load_dwordx4 v[16:19], off, off offset:48
	s_waitcnt lgkmcnt(0)
	v_mov_b32_e32 v38, v40
	v_mov_b32_e32 v24, v20
	;; [unrolled: 1-line block ×4, first 2 shown]
	v_pk_fma_f32 v[22:23], v[40:41], v[32:33], v[34:35] op_sel:[0,0,1] op_sel_hi:[1,1,0] neg_lo:[1,0,0] neg_hi:[1,0,0]
	v_pk_fma_f32 v[32:33], v[38:39], v[32:33], v[34:35] op_sel:[0,0,1] op_sel_hi:[1,1,0]
	ds_read2_b32 v[38:39], v42 offset0:9 offset1:10
	v_mov_b32_e32 v23, v33
	v_pk_mul_f32 v[34:35], v[40:41], v[24:25]
	v_pk_add_f32 v[6:7], v[6:7], v[22:23] neg_lo:[0,1] neg_hi:[0,1]
	s_waitcnt vmcnt(2)
	v_mov_b32_e32 v32, v28
	s_waitcnt lgkmcnt(0)
	v_mov_b32_e32 v26, v38
	v_mov_b32_e32 v33, v30
	scratch_load_dwordx4 v[22:25], off, off offset:56
	v_mov_b32_e32 v28, v31
	v_pk_fma_f32 v[30:31], v[38:39], v[20:21], v[34:35] op_sel:[0,0,1] op_sel_hi:[1,1,0] neg_lo:[1,0,0] neg_hi:[1,0,0]
	v_pk_fma_f32 v[20:21], v[26:27], v[20:21], v[34:35] op_sel:[0,0,1] op_sel_hi:[1,1,0]
	v_pk_mul_f32 v[26:27], v[38:39], v[32:33]
	v_mov_b32_e32 v31, v21
	v_pk_add_f32 v[6:7], v[6:7], v[30:31] neg_lo:[0,1] neg_hi:[0,1]
	scratch_load_dwordx4 v[30:33], off, off offset:64
	ds_read2_b32 v[34:35], v42 offset0:11 offset1:12
	s_waitcnt vmcnt(3)
	v_mov_b32_e32 v20, v12
	v_mov_b32_e32 v21, v14
	;; [unrolled: 1-line block ×3, first 2 shown]
	s_waitcnt lgkmcnt(0)
	v_mov_b32_e32 v40, v34
	v_pk_fma_f32 v[14:15], v[34:35], v[28:29], v[26:27] op_sel:[0,0,1] op_sel_hi:[1,1,0] neg_lo:[1,0,0] neg_hi:[1,0,0]
	v_pk_fma_f32 v[26:27], v[40:41], v[28:29], v[26:27] op_sel:[0,0,1] op_sel_hi:[1,1,0]
	v_pk_mul_f32 v[20:21], v[34:35], v[20:21]
	v_mov_b32_e32 v15, v27
	ds_read2_b32 v[26:27], v42 offset0:13 offset1:14
	v_pk_add_f32 v[6:7], v[6:7], v[14:15] neg_lo:[0,1] neg_hi:[0,1]
	s_waitcnt lgkmcnt(0)
	v_mov_b32_e32 v38, v26
	s_waitcnt vmcnt(2)
	v_mov_b32_e32 v14, v16
	v_mov_b32_e32 v15, v18
	;; [unrolled: 1-line block ×3, first 2 shown]
	v_pk_fma_f32 v[18:19], v[26:27], v[12:13], v[20:21] op_sel:[0,0,1] op_sel_hi:[1,1,0] neg_lo:[1,0,0] neg_hi:[1,0,0]
	v_pk_fma_f32 v[12:13], v[38:39], v[12:13], v[20:21] op_sel:[0,0,1] op_sel_hi:[1,1,0]
	v_pk_mul_f32 v[14:15], v[26:27], v[14:15]
	v_mov_b32_e32 v19, v13
	v_pk_add_f32 v[6:7], v[6:7], v[18:19] neg_lo:[0,1] neg_hi:[0,1]
	ds_read2_b32 v[18:19], v42 offset0:15 offset1:16
	s_waitcnt lgkmcnt(0)
	v_mov_b32_e32 v34, v18
	v_pk_fma_f32 v[20:21], v[18:19], v[16:17], v[14:15] op_sel:[0,0,1] op_sel_hi:[1,1,0] neg_lo:[1,0,0] neg_hi:[1,0,0]
	v_pk_fma_f32 v[14:15], v[34:35], v[16:17], v[14:15] op_sel:[0,0,1] op_sel_hi:[1,1,0]
	ds_read2_b32 v[16:17], v42 offset0:17 offset1:18
	s_waitcnt vmcnt(1)
	v_mov_b32_e32 v12, v22
	v_mov_b32_e32 v13, v24
	;; [unrolled: 1-line block ×4, first 2 shown]
	v_pk_mul_f32 v[12:13], v[18:19], v[12:13]
	s_waitcnt lgkmcnt(0)
	v_mov_b32_e32 v26, v16
	v_pk_add_f32 v[6:7], v[6:7], v[20:21] neg_lo:[0,1] neg_hi:[0,1]
	s_waitcnt vmcnt(0)
	v_mov_b32_e32 v14, v30
	v_mov_b32_e32 v15, v32
	v_pk_fma_f32 v[20:21], v[16:17], v[22:23], v[12:13] op_sel:[0,0,1] op_sel_hi:[1,1,0] neg_lo:[1,0,0] neg_hi:[1,0,0]
	v_pk_fma_f32 v[12:13], v[26:27], v[22:23], v[12:13] op_sel:[0,0,1] op_sel_hi:[1,1,0]
	v_mov_b32_e32 v30, v33
	v_mov_b32_e32 v21, v13
	v_pk_mul_f32 v[12:13], v[16:17], v[14:15]
	v_mov_b32_e32 v18, v36
	v_pk_fma_f32 v[14:15], v[18:19], v[30:31], v[12:13] op_sel:[0,0,1] op_sel_hi:[1,1,0] neg_lo:[1,0,0] neg_hi:[1,0,0]
	v_pk_fma_f32 v[12:13], v[18:19], v[30:31], v[12:13] op_sel:[0,0,1] op_sel_hi:[1,1,0]
	v_pk_add_f32 v[6:7], v[6:7], v[20:21] neg_lo:[0,1] neg_hi:[0,1]
	v_mov_b32_e32 v15, v13
	v_mul_f32_e32 v12, v17, v33
	v_fmac_f32_e32 v12, v36, v32
	v_pk_add_f32 v[6:7], v[6:7], v[14:15] neg_lo:[0,1] neg_hi:[0,1]
	ds_read2_b32 v[16:17], v42 offset0:21 offset1:22
	v_sub_f32_e32 v7, v7, v12
	scratch_load_dwordx4 v[12:15], off, off offset:80
	s_waitcnt vmcnt(0) lgkmcnt(0)
	v_mul_f32_e32 v18, v16, v13
	v_mul_f32_e32 v13, v37, v13
	v_fma_f32 v18, v37, v12, -v18
	v_fmac_f32_e32 v13, v16, v12
	v_sub_f32_e32 v12, v6, v18
	v_sub_f32_e32 v13, v7, v13
	ds_read2_b32 v[6:7], v42 offset0:23 offset1:24
	s_waitcnt lgkmcnt(0)
	v_mul_f32_e32 v16, v6, v15
	v_mul_f32_e32 v15, v17, v15
	v_fma_f32 v16, v17, v14, -v16
	v_fmac_f32_e32 v15, v6, v14
	v_sub_f32_e32 v6, v12, v16
	v_sub_f32_e32 v18, v13, v15
	scratch_load_dwordx4 v[12:15], off, off offset:96
	ds_read2_b32 v[16:17], v42 offset0:25 offset1:26
	s_waitcnt vmcnt(0) lgkmcnt(0)
	v_mul_f32_e32 v19, v16, v13
	v_fma_f32 v19, v7, v12, -v19
	v_mul_f32_e32 v7, v7, v13
	v_fmac_f32_e32 v7, v16, v12
	v_sub_f32_e32 v12, v6, v19
	v_sub_f32_e32 v13, v18, v7
	ds_read2_b32 v[6:7], v42 offset0:27 offset1:28
	s_waitcnt lgkmcnt(0)
	v_mul_f32_e32 v16, v6, v15
	v_mul_f32_e32 v15, v17, v15
	v_fma_f32 v16, v17, v14, -v16
	v_fmac_f32_e32 v15, v6, v14
	v_sub_f32_e32 v6, v12, v16
	v_sub_f32_e32 v18, v13, v15
	scratch_load_dwordx4 v[12:15], off, off offset:112
	ds_read2_b32 v[16:17], v42 offset0:29 offset1:30
	s_waitcnt vmcnt(0) lgkmcnt(0)
	v_mul_f32_e32 v19, v16, v13
	v_fma_f32 v19, v7, v12, -v19
	v_mul_f32_e32 v7, v7, v13
	v_fmac_f32_e32 v7, v16, v12
	v_sub_f32_e32 v12, v6, v19
	v_sub_f32_e32 v13, v18, v7
	ds_read2_b32 v[6:7], v42 offset0:31 offset1:32
	s_waitcnt lgkmcnt(0)
	v_mul_f32_e32 v16, v6, v15
	v_mul_f32_e32 v15, v17, v15
	v_fma_f32 v16, v17, v14, -v16
	v_fmac_f32_e32 v15, v6, v14
	v_sub_f32_e32 v6, v12, v16
	v_sub_f32_e32 v14, v13, v15
	ds_read2_b32 v[12:13], v42 offset0:33 offset1:34
	s_waitcnt lgkmcnt(0)
	v_mul_f32_e32 v15, v12, v11
	v_fma_f32 v15, v7, v10, -v15
	v_mul_f32_e32 v7, v7, v11
	v_fmac_f32_e32 v7, v12, v10
	v_sub_f32_e32 v12, v6, v15
	v_sub_f32_e32 v14, v14, v7
	scratch_load_dwordx2 v[6:7], off, off offset:136
	ds_read2_b32 v[10:11], v42 offset0:35 offset1:36
	s_waitcnt vmcnt(0) lgkmcnt(0)
	v_mul_f32_e32 v15, v10, v7
	v_mul_f32_e32 v7, v13, v7
	v_fma_f32 v15, v13, v6, -v15
	v_fmac_f32_e32 v7, v10, v6
	v_mov_b32_e32 v6, s12
	v_sub_f32_e32 v10, v12, v15
	ds_read_b32 v12, v6 offset:4
	v_sub_f32_e32 v7, v14, v7
	s_or_b32 s12, s11, 19
	s_waitcnt lgkmcnt(0)
	v_mul_f32_e32 v6, v12, v7
	v_mul_f32_e32 v7, v11, v7
	v_fma_f32 v6, v11, v10, -v6
	v_fmac_f32_e32 v7, v12, v10
	scratch_store_dwordx2 off, v[6:7], off offset:144
	scratch_load_dwordx4 v[14:17], off, off offset:136
	v_add_u32_e32 v6, s13, v1
	s_lshl_b32 s13, s12, 8
	s_add_i32 s14, s5, s13
	v_mov_b32_e32 v44, s14
	s_mulk_i32 s12, 0x108
	s_waitcnt vmcnt(0)
	ds_write_b64 v6, v[16:17]
	scratch_load_dwordx4 v[10:13], off, off offset:152
	scratch_load_dwordx4 v[16:19], off, off
	ds_read_b128 v[20:23], v44
	ds_read_b96 v[46:48], v44 offset:16
	scratch_load_dwordx4 v[24:27], off, off offset:16
	scratch_load_dwordx4 v[28:31], off, off offset:32
	ds_read2_b32 v[36:37], v44 offset0:21 offset1:22
	s_waitcnt lgkmcnt(2)
	v_mov_b32_e32 v39, v22
	s_waitcnt lgkmcnt(1)
	v_mov_b32_e32 v38, v47
	v_mov_b32_e32 v41, v46
	s_waitcnt vmcnt(2)
	v_mul_f32_e32 v6, v21, v17
	v_mul_f32_e32 v7, v20, v17
	v_fma_f32 v6, v20, v16, -v6
	v_fmac_f32_e32 v7, v21, v16
	v_mov_b32_e32 v16, v23
	v_mov_b32_e32 v17, v46
	v_mov_b32_e32 v32, v18
	s_waitcnt vmcnt(1)
	v_mov_b32_e32 v33, v24
	v_pk_mul_f32 v[16:17], v[16:17], v[32:33]
	scratch_load_dwordx4 v[32:35], off, off offset:40
	v_sub_f32_e32 v10, v10, v6
	v_mul_f32_e32 v6, v23, v19
	v_mov_b32_e32 v20, v47
	v_mov_b32_e32 v21, v48
	v_fma_f32 v6, v22, v18, -v6
	v_mov_b32_e32 v22, v25
	v_mov_b32_e32 v18, v25
	v_pk_fma_f32 v[22:23], v[20:21], v[22:23], v[16:17] op_sel:[0,0,1] op_sel_hi:[1,1,0] neg_lo:[1,0,0] neg_hi:[1,0,0]
	v_pk_fma_f32 v[16:17], v[38:39], v[18:19], v[16:17] op_sel:[0,0,1] op_sel_hi:[1,1,0]
	ds_read2_b32 v[38:39], v44 offset0:7 offset1:8
	v_pk_add_f32 v[6:7], v[10:11], v[6:7] neg_lo:[0,1] neg_hi:[0,1]
	v_mov_b32_e32 v11, v24
	v_mov_b32_e32 v24, v27
	;; [unrolled: 1-line block ×3, first 2 shown]
	s_waitcnt lgkmcnt(0)
	v_mov_b32_e32 v40, v38
	v_mov_b32_e32 v10, v26
	v_pk_add_f32 v[6:7], v[6:7], v[22:23] neg_lo:[0,1] neg_hi:[0,1]
	v_mov_b32_e32 v22, v26
	s_waitcnt vmcnt(1)
	v_mov_b32_e32 v23, v28
	scratch_load_dwordx4 v[16:19], off, off offset:48
	v_pk_mul_f32 v[24:25], v[40:41], v[24:25]
	v_mov_b32_e32 v26, v29
	v_pk_fma_f32 v[40:41], v[20:21], v[22:23], v[24:25] op_sel:[1,0,0] op_sel_hi:[0,1,1] neg_lo:[0,0,1] neg_hi:[0,0,1]
	v_pk_fma_f32 v[10:11], v[20:21], v[10:11], v[24:25] op_sel:[1,0,0] op_sel_hi:[0,1,1]
	v_mov_b32_e32 v41, v11
	v_pk_add_f32 v[6:7], v[6:7], v[40:41] neg_lo:[0,1] neg_hi:[0,1]
	ds_read2_b32 v[40:41], v44 offset0:9 offset1:10
	v_pk_mul_f32 v[24:25], v[38:39], v[22:23]
	scratch_load_dwordx4 v[20:23], off, off offset:56
	v_mov_b32_e32 v10, v28
	v_mov_b32_e32 v11, v30
	;; [unrolled: 1-line block ×3, first 2 shown]
	s_waitcnt lgkmcnt(0)
	v_mov_b32_e32 v30, v40
	v_mov_b32_e32 v31, v48
	v_pk_fma_f32 v[42:43], v[40:41], v[26:27], v[24:25] op_sel:[0,0,1] op_sel_hi:[1,1,0] neg_lo:[1,0,0] neg_hi:[1,0,0]
	v_pk_fma_f32 v[24:25], v[30:31], v[26:27], v[24:25] op_sel:[0,0,1] op_sel_hi:[1,1,0]
	v_pk_mul_f32 v[10:11], v[40:41], v[10:11]
	v_mov_b32_e32 v43, v25
	v_pk_add_f32 v[6:7], v[6:7], v[42:43] neg_lo:[0,1] neg_hi:[0,1]
	ds_read2_b32 v[42:43], v44 offset0:11 offset1:12
	scratch_load_dwordx4 v[24:27], off, off offset:64
	s_waitcnt lgkmcnt(0)
	v_mov_b32_e32 v38, v42
	s_waitcnt vmcnt(3)
	v_mov_b32_e32 v30, v32
	v_mov_b32_e32 v31, v34
	;; [unrolled: 1-line block ×3, first 2 shown]
	v_pk_fma_f32 v[34:35], v[42:43], v[28:29], v[10:11] op_sel:[0,0,1] op_sel_hi:[1,1,0] neg_lo:[1,0,0] neg_hi:[1,0,0]
	v_pk_fma_f32 v[10:11], v[38:39], v[28:29], v[10:11] op_sel:[0,0,1] op_sel_hi:[1,1,0]
	ds_read2_b32 v[38:39], v44 offset0:13 offset1:14
	v_mov_b32_e32 v35, v11
	v_pk_add_f32 v[6:7], v[6:7], v[34:35] neg_lo:[0,1] neg_hi:[0,1]
	v_pk_mul_f32 v[34:35], v[42:43], v[30:31]
	scratch_load_dwordx4 v[28:31], off, off offset:72
	s_waitcnt lgkmcnt(0)
	v_mov_b32_e32 v40, v38
	s_waitcnt vmcnt(3)
	v_mov_b32_e32 v10, v16
	v_mov_b32_e32 v11, v18
	;; [unrolled: 1-line block ×3, first 2 shown]
	v_pk_fma_f32 v[18:19], v[38:39], v[32:33], v[34:35] op_sel:[0,0,1] op_sel_hi:[1,1,0] neg_lo:[1,0,0] neg_hi:[1,0,0]
	v_pk_fma_f32 v[32:33], v[40:41], v[32:33], v[34:35] op_sel:[0,0,1] op_sel_hi:[1,1,0]
	v_pk_mul_f32 v[10:11], v[38:39], v[10:11]
	v_mov_b32_e32 v19, v33
	ds_read2_b32 v[32:33], v44 offset0:15 offset1:16
	v_pk_add_f32 v[6:7], v[6:7], v[18:19] neg_lo:[0,1] neg_hi:[0,1]
	s_waitcnt vmcnt(2)
	v_mov_b32_e32 v18, v20
	v_mov_b32_e32 v19, v22
	;; [unrolled: 1-line block ×3, first 2 shown]
	s_waitcnt lgkmcnt(0)
	v_mov_b32_e32 v42, v32
	v_pk_fma_f32 v[22:23], v[32:33], v[16:17], v[10:11] op_sel:[0,0,1] op_sel_hi:[1,1,0] neg_lo:[1,0,0] neg_hi:[1,0,0]
	v_pk_fma_f32 v[10:11], v[42:43], v[16:17], v[10:11] op_sel:[0,0,1] op_sel_hi:[1,1,0]
	v_pk_mul_f32 v[16:17], v[32:33], v[18:19]
	ds_read2_b32 v[18:19], v44 offset0:17 offset1:18
	v_mov_b32_e32 v23, v11
	v_pk_add_f32 v[6:7], v[6:7], v[22:23] neg_lo:[0,1] neg_hi:[0,1]
	s_waitcnt lgkmcnt(0)
	v_mov_b32_e32 v38, v18
	v_pk_fma_f32 v[22:23], v[18:19], v[20:21], v[16:17] op_sel:[0,0,1] op_sel_hi:[1,1,0] neg_lo:[1,0,0] neg_hi:[1,0,0]
	v_pk_fma_f32 v[16:17], v[38:39], v[20:21], v[16:17] op_sel:[0,0,1] op_sel_hi:[1,1,0]
	ds_read2_b32 v[20:21], v44 offset0:19 offset1:20
	s_waitcnt vmcnt(1)
	v_mov_b32_e32 v10, v24
	v_mov_b32_e32 v11, v26
	;; [unrolled: 1-line block ×4, first 2 shown]
	v_pk_mul_f32 v[10:11], v[18:19], v[10:11]
	s_waitcnt lgkmcnt(0)
	v_mov_b32_e32 v32, v20
	v_pk_add_f32 v[6:7], v[6:7], v[22:23] neg_lo:[0,1] neg_hi:[0,1]
	v_pk_fma_f32 v[22:23], v[20:21], v[24:25], v[10:11] op_sel:[0,0,1] op_sel_hi:[1,1,0] neg_lo:[1,0,0] neg_hi:[1,0,0]
	v_pk_fma_f32 v[10:11], v[32:33], v[24:25], v[10:11] op_sel:[0,0,1] op_sel_hi:[1,1,0]
	v_mov_b32_e32 v18, v36
	v_mov_b32_e32 v23, v11
	v_pk_add_f32 v[6:7], v[6:7], v[22:23] neg_lo:[0,1] neg_hi:[0,1]
	s_waitcnt vmcnt(0)
	v_mov_b32_e32 v16, v28
	v_mov_b32_e32 v17, v30
	;; [unrolled: 1-line block ×3, first 2 shown]
	v_pk_mul_f32 v[10:11], v[20:21], v[16:17]
	s_nop 0
	v_pk_fma_f32 v[16:17], v[18:19], v[28:29], v[10:11] op_sel:[0,0,1] op_sel_hi:[1,1,0] neg_lo:[1,0,0] neg_hi:[1,0,0]
	v_pk_fma_f32 v[10:11], v[18:19], v[28:29], v[10:11] op_sel:[0,0,1] op_sel_hi:[1,1,0]
	s_nop 0
	v_mov_b32_e32 v17, v11
	v_pk_add_f32 v[6:7], v[6:7], v[16:17] neg_lo:[0,1] neg_hi:[0,1]
	scratch_load_dwordx4 v[16:19], off, off offset:88
	v_mul_f32_e32 v10, v21, v31
	v_fmac_f32_e32 v10, v36, v30
	v_sub_f32_e32 v7, v7, v10
	ds_read2_b32 v[10:11], v44 offset0:23 offset1:24
	s_waitcnt vmcnt(0) lgkmcnt(0)
	v_mul_f32_e32 v20, v10, v17
	v_mul_f32_e32 v17, v37, v17
	v_fma_f32 v20, v37, v16, -v20
	v_fmac_f32_e32 v17, v10, v16
	v_sub_f32_e32 v10, v6, v20
	v_sub_f32_e32 v16, v7, v17
	ds_read2_b32 v[6:7], v44 offset0:25 offset1:26
	s_waitcnt lgkmcnt(0)
	v_mul_f32_e32 v17, v6, v19
	v_fma_f32 v17, v11, v18, -v17
	v_mul_f32_e32 v11, v11, v19
	v_fmac_f32_e32 v11, v6, v18
	v_sub_f32_e32 v6, v10, v17
	v_sub_f32_e32 v20, v16, v11
	scratch_load_dwordx4 v[16:19], off, off offset:104
	ds_read2_b32 v[10:11], v44 offset0:27 offset1:28
	s_waitcnt vmcnt(0) lgkmcnt(0)
	v_mul_f32_e32 v21, v10, v17
	v_fma_f32 v21, v7, v16, -v21
	v_mul_f32_e32 v7, v7, v17
	v_fmac_f32_e32 v7, v10, v16
	v_sub_f32_e32 v10, v6, v21
	v_sub_f32_e32 v16, v20, v7
	ds_read2_b32 v[6:7], v44 offset0:29 offset1:30
	s_waitcnt lgkmcnt(0)
	v_mul_f32_e32 v17, v6, v19
	v_fma_f32 v17, v11, v18, -v17
	v_mul_f32_e32 v11, v11, v19
	v_fmac_f32_e32 v11, v6, v18
	v_sub_f32_e32 v6, v10, v17
	v_sub_f32_e32 v20, v16, v11
	scratch_load_dwordx4 v[16:19], off, off offset:120
	ds_read2_b32 v[10:11], v44 offset0:31 offset1:32
	s_waitcnt vmcnt(0) lgkmcnt(0)
	v_mul_f32_e32 v21, v10, v17
	v_fma_f32 v21, v7, v16, -v21
	v_mul_f32_e32 v7, v7, v17
	v_fmac_f32_e32 v7, v10, v16
	v_sub_f32_e32 v10, v6, v21
	v_sub_f32_e32 v16, v20, v7
	ds_read2_b32 v[6:7], v44 offset0:33 offset1:34
	s_waitcnt lgkmcnt(0)
	v_mul_f32_e32 v17, v6, v19
	v_fma_f32 v17, v11, v18, -v17
	v_mul_f32_e32 v11, v11, v19
	v_fmac_f32_e32 v11, v6, v18
	v_sub_f32_e32 v6, v10, v17
	v_sub_f32_e32 v16, v16, v11
	ds_read2_b32 v[10:11], v44 offset0:35 offset1:36
	s_waitcnt lgkmcnt(0)
	v_mul_f32_e32 v17, v10, v15
	v_fma_f32 v17, v7, v14, -v17
	v_mul_f32_e32 v7, v7, v15
	v_fmac_f32_e32 v7, v10, v14
	v_sub_f32_e32 v10, v6, v17
	v_sub_f32_e32 v16, v16, v7
	scratch_load_dwordx2 v[6:7], off, off offset:144
	ds_read2_b32 v[14:15], v44 offset0:37 offset1:38
	s_waitcnt vmcnt(0) lgkmcnt(0)
	v_mul_f32_e32 v17, v14, v7
	v_mul_f32_e32 v7, v11, v7
	v_fma_f32 v17, v11, v6, -v17
	v_fmac_f32_e32 v7, v14, v6
	v_mov_b32_e32 v6, s12
	ds_read_b32 v11, v6 offset:4
	v_sub_f32_e32 v7, v16, v7
	v_sub_f32_e32 v10, v10, v17
	s_waitcnt lgkmcnt(0)
	v_mul_f32_e32 v6, v11, v7
	v_mul_f32_e32 v7, v15, v7
	v_fma_f32 v6, v15, v10, -v6
	v_fmac_f32_e32 v7, v11, v10
	scratch_store_dwordx2 off, v[6:7], off offset:152
	scratch_load_dwordx4 v[14:17], off, off offset:144
	v_add_u32_e32 v6, s13, v1
	s_or_b32 s13, s11, 20
	s_lshl_b32 s12, s13, 8
	s_add_i32 s14, s5, s12
	v_mov_b32_e32 v42, s14
	s_mulk_i32 s13, 0x108
	s_waitcnt vmcnt(0)
	ds_write_b64 v6, v[16:17]
	scratch_load_dwordx4 v[16:19], off, off
	ds_read_b128 v[20:23], v42
	ds_read_b96 v[28:30], v42 offset:16
	s_waitcnt lgkmcnt(0)
	v_mov_b32_e32 v24, v29
	v_mov_b32_e32 v25, v30
	v_mov_b32_e32 v41, v28
	s_waitcnt vmcnt(0)
	v_mul_f32_e32 v6, v21, v17
	v_fma_f32 v6, v20, v16, -v6
	v_mul_f32_e32 v7, v20, v17
	v_sub_f32_e32 v12, v12, v6
	v_mul_f32_e32 v6, v23, v19
	v_mul_f32_e32 v11, v22, v19
	v_fmac_f32_e32 v7, v21, v16
	v_fma_f32 v6, v22, v18, -v6
	v_fmac_f32_e32 v11, v23, v18
	scratch_load_dwordx4 v[16:19], off, off offset:16
	scratch_load_dword v32, off, off offset:36
	v_pk_add_f32 v[6:7], v[12:13], v[6:7] neg_lo:[0,1] neg_hi:[0,1]
	ds_read2_b32 v[34:35], v42 offset0:23 offset1:24
	s_waitcnt vmcnt(1)
	v_mul_f32_e32 v10, v29, v17
	v_fma_f32 v10, v28, v16, -v10
	v_pk_add_f32 v[6:7], v[6:7], v[10:11] neg_lo:[0,1] neg_hi:[0,1]
	scratch_load_dwordx4 v[10:13], off, off offset:40
	scratch_load_dwordx4 v[20:23], off, off offset:32
	v_mov_b32_e32 v26, v16
	v_mov_b32_e32 v27, v18
	v_pk_mul_f32 v[36:37], v[24:25], v[26:27]
	scratch_load_dwordx4 v[24:27], off, off offset:48
	ds_read2_b32 v[38:39], v42 offset0:7 offset1:8
	s_waitcnt vmcnt(1)
	v_mov_b32_e32 v21, v18
	v_mov_b32_e32 v18, v19
	;; [unrolled: 1-line block ×4, first 2 shown]
	s_waitcnt lgkmcnt(0)
	v_mov_b32_e32 v40, v38
	v_pk_fma_f32 v[18:19], v[38:39], v[18:19], v[36:37] op_sel:[0,0,1] op_sel_hi:[1,1,0] neg_lo:[1,0,0] neg_hi:[1,0,0]
	v_pk_fma_f32 v[16:17], v[40:41], v[16:17], v[36:37] op_sel:[0,0,1] op_sel_hi:[1,1,0]
	ds_read2_b32 v[36:37], v42 offset0:9 offset1:10
	v_mov_b32_e32 v19, v17
	v_pk_add_f32 v[6:7], v[6:7], v[18:19] neg_lo:[0,1] neg_hi:[0,1]
	scratch_load_dwordx4 v[16:19], off, off offset:56
	v_mov_b32_e32 v23, v30
	v_mov_b32_e32 v41, v32
	;; [unrolled: 1-line block ×4, first 2 shown]
	s_waitcnt lgkmcnt(0)
	v_mov_b32_e32 v22, v36
	v_mov_b32_e32 v28, v20
	v_pk_mul_f32 v[22:23], v[22:23], v[32:33]
	ds_read2_b32 v[32:33], v42 offset0:11 offset1:12
	v_pk_fma_f32 v[30:31], v[38:39], v[28:29], v[22:23] op_sel:[1,0,0] op_sel_hi:[0,1,1] neg_lo:[0,0,1] neg_hi:[0,0,1]
	v_pk_fma_f32 v[20:21], v[38:39], v[20:21], v[22:23] op_sel:[1,0,0] op_sel_hi:[0,1,1]
	v_mov_b32_e32 v31, v21
	scratch_load_dwordx4 v[20:23], off, off offset:64
	v_pk_mul_f32 v[28:29], v[36:37], v[28:29]
	s_waitcnt lgkmcnt(0)
	v_mov_b32_e32 v38, v32
	v_pk_add_f32 v[6:7], v[6:7], v[30:31] neg_lo:[0,1] neg_hi:[0,1]
	v_mov_b32_e32 v30, v10
	v_mov_b32_e32 v31, v12
	;; [unrolled: 1-line block ×3, first 2 shown]
	v_pk_fma_f32 v[12:13], v[32:33], v[40:41], v[28:29] op_sel:[0,0,1] op_sel_hi:[1,1,0] neg_lo:[1,0,0] neg_hi:[1,0,0]
	v_pk_fma_f32 v[28:29], v[38:39], v[40:41], v[28:29] op_sel:[0,0,1] op_sel_hi:[1,1,0]
	ds_read2_b32 v[40:41], v42 offset0:13 offset1:14
	v_mov_b32_e32 v13, v29
	v_pk_mul_f32 v[38:39], v[32:33], v[30:31]
	scratch_load_dwordx4 v[28:31], off, off offset:72
	v_pk_add_f32 v[6:7], v[6:7], v[12:13] neg_lo:[0,1] neg_hi:[0,1]
	s_waitcnt lgkmcnt(0)
	v_mov_b32_e32 v36, v40
	s_waitcnt vmcnt(3)
	v_mov_b32_e32 v12, v24
	v_mov_b32_e32 v13, v26
	;; [unrolled: 1-line block ×3, first 2 shown]
	v_pk_fma_f32 v[26:27], v[40:41], v[10:11], v[38:39] op_sel:[0,0,1] op_sel_hi:[1,1,0] neg_lo:[1,0,0] neg_hi:[1,0,0]
	v_pk_fma_f32 v[10:11], v[36:37], v[10:11], v[38:39] op_sel:[0,0,1] op_sel_hi:[1,1,0]
	v_pk_mul_f32 v[36:37], v[40:41], v[12:13]
	v_mov_b32_e32 v27, v11
	scratch_load_dwordx4 v[10:13], off, off offset:80
	ds_read2_b32 v[38:39], v42 offset0:15 offset1:16
	v_pk_add_f32 v[6:7], v[6:7], v[26:27] neg_lo:[0,1] neg_hi:[0,1]
	s_waitcnt vmcnt(3)
	v_mov_b32_e32 v26, v16
	v_mov_b32_e32 v27, v18
	;; [unrolled: 1-line block ×3, first 2 shown]
	s_waitcnt lgkmcnt(0)
	v_mov_b32_e32 v32, v38
	v_pk_fma_f32 v[18:19], v[38:39], v[24:25], v[36:37] op_sel:[0,0,1] op_sel_hi:[1,1,0] neg_lo:[1,0,0] neg_hi:[1,0,0]
	v_pk_fma_f32 v[24:25], v[32:33], v[24:25], v[36:37] op_sel:[0,0,1] op_sel_hi:[1,1,0]
	s_nop 0
	v_mov_b32_e32 v19, v25
	v_pk_mul_f32 v[24:25], v[38:39], v[26:27]
	ds_read2_b32 v[26:27], v42 offset0:17 offset1:18
	v_pk_add_f32 v[6:7], v[6:7], v[18:19] neg_lo:[0,1] neg_hi:[0,1]
	s_waitcnt lgkmcnt(0)
	v_mov_b32_e32 v40, v26
	s_waitcnt vmcnt(2)
	v_mov_b32_e32 v18, v20
	v_mov_b32_e32 v19, v22
	;; [unrolled: 1-line block ×3, first 2 shown]
	v_pk_fma_f32 v[22:23], v[26:27], v[16:17], v[24:25] op_sel:[0,0,1] op_sel_hi:[1,1,0] neg_lo:[1,0,0] neg_hi:[1,0,0]
	v_pk_fma_f32 v[16:17], v[40:41], v[16:17], v[24:25] op_sel:[0,0,1] op_sel_hi:[1,1,0]
	v_pk_mul_f32 v[18:19], v[26:27], v[18:19]
	v_mov_b32_e32 v23, v17
	v_pk_add_f32 v[6:7], v[6:7], v[22:23] neg_lo:[0,1] neg_hi:[0,1]
	ds_read2_b32 v[22:23], v42 offset0:19 offset1:20
	s_waitcnt vmcnt(1)
	v_mov_b32_e32 v16, v28
	s_waitcnt lgkmcnt(0)
	v_mov_b32_e32 v38, v22
	v_pk_fma_f32 v[24:25], v[22:23], v[20:21], v[18:19] op_sel:[0,0,1] op_sel_hi:[1,1,0] neg_lo:[1,0,0] neg_hi:[1,0,0]
	v_pk_fma_f32 v[18:19], v[38:39], v[20:21], v[18:19] op_sel:[0,0,1] op_sel_hi:[1,1,0]
	ds_read2_b32 v[20:21], v42 offset0:21 offset1:22
	v_mov_b32_e32 v17, v30
	v_mov_b32_e32 v28, v31
	;; [unrolled: 1-line block ×3, first 2 shown]
	v_pk_mul_f32 v[16:17], v[22:23], v[16:17]
	s_waitcnt lgkmcnt(0)
	v_mov_b32_e32 v26, v20
	v_pk_add_f32 v[6:7], v[6:7], v[24:25] neg_lo:[0,1] neg_hi:[0,1]
	s_waitcnt vmcnt(0)
	v_mov_b32_e32 v18, v10
	v_mov_b32_e32 v19, v12
	v_pk_fma_f32 v[24:25], v[20:21], v[28:29], v[16:17] op_sel:[0,0,1] op_sel_hi:[1,1,0] neg_lo:[1,0,0] neg_hi:[1,0,0]
	v_pk_fma_f32 v[16:17], v[26:27], v[28:29], v[16:17] op_sel:[0,0,1] op_sel_hi:[1,1,0]
	v_mov_b32_e32 v10, v13
	v_mov_b32_e32 v25, v17
	v_pk_mul_f32 v[16:17], v[20:21], v[18:19]
	v_mov_b32_e32 v22, v34
	v_pk_fma_f32 v[18:19], v[22:23], v[10:11], v[16:17] op_sel:[0,0,1] op_sel_hi:[1,1,0] neg_lo:[1,0,0] neg_hi:[1,0,0]
	v_pk_fma_f32 v[10:11], v[22:23], v[10:11], v[16:17] op_sel:[0,0,1] op_sel_hi:[1,1,0]
	v_pk_add_f32 v[6:7], v[6:7], v[24:25] neg_lo:[0,1] neg_hi:[0,1]
	v_mov_b32_e32 v19, v11
	v_mul_f32_e32 v10, v21, v13
	v_fmac_f32_e32 v10, v34, v12
	v_pk_add_f32 v[6:7], v[6:7], v[18:19] neg_lo:[0,1] neg_hi:[0,1]
	ds_read2_b32 v[16:17], v42 offset0:25 offset1:26
	v_sub_f32_e32 v7, v7, v10
	scratch_load_dwordx4 v[10:13], off, off offset:96
	s_waitcnt vmcnt(0) lgkmcnt(0)
	v_mul_f32_e32 v18, v16, v11
	v_mul_f32_e32 v11, v35, v11
	v_fma_f32 v18, v35, v10, -v18
	v_fmac_f32_e32 v11, v16, v10
	v_sub_f32_e32 v10, v6, v18
	v_sub_f32_e32 v11, v7, v11
	ds_read2_b32 v[6:7], v42 offset0:27 offset1:28
	s_waitcnt lgkmcnt(0)
	v_mul_f32_e32 v16, v6, v13
	v_mul_f32_e32 v13, v17, v13
	v_fma_f32 v16, v17, v12, -v16
	v_fmac_f32_e32 v13, v6, v12
	v_sub_f32_e32 v6, v10, v16
	v_sub_f32_e32 v18, v11, v13
	scratch_load_dwordx4 v[10:13], off, off offset:112
	ds_read2_b32 v[16:17], v42 offset0:29 offset1:30
	s_waitcnt vmcnt(0) lgkmcnt(0)
	v_mul_f32_e32 v19, v16, v11
	v_fma_f32 v19, v7, v10, -v19
	v_mul_f32_e32 v7, v7, v11
	v_fmac_f32_e32 v7, v16, v10
	v_sub_f32_e32 v10, v6, v19
	v_sub_f32_e32 v11, v18, v7
	ds_read2_b32 v[6:7], v42 offset0:31 offset1:32
	s_waitcnt lgkmcnt(0)
	v_mul_f32_e32 v16, v6, v13
	v_mul_f32_e32 v13, v17, v13
	v_fma_f32 v16, v17, v12, -v16
	v_fmac_f32_e32 v13, v6, v12
	v_sub_f32_e32 v6, v10, v16
	v_sub_f32_e32 v18, v11, v13
	scratch_load_dwordx4 v[10:13], off, off offset:128
	ds_read2_b32 v[16:17], v42 offset0:33 offset1:34
	s_waitcnt vmcnt(0) lgkmcnt(0)
	v_mul_f32_e32 v19, v16, v11
	v_fma_f32 v19, v7, v10, -v19
	v_mul_f32_e32 v7, v7, v11
	v_fmac_f32_e32 v7, v16, v10
	v_sub_f32_e32 v10, v6, v19
	v_sub_f32_e32 v11, v18, v7
	ds_read2_b32 v[6:7], v42 offset0:35 offset1:36
	s_waitcnt lgkmcnt(0)
	v_mul_f32_e32 v16, v6, v13
	v_mul_f32_e32 v13, v17, v13
	v_fma_f32 v16, v17, v12, -v16
	v_fmac_f32_e32 v13, v6, v12
	v_sub_f32_e32 v6, v10, v16
	v_sub_f32_e32 v12, v11, v13
	ds_read2_b32 v[10:11], v42 offset0:37 offset1:38
	s_waitcnt lgkmcnt(0)
	v_mul_f32_e32 v13, v10, v15
	v_fma_f32 v13, v7, v14, -v13
	v_mul_f32_e32 v7, v7, v15
	v_fmac_f32_e32 v7, v10, v14
	v_sub_f32_e32 v10, v6, v13
	v_sub_f32_e32 v14, v12, v7
	scratch_load_dwordx2 v[6:7], off, off offset:152
	ds_read2_b32 v[12:13], v42 offset0:39 offset1:40
	s_waitcnt vmcnt(0) lgkmcnt(0)
	v_mul_f32_e32 v15, v12, v7
	v_mul_f32_e32 v7, v11, v7
	v_fma_f32 v15, v11, v6, -v15
	v_fmac_f32_e32 v7, v12, v6
	v_mov_b32_e32 v6, s13
	ds_read_b32 v11, v6 offset:4
	v_sub_f32_e32 v7, v14, v7
	v_sub_f32_e32 v10, v10, v15
	s_or_b32 s13, s11, 21
	s_waitcnt lgkmcnt(0)
	v_mul_f32_e32 v6, v11, v7
	v_mul_f32_e32 v7, v13, v7
	v_fma_f32 v6, v13, v10, -v6
	v_fmac_f32_e32 v7, v11, v10
	scratch_store_dwordx2 off, v[6:7], off offset:160
	scratch_load_dwordx4 v[14:17], off, off offset:152
	v_add_u32_e32 v6, s12, v1
	s_lshl_b32 s12, s13, 8
	s_add_i32 s14, s5, s12
	v_mov_b32_e32 v44, s14
	s_mulk_i32 s13, 0x108
	s_waitcnt vmcnt(0)
	ds_write_b64 v6, v[16:17]
	scratch_load_dwordx4 v[10:13], off, off offset:168
	scratch_load_dwordx4 v[16:19], off, off
	ds_read_b128 v[20:23], v44
	ds_read_b128 v[24:27], v44 offset:16
	ds_read_b96 v[46:48], v44 offset:32
	scratch_load_dwordx4 v[28:31], off, off offset:48
	ds_read2_b32 v[36:37], v44 offset0:25 offset1:26
	s_waitcnt lgkmcnt(2)
	v_mov_b32_e32 v39, v26
	s_waitcnt lgkmcnt(1)
	v_mov_b32_e32 v38, v47
	v_mov_b32_e32 v41, v46
	s_waitcnt vmcnt(1)
	v_mul_f32_e32 v6, v21, v17
	v_mul_f32_e32 v7, v20, v17
	v_fma_f32 v6, v20, v16, -v6
	v_fmac_f32_e32 v7, v21, v16
	v_sub_f32_e32 v6, v10, v6
	v_sub_f32_e32 v7, v11, v7
	v_mul_f32_e32 v10, v23, v19
	v_mul_f32_e32 v11, v22, v19
	v_fma_f32 v10, v22, v18, -v10
	v_fmac_f32_e32 v11, v23, v18
	scratch_load_dwordx4 v[16:19], off, off offset:16
	scratch_load_dwordx4 v[20:23], off, off offset:32
	v_sub_f32_e32 v6, v6, v10
	s_waitcnt vmcnt(1)
	v_mul_f32_e32 v10, v25, v17
	v_fma_f32 v10, v24, v16, -v10
	v_mul_f32_e32 v17, v24, v17
	v_pk_add_f32 v[6:7], v[6:7], v[10:11] neg_lo:[0,1] neg_hi:[0,1]
	v_mul_f32_e32 v10, v27, v19
	v_fmac_f32_e32 v17, v25, v16
	v_fma_f32 v16, v26, v18, -v10
	v_pk_add_f32 v[6:7], v[6:7], v[16:17] neg_lo:[0,1] neg_hi:[0,1]
	v_mov_b32_e32 v16, v27
	v_mov_b32_e32 v17, v46
	;; [unrolled: 1-line block ×3, first 2 shown]
	s_waitcnt vmcnt(0)
	v_mov_b32_e32 v33, v20
	v_pk_mul_f32 v[16:17], v[16:17], v[32:33]
	scratch_load_dwordx4 v[32:35], off, off offset:56
	v_mov_b32_e32 v24, v47
	v_mov_b32_e32 v25, v48
	;; [unrolled: 1-line block ×4, first 2 shown]
	v_pk_fma_f32 v[26:27], v[24:25], v[26:27], v[16:17] op_sel:[0,0,1] op_sel_hi:[1,1,0] neg_lo:[1,0,0] neg_hi:[1,0,0]
	v_pk_fma_f32 v[16:17], v[38:39], v[18:19], v[16:17] op_sel:[0,0,1] op_sel_hi:[1,1,0]
	ds_read2_b32 v[38:39], v44 offset0:11 offset1:12
	v_mov_b32_e32 v27, v17
	scratch_load_dwordx4 v[16:19], off, off offset:64
	v_mov_b32_e32 v11, v20
	v_mov_b32_e32 v20, v23
	s_waitcnt lgkmcnt(0)
	v_mov_b32_e32 v40, v38
	v_mov_b32_e32 v10, v22
	v_pk_add_f32 v[6:7], v[6:7], v[26:27] neg_lo:[0,1] neg_hi:[0,1]
	v_mov_b32_e32 v26, v22
	v_mov_b32_e32 v27, v28
	v_pk_mul_f32 v[20:21], v[40:41], v[20:21]
	v_mov_b32_e32 v22, v29
	v_pk_fma_f32 v[40:41], v[24:25], v[26:27], v[20:21] op_sel:[1,0,0] op_sel_hi:[0,1,1] neg_lo:[0,0,1] neg_hi:[0,0,1]
	v_pk_fma_f32 v[10:11], v[24:25], v[10:11], v[20:21] op_sel:[1,0,0] op_sel_hi:[0,1,1]
	v_mov_b32_e32 v41, v11
	v_pk_add_f32 v[6:7], v[6:7], v[40:41] neg_lo:[0,1] neg_hi:[0,1]
	ds_read2_b32 v[40:41], v44 offset0:13 offset1:14
	v_pk_mul_f32 v[20:21], v[38:39], v[26:27]
	scratch_load_dwordx4 v[24:27], off, off offset:72
	v_mov_b32_e32 v10, v28
	v_mov_b32_e32 v11, v30
	;; [unrolled: 1-line block ×3, first 2 shown]
	s_waitcnt lgkmcnt(0)
	v_mov_b32_e32 v30, v40
	v_mov_b32_e32 v31, v48
	v_pk_fma_f32 v[42:43], v[40:41], v[22:23], v[20:21] op_sel:[0,0,1] op_sel_hi:[1,1,0] neg_lo:[1,0,0] neg_hi:[1,0,0]
	v_pk_fma_f32 v[20:21], v[30:31], v[22:23], v[20:21] op_sel:[0,0,1] op_sel_hi:[1,1,0]
	v_pk_mul_f32 v[10:11], v[40:41], v[10:11]
	v_mov_b32_e32 v43, v21
	v_pk_add_f32 v[6:7], v[6:7], v[42:43] neg_lo:[0,1] neg_hi:[0,1]
	ds_read2_b32 v[42:43], v44 offset0:15 offset1:16
	scratch_load_dwordx4 v[20:23], off, off offset:80
	s_waitcnt lgkmcnt(0)
	v_mov_b32_e32 v38, v42
	s_waitcnt vmcnt(3)
	v_mov_b32_e32 v30, v32
	v_mov_b32_e32 v31, v34
	;; [unrolled: 1-line block ×3, first 2 shown]
	v_pk_fma_f32 v[34:35], v[42:43], v[28:29], v[10:11] op_sel:[0,0,1] op_sel_hi:[1,1,0] neg_lo:[1,0,0] neg_hi:[1,0,0]
	v_pk_fma_f32 v[10:11], v[38:39], v[28:29], v[10:11] op_sel:[0,0,1] op_sel_hi:[1,1,0]
	ds_read2_b32 v[38:39], v44 offset0:17 offset1:18
	v_mov_b32_e32 v35, v11
	v_pk_add_f32 v[6:7], v[6:7], v[34:35] neg_lo:[0,1] neg_hi:[0,1]
	v_pk_mul_f32 v[34:35], v[42:43], v[30:31]
	scratch_load_dwordx4 v[28:31], off, off offset:88
	s_waitcnt lgkmcnt(0)
	v_mov_b32_e32 v40, v38
	s_waitcnt vmcnt(3)
	v_mov_b32_e32 v10, v16
	v_mov_b32_e32 v11, v18
	;; [unrolled: 1-line block ×3, first 2 shown]
	v_pk_fma_f32 v[18:19], v[38:39], v[32:33], v[34:35] op_sel:[0,0,1] op_sel_hi:[1,1,0] neg_lo:[1,0,0] neg_hi:[1,0,0]
	v_pk_fma_f32 v[32:33], v[40:41], v[32:33], v[34:35] op_sel:[0,0,1] op_sel_hi:[1,1,0]
	v_pk_mul_f32 v[10:11], v[38:39], v[10:11]
	v_mov_b32_e32 v19, v33
	ds_read2_b32 v[32:33], v44 offset0:19 offset1:20
	v_pk_add_f32 v[6:7], v[6:7], v[18:19] neg_lo:[0,1] neg_hi:[0,1]
	s_waitcnt lgkmcnt(0)
	v_mov_b32_e32 v42, v32
	s_waitcnt vmcnt(2)
	v_mov_b32_e32 v18, v24
	v_mov_b32_e32 v19, v26
	;; [unrolled: 1-line block ×3, first 2 shown]
	v_pk_fma_f32 v[26:27], v[32:33], v[16:17], v[10:11] op_sel:[0,0,1] op_sel_hi:[1,1,0] neg_lo:[1,0,0] neg_hi:[1,0,0]
	v_pk_fma_f32 v[10:11], v[42:43], v[16:17], v[10:11] op_sel:[0,0,1] op_sel_hi:[1,1,0]
	v_pk_mul_f32 v[16:17], v[32:33], v[18:19]
	ds_read2_b32 v[18:19], v44 offset0:21 offset1:22
	v_mov_b32_e32 v27, v11
	v_pk_add_f32 v[6:7], v[6:7], v[26:27] neg_lo:[0,1] neg_hi:[0,1]
	s_waitcnt lgkmcnt(0)
	v_mov_b32_e32 v38, v18
	s_waitcnt vmcnt(1)
	v_mov_b32_e32 v10, v20
	v_mov_b32_e32 v11, v22
	;; [unrolled: 1-line block ×3, first 2 shown]
	v_pk_fma_f32 v[22:23], v[18:19], v[24:25], v[16:17] op_sel:[0,0,1] op_sel_hi:[1,1,0] neg_lo:[1,0,0] neg_hi:[1,0,0]
	v_pk_fma_f32 v[16:17], v[38:39], v[24:25], v[16:17] op_sel:[0,0,1] op_sel_hi:[1,1,0]
	v_pk_mul_f32 v[10:11], v[18:19], v[10:11]
	v_mov_b32_e32 v23, v17
	v_pk_add_f32 v[6:7], v[6:7], v[22:23] neg_lo:[0,1] neg_hi:[0,1]
	ds_read2_b32 v[22:23], v44 offset0:23 offset1:24
	v_mov_b32_e32 v18, v36
	s_waitcnt lgkmcnt(0)
	v_mov_b32_e32 v32, v22
	v_pk_fma_f32 v[24:25], v[22:23], v[20:21], v[10:11] op_sel:[0,0,1] op_sel_hi:[1,1,0] neg_lo:[1,0,0] neg_hi:[1,0,0]
	v_pk_fma_f32 v[10:11], v[32:33], v[20:21], v[10:11] op_sel:[0,0,1] op_sel_hi:[1,1,0]
	s_waitcnt vmcnt(0)
	v_mov_b32_e32 v16, v28
	v_mov_b32_e32 v17, v30
	;; [unrolled: 1-line block ×4, first 2 shown]
	v_pk_mul_f32 v[10:11], v[22:23], v[16:17]
	v_pk_add_f32 v[6:7], v[6:7], v[24:25] neg_lo:[0,1] neg_hi:[0,1]
	v_pk_fma_f32 v[16:17], v[18:19], v[28:29], v[10:11] op_sel:[0,0,1] op_sel_hi:[1,1,0] neg_lo:[1,0,0] neg_hi:[1,0,0]
	v_pk_fma_f32 v[10:11], v[18:19], v[28:29], v[10:11] op_sel:[0,0,1] op_sel_hi:[1,1,0]
	s_nop 0
	v_mov_b32_e32 v17, v11
	v_pk_add_f32 v[6:7], v[6:7], v[16:17] neg_lo:[0,1] neg_hi:[0,1]
	scratch_load_dwordx4 v[16:19], off, off offset:104
	v_mul_f32_e32 v10, v23, v31
	v_fmac_f32_e32 v10, v36, v30
	v_sub_f32_e32 v7, v7, v10
	ds_read2_b32 v[10:11], v44 offset0:27 offset1:28
	s_waitcnt vmcnt(0) lgkmcnt(0)
	v_mul_f32_e32 v20, v10, v17
	v_mul_f32_e32 v17, v37, v17
	v_fma_f32 v20, v37, v16, -v20
	v_fmac_f32_e32 v17, v10, v16
	v_sub_f32_e32 v10, v6, v20
	v_sub_f32_e32 v16, v7, v17
	ds_read2_b32 v[6:7], v44 offset0:29 offset1:30
	s_waitcnt lgkmcnt(0)
	v_mul_f32_e32 v17, v6, v19
	v_fma_f32 v17, v11, v18, -v17
	v_mul_f32_e32 v11, v11, v19
	v_fmac_f32_e32 v11, v6, v18
	v_sub_f32_e32 v6, v10, v17
	v_sub_f32_e32 v20, v16, v11
	scratch_load_dwordx4 v[16:19], off, off offset:120
	ds_read2_b32 v[10:11], v44 offset0:31 offset1:32
	s_waitcnt vmcnt(0) lgkmcnt(0)
	v_mul_f32_e32 v21, v10, v17
	v_fma_f32 v21, v7, v16, -v21
	v_mul_f32_e32 v7, v7, v17
	v_fmac_f32_e32 v7, v10, v16
	v_sub_f32_e32 v10, v6, v21
	v_sub_f32_e32 v16, v20, v7
	ds_read2_b32 v[6:7], v44 offset0:33 offset1:34
	s_waitcnt lgkmcnt(0)
	v_mul_f32_e32 v17, v6, v19
	v_fma_f32 v17, v11, v18, -v17
	v_mul_f32_e32 v11, v11, v19
	v_fmac_f32_e32 v11, v6, v18
	v_sub_f32_e32 v6, v10, v17
	v_sub_f32_e32 v20, v16, v11
	scratch_load_dwordx4 v[16:19], off, off offset:136
	ds_read2_b32 v[10:11], v44 offset0:35 offset1:36
	s_waitcnt vmcnt(0) lgkmcnt(0)
	v_mul_f32_e32 v21, v10, v17
	v_fma_f32 v21, v7, v16, -v21
	v_mul_f32_e32 v7, v7, v17
	v_fmac_f32_e32 v7, v10, v16
	v_sub_f32_e32 v10, v6, v21
	v_sub_f32_e32 v16, v20, v7
	ds_read2_b32 v[6:7], v44 offset0:37 offset1:38
	s_waitcnt lgkmcnt(0)
	v_mul_f32_e32 v17, v6, v19
	v_fma_f32 v17, v11, v18, -v17
	v_mul_f32_e32 v11, v11, v19
	v_fmac_f32_e32 v11, v6, v18
	v_sub_f32_e32 v6, v10, v17
	v_sub_f32_e32 v16, v16, v11
	ds_read2_b32 v[10:11], v44 offset0:39 offset1:40
	s_waitcnt lgkmcnt(0)
	v_mul_f32_e32 v17, v10, v15
	v_fma_f32 v17, v7, v14, -v17
	v_mul_f32_e32 v7, v7, v15
	v_fmac_f32_e32 v7, v10, v14
	v_sub_f32_e32 v10, v6, v17
	v_sub_f32_e32 v16, v16, v7
	scratch_load_dwordx2 v[6:7], off, off offset:160
	ds_read2_b32 v[14:15], v44 offset0:41 offset1:42
	s_waitcnt vmcnt(0) lgkmcnt(0)
	v_mul_f32_e32 v17, v14, v7
	v_mul_f32_e32 v7, v11, v7
	v_fma_f32 v17, v11, v6, -v17
	v_fmac_f32_e32 v7, v14, v6
	v_mov_b32_e32 v6, s13
	ds_read_b32 v11, v6 offset:4
	v_sub_f32_e32 v7, v16, v7
	v_sub_f32_e32 v10, v10, v17
	s_or_b32 s13, s11, 22
	s_waitcnt lgkmcnt(0)
	v_mul_f32_e32 v6, v11, v7
	v_mul_f32_e32 v7, v15, v7
	v_fma_f32 v6, v15, v10, -v6
	v_fmac_f32_e32 v7, v11, v10
	scratch_store_dwordx2 off, v[6:7], off offset:168
	scratch_load_dwordx4 v[14:17], off, off offset:160
	v_add_u32_e32 v6, s12, v1
	s_lshl_b32 s12, s13, 8
	s_add_i32 s14, s5, s12
	v_mov_b32_e32 v42, s14
	s_mulk_i32 s13, 0x108
	s_waitcnt vmcnt(0)
	ds_write_b64 v6, v[16:17]
	scratch_load_dwordx4 v[16:19], off, off
	ds_read_b128 v[20:23], v42
	ds_read_b128 v[24:27], v42 offset:16
	ds_read_b96 v[28:30], v42 offset:32
	s_waitcnt lgkmcnt(0)
	v_mov_b32_e32 v41, v28
	s_waitcnt vmcnt(0)
	v_mul_f32_e32 v6, v21, v17
	v_mul_f32_e32 v7, v20, v17
	v_fma_f32 v6, v20, v16, -v6
	v_fmac_f32_e32 v7, v21, v16
	v_mul_f32_e32 v10, v23, v19
	v_mul_f32_e32 v11, v22, v19
	v_sub_f32_e32 v6, v12, v6
	v_sub_f32_e32 v7, v13, v7
	v_fma_f32 v10, v22, v18, -v10
	v_fmac_f32_e32 v11, v23, v18
	v_sub_f32_e32 v6, v6, v10
	v_sub_f32_e32 v7, v7, v11
	scratch_load_dwordx4 v[10:13], off, off offset:16
	s_waitcnt vmcnt(0)
	v_mul_f32_e32 v16, v25, v11
	v_mul_f32_e32 v17, v24, v11
	v_fma_f32 v16, v24, v10, -v16
	v_fmac_f32_e32 v17, v25, v10
	v_mul_f32_e32 v10, v27, v13
	v_mul_f32_e32 v19, v26, v13
	v_sub_f32_e32 v6, v6, v16
	v_fma_f32 v16, v26, v12, -v10
	v_fmac_f32_e32 v19, v27, v12
	scratch_load_dwordx4 v[10:13], off, off offset:32
	scratch_load_dword v32, off, off offset:52
	v_pk_add_f32 v[6:7], v[6:7], v[16:17] neg_lo:[0,1] neg_hi:[0,1]
	ds_read2_b32 v[34:35], v42 offset0:27 offset1:28
	v_mov_b32_e32 v24, v29
	v_mov_b32_e32 v25, v30
	s_waitcnt vmcnt(1)
	v_mul_f32_e32 v16, v29, v11
	v_fma_f32 v18, v28, v10, -v16
	v_pk_add_f32 v[6:7], v[6:7], v[18:19] neg_lo:[0,1] neg_hi:[0,1]
	scratch_load_dwordx4 v[16:19], off, off offset:56
	scratch_load_dwordx4 v[20:23], off, off offset:48
	v_mov_b32_e32 v26, v10
	v_mov_b32_e32 v27, v12
	v_pk_mul_f32 v[36:37], v[24:25], v[26:27]
	scratch_load_dwordx4 v[24:27], off, off offset:64
	ds_read2_b32 v[38:39], v42 offset0:11 offset1:12
	s_waitcnt vmcnt(1)
	v_mov_b32_e32 v21, v12
	v_mov_b32_e32 v12, v13
	;; [unrolled: 1-line block ×4, first 2 shown]
	s_waitcnt lgkmcnt(0)
	v_mov_b32_e32 v40, v38
	v_pk_fma_f32 v[12:13], v[38:39], v[12:13], v[36:37] op_sel:[0,0,1] op_sel_hi:[1,1,0] neg_lo:[1,0,0] neg_hi:[1,0,0]
	v_pk_fma_f32 v[10:11], v[40:41], v[10:11], v[36:37] op_sel:[0,0,1] op_sel_hi:[1,1,0]
	ds_read2_b32 v[36:37], v42 offset0:13 offset1:14
	v_mov_b32_e32 v13, v11
	v_pk_add_f32 v[6:7], v[6:7], v[12:13] neg_lo:[0,1] neg_hi:[0,1]
	scratch_load_dwordx4 v[10:13], off, off offset:72
	v_mov_b32_e32 v23, v30
	v_mov_b32_e32 v41, v32
	scratch_load_dwordx4 v[44:47], off, off offset:128
	v_mov_b32_e32 v40, v17
	v_mov_b32_e32 v29, v22
	s_waitcnt lgkmcnt(0)
	v_mov_b32_e32 v22, v36
	v_mov_b32_e32 v28, v20
	v_pk_mul_f32 v[22:23], v[22:23], v[32:33]
	ds_read2_b32 v[32:33], v42 offset0:15 offset1:16
	v_pk_fma_f32 v[30:31], v[38:39], v[28:29], v[22:23] op_sel:[1,0,0] op_sel_hi:[0,1,1] neg_lo:[0,0,1] neg_hi:[0,0,1]
	v_pk_fma_f32 v[20:21], v[38:39], v[20:21], v[22:23] op_sel:[1,0,0] op_sel_hi:[0,1,1]
	v_mov_b32_e32 v31, v21
	scratch_load_dwordx4 v[20:23], off, off offset:80
	v_pk_mul_f32 v[28:29], v[36:37], v[28:29]
	s_waitcnt lgkmcnt(0)
	v_mov_b32_e32 v38, v32
	v_pk_add_f32 v[6:7], v[6:7], v[30:31] neg_lo:[0,1] neg_hi:[0,1]
	v_mov_b32_e32 v30, v16
	v_mov_b32_e32 v31, v18
	;; [unrolled: 1-line block ×3, first 2 shown]
	v_pk_fma_f32 v[18:19], v[32:33], v[40:41], v[28:29] op_sel:[0,0,1] op_sel_hi:[1,1,0] neg_lo:[1,0,0] neg_hi:[1,0,0]
	v_pk_fma_f32 v[28:29], v[38:39], v[40:41], v[28:29] op_sel:[0,0,1] op_sel_hi:[1,1,0]
	ds_read2_b32 v[40:41], v42 offset0:17 offset1:18
	v_mov_b32_e32 v19, v29
	v_pk_mul_f32 v[38:39], v[32:33], v[30:31]
	scratch_load_dwordx4 v[28:31], off, off offset:88
	v_pk_add_f32 v[6:7], v[6:7], v[18:19] neg_lo:[0,1] neg_hi:[0,1]
	s_waitcnt lgkmcnt(0)
	v_mov_b32_e32 v36, v40
	s_waitcnt vmcnt(4)
	v_mov_b32_e32 v18, v24
	v_mov_b32_e32 v19, v26
	;; [unrolled: 1-line block ×3, first 2 shown]
	v_pk_fma_f32 v[26:27], v[40:41], v[16:17], v[38:39] op_sel:[0,0,1] op_sel_hi:[1,1,0] neg_lo:[1,0,0] neg_hi:[1,0,0]
	v_pk_fma_f32 v[16:17], v[36:37], v[16:17], v[38:39] op_sel:[0,0,1] op_sel_hi:[1,1,0]
	v_pk_mul_f32 v[36:37], v[40:41], v[18:19]
	v_mov_b32_e32 v27, v17
	scratch_load_dwordx4 v[16:19], off, off offset:96
	ds_read2_b32 v[38:39], v42 offset0:19 offset1:20
	v_pk_add_f32 v[6:7], v[6:7], v[26:27] neg_lo:[0,1] neg_hi:[0,1]
	s_waitcnt vmcnt(4)
	v_mov_b32_e32 v26, v10
	v_mov_b32_e32 v27, v12
	;; [unrolled: 1-line block ×3, first 2 shown]
	s_waitcnt lgkmcnt(0)
	v_mov_b32_e32 v32, v38
	v_pk_fma_f32 v[12:13], v[38:39], v[24:25], v[36:37] op_sel:[0,0,1] op_sel_hi:[1,1,0] neg_lo:[1,0,0] neg_hi:[1,0,0]
	v_pk_fma_f32 v[24:25], v[32:33], v[24:25], v[36:37] op_sel:[0,0,1] op_sel_hi:[1,1,0]
	s_nop 0
	v_mov_b32_e32 v13, v25
	v_pk_mul_f32 v[24:25], v[38:39], v[26:27]
	ds_read2_b32 v[26:27], v42 offset0:21 offset1:22
	v_pk_add_f32 v[6:7], v[6:7], v[12:13] neg_lo:[0,1] neg_hi:[0,1]
	s_waitcnt lgkmcnt(0)
	v_mov_b32_e32 v40, v26
	s_waitcnt vmcnt(2)
	v_mov_b32_e32 v12, v20
	v_mov_b32_e32 v13, v22
	;; [unrolled: 1-line block ×3, first 2 shown]
	v_pk_fma_f32 v[22:23], v[26:27], v[10:11], v[24:25] op_sel:[0,0,1] op_sel_hi:[1,1,0] neg_lo:[1,0,0] neg_hi:[1,0,0]
	v_pk_fma_f32 v[10:11], v[40:41], v[10:11], v[24:25] op_sel:[0,0,1] op_sel_hi:[1,1,0]
	v_pk_mul_f32 v[12:13], v[26:27], v[12:13]
	v_mov_b32_e32 v23, v11
	v_pk_add_f32 v[6:7], v[6:7], v[22:23] neg_lo:[0,1] neg_hi:[0,1]
	ds_read2_b32 v[22:23], v42 offset0:23 offset1:24
	s_waitcnt vmcnt(1)
	v_mov_b32_e32 v10, v28
	s_waitcnt lgkmcnt(0)
	v_mov_b32_e32 v38, v22
	v_pk_fma_f32 v[24:25], v[22:23], v[20:21], v[12:13] op_sel:[0,0,1] op_sel_hi:[1,1,0] neg_lo:[1,0,0] neg_hi:[1,0,0]
	v_pk_fma_f32 v[12:13], v[38:39], v[20:21], v[12:13] op_sel:[0,0,1] op_sel_hi:[1,1,0]
	ds_read2_b32 v[20:21], v42 offset0:25 offset1:26
	v_mov_b32_e32 v11, v30
	v_mov_b32_e32 v28, v31
	;; [unrolled: 1-line block ×3, first 2 shown]
	v_pk_mul_f32 v[10:11], v[22:23], v[10:11]
	s_waitcnt lgkmcnt(0)
	v_mov_b32_e32 v26, v20
	v_pk_add_f32 v[6:7], v[6:7], v[24:25] neg_lo:[0,1] neg_hi:[0,1]
	s_waitcnt vmcnt(0)
	v_mov_b32_e32 v12, v16
	v_mov_b32_e32 v13, v18
	v_pk_fma_f32 v[24:25], v[20:21], v[28:29], v[10:11] op_sel:[0,0,1] op_sel_hi:[1,1,0] neg_lo:[1,0,0] neg_hi:[1,0,0]
	v_pk_fma_f32 v[10:11], v[26:27], v[28:29], v[10:11] op_sel:[0,0,1] op_sel_hi:[1,1,0]
	v_mov_b32_e32 v16, v19
	v_mov_b32_e32 v25, v11
	v_pk_mul_f32 v[10:11], v[20:21], v[12:13]
	v_mov_b32_e32 v22, v34
	v_pk_fma_f32 v[12:13], v[22:23], v[16:17], v[10:11] op_sel:[0,0,1] op_sel_hi:[1,1,0] neg_lo:[1,0,0] neg_hi:[1,0,0]
	v_pk_fma_f32 v[10:11], v[22:23], v[16:17], v[10:11] op_sel:[0,0,1] op_sel_hi:[1,1,0]
	v_pk_add_f32 v[6:7], v[6:7], v[24:25] neg_lo:[0,1] neg_hi:[0,1]
	v_mov_b32_e32 v13, v11
	v_mul_f32_e32 v10, v21, v19
	v_fmac_f32_e32 v10, v34, v18
	v_pk_add_f32 v[6:7], v[6:7], v[12:13] neg_lo:[0,1] neg_hi:[0,1]
	scratch_load_dwordx4 v[24:27], off, off offset:144
	v_sub_f32_e32 v7, v7, v10
	scratch_load_dwordx4 v[10:13], off, off offset:112
	ds_read2_b32 v[16:17], v42 offset0:29 offset1:30
	s_waitcnt vmcnt(0) lgkmcnt(0)
	v_mul_f32_e32 v18, v16, v11
	v_mul_f32_e32 v11, v35, v11
	v_fma_f32 v18, v35, v10, -v18
	v_fmac_f32_e32 v11, v16, v10
	v_sub_f32_e32 v10, v6, v18
	v_sub_f32_e32 v11, v7, v11
	ds_read2_b32 v[6:7], v42 offset0:31 offset1:32
	s_waitcnt lgkmcnt(0)
	v_mul_f32_e32 v16, v6, v13
	v_mul_f32_e32 v13, v17, v13
	v_fma_f32 v16, v17, v12, -v16
	v_fmac_f32_e32 v13, v6, v12
	v_sub_f32_e32 v6, v10, v16
	v_sub_f32_e32 v12, v11, v13
	ds_read2_b32 v[10:11], v42 offset0:33 offset1:34
	s_waitcnt lgkmcnt(0)
	v_mul_f32_e32 v13, v10, v45
	v_fma_f32 v13, v7, v44, -v13
	v_mul_f32_e32 v7, v7, v45
	v_fmac_f32_e32 v7, v10, v44
	v_sub_f32_e32 v10, v6, v13
	v_sub_f32_e32 v12, v12, v7
	ds_read2_b32 v[6:7], v42 offset0:35 offset1:36
	s_waitcnt lgkmcnt(0)
	v_mul_f32_e32 v13, v6, v47
	v_fma_f32 v13, v11, v46, -v13
	v_mul_f32_e32 v11, v11, v47
	v_fmac_f32_e32 v11, v6, v46
	v_sub_f32_e32 v6, v10, v13
	v_sub_f32_e32 v12, v12, v11
	ds_read2_b32 v[10:11], v42 offset0:37 offset1:38
	s_waitcnt lgkmcnt(0)
	v_mul_f32_e32 v13, v10, v25
	v_fma_f32 v13, v7, v24, -v13
	v_mul_f32_e32 v7, v7, v25
	v_fmac_f32_e32 v7, v10, v24
	v_sub_f32_e32 v10, v6, v13
	v_sub_f32_e32 v12, v12, v7
	ds_read2_b32 v[6:7], v42 offset0:39 offset1:40
	s_waitcnt lgkmcnt(0)
	v_mul_f32_e32 v13, v6, v27
	v_fma_f32 v13, v11, v26, -v13
	v_mul_f32_e32 v11, v11, v27
	v_fmac_f32_e32 v11, v6, v26
	v_sub_f32_e32 v6, v10, v13
	v_sub_f32_e32 v12, v12, v11
	ds_read2_b32 v[10:11], v42 offset0:41 offset1:42
	s_waitcnt lgkmcnt(0)
	v_mul_f32_e32 v13, v10, v15
	v_fma_f32 v13, v7, v14, -v13
	v_mul_f32_e32 v7, v7, v15
	v_fmac_f32_e32 v7, v10, v14
	v_sub_f32_e32 v10, v6, v13
	v_sub_f32_e32 v14, v12, v7
	scratch_load_dwordx2 v[6:7], off, off offset:168
	ds_read2_b32 v[12:13], v42 offset0:43 offset1:44
	s_waitcnt vmcnt(0) lgkmcnt(0)
	v_mul_f32_e32 v15, v12, v7
	v_fma_f32 v15, v11, v6, -v15
	v_mul_f32_e32 v7, v11, v7
	v_fmac_f32_e32 v7, v12, v6
	v_sub_f32_e32 v6, v10, v15
	v_mov_b32_e32 v10, s13
	ds_read_b32 v10, v10 offset:4
	v_sub_f32_e32 v7, v14, v7
	v_mul_f32_e32 v49, v13, v7
	s_or_b32 s13, s11, 23
	s_waitcnt lgkmcnt(0)
	v_mul_f32_e32 v11, v10, v7
	v_fma_f32 v48, v13, v6, -v11
	v_fmac_f32_e32 v49, v10, v6
	scratch_store_dwordx2 off, v[48:49], off offset:176
	scratch_load_dwordx4 v[10:13], off, off offset:168
	v_add_u32_e32 v6, s12, v1
	s_lshl_b32 s12, s13, 8
	s_add_i32 s14, s5, s12
	v_mov_b32_e32 v54, s14
	s_mulk_i32 s13, 0x108
	s_waitcnt vmcnt(0)
	ds_write_b64 v6, v[12:13]
	scratch_load_dwordx2 v[6:7], off, off
	ds_read_b128 v[18:21], v54
	ds_read_b128 v[28:31], v54 offset:16
	ds_read_b128 v[12:15], v54 offset:32
	ds_read_b96 v[50:52], v54 offset:48
	scratch_load_dwordx4 v[40:43], off, off offset:24
	s_waitcnt lgkmcnt(1)
	v_mov_b32_e32 v64, v15
	s_waitcnt lgkmcnt(0)
	v_mov_b32_e32 v65, v50
	v_mov_b32_e32 v70, v51
	;; [unrolled: 1-line block ×3, first 2 shown]
	s_waitcnt vmcnt(1)
	v_mul_f32_e32 v16, v19, v7
	v_fma_f32 v16, v18, v6, -v16
	v_mul_f32_e32 v7, v18, v7
	v_fmac_f32_e32 v7, v19, v6
	v_sub_f32_e32 v6, v8, v16
	scratch_load_dwordx4 v[16:19], off, off
	v_sub_f32_e32 v7, v9, v7
	s_waitcnt vmcnt(0)
	v_mul_f32_e32 v8, v21, v19
	v_mul_f32_e32 v9, v20, v19
	v_fma_f32 v8, v20, v18, -v8
	v_fmac_f32_e32 v9, v21, v18
	scratch_load_dwordx4 v[18:21], off, off offset:8
	v_sub_f32_e32 v6, v6, v8
	v_sub_f32_e32 v7, v7, v9
	s_waitcnt vmcnt(0)
	v_mul_f32_e32 v8, v29, v21
	v_mul_f32_e32 v9, v28, v21
	v_fma_f32 v8, v28, v20, -v8
	v_fmac_f32_e32 v9, v29, v20
	scratch_load_dwordx4 v[20:23], off, off offset:16
	scratch_load_dwordx4 v[36:39], off, off offset:32
	;; [unrolled: 1-line block ×3, first 2 shown]
	v_sub_f32_e32 v6, v6, v8
	v_sub_f32_e32 v7, v7, v9
	ds_read2_b32 v[56:57], v54 offset0:29 offset1:30
	ds_read2_b32 v[72:73], v54 offset0:15 offset1:16
	s_waitcnt vmcnt(2)
	v_mul_f32_e32 v8, v31, v23
	v_fma_f32 v8, v30, v22, -v8
	v_mul_f32_e32 v9, v30, v23
	v_sub_f32_e32 v6, v6, v8
	v_mul_f32_e32 v8, v13, v43
	v_fmac_f32_e32 v9, v31, v22
	v_fma_f32 v8, v12, v42, -v8
	v_mul_f32_e32 v23, v12, v43
	v_pk_add_f32 v[6:7], v[6:7], v[8:9] neg_lo:[0,1] neg_hi:[0,1]
	s_waitcnt vmcnt(1)
	v_mul_f32_e32 v8, v15, v39
	v_fmac_f32_e32 v23, v13, v42
	scratch_load_dwordx4 v[28:31], off, off offset:48
	v_fma_f32 v22, v14, v38, -v8
	v_pk_add_f32 v[12:13], v[6:7], v[22:23] neg_lo:[0,1] neg_hi:[0,1]
	scratch_load_dwordx4 v[6:9], off, off offset:64
	v_mov_b32_e32 v66, v38
	s_waitcnt vmcnt(2)
	v_mov_b32_e32 v67, v34
	v_pk_mul_f32 v[68:69], v[64:65], v[66:67]
	scratch_load_dwordx4 v[64:67], off, off offset:72
	v_mov_b32_e32 v42, v51
	v_mov_b32_e32 v43, v52
	;; [unrolled: 1-line block ×4, first 2 shown]
	v_pk_fma_f32 v[14:15], v[42:43], v[14:15], v[68:69] op_sel:[0,0,1] op_sel_hi:[1,1,0] neg_lo:[1,0,0] neg_hi:[1,0,0]
	v_pk_fma_f32 v[38:39], v[70:71], v[38:39], v[68:69] op_sel:[0,0,1] op_sel_hi:[1,1,0]
	v_mov_b32_e32 v23, v34
	v_mov_b32_e32 v15, v39
	v_pk_add_f32 v[38:39], v[12:13], v[14:15] neg_lo:[0,1] neg_hi:[0,1]
	scratch_load_dwordx4 v[12:15], off, off offset:80
	s_waitcnt lgkmcnt(0)
	v_mov_b32_e32 v70, v72
	v_mov_b32_e32 v71, v50
	s_waitcnt vmcnt(3)
	v_mov_b32_e32 v34, v31
	v_mov_b32_e32 v22, v30
	;; [unrolled: 1-line block ×3, first 2 shown]
	s_waitcnt vmcnt(2)
	v_mov_b32_e32 v69, v6
	v_pk_mul_f32 v[34:35], v[70:71], v[34:35]
	v_mov_b32_e32 v30, v7
	v_pk_fma_f32 v[50:51], v[42:43], v[68:69], v[34:35] op_sel:[1,0,0] op_sel_hi:[0,1,1] neg_lo:[0,0,1] neg_hi:[0,0,1]
	v_pk_fma_f32 v[22:23], v[42:43], v[22:23], v[34:35] op_sel:[1,0,0] op_sel_hi:[0,1,1]
	ds_read2_b32 v[42:43], v54 offset0:17 offset1:18
	v_mov_b32_e32 v51, v23
	v_pk_add_f32 v[22:23], v[38:39], v[50:51] neg_lo:[0,1] neg_hi:[0,1]
	v_pk_mul_f32 v[38:39], v[72:73], v[68:69]
	scratch_load_dwordx4 v[68:71], off, off offset:88
	v_mov_b32_e32 v34, v6
	v_mov_b32_e32 v35, v8
	;; [unrolled: 1-line block ×3, first 2 shown]
	s_waitcnt lgkmcnt(0)
	v_mov_b32_e32 v8, v42
	v_mov_b32_e32 v9, v52
	v_pk_fma_f32 v[50:51], v[42:43], v[30:31], v[38:39] op_sel:[0,0,1] op_sel_hi:[1,1,0] neg_lo:[1,0,0] neg_hi:[1,0,0]
	v_pk_fma_f32 v[8:9], v[8:9], v[30:31], v[38:39] op_sel:[0,0,1] op_sel_hi:[1,1,0]
	v_pk_mul_f32 v[30:31], v[42:43], v[34:35]
	ds_read2_b32 v[34:35], v54 offset0:19 offset1:20
	v_mov_b32_e32 v51, v9
	v_pk_add_f32 v[8:9], v[22:23], v[50:51] neg_lo:[0,1] neg_hi:[0,1]
	scratch_load_dwordx4 v[50:53], off, off offset:96
	s_waitcnt vmcnt(3)
	v_mov_b32_e32 v22, v64
	s_waitcnt lgkmcnt(0)
	v_mov_b32_e32 v72, v34
	v_pk_fma_f32 v[38:39], v[34:35], v[6:7], v[30:31] op_sel:[0,0,1] op_sel_hi:[1,1,0] neg_lo:[1,0,0] neg_hi:[1,0,0]
	v_pk_fma_f32 v[6:7], v[72:73], v[6:7], v[30:31] op_sel:[0,0,1] op_sel_hi:[1,1,0]
	v_mov_b32_e32 v23, v66
	v_mov_b32_e32 v39, v7
	v_pk_add_f32 v[30:31], v[8:9], v[38:39] neg_lo:[0,1] neg_hi:[0,1]
	scratch_load_dwordx4 v[6:9], off, off offset:104
	v_mov_b32_e32 v64, v67
	ds_read2_b32 v[66:67], v54 offset0:21 offset1:22
	v_pk_mul_f32 v[22:23], v[34:35], v[22:23]
	s_waitcnt vmcnt(3)
	v_mov_b32_e32 v38, v12
	v_mov_b32_e32 v39, v14
	;; [unrolled: 1-line block ×3, first 2 shown]
	s_waitcnt lgkmcnt(0)
	v_mov_b32_e32 v42, v66
	v_pk_fma_f32 v[14:15], v[66:67], v[64:65], v[22:23] op_sel:[0,0,1] op_sel_hi:[1,1,0] neg_lo:[1,0,0] neg_hi:[1,0,0]
	v_pk_fma_f32 v[22:23], v[42:43], v[64:65], v[22:23] op_sel:[0,0,1] op_sel_hi:[1,1,0]
	s_nop 0
	v_mov_b32_e32 v15, v23
	v_pk_add_f32 v[14:15], v[30:31], v[14:15] neg_lo:[0,1] neg_hi:[0,1]
	v_pk_mul_f32 v[30:31], v[66:67], v[38:39]
	ds_read2_b32 v[38:39], v54 offset0:23 offset1:24
	s_waitcnt lgkmcnt(0)
	v_mov_b32_e32 v34, v38
	v_pk_fma_f32 v[42:43], v[38:39], v[12:13], v[30:31] op_sel:[0,0,1] op_sel_hi:[1,1,0] neg_lo:[1,0,0] neg_hi:[1,0,0]
	v_pk_fma_f32 v[12:13], v[34:35], v[12:13], v[30:31] op_sel:[0,0,1] op_sel_hi:[1,1,0]
	ds_read2_b32 v[30:31], v54 offset0:25 offset1:26
	v_mov_b32_e32 v43, v13
	v_pk_add_f32 v[12:13], v[14:15], v[42:43] neg_lo:[0,1] neg_hi:[0,1]
	s_waitcnt lgkmcnt(0)
	v_mov_b32_e32 v66, v30
	s_waitcnt vmcnt(2)
	v_mov_b32_e32 v22, v68
	v_mov_b32_e32 v23, v70
	;; [unrolled: 1-line block ×3, first 2 shown]
	v_pk_mul_f32 v[22:23], v[38:39], v[22:23]
	s_waitcnt vmcnt(1)
	v_mov_b32_e32 v14, v50
	v_pk_fma_f32 v[34:35], v[30:31], v[68:69], v[22:23] op_sel:[0,0,1] op_sel_hi:[1,1,0] neg_lo:[1,0,0] neg_hi:[1,0,0]
	v_pk_fma_f32 v[22:23], v[66:67], v[68:69], v[22:23] op_sel:[0,0,1] op_sel_hi:[1,1,0]
	v_mov_b32_e32 v15, v52
	v_mov_b32_e32 v35, v23
	v_pk_add_f32 v[12:13], v[12:13], v[34:35] neg_lo:[0,1] neg_hi:[0,1]
	ds_read2_b32 v[34:35], v54 offset0:27 offset1:28
	v_mov_b32_e32 v50, v53
	v_pk_mul_f32 v[14:15], v[30:31], v[14:15]
	s_waitcnt vmcnt(0)
	v_mov_b32_e32 v22, v6
	v_mov_b32_e32 v23, v8
	s_waitcnt lgkmcnt(0)
	v_mov_b32_e32 v38, v34
	v_pk_fma_f32 v[42:43], v[34:35], v[50:51], v[14:15] op_sel:[0,0,1] op_sel_hi:[1,1,0] neg_lo:[1,0,0] neg_hi:[1,0,0]
	v_pk_fma_f32 v[14:15], v[38:39], v[50:51], v[14:15] op_sel:[0,0,1] op_sel_hi:[1,1,0]
	v_mov_b32_e32 v6, v9
	v_mov_b32_e32 v43, v15
	v_pk_mul_f32 v[14:15], v[34:35], v[22:23]
	v_mov_b32_e32 v30, v56
	v_pk_fma_f32 v[22:23], v[30:31], v[6:7], v[14:15] op_sel:[0,0,1] op_sel_hi:[1,1,0] neg_lo:[1,0,0] neg_hi:[1,0,0]
	v_pk_fma_f32 v[6:7], v[30:31], v[6:7], v[14:15] op_sel:[0,0,1] op_sel_hi:[1,1,0]
	v_pk_add_f32 v[12:13], v[12:13], v[42:43] neg_lo:[0,1] neg_hi:[0,1]
	v_mov_b32_e32 v23, v7
	v_mul_f32_e32 v6, v35, v9
	v_fmac_f32_e32 v6, v56, v8
	v_pk_add_f32 v[12:13], v[12:13], v[22:23] neg_lo:[0,1] neg_hi:[0,1]
	scratch_load_dwordx4 v[50:53], off, off offset:136
	v_sub_f32_e32 v13, v13, v6
	scratch_load_dwordx4 v[6:9], off, off offset:120
	ds_read2_b32 v[14:15], v54 offset0:31 offset1:32
	s_waitcnt vmcnt(0) lgkmcnt(0)
	v_mul_f32_e32 v22, v14, v7
	v_mul_f32_e32 v7, v57, v7
	v_fmac_f32_e32 v7, v14, v6
	v_fma_f32 v22, v57, v6, -v22
	v_sub_f32_e32 v13, v13, v7
	ds_read2_b32 v[6:7], v54 offset0:33 offset1:34
	v_sub_f32_e32 v12, v12, v22
	ds_read2_b32 v[22:23], v54 offset0:41 offset1:42
	s_waitcnt lgkmcnt(1)
	v_mul_f32_e32 v14, v6, v9
	v_mul_f32_e32 v9, v15, v9
	v_fma_f32 v14, v15, v8, -v14
	v_fmac_f32_e32 v9, v6, v8
	v_sub_f32_e32 v6, v12, v14
	v_sub_f32_e32 v12, v13, v9
	ds_read2_b32 v[8:9], v54 offset0:35 offset1:36
	s_waitcnt lgkmcnt(0)
	v_mul_f32_e32 v13, v8, v47
	v_fma_f32 v13, v7, v46, -v13
	v_mul_f32_e32 v7, v7, v47
	v_fmac_f32_e32 v7, v8, v46
	v_sub_f32_e32 v8, v6, v13
	v_sub_f32_e32 v12, v12, v7
	ds_read2_b32 v[6:7], v54 offset0:37 offset1:38
	s_waitcnt lgkmcnt(0)
	v_mul_f32_e32 v13, v6, v53
	v_fma_f32 v13, v9, v52, -v13
	v_mul_f32_e32 v9, v9, v53
	;; [unrolled: 8-line block ×3, first 2 shown]
	v_fmac_f32_e32 v7, v12, v26
	v_sub_f32_e32 v12, v6, v9
	v_sub_f32_e32 v14, v8, v7
	scratch_load_dwordx4 v[6:9], off, off offset:152
	s_waitcnt vmcnt(0)
	v_mul_f32_e32 v15, v22, v9
	v_mul_f32_e32 v9, v13, v9
	v_fma_f32 v15, v13, v8, -v15
	v_fmac_f32_e32 v9, v22, v8
	v_sub_f32_e32 v22, v12, v15
	v_sub_f32_e32 v26, v14, v9
	scratch_load_dwordx4 v[12:15], off, off offset:160
	ds_read2_b32 v[8:9], v54 offset0:43 offset1:44
	s_waitcnt vmcnt(0) lgkmcnt(0)
	v_mul_f32_e32 v27, v8, v15
	v_mul_f32_e32 v15, v23, v15
	v_fma_f32 v27, v23, v14, -v27
	v_fmac_f32_e32 v15, v8, v14
	v_sub_f32_e32 v8, v22, v27
	v_sub_f32_e32 v22, v26, v15
	ds_read2_b32 v[14:15], v54 offset0:45 offset1:46
	s_waitcnt lgkmcnt(0)
	v_mul_f32_e32 v23, v14, v49
	v_fma_f32 v23, v9, v48, -v23
	v_mul_f32_e32 v9, v9, v49
	v_fmac_f32_e32 v9, v14, v48
	v_sub_f32_e32 v14, v8, v23
	v_mov_b32_e32 v8, s13
	v_sub_f32_e32 v9, v22, v9
	ds_read_b32 v22, v8 offset:4
	s_or_b32 s13, s11, 24
	s_waitcnt lgkmcnt(0)
	v_mul_f32_e32 v8, v22, v9
	v_mul_f32_e32 v9, v15, v9
	v_fma_f32 v8, v15, v14, -v8
	v_fmac_f32_e32 v9, v22, v14
	v_add_u32_e32 v14, s12, v1
	ds_write_b64 v14, v[8:9]
	scratch_load_dwordx2 v[14:15], off, off
	s_lshl_b32 s12, s13, 8
	s_add_i32 s14, s5, s12
	v_mov_b32_e32 v63, s14
	ds_read_b128 v[46:49], v63
	ds_read_b128 v[52:55], v63 offset:16
	ds_read_b128 v[64:67], v63 offset:32
	ds_read_b96 v[70:72], v63 offset:48
	s_mulk_i32 s13, 0x108
	s_waitcnt lgkmcnt(0)
	v_mov_b32_e32 v43, v70
	s_waitcnt vmcnt(0)
	v_mul_f32_e32 v22, v47, v15
	v_mul_f32_e32 v15, v46, v15
	v_fma_f32 v22, v46, v14, -v22
	v_fmac_f32_e32 v15, v47, v14
	v_sub_f32_e32 v14, v2, v22
	v_sub_f32_e32 v15, v3, v15
	scratch_load_dwordx2 v[2:3], off, off offset:8
	s_waitcnt vmcnt(0)
	v_mul_f32_e32 v22, v49, v3
	v_mul_f32_e32 v3, v48, v3
	v_fmac_f32_e32 v3, v49, v2
	v_fma_f32 v22, v48, v2, -v22
	v_sub_f32_e32 v15, v15, v3
	scratch_load_dwordx2 v[2:3], off, off offset:16
	v_sub_f32_e32 v14, v14, v22
	s_waitcnt vmcnt(0)
	v_mul_f32_e32 v22, v53, v3
	v_mul_f32_e32 v3, v52, v3
	v_fmac_f32_e32 v3, v53, v2
	v_fma_f32 v22, v52, v2, -v22
	v_sub_f32_e32 v15, v15, v3
	scratch_load_dwordx2 v[2:3], off, off offset:24
	v_sub_f32_e32 v14, v14, v22
	s_waitcnt vmcnt(0)
	v_mul_f32_e32 v22, v55, v3
	v_mul_f32_e32 v3, v54, v3
	v_fma_f32 v22, v54, v2, -v22
	v_fmac_f32_e32 v3, v55, v2
	v_sub_f32_e32 v2, v14, v22
	v_sub_f32_e32 v3, v15, v3
	scratch_load_dwordx2 v[14:15], off, off offset:32
	s_waitcnt vmcnt(0)
	v_mul_f32_e32 v22, v65, v15
	v_fma_f32 v22, v64, v14, -v22
	v_sub_f32_e32 v2, v2, v22
	scratch_load_dwordx2 v[22:23], off, off offset:40
	scratch_load_dwordx2 v[26:27], off, off offset:48
	;; [unrolled: 1-line block ×3, first 2 shown]
	scratch_load_dwordx4 v[46:49], off, off offset:56
	scratch_load_dwordx4 v[52:55], off, off offset:72
	v_mul_f32_e32 v15, v64, v15
	v_fmac_f32_e32 v15, v65, v14
	scratch_load_dwordx4 v[76:79], off, off offset:112
	ds_read2_b32 v[34:35], v63 offset0:31 offset1:32
	s_waitcnt vmcnt(4)
	v_mov_b32_e32 v38, v26
	v_mul_f32_e32 v14, v67, v23
	v_mul_f32_e32 v23, v66, v23
	v_fma_f32 v14, v66, v22, -v14
	v_fmac_f32_e32 v23, v67, v22
	scratch_load_dwordx4 v[64:67], off, off offset:80
	v_pk_add_f32 v[2:3], v[2:3], v[14:15] neg_lo:[0,1] neg_hi:[0,1]
	v_mul_f32_e32 v14, v71, v27
	v_fma_f32 v22, v70, v26, -v14
	v_pk_add_f32 v[2:3], v[2:3], v[22:23] neg_lo:[0,1] neg_hi:[0,1]
	v_mov_b32_e32 v22, v71
	v_mov_b32_e32 v23, v72
	s_waitcnt vmcnt(4)
	v_mov_b32_e32 v39, v30
	v_pk_mul_f32 v[22:23], v[22:23], v[38:39]
	ds_read2_b32 v[38:39], v63 offset0:15 offset1:16
	scratch_load_dwordx4 v[68:71], off, off offset:88
	v_mov_b32_e32 v56, v31
	v_mov_b32_e32 v26, v31
	;; [unrolled: 1-line block ×3, first 2 shown]
	s_waitcnt lgkmcnt(0)
	v_mov_b32_e32 v42, v38
	v_pk_fma_f32 v[56:57], v[38:39], v[56:57], v[22:23] op_sel:[0,0,1] op_sel_hi:[1,1,0] neg_lo:[1,0,0] neg_hi:[1,0,0]
	v_pk_fma_f32 v[22:23], v[42:43], v[26:27], v[22:23] op_sel:[0,0,1] op_sel_hi:[1,1,0]
	ds_read2_b32 v[26:27], v63 offset0:17 offset1:18
	v_mov_b32_e32 v43, v72
	scratch_load_dwordx4 v[72:75], off, off offset:96
	s_waitcnt vmcnt(5)
	v_mov_b32_e32 v30, v49
	v_mov_b32_e32 v14, v48
	s_waitcnt lgkmcnt(0)
	v_mov_b32_e32 v42, v26
	v_mov_b32_e32 v57, v23
	;; [unrolled: 1-line block ×3, first 2 shown]
	s_waitcnt vmcnt(4)
	v_mov_b32_e32 v23, v52
	v_pk_mul_f32 v[30:31], v[42:43], v[30:31]
	v_pk_add_f32 v[2:3], v[2:3], v[56:57] neg_lo:[0,1] neg_hi:[0,1]
	v_pk_fma_f32 v[42:43], v[38:39], v[22:23], v[30:31] op_sel:[1,0,0] op_sel_hi:[0,1,1] neg_lo:[0,0,1] neg_hi:[0,0,1]
	v_pk_fma_f32 v[14:15], v[38:39], v[14:15], v[30:31] op_sel:[1,0,0] op_sel_hi:[0,1,1]
	v_mov_b32_e32 v43, v15
	v_mov_b32_e32 v14, v52
	;; [unrolled: 1-line block ×4, first 2 shown]
	scratch_load_dwordx4 v[54:57], off, off offset:104
	ds_read2_b32 v[30:31], v63 offset0:19 offset1:20
	v_mov_b32_e32 v48, v53
	v_pk_mul_f32 v[22:23], v[26:27], v[22:23]
	v_pk_add_f32 v[2:3], v[2:3], v[42:43] neg_lo:[0,1] neg_hi:[0,1]
	s_waitcnt lgkmcnt(0)
	v_mov_b32_e32 v38, v30
	v_pk_fma_f32 v[42:43], v[30:31], v[48:49], v[22:23] op_sel:[0,0,1] op_sel_hi:[1,1,0] neg_lo:[1,0,0] neg_hi:[1,0,0]
	v_pk_fma_f32 v[22:23], v[38:39], v[48:49], v[22:23] op_sel:[0,0,1] op_sel_hi:[1,1,0]
	ds_read2_b32 v[38:39], v63 offset0:21 offset1:22
	v_mov_b32_e32 v43, v23
	v_pk_mul_f32 v[14:15], v[30:31], v[14:15]
	v_pk_add_f32 v[2:3], v[2:3], v[42:43] neg_lo:[0,1] neg_hi:[0,1]
	s_waitcnt lgkmcnt(0)
	v_mov_b32_e32 v26, v38
	v_pk_fma_f32 v[42:43], v[38:39], v[52:53], v[14:15] op_sel:[0,0,1] op_sel_hi:[1,1,0] neg_lo:[1,0,0] neg_hi:[1,0,0]
	v_pk_fma_f32 v[14:15], v[26:27], v[52:53], v[14:15] op_sel:[0,0,1] op_sel_hi:[1,1,0]
	ds_read2_b32 v[26:27], v63 offset0:23 offset1:24
	v_mov_b32_e32 v43, v15
	v_pk_add_f32 v[2:3], v[2:3], v[42:43] neg_lo:[0,1] neg_hi:[0,1]
	s_waitcnt lgkmcnt(0)
	v_mov_b32_e32 v30, v26
	s_waitcnt vmcnt(3)
	v_mov_b32_e32 v22, v64
	v_mov_b32_e32 v23, v66
	;; [unrolled: 1-line block ×3, first 2 shown]
	v_pk_mul_f32 v[22:23], v[38:39], v[22:23]
	s_waitcnt vmcnt(2)
	v_mov_b32_e32 v14, v68
	v_pk_fma_f32 v[42:43], v[26:27], v[64:65], v[22:23] op_sel:[0,0,1] op_sel_hi:[1,1,0] neg_lo:[1,0,0] neg_hi:[1,0,0]
	v_pk_fma_f32 v[22:23], v[30:31], v[64:65], v[22:23] op_sel:[0,0,1] op_sel_hi:[1,1,0]
	ds_read2_b32 v[30:31], v63 offset0:25 offset1:26
	v_mov_b32_e32 v15, v70
	v_mov_b32_e32 v68, v71
	;; [unrolled: 1-line block ×3, first 2 shown]
	v_pk_mul_f32 v[14:15], v[26:27], v[14:15]
	s_waitcnt lgkmcnt(0)
	v_mov_b32_e32 v38, v30
	v_pk_add_f32 v[2:3], v[2:3], v[42:43] neg_lo:[0,1] neg_hi:[0,1]
	v_pk_fma_f32 v[42:43], v[30:31], v[68:69], v[14:15] op_sel:[0,0,1] op_sel_hi:[1,1,0] neg_lo:[1,0,0] neg_hi:[1,0,0]
	v_pk_fma_f32 v[14:15], v[38:39], v[68:69], v[14:15] op_sel:[0,0,1] op_sel_hi:[1,1,0]
	ds_read2_b32 v[38:39], v63 offset0:27 offset1:28
	s_waitcnt vmcnt(1)
	v_mov_b32_e32 v22, v72
	v_mov_b32_e32 v23, v74
	;; [unrolled: 1-line block ×4, first 2 shown]
	v_pk_mul_f32 v[22:23], v[30:31], v[22:23]
	s_waitcnt lgkmcnt(0)
	v_mov_b32_e32 v26, v38
	v_pk_add_f32 v[2:3], v[2:3], v[42:43] neg_lo:[0,1] neg_hi:[0,1]
	v_pk_fma_f32 v[42:43], v[38:39], v[72:73], v[22:23] op_sel:[0,0,1] op_sel_hi:[1,1,0] neg_lo:[1,0,0] neg_hi:[1,0,0]
	v_pk_fma_f32 v[22:23], v[26:27], v[72:73], v[22:23] op_sel:[0,0,1] op_sel_hi:[1,1,0]
	ds_read2_b32 v[26:27], v63 offset0:29 offset1:30
	v_mov_b32_e32 v43, v23
	s_waitcnt vmcnt(0)
	v_mov_b32_e32 v14, v54
	v_mov_b32_e32 v15, v56
	;; [unrolled: 1-line block ×3, first 2 shown]
	v_pk_mul_f32 v[14:15], v[38:39], v[14:15]
	s_waitcnt lgkmcnt(0)
	v_mov_b32_e32 v30, v26
	v_pk_add_f32 v[2:3], v[2:3], v[42:43] neg_lo:[0,1] neg_hi:[0,1]
	v_mov_b32_e32 v22, v76
	v_mov_b32_e32 v23, v78
	v_pk_fma_f32 v[42:43], v[26:27], v[54:55], v[14:15] op_sel:[0,0,1] op_sel_hi:[1,1,0] neg_lo:[1,0,0] neg_hi:[1,0,0]
	v_pk_fma_f32 v[14:15], v[30:31], v[54:55], v[14:15] op_sel:[0,0,1] op_sel_hi:[1,1,0]
	v_mov_b32_e32 v76, v79
	v_mov_b32_e32 v43, v15
	v_pk_mul_f32 v[14:15], v[26:27], v[22:23]
	v_mov_b32_e32 v38, v34
	v_pk_fma_f32 v[22:23], v[38:39], v[76:77], v[14:15] op_sel:[0,0,1] op_sel_hi:[1,1,0] neg_lo:[1,0,0] neg_hi:[1,0,0]
	v_pk_fma_f32 v[14:15], v[38:39], v[76:77], v[14:15] op_sel:[0,0,1] op_sel_hi:[1,1,0]
	v_pk_add_f32 v[2:3], v[2:3], v[42:43] neg_lo:[0,1] neg_hi:[0,1]
	v_mov_b32_e32 v23, v15
	v_mul_f32_e32 v14, v27, v79
	v_fmac_f32_e32 v14, v34, v78
	v_pk_add_f32 v[2:3], v[2:3], v[22:23] neg_lo:[0,1] neg_hi:[0,1]
	v_mul_f32_e32 v23, v35, v45
	v_sub_f32_e32 v3, v3, v14
	ds_read2_b32 v[14:15], v63 offset0:33 offset1:34
	s_waitcnt lgkmcnt(0)
	v_mul_f32_e32 v22, v14, v45
	v_fma_f32 v22, v35, v44, -v22
	v_fmac_f32_e32 v23, v14, v44
	v_sub_f32_e32 v14, v2, v22
	v_sub_f32_e32 v26, v3, v23
	scratch_load_dwordx2 v[2:3], off, off offset:136
	ds_read2_b32 v[22:23], v63 offset0:35 offset1:36
	s_waitcnt vmcnt(0) lgkmcnt(0)
	v_mul_f32_e32 v27, v22, v3
	v_mul_f32_e32 v3, v15, v3
	v_fmac_f32_e32 v3, v22, v2
	v_fma_f32 v27, v15, v2, -v27
	v_sub_f32_e32 v26, v26, v3
	scratch_load_dwordx2 v[2:3], off, off offset:144
	v_sub_f32_e32 v22, v14, v27
	ds_read2_b32 v[14:15], v63 offset0:37 offset1:38
	s_waitcnt vmcnt(0) lgkmcnt(0)
	v_mul_f32_e32 v27, v14, v3
	v_mul_f32_e32 v3, v23, v3
	v_fmac_f32_e32 v3, v14, v2
	v_fma_f32 v27, v23, v2, -v27
	v_sub_f32_e32 v26, v26, v3
	scratch_load_dwordx2 v[2:3], off, off offset:152
	v_sub_f32_e32 v14, v22, v27
	;; [unrolled: 9-line block ×5, first 2 shown]
	ds_read2_b32 v[14:15], v63 offset0:45 offset1:46
	s_waitcnt vmcnt(0) lgkmcnt(0)
	v_mul_f32_e32 v27, v14, v3
	v_mul_f32_e32 v3, v23, v3
	v_fma_f32 v27, v23, v2, -v27
	v_fmac_f32_e32 v3, v14, v2
	v_sub_f32_e32 v14, v22, v27
	v_sub_f32_e32 v22, v26, v3
	ds_read2_b32 v[2:3], v63 offset0:47 offset1:48
	s_waitcnt lgkmcnt(0)
	v_mul_f32_e32 v23, v2, v9
	v_fma_f32 v23, v15, v8, -v23
	v_mul_f32_e32 v15, v15, v9
	v_fmac_f32_e32 v15, v2, v8
	v_sub_f32_e32 v2, v14, v23
	v_sub_f32_e32 v14, v22, v15
	v_mov_b32_e32 v15, s13
	ds_read_b32 v15, v15 offset:4
	v_mul_f32_e32 v31, v3, v14
	s_or_b32 s13, s11, 25
	s_waitcnt lgkmcnt(0)
	v_mul_f32_e32 v22, v15, v14
	v_fma_f32 v30, v3, v2, -v22
	v_fmac_f32_e32 v31, v15, v2
	v_add_u32_e32 v2, s12, v1
	ds_write_b64 v2, v[30:31]
	scratch_load_dwordx2 v[2:3], off, off
	s_lshl_b32 s12, s13, 8
	s_add_i32 s14, s5, s12
	v_mov_b32_e32 v63, s14
	ds_read_b128 v[42:45], v63
	ds_read_b128 v[52:55], v63 offset:16
	ds_read_b128 v[64:67], v63 offset:32
	;; [unrolled: 1-line block ×3, first 2 shown]
	s_mulk_i32 s13, 0x108
	s_waitcnt vmcnt(0) lgkmcnt(3)
	v_mul_f32_e32 v14, v43, v3
	v_mul_f32_e32 v3, v42, v3
	v_fmac_f32_e32 v3, v43, v2
	v_fma_f32 v14, v42, v2, -v14
	v_sub_f32_e32 v5, v5, v3
	scratch_load_dwordx2 v[2:3], off, off offset:8
	v_sub_f32_e32 v4, v4, v14
	s_waitcnt vmcnt(0)
	v_mul_f32_e32 v14, v45, v3
	v_mul_f32_e32 v3, v44, v3
	v_fmac_f32_e32 v3, v45, v2
	v_fma_f32 v14, v44, v2, -v14
	v_sub_f32_e32 v5, v5, v3
	scratch_load_dwordx2 v[2:3], off, off offset:16
	v_sub_f32_e32 v4, v4, v14
	s_waitcnt vmcnt(0) lgkmcnt(2)
	v_mul_f32_e32 v14, v53, v3
	v_mul_f32_e32 v3, v52, v3
	v_fmac_f32_e32 v3, v53, v2
	v_fma_f32 v14, v52, v2, -v14
	v_sub_f32_e32 v5, v5, v3
	scratch_load_dwordx2 v[2:3], off, off offset:24
	v_sub_f32_e32 v4, v4, v14
	s_waitcnt vmcnt(0)
	v_mul_f32_e32 v14, v55, v3
	v_mul_f32_e32 v3, v54, v3
	v_fmac_f32_e32 v3, v55, v2
	v_fma_f32 v14, v54, v2, -v14
	v_sub_f32_e32 v5, v5, v3
	scratch_load_dwordx2 v[2:3], off, off offset:32
	v_sub_f32_e32 v4, v4, v14
	s_waitcnt vmcnt(0) lgkmcnt(1)
	v_mul_f32_e32 v14, v65, v3
	v_mul_f32_e32 v3, v64, v3
	v_fmac_f32_e32 v3, v65, v2
	v_fma_f32 v14, v64, v2, -v14
	v_sub_f32_e32 v15, v5, v3
	scratch_load_dwordx2 v[2:3], off, off offset:40
	v_sub_f32_e32 v4, v4, v14
	s_waitcnt lgkmcnt(0)
	v_mov_b32_e32 v65, v70
	s_waitcnt vmcnt(0)
	v_mul_f32_e32 v5, v67, v3
	v_mul_f32_e32 v23, v66, v3
	v_fma_f32 v5, v66, v2, -v5
	v_fmac_f32_e32 v23, v67, v2
	scratch_load_dwordx2 v[2:3], off, off offset:48
	scratch_load_dwordx2 v[34:35], off, off offset:56
	;; [unrolled: 1-line block ×3, first 2 shown]
	v_sub_f32_e32 v14, v4, v5
	scratch_load_dwordx4 v[42:45], off, off offset:80
	ds_read_b96 v[72:74], v63 offset:64
	ds_read2_b32 v[56:57], v63 offset0:33 offset1:34
	s_waitcnt lgkmcnt(1)
	v_mov_b32_e32 v48, v73
	v_mov_b32_e32 v49, v74
	;; [unrolled: 1-line block ×3, first 2 shown]
	s_waitcnt vmcnt(3)
	v_mul_f32_e32 v4, v69, v3
	v_mul_f32_e32 v27, v68, v3
	v_fma_f32 v22, v68, v2, -v4
	v_fmac_f32_e32 v27, v69, v2
	scratch_load_dwordx4 v[2:5], off, off offset:64
	v_pk_add_f32 v[14:15], v[14:15], v[22:23] neg_lo:[0,1] neg_hi:[0,1]
	s_waitcnt vmcnt(3)
	v_mul_f32_e32 v22, v71, v35
	v_fma_f32 v26, v70, v34, -v22
	v_pk_add_f32 v[14:15], v[14:15], v[26:27] neg_lo:[0,1] neg_hi:[0,1]
	v_mov_b32_e32 v26, v71
	v_mov_b32_e32 v27, v72
	;; [unrolled: 1-line block ×3, first 2 shown]
	s_waitcnt vmcnt(2)
	v_mov_b32_e32 v53, v38
	v_pk_mul_f32 v[26:27], v[26:27], v[52:53]
	v_mov_b32_e32 v66, v39
	v_mov_b32_e32 v34, v39
	v_pk_fma_f32 v[66:67], v[48:49], v[66:67], v[26:27] op_sel:[0,0,1] op_sel_hi:[1,1,0] neg_lo:[1,0,0] neg_hi:[1,0,0]
	v_pk_fma_f32 v[26:27], v[64:65], v[34:35], v[26:27] op_sel:[0,0,1] op_sel_hi:[1,1,0]
	ds_read2_b32 v[34:35], v63 offset0:19 offset1:20
	scratch_load_dwordx4 v[52:55], off, off offset:88
	v_mov_b32_e32 v23, v38
	v_mov_b32_e32 v69, v72
	;; [unrolled: 1-line block ×3, first 2 shown]
	s_waitcnt lgkmcnt(0)
	v_mov_b32_e32 v68, v34
	s_waitcnt vmcnt(2)
	v_mov_b32_e32 v27, v42
	v_pk_add_f32 v[14:15], v[14:15], v[66:67] neg_lo:[0,1] neg_hi:[0,1]
	scratch_load_dwordx4 v[64:67], off, off offset:96
	s_waitcnt vmcnt(2)
	v_mov_b32_e32 v38, v5
	v_mov_b32_e32 v22, v4
	v_mov_b32_e32 v26, v4
	v_pk_mul_f32 v[38:39], v[68:69], v[38:39]
	v_mov_b32_e32 v4, v43
	v_pk_fma_f32 v[68:69], v[48:49], v[26:27], v[38:39] op_sel:[1,0,0] op_sel_hi:[0,1,1] neg_lo:[0,0,1] neg_hi:[0,0,1]
	v_pk_fma_f32 v[22:23], v[48:49], v[22:23], v[38:39] op_sel:[1,0,0] op_sel_hi:[0,1,1]
	ds_read2_b32 v[38:39], v63 offset0:21 offset1:22
	v_mov_b32_e32 v69, v23
	v_mov_b32_e32 v22, v42
	;; [unrolled: 1-line block ×3, first 2 shown]
	v_pk_mul_f32 v[26:27], v[34:35], v[26:27]
	v_mov_b32_e32 v42, v45
	s_waitcnt lgkmcnt(0)
	v_mov_b32_e32 v44, v38
	v_mov_b32_e32 v45, v74
	v_pk_fma_f32 v[48:49], v[38:39], v[4:5], v[26:27] op_sel:[0,0,1] op_sel_hi:[1,1,0] neg_lo:[1,0,0] neg_hi:[1,0,0]
	v_pk_fma_f32 v[4:5], v[44:45], v[4:5], v[26:27] op_sel:[0,0,1] op_sel_hi:[1,1,0]
	ds_read2_b32 v[26:27], v63 offset0:23 offset1:24
	v_pk_add_f32 v[14:15], v[14:15], v[68:69] neg_lo:[0,1] neg_hi:[0,1]
	scratch_load_dwordx4 v[68:71], off, off offset:104
	v_pk_mul_f32 v[22:23], v[38:39], v[22:23]
	v_mov_b32_e32 v49, v5
	s_waitcnt lgkmcnt(0)
	v_mov_b32_e32 v34, v26
	v_pk_fma_f32 v[44:45], v[26:27], v[42:43], v[22:23] op_sel:[0,0,1] op_sel_hi:[1,1,0] neg_lo:[1,0,0] neg_hi:[1,0,0]
	v_pk_fma_f32 v[22:23], v[34:35], v[42:43], v[22:23] op_sel:[0,0,1] op_sel_hi:[1,1,0]
	v_pk_add_f32 v[4:5], v[14:15], v[48:49] neg_lo:[0,1] neg_hi:[0,1]
	scratch_load_dwordx4 v[72:75], off, off offset:112
	v_mov_b32_e32 v45, v23
	v_pk_add_f32 v[4:5], v[4:5], v[44:45] neg_lo:[0,1] neg_hi:[0,1]
	scratch_load_dwordx4 v[42:45], off, off offset:120
	ds_read2_b32 v[34:35], v63 offset0:25 offset1:26
	s_waitcnt vmcnt(4)
	v_mov_b32_e32 v14, v52
	v_mov_b32_e32 v15, v54
	;; [unrolled: 1-line block ×3, first 2 shown]
	v_pk_mul_f32 v[14:15], v[26:27], v[14:15]
	s_waitcnt lgkmcnt(0)
	v_mov_b32_e32 v38, v34
	v_pk_fma_f32 v[48:49], v[34:35], v[52:53], v[14:15] op_sel:[0,0,1] op_sel_hi:[1,1,0] neg_lo:[1,0,0] neg_hi:[1,0,0]
	v_pk_fma_f32 v[14:15], v[38:39], v[52:53], v[14:15] op_sel:[0,0,1] op_sel_hi:[1,1,0]
	ds_read2_b32 v[38:39], v63 offset0:27 offset1:28
	s_waitcnt vmcnt(3)
	v_mov_b32_e32 v22, v64
	v_mov_b32_e32 v23, v66
	;; [unrolled: 1-line block ×4, first 2 shown]
	v_pk_mul_f32 v[22:23], v[34:35], v[22:23]
	s_waitcnt lgkmcnt(0)
	v_mov_b32_e32 v26, v38
	v_pk_add_f32 v[4:5], v[4:5], v[48:49] neg_lo:[0,1] neg_hi:[0,1]
	v_pk_fma_f32 v[48:49], v[38:39], v[64:65], v[22:23] op_sel:[0,0,1] op_sel_hi:[1,1,0] neg_lo:[1,0,0] neg_hi:[1,0,0]
	v_pk_fma_f32 v[22:23], v[26:27], v[64:65], v[22:23] op_sel:[0,0,1] op_sel_hi:[1,1,0]
	ds_read2_b32 v[26:27], v63 offset0:29 offset1:30
	v_mov_b32_e32 v49, v23
	v_pk_add_f32 v[4:5], v[4:5], v[48:49] neg_lo:[0,1] neg_hi:[0,1]
	s_waitcnt lgkmcnt(0)
	v_mov_b32_e32 v34, v26
	s_waitcnt vmcnt(2)
	v_mov_b32_e32 v14, v68
	v_mov_b32_e32 v15, v70
	;; [unrolled: 1-line block ×3, first 2 shown]
	v_pk_mul_f32 v[14:15], v[38:39], v[14:15]
	s_waitcnt vmcnt(1)
	v_mov_b32_e32 v22, v72
	v_pk_fma_f32 v[48:49], v[26:27], v[68:69], v[14:15] op_sel:[0,0,1] op_sel_hi:[1,1,0] neg_lo:[1,0,0] neg_hi:[1,0,0]
	v_pk_fma_f32 v[14:15], v[34:35], v[68:69], v[14:15] op_sel:[0,0,1] op_sel_hi:[1,1,0]
	ds_read2_b32 v[34:35], v63 offset0:31 offset1:32
	v_mov_b32_e32 v23, v74
	v_mov_b32_e32 v72, v75
	;; [unrolled: 1-line block ×3, first 2 shown]
	s_waitcnt vmcnt(0)
	v_mov_b32_e32 v14, v42
	v_mov_b32_e32 v15, v44
	v_pk_mul_f32 v[22:23], v[26:27], v[22:23]
	s_waitcnt lgkmcnt(0)
	v_mov_b32_e32 v38, v34
	v_pk_add_f32 v[4:5], v[4:5], v[48:49] neg_lo:[0,1] neg_hi:[0,1]
	v_mov_b32_e32 v42, v45
	v_pk_fma_f32 v[48:49], v[34:35], v[72:73], v[22:23] op_sel:[0,0,1] op_sel_hi:[1,1,0] neg_lo:[1,0,0] neg_hi:[1,0,0]
	v_pk_fma_f32 v[22:23], v[38:39], v[72:73], v[22:23] op_sel:[0,0,1] op_sel_hi:[1,1,0]
	v_pk_mul_f32 v[14:15], v[34:35], v[14:15]
	v_mov_b32_e32 v26, v56
	v_mov_b32_e32 v49, v23
	v_pk_fma_f32 v[22:23], v[26:27], v[42:43], v[14:15] op_sel:[0,0,1] op_sel_hi:[1,1,0] neg_lo:[1,0,0] neg_hi:[1,0,0]
	v_pk_fma_f32 v[14:15], v[26:27], v[42:43], v[14:15] op_sel:[0,0,1] op_sel_hi:[1,1,0]
	v_pk_add_f32 v[4:5], v[4:5], v[48:49] neg_lo:[0,1] neg_hi:[0,1]
	v_mov_b32_e32 v23, v15
	v_mul_f32_e32 v14, v35, v45
	v_fmac_f32_e32 v14, v56, v44
	v_pk_add_f32 v[4:5], v[4:5], v[22:23] neg_lo:[0,1] neg_hi:[0,1]
	v_mul_f32_e32 v23, v57, v51
	v_sub_f32_e32 v5, v5, v14
	ds_read2_b32 v[14:15], v63 offset0:35 offset1:36
	s_waitcnt lgkmcnt(0)
	v_mul_f32_e32 v22, v14, v51
	v_fma_f32 v22, v57, v50, -v22
	v_fmac_f32_e32 v23, v14, v50
	v_sub_f32_e32 v14, v4, v22
	v_sub_f32_e32 v26, v5, v23
	scratch_load_dwordx2 v[4:5], off, off offset:144
	ds_read2_b32 v[22:23], v63 offset0:37 offset1:38
	s_waitcnt vmcnt(0) lgkmcnt(0)
	v_mul_f32_e32 v27, v22, v5
	v_mul_f32_e32 v5, v15, v5
	v_fmac_f32_e32 v5, v22, v4
	v_fma_f32 v27, v15, v4, -v27
	v_sub_f32_e32 v26, v26, v5
	scratch_load_dwordx2 v[4:5], off, off offset:152
	v_sub_f32_e32 v22, v14, v27
	ds_read2_b32 v[14:15], v63 offset0:39 offset1:40
	s_waitcnt vmcnt(0) lgkmcnt(0)
	v_mul_f32_e32 v27, v14, v5
	v_mul_f32_e32 v5, v23, v5
	v_fmac_f32_e32 v5, v14, v4
	v_fma_f32 v27, v23, v4, -v27
	v_sub_f32_e32 v26, v26, v5
	scratch_load_dwordx2 v[4:5], off, off offset:160
	v_sub_f32_e32 v14, v22, v27
	;; [unrolled: 9-line block ×4, first 2 shown]
	ds_read2_b32 v[22:23], v63 offset0:45 offset1:46
	s_waitcnt vmcnt(0) lgkmcnt(0)
	v_mul_f32_e32 v27, v22, v5
	v_mul_f32_e32 v5, v15, v5
	v_fmac_f32_e32 v5, v22, v4
	v_fma_f32 v27, v15, v4, -v27
	v_sub_f32_e32 v15, v26, v5
	ds_read2_b32 v[4:5], v63 offset0:47 offset1:48
	v_sub_f32_e32 v14, v14, v27
	s_waitcnt lgkmcnt(0)
	v_mul_f32_e32 v22, v4, v9
	v_fma_f32 v22, v23, v8, -v22
	v_mul_f32_e32 v23, v23, v9
	v_fmac_f32_e32 v23, v4, v8
	v_sub_f32_e32 v4, v14, v22
	v_sub_f32_e32 v22, v15, v23
	ds_read2_b32 v[14:15], v63 offset0:49 offset1:50
	s_waitcnt lgkmcnt(0)
	v_mul_f32_e32 v23, v14, v31
	v_fma_f32 v23, v5, v30, -v23
	v_mul_f32_e32 v5, v5, v31
	v_fmac_f32_e32 v5, v14, v30
	v_mov_b32_e32 v14, s13
	ds_read_b32 v14, v14 offset:4
	v_sub_f32_e32 v5, v22, v5
	v_sub_f32_e32 v4, v4, v23
	v_mul_f32_e32 v35, v15, v5
	s_waitcnt lgkmcnt(0)
	v_mul_f32_e32 v22, v14, v5
	v_fma_f32 v34, v15, v4, -v22
	v_fmac_f32_e32 v35, v14, v4
	scratch_load_dwordx2 v[14:15], off, off
	v_add_u32_e32 v4, s12, v1
	s_or_b32 s12, s11, 26
	s_lshl_b32 s11, s12, 8
	s_add_i32 s13, s5, s11
	ds_write_b64 v4, v[34:35]
	v_mov_b32_e32 v4, s13
	ds_read_b128 v[64:67], v4
	ds_read_b128 v[52:55], v4 offset:16
	ds_read_b128 v[48:51], v4 offset:32
	;; [unrolled: 1-line block ×3, first 2 shown]
	scratch_load_dwordx2 v[26:27], off, off offset:56
	s_mulk_i32 s12, 0x108
	s_add_i32 s5, s5, s10
	s_waitcnt vmcnt(1) lgkmcnt(3)
	v_mul_f32_e32 v5, v65, v15
	v_mul_f32_e32 v15, v64, v15
	v_fmac_f32_e32 v15, v65, v14
	v_fma_f32 v5, v64, v14, -v5
	v_sub_f32_e32 v22, v61, v15
	scratch_load_dwordx2 v[14:15], off, off offset:8
	v_sub_f32_e32 v5, v60, v5
	s_waitcnt vmcnt(0)
	v_mul_f32_e32 v23, v67, v15
	v_mul_f32_e32 v15, v66, v15
	v_fma_f32 v23, v66, v14, -v23
	v_fmac_f32_e32 v15, v67, v14
	v_sub_f32_e32 v5, v5, v23
	v_sub_f32_e32 v14, v22, v15
	scratch_load_dwordx2 v[22:23], off, off offset:16
	s_waitcnt vmcnt(0) lgkmcnt(2)
	v_mul_f32_e32 v15, v53, v23
	v_mul_f32_e32 v23, v52, v23
	v_fma_f32 v15, v52, v22, -v15
	v_fmac_f32_e32 v23, v53, v22
	v_sub_f32_e32 v5, v5, v15
	v_sub_f32_e32 v22, v14, v23
	scratch_load_dwordx2 v[14:15], off, off offset:24
	s_waitcnt vmcnt(0)
	v_mul_f32_e32 v23, v55, v15
	v_mul_f32_e32 v15, v54, v15
	v_fmac_f32_e32 v15, v55, v14
	v_fma_f32 v23, v54, v14, -v23
	v_sub_f32_e32 v22, v22, v15
	scratch_load_dwordx2 v[14:15], off, off offset:32
	v_sub_f32_e32 v5, v5, v23
	s_waitcnt vmcnt(0) lgkmcnt(1)
	v_mul_f32_e32 v23, v49, v15
	v_mul_f32_e32 v15, v48, v15
	v_fmac_f32_e32 v15, v49, v14
	v_fma_f32 v23, v48, v14, -v23
	v_sub_f32_e32 v22, v22, v15
	scratch_load_dwordx2 v[14:15], off, off offset:40
	v_sub_f32_e32 v5, v5, v23
	s_waitcnt vmcnt(0)
	v_mul_f32_e32 v23, v51, v15
	v_mul_f32_e32 v15, v50, v15
	v_fma_f32 v23, v50, v14, -v23
	v_fmac_f32_e32 v15, v51, v14
	v_sub_f32_e32 v5, v5, v23
	v_sub_f32_e32 v15, v22, v15
	scratch_load_dwordx2 v[22:23], off, off offset:48
	scratch_load_dwordx2 v[38:39], off, off offset:64
	scratch_load_dwordx2 v[56:57], off, off offset:72
	scratch_load_dwordx4 v[48:51], off, off offset:88
	ds_read_b96 v[66:68], v4 offset:64
	ds_read2_b32 v[72:73], v4 offset0:19 offset1:20
	ds_read2_b32 v[60:61], v4 offset0:35 offset1:36
	s_waitcnt lgkmcnt(2)
	v_mov_b32_e32 v65, v66
	s_waitcnt lgkmcnt(1)
	v_mov_b32_e32 v64, v72
	v_mov_b32_e32 v71, v68
	s_waitcnt vmcnt(3)
	v_mul_f32_e32 v14, v43, v23
	v_fma_f32 v14, v42, v22, -v14
	v_mul_f32_e32 v23, v42, v23
	v_sub_f32_e32 v14, v5, v14
	v_mul_f32_e32 v5, v45, v27
	v_mul_f32_e32 v27, v44, v27
	v_fmac_f32_e32 v23, v43, v22
	v_fma_f32 v22, v44, v26, -v5
	v_fmac_f32_e32 v27, v45, v26
	scratch_load_dwordx4 v[42:45], off, off offset:72
	s_waitcnt vmcnt(3)
	v_mul_f32_e32 v5, v67, v39
	v_pk_add_f32 v[14:15], v[14:15], v[22:23] neg_lo:[0,1] neg_hi:[0,1]
	v_fma_f32 v26, v66, v38, -v5
	v_pk_add_f32 v[14:15], v[14:15], v[26:27] neg_lo:[0,1] neg_hi:[0,1]
	v_mov_b32_e32 v26, v67
	v_mov_b32_e32 v27, v68
	;; [unrolled: 1-line block ×3, first 2 shown]
	s_waitcnt vmcnt(2)
	v_mov_b32_e32 v53, v56
	v_pk_mul_f32 v[26:27], v[26:27], v[52:53]
	v_mov_b32_e32 v66, v57
	v_mov_b32_e32 v38, v57
	v_pk_fma_f32 v[66:67], v[72:73], v[66:67], v[26:27] op_sel:[0,0,1] op_sel_hi:[1,1,0] neg_lo:[1,0,0] neg_hi:[1,0,0]
	v_pk_fma_f32 v[26:27], v[64:65], v[38:39], v[26:27] op_sel:[0,0,1] op_sel_hi:[1,1,0]
	ds_read2_b32 v[38:39], v4 offset0:21 offset1:22
	scratch_load_dwordx4 v[52:55], off, off offset:96
	v_mov_b32_e32 v23, v56
	v_mov_b32_e32 v67, v27
	s_waitcnt vmcnt(2)
	v_mov_b32_e32 v27, v48
	s_waitcnt lgkmcnt(0)
	v_mov_b32_e32 v70, v38
	v_pk_add_f32 v[14:15], v[14:15], v[66:67] neg_lo:[0,1] neg_hi:[0,1]
	scratch_load_dwordx4 v[64:67], off, off offset:104
	s_waitcnt vmcnt(2)
	v_mov_b32_e32 v56, v45
	v_mov_b32_e32 v22, v44
	;; [unrolled: 1-line block ×3, first 2 shown]
	v_pk_mul_f32 v[56:57], v[70:71], v[56:57]
	v_mov_b32_e32 v44, v49
	v_pk_fma_f32 v[68:69], v[72:73], v[26:27], v[56:57] op_sel:[1,0,0] op_sel_hi:[0,1,1] neg_lo:[0,0,1] neg_hi:[0,0,1]
	v_pk_fma_f32 v[22:23], v[72:73], v[22:23], v[56:57] op_sel:[1,0,0] op_sel_hi:[0,1,1]
	ds_read2_b32 v[56:57], v4 offset0:23 offset1:24
	v_mov_b32_e32 v69, v23
	v_pk_mul_f32 v[26:27], v[38:39], v[26:27]
	v_pk_add_f32 v[14:15], v[14:15], v[68:69] neg_lo:[0,1] neg_hi:[0,1]
	v_mov_b32_e32 v22, v48
	s_waitcnt lgkmcnt(0)
	v_mov_b32_e32 v72, v56
	v_mov_b32_e32 v23, v50
	scratch_load_dwordx4 v[68:71], off, off offset:112
	v_mov_b32_e32 v48, v51
	v_pk_fma_f32 v[50:51], v[56:57], v[44:45], v[26:27] op_sel:[0,0,1] op_sel_hi:[1,1,0] neg_lo:[1,0,0] neg_hi:[1,0,0]
	v_pk_fma_f32 v[26:27], v[72:73], v[44:45], v[26:27] op_sel:[0,0,1] op_sel_hi:[1,1,0]
	ds_read2_b32 v[44:45], v4 offset0:25 offset1:26
	v_mov_b32_e32 v51, v27
	v_pk_mul_f32 v[22:23], v[56:57], v[22:23]
	v_pk_add_f32 v[14:15], v[14:15], v[50:51] neg_lo:[0,1] neg_hi:[0,1]
	scratch_load_dwordx4 v[72:75], off, off offset:120
	s_waitcnt lgkmcnt(0)
	v_mov_b32_e32 v38, v44
	v_pk_fma_f32 v[50:51], v[44:45], v[48:49], v[22:23] op_sel:[0,0,1] op_sel_hi:[1,1,0] neg_lo:[1,0,0] neg_hi:[1,0,0]
	v_pk_fma_f32 v[22:23], v[38:39], v[48:49], v[22:23] op_sel:[0,0,1] op_sel_hi:[1,1,0]
	ds_read2_b32 v[38:39], v4 offset0:27 offset1:28
	v_mov_b32_e32 v51, v23
	v_pk_add_f32 v[14:15], v[14:15], v[50:51] neg_lo:[0,1] neg_hi:[0,1]
	scratch_load_dwordx4 v[48:51], off, off offset:128
	s_waitcnt vmcnt(4)
	v_mov_b32_e32 v26, v52
	v_mov_b32_e32 v27, v54
	;; [unrolled: 1-line block ×3, first 2 shown]
	v_pk_mul_f32 v[26:27], v[44:45], v[26:27]
	s_waitcnt lgkmcnt(0)
	v_mov_b32_e32 v56, v38
	v_pk_fma_f32 v[54:55], v[38:39], v[52:53], v[26:27] op_sel:[0,0,1] op_sel_hi:[1,1,0] neg_lo:[1,0,0] neg_hi:[1,0,0]
	v_pk_fma_f32 v[26:27], v[56:57], v[52:53], v[26:27] op_sel:[0,0,1] op_sel_hi:[1,1,0]
	ds_read2_b32 v[52:53], v4 offset0:29 offset1:30
	s_waitcnt vmcnt(3)
	v_mov_b32_e32 v22, v64
	v_mov_b32_e32 v23, v66
	;; [unrolled: 1-line block ×4, first 2 shown]
	v_pk_mul_f32 v[22:23], v[38:39], v[22:23]
	s_waitcnt lgkmcnt(0)
	v_mov_b32_e32 v44, v52
	v_pk_add_f32 v[14:15], v[14:15], v[54:55] neg_lo:[0,1] neg_hi:[0,1]
	v_pk_fma_f32 v[54:55], v[52:53], v[64:65], v[22:23] op_sel:[0,0,1] op_sel_hi:[1,1,0] neg_lo:[1,0,0] neg_hi:[1,0,0]
	v_pk_fma_f32 v[22:23], v[44:45], v[64:65], v[22:23] op_sel:[0,0,1] op_sel_hi:[1,1,0]
	ds_read2_b32 v[44:45], v4 offset0:31 offset1:32
	v_mov_b32_e32 v55, v23
	v_pk_add_f32 v[14:15], v[14:15], v[54:55] neg_lo:[0,1] neg_hi:[0,1]
	s_waitcnt lgkmcnt(0)
	v_mov_b32_e32 v38, v44
	s_waitcnt vmcnt(2)
	v_mov_b32_e32 v26, v68
	v_mov_b32_e32 v27, v70
	;; [unrolled: 1-line block ×3, first 2 shown]
	v_pk_mul_f32 v[26:27], v[52:53], v[26:27]
	s_waitcnt vmcnt(1)
	v_mov_b32_e32 v22, v72
	v_pk_fma_f32 v[54:55], v[44:45], v[68:69], v[26:27] op_sel:[0,0,1] op_sel_hi:[1,1,0] neg_lo:[1,0,0] neg_hi:[1,0,0]
	v_pk_fma_f32 v[26:27], v[38:39], v[68:69], v[26:27] op_sel:[0,0,1] op_sel_hi:[1,1,0]
	ds_read2_b32 v[38:39], v4 offset0:33 offset1:34
	v_mov_b32_e32 v23, v74
	v_mov_b32_e32 v72, v75
	;; [unrolled: 1-line block ×3, first 2 shown]
	v_pk_mul_f32 v[22:23], v[44:45], v[22:23]
	s_waitcnt lgkmcnt(0)
	v_mov_b32_e32 v52, v38
	v_pk_add_f32 v[14:15], v[14:15], v[54:55] neg_lo:[0,1] neg_hi:[0,1]
	s_waitcnt vmcnt(0)
	v_mov_b32_e32 v26, v48
	v_mov_b32_e32 v27, v50
	v_pk_fma_f32 v[54:55], v[38:39], v[72:73], v[22:23] op_sel:[0,0,1] op_sel_hi:[1,1,0] neg_lo:[1,0,0] neg_hi:[1,0,0]
	v_pk_fma_f32 v[22:23], v[52:53], v[72:73], v[22:23] op_sel:[0,0,1] op_sel_hi:[1,1,0]
	v_mov_b32_e32 v48, v51
	v_mov_b32_e32 v55, v23
	v_pk_mul_f32 v[22:23], v[38:39], v[26:27]
	v_mov_b32_e32 v44, v60
	v_pk_fma_f32 v[26:27], v[44:45], v[48:49], v[22:23] op_sel:[0,0,1] op_sel_hi:[1,1,0] neg_lo:[1,0,0] neg_hi:[1,0,0]
	v_pk_fma_f32 v[22:23], v[44:45], v[48:49], v[22:23] op_sel:[0,0,1] op_sel_hi:[1,1,0]
	v_pk_add_f32 v[14:15], v[14:15], v[54:55] neg_lo:[0,1] neg_hi:[0,1]
	v_mov_b32_e32 v27, v23
	ds_read2_b32 v[22:23], v4 offset0:37 offset1:38
	v_mul_f32_e32 v5, v39, v51
	v_fmac_f32_e32 v5, v60, v50
	v_pk_add_f32 v[14:15], v[14:15], v[26:27] neg_lo:[0,1] neg_hi:[0,1]
	v_mov_b32_e32 v44, s5
	v_sub_f32_e32 v5, v15, v5
	s_waitcnt lgkmcnt(0)
	v_mul_f32_e32 v15, v22, v25
	v_fma_f32 v15, v61, v24, -v15
	v_mul_f32_e32 v25, v61, v25
	v_fmac_f32_e32 v25, v22, v24
	v_sub_f32_e32 v22, v14, v15
	scratch_load_dwordx2 v[14:15], off, off offset:152
	v_sub_f32_e32 v5, v5, v25
	ds_read2_b32 v[24:25], v4 offset0:39 offset1:40
	s_mul_i32 s5, s7, 0x108
	s_waitcnt vmcnt(0) lgkmcnt(0)
	v_mul_f32_e32 v26, v24, v15
	v_mul_f32_e32 v15, v23, v15
	v_fmac_f32_e32 v15, v24, v14
	v_fma_f32 v26, v23, v14, -v26
	v_sub_f32_e32 v5, v5, v15
	scratch_load_dwordx2 v[14:15], off, off offset:160
	v_sub_f32_e32 v24, v22, v26
	ds_read2_b32 v[22:23], v4 offset0:41 offset1:42
	s_waitcnt vmcnt(0) lgkmcnt(0)
	v_mul_f32_e32 v26, v22, v15
	v_mul_f32_e32 v15, v25, v15
	v_fmac_f32_e32 v15, v22, v14
	v_fma_f32 v26, v25, v14, -v26
	v_sub_f32_e32 v5, v5, v15
	scratch_load_dwordx2 v[14:15], off, off offset:168
	v_sub_f32_e32 v22, v24, v26
	ds_read2_b32 v[24:25], v4 offset0:43 offset1:44
	;; [unrolled: 9-line block ×3, first 2 shown]
	s_waitcnt vmcnt(0) lgkmcnt(0)
	v_mul_f32_e32 v26, v22, v15
	v_mul_f32_e32 v15, v25, v15
	v_fmac_f32_e32 v15, v22, v14
	v_fma_f32 v26, v25, v14, -v26
	v_sub_f32_e32 v5, v5, v15
	ds_read2_b32 v[14:15], v4 offset0:47 offset1:48
	v_sub_f32_e32 v22, v24, v26
	s_waitcnt lgkmcnt(0)
	v_mul_f32_e32 v24, v14, v9
	v_fma_f32 v24, v23, v8, -v24
	v_mul_f32_e32 v23, v23, v9
	v_fmac_f32_e32 v23, v14, v8
	v_sub_f32_e32 v14, v22, v24
	v_sub_f32_e32 v5, v5, v23
	ds_read2_b32 v[22:23], v4 offset0:49 offset1:50
	s_waitcnt lgkmcnt(0)
	v_mul_f32_e32 v24, v22, v31
	v_fma_f32 v24, v15, v30, -v24
	v_mul_f32_e32 v15, v15, v31
	v_fmac_f32_e32 v15, v22, v30
	v_sub_f32_e32 v15, v5, v15
	ds_read2_b32 v[4:5], v4 offset0:51 offset1:52
	v_sub_f32_e32 v14, v14, v24
	s_waitcnt lgkmcnt(0)
	v_mul_f32_e32 v22, v4, v35
	v_fma_f32 v22, v23, v34, -v22
	v_mul_f32_e32 v23, v23, v35
	v_fmac_f32_e32 v23, v4, v34
	v_sub_f32_e32 v4, v14, v22
	v_sub_f32_e32 v14, v15, v23
	v_mov_b32_e32 v15, s12
	ds_read_b32 v15, v15 offset:4
	v_mul_f32_e32 v39, v5, v14
	s_waitcnt lgkmcnt(0)
	v_mul_f32_e32 v22, v15, v14
	v_fma_f32 v38, v5, v4, -v22
	v_fmac_f32_e32 v39, v15, v4
	v_add_u32_e32 v4, s11, v1
	ds_write_b64 v4, v[38:39]
	ds_read_b128 v[22:25], v44
	ds_read_b128 v[48:51], v44 offset:16
	ds_read_b128 v[52:55], v44 offset:32
	;; [unrolled: 1-line block ×3, first 2 shown]
	s_mov_b32 s11, s4
	s_waitcnt lgkmcnt(3)
	v_mul_f32_e32 v4, v23, v17
	v_mul_f32_e32 v5, v22, v17
	;; [unrolled: 1-line block ×4, first 2 shown]
	v_fma_f32 v4, v22, v16, -v4
	v_fmac_f32_e32 v5, v23, v16
	v_fma_f32 v14, v24, v18, -v14
	v_fmac_f32_e32 v15, v25, v18
	scratch_load_dwordx4 v[22:25], off, off offset:80
	v_sub_f32_e32 v4, v58, v4
	v_sub_f32_e32 v4, v4, v14
	s_waitcnt lgkmcnt(2)
	v_mul_f32_e32 v14, v49, v21
	v_sub_f32_e32 v5, v59, v5
	v_fma_f32 v14, v48, v20, -v14
	v_sub_f32_e32 v5, v5, v15
	v_mul_f32_e32 v15, v48, v21
	v_sub_f32_e32 v4, v4, v14
	v_mul_f32_e32 v14, v51, v41
	v_fmac_f32_e32 v15, v49, v20
	v_fma_f32 v14, v50, v40, -v14
	v_sub_f32_e32 v5, v5, v15
	v_mul_f32_e32 v15, v50, v41
	v_sub_f32_e32 v4, v4, v14
	s_waitcnt lgkmcnt(1)
	v_mul_f32_e32 v14, v53, v37
	v_fmac_f32_e32 v15, v51, v40
	v_fma_f32 v14, v52, v36, -v14
	v_sub_f32_e32 v5, v5, v15
	v_mul_f32_e32 v15, v52, v37
	v_sub_f32_e32 v4, v4, v14
	v_mul_f32_e32 v14, v55, v33
	v_fmac_f32_e32 v15, v53, v36
	v_fma_f32 v14, v54, v32, -v14
	v_sub_f32_e32 v5, v5, v15
	v_mul_f32_e32 v15, v54, v33
	v_sub_f32_e32 v4, v4, v14
	s_waitcnt lgkmcnt(0)
	v_mul_f32_e32 v14, v65, v29
	v_fmac_f32_e32 v15, v55, v32
	v_fma_f32 v14, v64, v28, -v14
	v_sub_f32_e32 v5, v5, v15
	v_mul_f32_e32 v15, v64, v29
	v_sub_f32_e32 v4, v4, v14
	v_mul_f32_e32 v14, v67, v47
	v_fmac_f32_e32 v15, v65, v28
	v_fma_f32 v14, v66, v46, -v14
	v_sub_f32_e32 v5, v5, v15
	v_sub_f32_e32 v4, v4, v14
	ds_read_b128 v[14:17], v44 offset:64
	v_mul_f32_e32 v19, v66, v47
	v_fmac_f32_e32 v19, v67, v46
	ds_read_b96 v[46:48], v44 offset:80
	s_waitcnt lgkmcnt(1)
	v_mul_f32_e32 v18, v15, v3
	v_fma_f32 v18, v14, v2, -v18
	v_pk_add_f32 v[4:5], v[4:5], v[18:19] neg_lo:[0,1] neg_hi:[0,1]
	scratch_load_dwordx4 v[18:21], off, off offset:96
	v_mul_f32_e32 v3, v14, v3
	v_fmac_f32_e32 v3, v15, v2
	v_mul_f32_e32 v2, v17, v43
	v_fma_f32 v2, v16, v42, -v2
	v_pk_add_f32 v[14:15], v[4:5], v[2:3] neg_lo:[0,1] neg_hi:[0,1]
	v_mov_b32_e32 v2, v17
	s_waitcnt lgkmcnt(0)
	v_mov_b32_e32 v3, v46
	v_mov_b32_e32 v4, v42
	;; [unrolled: 1-line block ×7, first 2 shown]
	s_waitcnt vmcnt(1)
	v_mov_b32_e32 v5, v22
	v_pk_mul_f32 v[32:33], v[2:3], v[4:5]
	scratch_load_dwordx4 v[2:5], off, off offset:104
	v_mov_b32_e32 v16, v23
	v_mov_b32_e32 v42, v23
	v_pk_fma_f32 v[16:17], v[26:27], v[16:17], v[32:33] op_sel:[0,0,1] op_sel_hi:[1,1,0] neg_lo:[1,0,0] neg_hi:[1,0,0]
	v_pk_fma_f32 v[32:33], v[36:37], v[42:43], v[32:33] op_sel:[0,0,1] op_sel_hi:[1,1,0]
	ds_read2_b32 v[36:37], v44 offset0:23 offset1:24
	v_mov_b32_e32 v17, v33
	v_mov_b32_e32 v29, v22
	;; [unrolled: 1-line block ×3, first 2 shown]
	v_pk_add_f32 v[32:33], v[14:15], v[16:17] neg_lo:[0,1] neg_hi:[0,1]
	scratch_load_dwordx4 v[14:17], off, off offset:112
	s_waitcnt lgkmcnt(0)
	v_mov_b32_e32 v40, v36
	v_mov_b32_e32 v28, v24
	;; [unrolled: 1-line block ×3, first 2 shown]
	v_pk_mul_f32 v[22:23], v[40:41], v[22:23]
	s_waitcnt vmcnt(2)
	v_mov_b32_e32 v43, v18
	v_pk_fma_f32 v[40:41], v[26:27], v[42:43], v[22:23] op_sel:[1,0,0] op_sel_hi:[0,1,1] neg_lo:[0,0,1] neg_hi:[0,0,1]
	v_pk_fma_f32 v[22:23], v[26:27], v[28:29], v[22:23] op_sel:[1,0,0] op_sel_hi:[0,1,1]
	v_mov_b32_e32 v41, v23
	v_pk_add_f32 v[40:41], v[32:33], v[40:41] neg_lo:[0,1] neg_hi:[0,1]
	ds_read2_b32 v[32:33], v44 offset0:25 offset1:26
	scratch_load_dwordx4 v[26:29], off, off offset:120
	v_mov_b32_e32 v24, v19
	v_mov_b32_e32 v22, v18
	;; [unrolled: 1-line block ×3, first 2 shown]
	v_pk_mul_f32 v[42:43], v[36:37], v[42:43]
	v_mov_b32_e32 v18, v21
	s_waitcnt lgkmcnt(0)
	v_mov_b32_e32 v20, v32
	v_mov_b32_e32 v21, v48
	v_pk_fma_f32 v[46:47], v[32:33], v[24:25], v[42:43] op_sel:[0,0,1] op_sel_hi:[1,1,0] neg_lo:[1,0,0] neg_hi:[1,0,0]
	v_pk_fma_f32 v[20:21], v[20:21], v[24:25], v[42:43] op_sel:[0,0,1] op_sel_hi:[1,1,0]
	ds_read2_b32 v[24:25], v44 offset0:27 offset1:28
	v_mov_b32_e32 v47, v21
	v_pk_add_f32 v[40:41], v[40:41], v[46:47] neg_lo:[0,1] neg_hi:[0,1]
	v_pk_mul_f32 v[46:47], v[32:33], v[22:23]
	scratch_load_dwordx4 v[20:23], off, off offset:128
	s_waitcnt lgkmcnt(0)
	v_mov_b32_e32 v36, v24
	s_waitcnt vmcnt(3)
	v_mov_b32_e32 v42, v2
	v_mov_b32_e32 v43, v4
	;; [unrolled: 1-line block ×3, first 2 shown]
	v_pk_fma_f32 v[4:5], v[24:25], v[18:19], v[46:47] op_sel:[0,0,1] op_sel_hi:[1,1,0] neg_lo:[1,0,0] neg_hi:[1,0,0]
	v_pk_fma_f32 v[18:19], v[36:37], v[18:19], v[46:47] op_sel:[0,0,1] op_sel_hi:[1,1,0]
	scratch_load_dwordx4 v[46:49], off, off offset:136
	v_mov_b32_e32 v5, v19
	v_pk_add_f32 v[36:37], v[40:41], v[4:5] neg_lo:[0,1] neg_hi:[0,1]
	ds_read2_b32 v[4:5], v44 offset0:29 offset1:30
	v_pk_mul_f32 v[40:41], v[24:25], v[42:43]
	s_waitcnt vmcnt(3)
	v_mov_b32_e32 v18, v14
	v_mov_b32_e32 v19, v16
	;; [unrolled: 1-line block ×3, first 2 shown]
	s_waitcnt lgkmcnt(0)
	v_mov_b32_e32 v32, v4
	v_pk_fma_f32 v[16:17], v[4:5], v[2:3], v[40:41] op_sel:[0,0,1] op_sel_hi:[1,1,0] neg_lo:[1,0,0] neg_hi:[1,0,0]
	v_pk_fma_f32 v[2:3], v[32:33], v[2:3], v[40:41] op_sel:[0,0,1] op_sel_hi:[1,1,0]
	ds_read2_b32 v[32:33], v44 offset0:31 offset1:32
	v_mov_b32_e32 v17, v3
	v_pk_mul_f32 v[18:19], v[4:5], v[18:19]
	v_pk_add_f32 v[2:3], v[36:37], v[16:17] neg_lo:[0,1] neg_hi:[0,1]
	s_waitcnt lgkmcnt(0)
	v_mov_b32_e32 v24, v32
	s_waitcnt vmcnt(2)
	v_mov_b32_e32 v16, v26
	v_mov_b32_e32 v17, v28
	;; [unrolled: 1-line block ×3, first 2 shown]
	v_pk_fma_f32 v[28:29], v[32:33], v[14:15], v[18:19] op_sel:[0,0,1] op_sel_hi:[1,1,0] neg_lo:[1,0,0] neg_hi:[1,0,0]
	v_pk_fma_f32 v[14:15], v[24:25], v[14:15], v[18:19] op_sel:[0,0,1] op_sel_hi:[1,1,0]
	ds_read2_b32 v[18:19], v44 offset0:33 offset1:34
	v_pk_mul_f32 v[16:17], v[32:33], v[16:17]
	v_mov_b32_e32 v29, v15
	v_pk_add_f32 v[2:3], v[2:3], v[28:29] neg_lo:[0,1] neg_hi:[0,1]
	s_waitcnt lgkmcnt(0)
	v_mov_b32_e32 v4, v18
	v_pk_fma_f32 v[4:5], v[4:5], v[26:27], v[16:17] op_sel:[0,0,1] op_sel_hi:[1,1,0]
	s_waitcnt vmcnt(1)
	v_mov_b32_e32 v14, v20
	v_mov_b32_e32 v15, v22
	;; [unrolled: 1-line block ×3, first 2 shown]
	v_pk_fma_f32 v[22:23], v[18:19], v[26:27], v[16:17] op_sel:[0,0,1] op_sel_hi:[1,1,0] neg_lo:[1,0,0] neg_hi:[1,0,0]
	ds_read2_b32 v[16:17], v44 offset0:35 offset1:36
	v_mov_b32_e32 v23, v5
	v_pk_mul_f32 v[14:15], v[18:19], v[14:15]
	v_pk_add_f32 v[2:3], v[2:3], v[22:23] neg_lo:[0,1] neg_hi:[0,1]
	s_waitcnt lgkmcnt(0)
	v_mov_b32_e32 v32, v16
	v_pk_fma_f32 v[22:23], v[16:17], v[20:21], v[14:15] op_sel:[0,0,1] op_sel_hi:[1,1,0] neg_lo:[1,0,0] neg_hi:[1,0,0]
	v_pk_fma_f32 v[14:15], v[32:33], v[20:21], v[14:15] op_sel:[0,0,1] op_sel_hi:[1,1,0]
	ds_read2_b32 v[20:21], v44 offset0:37 offset1:38
	v_mov_b32_e32 v23, v15
	ds_read2_b32 v[14:15], v44 offset0:39 offset1:40
	v_pk_add_f32 v[2:3], v[2:3], v[22:23] neg_lo:[0,1] neg_hi:[0,1]
	s_waitcnt lgkmcnt(1)
	v_mov_b32_e32 v18, v20
	s_waitcnt lgkmcnt(0)
	v_mul_f32_e32 v24, v14, v7
	s_waitcnt vmcnt(0)
	v_mov_b32_e32 v4, v46
	v_mov_b32_e32 v5, v48
	;; [unrolled: 1-line block ×3, first 2 shown]
	v_pk_mul_f32 v[4:5], v[16:17], v[4:5]
	v_mov_b32_e32 v16, v49
	v_pk_fma_f32 v[22:23], v[20:21], v[46:47], v[4:5] op_sel:[0,0,1] op_sel_hi:[1,1,0] neg_lo:[1,0,0] neg_hi:[1,0,0]
	v_pk_fma_f32 v[4:5], v[18:19], v[46:47], v[4:5] op_sel:[0,0,1] op_sel_hi:[1,1,0]
	v_mov_b32_e32 v49, v6
	v_mov_b32_e32 v23, v5
	;; [unrolled: 1-line block ×5, first 2 shown]
	v_pk_mul_f32 v[4:5], v[4:5], v[16:17]
	v_mov_b32_e32 v16, v20
	v_mov_b32_e32 v17, v14
	v_pk_add_f32 v[2:3], v[2:3], v[22:23] neg_lo:[0,1] neg_hi:[0,1]
	v_pk_fma_f32 v[4:5], v[16:17], v[48:49], v[4:5]
	v_fma_f32 v6, v21, v6, -v24
	v_sub_f32_e32 v3, v3, v4
	v_sub_f32_e32 v3, v3, v5
	ds_read2_b32 v[4:5], v44 offset0:41 offset1:42
	v_sub_f32_e32 v2, v2, v6
	v_mul_f32_e32 v7, v15, v13
	s_waitcnt lgkmcnt(0)
	v_mul_f32_e32 v6, v4, v13
	v_fma_f32 v6, v15, v12, -v6
	v_fmac_f32_e32 v7, v4, v12
	v_sub_f32_e32 v4, v2, v6
	v_sub_f32_e32 v6, v3, v7
	ds_read2_b32 v[2:3], v44 offset0:43 offset1:44
	s_waitcnt lgkmcnt(0)
	v_mul_f32_e32 v7, v2, v11
	v_fma_f32 v7, v5, v10, -v7
	v_mul_f32_e32 v5, v5, v11
	v_fmac_f32_e32 v5, v2, v10
	v_sub_f32_e32 v2, v4, v7
	v_sub_f32_e32 v6, v6, v5
	scratch_load_dwordx2 v[4:5], off, off offset:176
	ds_read2_b32 v[10:11], v44 offset0:45 offset1:46
	s_waitcnt vmcnt(0) lgkmcnt(0)
	v_mul_f32_e32 v7, v10, v5
	v_fma_f32 v7, v3, v4, -v7
	v_mul_f32_e32 v3, v3, v5
	v_fmac_f32_e32 v3, v10, v4
	v_sub_f32_e32 v4, v2, v7
	v_sub_f32_e32 v5, v6, v3
	ds_read2_b32 v[2:3], v44 offset0:47 offset1:48
	v_mul_f32_e32 v7, v11, v9
	s_waitcnt lgkmcnt(0)
	v_mul_f32_e32 v6, v2, v9
	v_fma_f32 v6, v11, v8, -v6
	v_fmac_f32_e32 v7, v2, v8
	v_sub_f32_e32 v2, v4, v6
	v_sub_f32_e32 v6, v5, v7
	ds_read2_b32 v[4:5], v44 offset0:49 offset1:50
	s_waitcnt lgkmcnt(0)
	v_mul_f32_e32 v7, v4, v31
	v_fma_f32 v7, v3, v30, -v7
	v_mul_f32_e32 v3, v3, v31
	v_fmac_f32_e32 v3, v4, v30
	v_sub_f32_e32 v4, v2, v7
	v_sub_f32_e32 v6, v6, v3
	ds_read2_b32 v[2:3], v44 offset0:51 offset1:52
	s_waitcnt lgkmcnt(0)
	v_mul_f32_e32 v7, v2, v35
	v_fma_f32 v7, v5, v34, -v7
	v_mul_f32_e32 v5, v5, v35
	v_fmac_f32_e32 v5, v2, v34
	v_sub_f32_e32 v2, v4, v7
	v_sub_f32_e32 v4, v6, v5
	ds_read_b32 v5, v44 offset:212
	s_waitcnt lgkmcnt(0)
	v_mul_f32_e32 v6, v5, v39
	v_fma_f32 v6, v3, v38, -v6
	v_mul_f32_e32 v3, v3, v39
	v_fmac_f32_e32 v3, v5, v38
	v_sub_f32_e32 v4, v4, v3
	v_mov_b32_e32 v3, s5
	v_sub_f32_e32 v2, v2, v6
	ds_read_b64 v[6:7], v3
	s_waitcnt lgkmcnt(0)
	v_pk_mul_f32 v[4:5], v[6:7], v[4:5] op_sel:[1,0] op_sel_hi:[0,0]
	v_pk_fma_f32 v[8:9], v[6:7], v[2:3], v[4:5] neg_lo:[0,0,1] neg_hi:[0,0,1]
	v_pk_fma_f32 v[2:3], v[6:7], v[2:3], v[4:5] op_sel_hi:[1,0,1]
	s_nop 0
	v_mov_b32_e32 v9, v3
	ds_write_b64 v62, v[8:9]
.LBB168_35:
	s_cmp_ge_i32 s11, s28
	s_cbranch_scc1 .LBB168_42
; %bb.36:
	v_mov_b32_e32 v2, 0x2000
	s_lshl_b32 s4, s11, 8
	v_lshl_or_b32 v5, v0, 3, v2
	s_branch .LBB168_38
.LBB168_37:                             ;   in Loop: Header=BB168_38 Depth=1
	s_mul_i32 s5, s11, 0x108
	v_mov_b32_e32 v4, v3
	v_mov_b32_e32 v3, s5
	ds_read_b64 v[8:9], v3
	s_add_i32 s11, s11, 1
	s_addk_i32 s4, 0x100
	s_cmp_ge_i32 s11, s28
	s_waitcnt lgkmcnt(0)
	v_pk_mul_f32 v[10:11], v[8:9], v[4:5] op_sel:[1,0] op_sel_hi:[0,0]
	v_pk_fma_f32 v[12:13], v[8:9], v[2:3], v[10:11] op_sel_hi:[1,0,1] neg_lo:[0,0,1] neg_hi:[0,0,1]
	v_pk_fma_f32 v[2:3], v[8:9], v[2:3], v[10:11] op_sel_hi:[1,0,1]
	s_nop 0
	v_mov_b32_e32 v13, v3
	scratch_store_dwordx2 off, v[12:13], off
	ds_write_b64 v6, v[12:13]
	s_cbranch_scc1 .LBB168_42
.LBB168_38:                             ; =>This Loop Header: Depth=1
                                        ;     Child Loop BB168_40 Depth 2
	s_lshl_b32 s5, s11, 8
	v_add_u32_e32 v6, s5, v1
	ds_read_b64 v[2:3], v6
	s_cmp_eq_u32 s11, 0
	s_waitcnt lgkmcnt(0)
	scratch_store_dwordx2 off, v[2:3], off
	s_cbranch_scc1 .LBB168_37
; %bb.39:                               ;   in Loop: Header=BB168_38 Depth=1
	v_mov_b32_e32 v4, v5
	s_mov_b32 s5, s11
	s_mov_b32 s7, s4
.LBB168_40:                             ;   Parent Loop BB168_38 Depth=1
                                        ; =>  This Inner Loop Header: Depth=2
	v_mov_b32_e32 v7, s7
	ds_read_b64 v[8:9], v4
	ds_read_b64 v[10:11], v7
	s_add_i32 s7, s7, 8
	s_add_i32 s5, s5, -1
	v_add_u32_e32 v4, 0x100, v4
	s_cmp_lg_u32 s5, 0
	s_waitcnt lgkmcnt(0)
	v_pk_mul_f32 v[12:13], v[10:11], v[8:9] op_sel:[1,1] op_sel_hi:[0,1]
	v_pk_fma_f32 v[14:15], v[10:11], v[8:9], v[12:13] neg_lo:[0,0,1] neg_hi:[0,0,1]
	v_pk_fma_f32 v[8:9], v[10:11], v[8:9], v[12:13] op_sel_hi:[1,0,1]
	s_nop 0
	v_mov_b32_e32 v15, v9
	v_pk_add_f32 v[2:3], v[2:3], v[14:15] neg_lo:[0,1] neg_hi:[0,1]
	s_cbranch_scc1 .LBB168_40
; %bb.41:                               ;   in Loop: Header=BB168_38 Depth=1
	scratch_store_dwordx2 off, v[2:3], off
	s_branch .LBB168_37
.LBB168_42:
	s_mov_b64 s[4:5], 0
.LBB168_43:
	s_and_b64 vcc, exec, s[4:5]
	s_cbranch_vccz .LBB168_73
; %bb.44:
	s_add_i32 s7, s28, -1
	s_cmp_gt_i32 s6, 31
	s_mov_b32 s6, s7
	s_cbranch_scc0 .LBB168_46
; %bb.45:
	v_add_u32_e32 v120, 0x1800, v1
	ds_read2_b64 v[4:7], v120 offset0:192 offset1:224
	ds_read2_b64 v[8:11], v120 offset0:128 offset1:160
	ds_read2_b64 v[14:17], v120 offset0:64 offset1:96
	v_add_u32_e32 v121, 0x1000, v1
	s_movk_i32 s4, 0x1800
	s_waitcnt lgkmcnt(2)
	v_mov_b32_e32 v2, v6
	v_mov_b32_e32 v3, v7
	scratch_store_dwordx4 off, v[2:5], off
	scratch_load_dwordx4 v[2:5], off, off
	s_waitcnt lgkmcnt(1)
	v_mov_b32_e32 v6, v10
	v_mov_b32_e32 v7, v11
	scratch_store_dwordx4 off, v[6:9], off offset:16
	scratch_load_dwordx4 v[10:13], off, off offset:16
	ds_read2_b64 v[46:49], v120 offset1:32
	ds_read2_b64 v[52:55], v121 offset0:192 offset1:224
	s_waitcnt lgkmcnt(2)
	v_mov_b32_e32 v6, v16
	v_mov_b32_e32 v7, v17
	v_mov_b32_e32 v8, v14
	v_mov_b32_e32 v9, v15
	scratch_store_dwordx4 off, v[6:9], off offset:32
	scratch_load_dwordx4 v[14:17], off, off offset:32
	v_mov_b32_e32 v140, 0
	s_waitcnt lgkmcnt(1)
	v_mov_b32_e32 v6, v48
	v_mov_b32_e32 v7, v49
	;; [unrolled: 1-line block ×4, first 2 shown]
	ds_read_b128 v[18:21], v140 offset:8176
	v_add_u32_e64 v50, s4, 0
	ds_read_b128 v[22:25], v140 offset:8160
	ds_read_b128 v[26:29], v140 offset:7904
	;; [unrolled: 1-line block ×5, first 2 shown]
	ds_read2_b64 v[42:45], v50 offset0:156 offset1:222
	s_waitcnt lgkmcnt(7)
	v_mov_b32_e32 v46, v54
	v_mov_b32_e32 v47, v55
	;; [unrolled: 1-line block ×4, first 2 shown]
	scratch_store_dwordx4 off, v[6:9], off offset:48
	scratch_store_dwordx4 off, v[46:49], off offset:64
	scratch_load_dwordx4 v[6:9], off, off offset:48
	ds_read_b128 v[54:57], v140 offset:7088
	ds_read_b128 v[58:61], v140 offset:6832
	;; [unrolled: 1-line block ×3, first 2 shown]
	s_movk_i32 s4, 0x1000
	v_add_u32_e32 v126, 0x800, v1
	ds_read2_b64 v[70:73], v126 offset0:192 offset1:224
	ds_read2_b64 v[84:87], v126 offset0:128 offset1:160
	s_mov_b32 s6, -1
	s_waitcnt vmcnt(7) lgkmcnt(11)
	v_mul_f32_e32 v107, v20, v3
	v_mul_f32_e32 v46, v21, v3
	v_fmac_f32_e32 v107, v21, v2
	v_fma_f32 v106, v20, v2, -v46
	v_mul_f32_e32 v3, v18, v107
	v_mul_f32_e32 v2, v19, v107
	v_fmac_f32_e32 v3, v19, v106
	s_waitcnt lgkmcnt(10)
	v_mul_f32_e32 v20, v25, v107
	v_mul_f32_e32 v46, v23, v107
	v_fma_f32 v2, v18, v106, -v2
	v_sub_f32_e32 v3, v5, v3
	v_fma_f32 v18, v24, v106, -v20
	v_fma_f32 v19, v22, v106, -v46
	v_sub_f32_e32 v2, v4, v2
	s_waitcnt lgkmcnt(5)
	v_mul_f32_e32 v109, v44, v3
	v_mul_f32_e32 v21, v24, v107
	s_waitcnt vmcnt(5)
	v_sub_f32_e32 v4, v10, v18
	v_sub_f32_e32 v10, v12, v19
	v_mul_f32_e32 v12, v45, v3
	v_fmac_f32_e32 v109, v45, v2
	v_fmac_f32_e32 v21, v25, v106
	v_fma_f32 v108, v44, v2, -v12
	v_mul_f32_e32 v3, v28, v109
	v_sub_f32_e32 v5, v11, v21
	v_mul_f32_e32 v2, v29, v109
	v_fmac_f32_e32 v3, v29, v108
	v_mul_f32_e32 v47, v22, v107
	v_mul_f32_e32 v12, v27, v109
	v_fma_f32 v2, v28, v108, -v2
	v_sub_f32_e32 v3, v5, v3
	v_fmac_f32_e32 v47, v23, v106
	v_fma_f32 v12, v26, v108, -v12
	v_sub_f32_e32 v2, v4, v2
	v_mul_f32_e32 v111, v32, v3
	v_sub_f32_e32 v11, v13, v47
	v_mul_f32_e32 v13, v26, v109
	;; [unrolled: 2-line block ×3, first 2 shown]
	v_fmac_f32_e32 v111, v33, v2
	v_fmac_f32_e32 v13, v27, v108
	v_fma_f32 v110, v32, v2, -v10
	v_mul_f32_e32 v3, v30, v111
	v_sub_f32_e32 v5, v11, v13
	v_mul_f32_e32 v2, v31, v111
	v_fmac_f32_e32 v3, v31, v110
	v_fma_f32 v2, v30, v110, -v2
	v_sub_f32_e32 v3, v5, v3
	v_sub_f32_e32 v2, v4, v2
	v_mul_f32_e32 v4, v43, v3
	v_mul_f32_e32 v113, v42, v3
	v_fma_f32 v112, v42, v2, -v4
	v_fmac_f32_e32 v113, v43, v2
	v_mul_f32_e32 v2, v41, v109
	v_fma_f32 v12, v40, v108, -v2
	ds_read_b128 v[2:5], v140 offset:7632
	v_mul_f32_e32 v48, v37, v107
	v_mul_f32_e32 v49, v36, v107
	v_fma_f32 v20, v36, v106, -v48
	v_fmac_f32_e32 v49, v37, v106
	s_waitcnt vmcnt(3)
	v_sub_f32_e32 v10, v14, v20
	v_mul_f32_e32 v13, v40, v109
	v_sub_f32_e32 v11, v15, v49
	v_fmac_f32_e32 v13, v41, v108
	v_sub_f32_e32 v14, v10, v12
	s_waitcnt lgkmcnt(0)
	v_mul_f32_e32 v10, v5, v111
	v_sub_f32_e32 v15, v11, v13
	v_fma_f32 v18, v4, v110, -v10
	ds_read_b128 v[10:13], v140 offset:7376
	v_mul_f32_e32 v4, v4, v111
	v_fmac_f32_e32 v4, v5, v110
	v_sub_f32_e32 v5, v14, v18
	ds_read_b128 v[18:21], v140 offset:7120
	s_waitcnt lgkmcnt(1)
	v_mul_f32_e32 v14, v13, v113
	v_fma_f32 v14, v12, v112, -v14
	v_mul_f32_e32 v12, v12, v113
	v_sub_f32_e32 v4, v15, v4
	v_fmac_f32_e32 v12, v13, v112
	v_sub_f32_e32 v4, v4, v12
	v_sub_f32_e32 v5, v5, v14
	s_waitcnt lgkmcnt(0)
	v_mul_f32_e32 v12, v21, v4
	v_mul_f32_e32 v115, v20, v4
	v_mul_f32_e32 v4, v35, v107
	v_fma_f32 v114, v20, v5, -v12
	v_fma_f32 v4, v34, v106, -v4
	v_mul_f32_e32 v12, v39, v109
	v_fmac_f32_e32 v115, v21, v5
	v_mul_f32_e32 v5, v34, v107
	v_sub_f32_e32 v4, v16, v4
	v_fma_f32 v12, v38, v108, -v12
	v_fmac_f32_e32 v5, v35, v106
	v_mul_f32_e32 v13, v38, v109
	v_sub_f32_e32 v4, v4, v12
	v_mul_f32_e32 v12, v3, v111
	v_sub_f32_e32 v5, v17, v5
	v_fmac_f32_e32 v13, v39, v108
	v_fma_f32 v12, v2, v110, -v12
	v_mul_f32_e32 v2, v2, v111
	v_sub_f32_e32 v5, v5, v13
	v_fmac_f32_e32 v2, v3, v110
	v_sub_f32_e32 v2, v5, v2
	v_mul_f32_e32 v5, v10, v113
	v_sub_f32_e32 v3, v4, v12
	v_mul_f32_e32 v4, v11, v113
	v_fmac_f32_e32 v5, v11, v112
	v_fma_f32 v4, v10, v112, -v4
	v_sub_f32_e32 v11, v2, v5
	v_mul_f32_e32 v2, v19, v115
	v_sub_f32_e32 v10, v3, v4
	v_fma_f32 v12, v18, v114, -v2
	ds_read2_b64 v[2:5], v50 offset0:24 offset1:90
	v_mul_f32_e32 v13, v18, v115
	v_fmac_f32_e32 v13, v19, v114
	v_sub_f32_e32 v14, v10, v12
	v_sub_f32_e32 v15, v11, v13
	ds_read_b128 v[10:13], v140 offset:8128
	s_waitcnt lgkmcnt(1)
	v_mul_f32_e32 v16, v5, v15
	v_mul_f32_e32 v117, v4, v15
	v_fma_f32 v116, v4, v14, -v16
	v_fmac_f32_e32 v117, v5, v14
	ds_read_b128 v[14:17], v140 offset:7872
	s_waitcnt lgkmcnt(1)
	v_mul_f32_e32 v4, v13, v107
	v_fma_f32 v4, v12, v106, -v4
	v_mul_f32_e32 v5, v12, v107
	v_fmac_f32_e32 v5, v13, v106
	s_waitcnt vmcnt(0)
	v_sub_f32_e32 v12, v6, v4
	s_waitcnt lgkmcnt(0)
	v_mul_f32_e32 v4, v17, v109
	v_sub_f32_e32 v13, v7, v5
	v_fma_f32 v18, v16, v108, -v4
	ds_read_b128 v[4:7], v140 offset:7616
	v_mul_f32_e32 v16, v16, v109
	v_fmac_f32_e32 v16, v17, v108
	v_sub_f32_e32 v13, v13, v16
	v_sub_f32_e32 v12, v12, v18
	s_waitcnt lgkmcnt(0)
	v_mul_f32_e32 v16, v7, v111
	v_fma_f32 v20, v6, v110, -v16
	ds_read_b128 v[16:19], v140 offset:7360
	v_mul_f32_e32 v6, v6, v111
	v_fmac_f32_e32 v6, v7, v110
	v_sub_f32_e32 v7, v12, v20
	ds_read_b128 v[20:23], v140 offset:7104
	ds_read_b128 v[24:27], v140 offset:6848
	v_sub_f32_e32 v6, v13, v6
	s_waitcnt lgkmcnt(2)
	v_mul_f32_e32 v13, v18, v113
	v_mul_f32_e32 v12, v19, v113
	v_fmac_f32_e32 v13, v19, v112
	v_fma_f32 v12, v18, v112, -v12
	v_sub_f32_e32 v6, v6, v13
	s_waitcnt lgkmcnt(1)
	v_mul_f32_e32 v13, v22, v115
	ds_read_b128 v[28:31], v140 offset:6592
	v_sub_f32_e32 v7, v7, v12
	v_mul_f32_e32 v12, v23, v115
	v_fmac_f32_e32 v13, v23, v114
	v_fma_f32 v12, v22, v114, -v12
	v_sub_f32_e32 v6, v6, v13
	s_waitcnt lgkmcnt(1)
	v_mul_f32_e32 v13, v26, v117
	v_sub_f32_e32 v7, v7, v12
	v_mul_f32_e32 v12, v27, v117
	v_fmac_f32_e32 v13, v27, v116
	v_fma_f32 v12, v26, v116, -v12
	v_sub_f32_e32 v6, v6, v13
	v_sub_f32_e32 v7, v7, v12
	s_waitcnt lgkmcnt(0)
	v_mul_f32_e32 v12, v31, v6
	v_mul_f32_e32 v119, v30, v6
	v_fma_f32 v118, v30, v7, -v12
	v_fmac_f32_e32 v119, v31, v7
	v_mul_f32_e32 v7, v10, v107
	scratch_store_dwordx2 off, v[106:107], off
	scratch_store_dwordx2 off, v[108:109], off offset:8
	v_mul_f32_e32 v6, v11, v107
	v_fmac_f32_e32 v7, v11, v106
	v_fma_f32 v6, v10, v106, -v6
	v_sub_f32_e32 v18, v9, v7
	v_mul_f32_e32 v7, v15, v109
	scratch_load_dwordx4 v[10:13], off, off
	v_sub_f32_e32 v6, v8, v6
	v_fma_f32 v7, v14, v108, -v7
	v_mul_f32_e32 v14, v14, v109
	scratch_store_dwordx2 off, v[110:111], off offset:16
	scratch_store_dwordx2 off, v[112:113], off offset:24
	v_fmac_f32_e32 v14, v15, v108
	v_sub_f32_e32 v15, v6, v7
	scratch_load_dwordx4 v[6:9], off, off offset:64
	scratch_load_dwordx4 v[30:33], off, off offset:16
	v_sub_f32_e32 v14, v18, v14
	v_mul_f32_e32 v18, v5, v111
	v_fma_f32 v18, v4, v110, -v18
	v_mul_f32_e32 v4, v4, v111
	v_fmac_f32_e32 v4, v5, v110
	v_sub_f32_e32 v4, v14, v4
	v_mul_f32_e32 v14, v17, v113
	v_sub_f32_e32 v5, v15, v18
	v_fma_f32 v14, v16, v112, -v14
	v_mul_f32_e32 v15, v16, v113
	v_fmac_f32_e32 v15, v17, v112
	v_sub_f32_e32 v5, v5, v14
	v_mul_f32_e32 v14, v21, v115
	v_sub_f32_e32 v4, v4, v15
	v_fma_f32 v14, v20, v114, -v14
	v_mul_f32_e32 v15, v20, v115
	scratch_store_dwordx2 off, v[114:115], off offset:32
	scratch_store_dwordx2 off, v[116:117], off offset:40
	v_fmac_f32_e32 v15, v21, v114
	v_sub_f32_e32 v5, v5, v14
	v_mul_f32_e32 v14, v25, v117
	v_sub_f32_e32 v4, v4, v15
	v_fma_f32 v18, v24, v116, -v14
	v_mul_f32_e32 v19, v24, v117
	scratch_load_dwordx4 v[14:17], off, off offset:32
	v_fmac_f32_e32 v19, v25, v116
	v_sub_f32_e32 v4, v4, v19
	v_mul_f32_e32 v19, v28, v119
	v_sub_f32_e32 v5, v5, v18
	v_mul_f32_e32 v18, v29, v119
	v_fmac_f32_e32 v19, v29, v118
	v_fma_f32 v18, v28, v118, -v18
	v_sub_f32_e32 v4, v4, v19
	v_sub_f32_e32 v5, v5, v18
	v_mul_f32_e32 v18, v3, v4
	v_mul_f32_e32 v23, v2, v4
	v_fma_f32 v22, v2, v5, -v18
	v_fmac_f32_e32 v23, v3, v5
	scratch_store_dwordx2 off, v[118:119], off offset:48
	scratch_store_dwordx2 off, v[22:23], off offset:56
	scratch_load_dwordx4 v[2:5], off, off offset:48
	ds_read2_b64 v[24:27], v121 offset0:128 offset1:160
	ds_read2_b64 v[34:37], v121 offset0:64 offset1:96
	ds_read_b128 v[42:45], v140 offset:7856
	ds_read2_b64 v[38:41], v121 offset1:32
	ds_read_b128 v[46:49], v140 offset:7600
	s_waitcnt lgkmcnt(4)
	v_mov_b32_e32 v18, v26
	v_mov_b32_e32 v19, v27
	;; [unrolled: 1-line block ×4, first 2 shown]
	scratch_load_dwordx4 v[24:27], off, off
	scratch_load_dwordx4 v[50:53], off, off offset:32
	s_waitcnt vmcnt(8) lgkmcnt(0)
	v_mul_f32_e32 v29, v48, v31
	scratch_store_dwordx4 off, v[18:21], off offset:80
	v_fmac_f32_e32 v29, v49, v30
	s_nop 0
	v_mov_b32_e32 v18, v36
	v_mov_b32_e32 v19, v37
	;; [unrolled: 1-line block ×4, first 2 shown]
	ds_read_b128 v[34:37], v140 offset:8112
	scratch_store_dwordx4 off, v[18:21], off offset:96
	s_waitcnt lgkmcnt(0)
	v_mul_f32_e32 v28, v37, v11
	v_mul_f32_e32 v11, v36, v11
	v_fma_f32 v28, v36, v10, -v28
	v_fmac_f32_e32 v11, v37, v10
	v_mul_f32_e32 v10, v45, v13
	v_mov_b32_e32 v18, v40
	v_mov_b32_e32 v19, v41
	v_mov_b32_e32 v20, v38
	v_mov_b32_e32 v21, v39
	scratch_load_dwordx4 v[38:41], off, off offset:16
	v_sub_f32_e32 v6, v6, v28
	v_sub_f32_e32 v7, v7, v11
	v_fma_f32 v10, v44, v12, -v10
	v_mul_f32_e32 v11, v44, v13
	v_fmac_f32_e32 v11, v45, v12
	v_sub_f32_e32 v6, v6, v10
	v_mul_f32_e32 v10, v49, v31
	v_sub_f32_e32 v7, v7, v11
	v_fma_f32 v28, v48, v30, -v10
	ds_read_b128 v[10:13], v140 offset:7344
	v_sub_f32_e32 v6, v6, v28
	v_sub_f32_e32 v7, v7, v29
	scratch_store_dwordx4 off, v[18:21], off offset:112
	s_waitcnt lgkmcnt(0)
	v_mul_f32_e32 v28, v13, v33
	v_fma_f32 v36, v12, v32, -v28
	scratch_load_dwordx4 v[28:31], off, off offset:48
	v_mul_f32_e32 v12, v12, v33
	v_fmac_f32_e32 v12, v13, v32
	v_sub_f32_e32 v7, v7, v12
	s_waitcnt vmcnt(10)
	v_mul_f32_e32 v12, v57, v15
	v_sub_f32_e32 v6, v6, v36
	v_fma_f32 v12, v56, v14, -v12
	v_mul_f32_e32 v13, v56, v15
	v_fmac_f32_e32 v13, v57, v14
	v_sub_f32_e32 v6, v6, v12
	v_mul_f32_e32 v12, v61, v17
	v_sub_f32_e32 v7, v7, v13
	v_fma_f32 v32, v60, v16, -v12
	ds_read_b128 v[12:15], v140 offset:6576
	v_mul_f32_e32 v17, v60, v17
	v_fmac_f32_e32 v17, v61, v16
	ds_read_b128 v[60:63], v140 offset:6320
	v_sub_f32_e32 v7, v7, v17
	s_waitcnt vmcnt(7) lgkmcnt(1)
	v_mul_f32_e32 v16, v15, v3
	v_mul_f32_e32 v3, v14, v3
	v_fmac_f32_e32 v3, v15, v2
	v_sub_f32_e32 v6, v6, v32
	v_fma_f32 v16, v14, v2, -v16
	v_sub_f32_e32 v3, v7, v3
	s_waitcnt lgkmcnt(0)
	v_mul_f32_e32 v7, v62, v23
	v_sub_f32_e32 v2, v6, v16
	v_mul_f32_e32 v6, v63, v23
	v_fmac_f32_e32 v7, v63, v22
	v_fma_f32 v6, v62, v22, -v6
	v_sub_f32_e32 v3, v3, v7
	v_sub_f32_e32 v6, v2, v6
	v_mul_f32_e32 v2, v67, v3
	v_mul_f32_e32 v3, v66, v3
	v_fma_f32 v2, v66, v6, -v2
	v_fmac_f32_e32 v3, v67, v6
	scratch_load_dwordx4 v[66:69], off, off
	s_waitcnt vmcnt(7)
	v_mul_f32_e32 v6, v35, v25
	v_mul_f32_e32 v7, v34, v25
	v_fma_f32 v6, v34, v24, -v6
	v_fmac_f32_e32 v7, v35, v24
	scratch_load_dwordx4 v[22:25], off, off offset:80
	scratch_load_dwordx4 v[34:37], off, off offset:16
	v_sub_f32_e32 v7, v9, v7
	v_mul_f32_e32 v9, v42, v27
	v_sub_f32_e32 v6, v8, v6
	v_mul_f32_e32 v8, v43, v27
	v_fmac_f32_e32 v9, v43, v26
	v_fma_f32 v8, v42, v26, -v8
	v_sub_f32_e32 v7, v7, v9
	scratch_store_dword off, v6, off offset:72
	v_sub_f32_e32 v6, v6, v8
	v_add_u32_e64 v32, s4, 0
	ds_read2_b64 v[14:17], v32 offset0:148 offset1:214
	scratch_store_dwordx2 off, v[2:3], off offset:64
	v_mov_b32_e32 v18, v70
	v_mov_b32_e32 v19, v71
	s_movk_i32 s4, 0x800
	s_waitcnt vmcnt(7)
	v_mul_f32_e32 v9, v46, v39
	v_mul_f32_e32 v8, v47, v39
	v_fmac_f32_e32 v9, v47, v38
	v_fma_f32 v8, v46, v38, -v8
	v_sub_f32_e32 v7, v7, v9
	v_mul_f32_e32 v9, v10, v41
	v_sub_f32_e32 v6, v6, v8
	v_mul_f32_e32 v8, v11, v41
	v_fmac_f32_e32 v9, v11, v40
	v_fma_f32 v8, v10, v40, -v8
	v_sub_f32_e32 v7, v7, v9
	v_mul_f32_e32 v9, v54, v51
	v_sub_f32_e32 v6, v6, v8
	v_mul_f32_e32 v8, v55, v51
	v_fmac_f32_e32 v9, v55, v50
	scratch_load_dwordx4 v[38:41], off, off offset:32
	v_fma_f32 v8, v54, v50, -v8
	v_sub_f32_e32 v7, v7, v9
	v_mul_f32_e32 v9, v58, v53
	v_sub_f32_e32 v6, v6, v8
	v_mul_f32_e32 v8, v59, v53
	v_fmac_f32_e32 v9, v59, v52
	v_fma_f32 v8, v58, v52, -v8
	v_sub_f32_e32 v7, v7, v9
	s_waitcnt vmcnt(6)
	v_mul_f32_e32 v9, v12, v29
	v_sub_f32_e32 v6, v6, v8
	v_mul_f32_e32 v8, v13, v29
	v_fmac_f32_e32 v9, v13, v28
	v_fma_f32 v8, v12, v28, -v8
	v_sub_f32_e32 v7, v7, v9
	v_mul_f32_e32 v9, v60, v31
	v_sub_f32_e32 v6, v6, v8
	v_mul_f32_e32 v8, v61, v31
	v_fmac_f32_e32 v9, v61, v30
	v_fma_f32 v8, v60, v30, -v8
	v_sub_f32_e32 v7, v7, v9
	;; [unrolled: 6-line block ×3, first 2 shown]
	scratch_load_dwordx4 v[10:13], off, off offset:48
	v_sub_f32_e32 v6, v6, v8
	s_waitcnt lgkmcnt(0)
	v_mul_f32_e32 v8, v17, v7
	v_mul_f32_e32 v83, v16, v7
	v_fma_f32 v82, v16, v6, -v8
	v_fmac_f32_e32 v83, v17, v6
	scratch_store_dwordx2 off, v[82:83], off offset:72
	scratch_load_dwordx4 v[6:9], off, off offset:64
	v_mov_b32_e32 v16, v72
	v_mov_b32_e32 v17, v73
	scratch_store_dwordx4 off, v[16:19], off offset:128
	s_waitcnt vmcnt(9)
	v_mov_b32_e32 v20, v67
	v_mov_b32_e32 v21, v69
	;; [unrolled: 1-line block ×4, first 2 shown]
	ds_read2_b64 v[86:89], v126 offset0:64 offset1:96
	ds_read_b128 v[26:29], v140 offset:8096
	ds_read_b128 v[42:45], v140 offset:7840
	v_mov_b32_e32 v18, v66
	v_mov_b32_e32 v19, v68
	ds_read_b128 v[48:51], v140 offset:7328
	ds_read_b128 v[52:55], v140 offset:7072
	s_waitcnt lgkmcnt(3)
	v_pk_mul_f32 v[30:31], v[28:29], v[66:67]
	s_waitcnt lgkmcnt(2)
	v_mul_f32_e32 v33, v45, v68
	v_sub_f32_e32 v30, v30, v31
	s_waitcnt vmcnt(8)
	v_sub_f32_e32 v22, v22, v30
	v_mov_b32_e32 v30, v29
	v_mov_b32_e32 v29, v45
	;; [unrolled: 1-line block ×3, first 2 shown]
	v_pk_mul_f32 v[20:21], v[28:29], v[20:21]
	v_fmac_f32_e32 v33, v44, v69
	v_pk_fma_f32 v[28:29], v[30:31], v[18:19], v[20:21] neg_lo:[0,0,1] neg_hi:[0,0,1]
	v_pk_fma_f32 v[18:19], v[30:31], v[18:19], v[20:21]
	scratch_load_dwordx4 v[44:47], off, off offset:8
	scratch_load_dwordx4 v[66:69], off, off offset:40
	v_pk_mov_b32 v[18:19], v[28:29], v[18:19] op_sel:[1,0]
	ds_read_b128 v[28:31], v140 offset:7584
	v_pk_add_f32 v[18:19], v[22:23], v[18:19] neg_lo:[0,1] neg_hi:[0,1]
	scratch_load_dwordx4 v[20:23], off, off
	v_sub_f32_e32 v33, v19, v33
	scratch_store_dwordx2 off, v[18:19], off offset:80
	s_waitcnt vmcnt(11) lgkmcnt(0)
	v_mul_f32_e32 v19, v31, v35
	v_fma_f32 v19, v30, v34, -v19
	v_mul_f32_e32 v30, v30, v35
	v_fmac_f32_e32 v30, v31, v34
	v_sub_f32_e32 v18, v18, v19
	v_sub_f32_e32 v19, v33, v30
	v_mul_f32_e32 v30, v51, v37
	v_mul_f32_e32 v31, v50, v37
	v_fma_f32 v30, v50, v36, -v30
	v_fmac_f32_e32 v31, v51, v36
	ds_read_b128 v[34:37], v140 offset:6816
	v_sub_f32_e32 v18, v18, v30
	v_sub_f32_e32 v19, v19, v31
	s_waitcnt vmcnt(8)
	v_mul_f32_e32 v30, v55, v39
	v_mul_f32_e32 v31, v54, v39
	v_fma_f32 v30, v54, v38, -v30
	v_fmac_f32_e32 v31, v55, v38
	v_sub_f32_e32 v18, v18, v30
	v_sub_f32_e32 v19, v19, v31
	s_waitcnt lgkmcnt(0)
	v_mul_f32_e32 v30, v37, v41
	v_mul_f32_e32 v31, v36, v41
	v_fma_f32 v30, v36, v40, -v30
	v_fmac_f32_e32 v31, v37, v40
	scratch_load_dwordx4 v[36:39], off, off offset:24
	ds_read_b128 v[54:57], v140 offset:6560
	ds_read_b128 v[58:61], v140 offset:6304
	;; [unrolled: 1-line block ×3, first 2 shown]
	v_sub_f32_e32 v18, v18, v30
	ds_read_b128 v[70:73], v140 offset:5792
	ds_read_b128 v[78:81], v140 offset:5536
	v_sub_f32_e32 v19, v19, v31
	scratch_load_dwordx4 v[74:77], off, off offset:56
	s_waitcnt vmcnt(9) lgkmcnt(4)
	v_mul_f32_e32 v30, v57, v11
	v_fma_f32 v30, v56, v10, -v30
	v_mul_f32_e32 v11, v56, v11
	v_fmac_f32_e32 v11, v57, v10
	v_sub_f32_e32 v10, v18, v30
	s_waitcnt lgkmcnt(3)
	v_mul_f32_e32 v18, v61, v13
	v_mul_f32_e32 v13, v60, v13
	v_sub_f32_e32 v11, v19, v11
	v_fma_f32 v18, v60, v12, -v18
	v_fmac_f32_e32 v13, v61, v12
	s_waitcnt vmcnt(7) lgkmcnt(2)
	v_mul_f32_e32 v12, v65, v7
	v_mul_f32_e32 v7, v64, v7
	v_sub_f32_e32 v11, v11, v13
	v_fmac_f32_e32 v7, v65, v6
	v_sub_f32_e32 v10, v10, v18
	v_fma_f32 v12, v64, v6, -v12
	v_sub_f32_e32 v7, v11, v7
	s_waitcnt lgkmcnt(1)
	v_mul_f32_e32 v11, v72, v83
	v_sub_f32_e32 v6, v10, v12
	v_mul_f32_e32 v10, v73, v83
	v_fmac_f32_e32 v11, v73, v82
	v_fma_f32 v10, v72, v82, -v10
	v_sub_f32_e32 v7, v7, v11
	v_sub_f32_e32 v10, v6, v10
	s_waitcnt lgkmcnt(0)
	v_mul_f32_e32 v6, v81, v7
	v_mul_f32_e32 v7, v80, v7
	v_fma_f32 v6, v80, v10, -v6
	v_fmac_f32_e32 v7, v81, v10
	scratch_store_dwordx2 off, v[6:7], off offset:80
	scratch_load_dwordx4 v[10:13], off, off offset:72
	scratch_load_dwordx4 v[80:83], off, off
	v_mov_b32_e32 v18, v84
	v_mov_b32_e32 v19, v85
	scratch_store_dwordx4 off, v[16:19], off offset:144
	s_waitcnt vmcnt(9)
	v_mov_b32_e32 v30, v45
	v_mov_b32_e32 v31, v47
	;; [unrolled: 1-line block ×6, first 2 shown]
	scratch_store_dwordx4 off, v[16:19], off offset:160
	s_waitcnt vmcnt(8)
	s_nop 0
	v_mov_b32_e32 v16, v20
	v_mov_b32_e32 v17, v22
	;; [unrolled: 1-line block ×3, first 2 shown]
	v_pk_mul_f32 v[18:19], v[26:27], v[20:21]
	v_mov_b32_e32 v20, v27
	v_mov_b32_e32 v27, v43
	;; [unrolled: 1-line block ×3, first 2 shown]
	v_pk_mul_f32 v[22:23], v[26:27], v[22:23]
	v_sub_f32_e32 v18, v18, v19
	v_pk_fma_f32 v[26:27], v[20:21], v[16:17], v[22:23] neg_lo:[0,0,1] neg_hi:[0,0,1]
	v_pk_fma_f32 v[16:17], v[20:21], v[16:17], v[22:23]
	scratch_load_dwordx4 v[20:23], off, off offset:96
	scratch_load_dwordx4 v[84:87], off, off offset:8
	v_sub_f32_e32 v24, v24, v18
	v_pk_mov_b32 v[16:17], v[26:27], v[16:17] op_sel:[1,0]
	v_mov_b32_e32 v18, v44
	v_pk_add_f32 v[16:17], v[24:25], v[16:17] neg_lo:[0,1] neg_hi:[0,1]
	v_mov_b32_e32 v24, v43
	v_mov_b32_e32 v43, v29
	;; [unrolled: 1-line block ×4, first 2 shown]
	v_pk_mul_f32 v[26:27], v[42:43], v[30:31]
	scratch_load_dwordx4 v[40:43], off, off offset:16
	v_pk_fma_f32 v[30:31], v[24:25], v[18:19], v[26:27] neg_lo:[0,0,1] neg_hi:[0,0,1]
	v_pk_fma_f32 v[18:19], v[24:25], v[18:19], v[26:27]
	ds_read_b128 v[90:93], v140 offset:5008
	v_pk_mov_b32 v[18:19], v[30:31], v[18:19] op_sel:[1,0]
	scratch_load_dwordx4 v[94:97], off, off offset:56
	scratch_load_dwordx4 v[98:101], off, off offset:72
	v_pk_add_f32 v[16:17], v[16:17], v[18:19] neg_lo:[0,1] neg_hi:[0,1]
	v_mul_f32_e32 v18, v29, v46
	v_fmac_f32_e32 v18, v28, v47
	v_sub_f32_e32 v18, v17, v18
	scratch_store_dwordx2 off, v[16:17], off offset:88
	s_waitcnt vmcnt(12)
	v_mul_f32_e32 v17, v49, v37
	v_mul_f32_e32 v19, v48, v37
	v_fma_f32 v17, v48, v36, -v17
	v_fmac_f32_e32 v19, v49, v36
	v_sub_f32_e32 v16, v16, v17
	v_sub_f32_e32 v17, v18, v19
	v_mul_f32_e32 v18, v53, v39
	v_mul_f32_e32 v19, v52, v39
	v_fma_f32 v18, v52, v38, -v18
	v_fmac_f32_e32 v19, v53, v38
	v_sub_f32_e32 v16, v16, v18
	v_sub_f32_e32 v17, v17, v19
	v_mul_f32_e32 v18, v35, v67
	v_mul_f32_e32 v19, v34, v67
	v_fma_f32 v18, v34, v66, -v18
	v_fmac_f32_e32 v19, v35, v66
	scratch_load_dwordx4 v[34:37], off, off offset:32
	scratch_load_dwordx4 v[44:47], off, off offset:48
	v_sub_f32_e32 v16, v16, v18
	v_mul_f32_e32 v18, v55, v69
	v_fma_f32 v18, v54, v68, -v18
	v_sub_f32_e32 v17, v17, v19
	v_mul_f32_e32 v19, v54, v69
	v_sub_f32_e32 v16, v16, v18
	s_waitcnt vmcnt(13)
	v_mul_f32_e32 v18, v59, v75
	v_fmac_f32_e32 v19, v55, v68
	v_fma_f32 v18, v58, v74, -v18
	scratch_load_dwordx4 v[48:51], off, off offset:64
	v_sub_f32_e32 v17, v17, v19
	v_mul_f32_e32 v19, v58, v75
	v_sub_f32_e32 v16, v16, v18
	v_mul_f32_e32 v18, v63, v77
	v_fmac_f32_e32 v19, v59, v74
	v_fma_f32 v18, v62, v76, -v18
	v_sub_f32_e32 v17, v17, v19
	v_mul_f32_e32 v19, v62, v77
	v_sub_f32_e32 v16, v16, v18
	s_waitcnt vmcnt(12)
	v_mul_f32_e32 v18, v71, v11
	v_fmac_f32_e32 v19, v63, v76
	v_fma_f32 v18, v70, v10, -v18
	v_mul_f32_e32 v11, v70, v11
	v_sub_f32_e32 v17, v17, v19
	v_fmac_f32_e32 v11, v71, v10
	v_sub_f32_e32 v10, v16, v18
	v_mul_f32_e32 v16, v79, v7
	v_mul_f32_e32 v7, v78, v7
	v_sub_f32_e32 v11, v17, v11
	v_fmac_f32_e32 v7, v79, v6
	v_fma_f32 v16, v78, v6, -v16
	v_sub_f32_e32 v7, v11, v7
	v_sub_f32_e32 v10, v10, v16
	v_mul_f32_e32 v6, v15, v7
	v_mul_f32_e32 v7, v14, v7
	v_fma_f32 v6, v14, v10, -v6
	v_fmac_f32_e32 v7, v15, v10
	scratch_store_dwordx2 off, v[6:7], off offset:88
	scratch_load_dwordx4 v[14:17], off, off offset:80
	ds_read_b128 v[52:55], v140 offset:8080
	ds_read_b128 v[66:69], v140 offset:6800
	ds_read_b128 v[56:59], v140 offset:7824
	s_waitcnt vmcnt(13)
	v_mov_b32_e32 v11, v82
	v_mov_b32_e32 v82, v81
	s_waitcnt lgkmcnt(2)
	v_pk_mul_f32 v[18:19], v[54:55], v[80:81]
	v_mov_b32_e32 v24, v55
	s_waitcnt lgkmcnt(0)
	v_mov_b32_e32 v55, v59
	v_mov_b32_e32 v10, v80
	v_mov_b32_e32 v25, v58
	v_pk_mul_f32 v[26:27], v[54:55], v[82:83]
	v_sub_f32_e32 v18, v18, v19
	v_pk_fma_f32 v[28:29], v[24:25], v[10:11], v[26:27] neg_lo:[0,0,1] neg_hi:[0,0,1]
	v_pk_fma_f32 v[10:11], v[24:25], v[10:11], v[26:27]
	ds_read_b128 v[24:27], v140 offset:7568
	s_waitcnt vmcnt(9)
	v_mov_b32_e32 v19, v86
	v_mov_b32_e32 v86, v85
	v_pk_mov_b32 v[10:11], v[28:29], v[10:11] op_sel:[1,0]
	v_mov_b32_e32 v28, v59
	s_waitcnt lgkmcnt(0)
	v_mov_b32_e32 v59, v27
	v_sub_f32_e32 v20, v20, v18
	v_mov_b32_e32 v18, v84
	v_mov_b32_e32 v29, v26
	v_pk_mul_f32 v[30:31], v[58:59], v[86:87]
	v_pk_add_f32 v[10:11], v[20:21], v[10:11] neg_lo:[0,1] neg_hi:[0,1]
	v_pk_fma_f32 v[38:39], v[28:29], v[18:19], v[30:31] neg_lo:[0,0,1] neg_hi:[0,0,1]
	v_pk_fma_f32 v[18:19], v[28:29], v[18:19], v[30:31]
	ds_read_b128 v[28:31], v140 offset:7312
	s_waitcnt vmcnt(8)
	v_mov_b32_e32 v20, v40
	v_mov_b32_e32 v54, v41
	v_pk_mov_b32 v[18:19], v[38:39], v[18:19] op_sel:[1,0]
	scratch_load_dwordx4 v[38:41], off, off
	v_mov_b32_e32 v55, v43
	v_pk_add_f32 v[10:11], v[10:11], v[18:19] neg_lo:[0,1] neg_hi:[0,1]
	v_mov_b32_e32 v18, v27
	s_waitcnt lgkmcnt(0)
	v_mov_b32_e32 v27, v31
	v_mov_b32_e32 v21, v42
	;; [unrolled: 1-line block ×3, first 2 shown]
	v_pk_mul_f32 v[26:27], v[26:27], v[54:55]
	scratch_load_dwordx4 v[58:61], off, off offset:8
	ds_read_b128 v[62:65], v140 offset:7056
	ds_read_b128 v[74:77], v140 offset:6544
	v_pk_fma_f32 v[54:55], v[18:19], v[20:21], v[26:27] neg_lo:[0,0,1] neg_hi:[0,0,1]
	v_pk_fma_f32 v[18:19], v[18:19], v[20:21], v[26:27]
	scratch_load_dwordx4 v[70:73], off, off offset:16
	v_pk_mov_b32 v[18:19], v[54:55], v[18:19] op_sel:[1,0]
	scratch_load_dwordx4 v[78:81], off, off offset:24
	v_pk_add_f32 v[10:11], v[10:11], v[18:19] neg_lo:[0,1] neg_hi:[0,1]
	v_mul_f32_e32 v18, v31, v42
	v_fmac_f32_e32 v18, v30, v43
	v_sub_f32_e32 v18, v11, v18
	scratch_store_dwordx2 off, v[10:11], off offset:96
	s_waitcnt vmcnt(9) lgkmcnt(1)
	v_mul_f32_e32 v11, v65, v35
	v_mul_f32_e32 v19, v64, v35
	v_fma_f32 v11, v64, v34, -v11
	v_fmac_f32_e32 v19, v65, v34
	ds_read_b128 v[82:85], v140 offset:6288
	v_sub_f32_e32 v10, v10, v11
	v_sub_f32_e32 v11, v18, v19
	v_mul_f32_e32 v18, v69, v37
	v_mul_f32_e32 v19, v68, v37
	v_fma_f32 v18, v68, v36, -v18
	v_fmac_f32_e32 v19, v69, v36
	v_sub_f32_e32 v10, v10, v18
	v_sub_f32_e32 v11, v11, v19
	s_waitcnt vmcnt(8) lgkmcnt(1)
	v_mul_f32_e32 v18, v77, v45
	v_mul_f32_e32 v19, v76, v45
	v_fma_f32 v18, v76, v44, -v18
	v_fmac_f32_e32 v19, v77, v44
	ds_read_b128 v[42:45], v140 offset:6032
	v_sub_f32_e32 v10, v10, v18
	v_sub_f32_e32 v11, v11, v19
	s_waitcnt lgkmcnt(1)
	v_mul_f32_e32 v18, v85, v47
	v_mul_f32_e32 v19, v84, v47
	v_fma_f32 v18, v84, v46, -v18
	v_fmac_f32_e32 v19, v85, v46
	ds_read_b128 v[84:87], v140 offset:5776
	v_sub_f32_e32 v10, v10, v18
	v_sub_f32_e32 v11, v11, v19
	s_waitcnt vmcnt(7) lgkmcnt(1)
	v_mul_f32_e32 v18, v45, v49
	v_mul_f32_e32 v19, v44, v49
	v_fma_f32 v18, v44, v48, -v18
	v_fmac_f32_e32 v19, v45, v48
	v_sub_f32_e32 v10, v10, v18
	v_sub_f32_e32 v11, v11, v19
	s_waitcnt lgkmcnt(0)
	v_mul_f32_e32 v18, v87, v51
	v_mul_f32_e32 v19, v86, v51
	v_fma_f32 v18, v86, v50, -v18
	v_fmac_f32_e32 v19, v87, v50
	scratch_load_dwordx4 v[48:51], off, off offset:40
	ds_read_b128 v[44:47], v140 offset:5520
	ds_read_b128 v[86:89], v140 offset:5264
	v_sub_f32_e32 v10, v10, v18
	v_sub_f32_e32 v11, v11, v19
	v_mov_b32_e32 v26, v53
	s_waitcnt vmcnt(6) lgkmcnt(1)
	v_mul_f32_e32 v18, v47, v15
	v_mul_f32_e32 v15, v46, v15
	v_fma_f32 v18, v46, v14, -v18
	v_fmac_f32_e32 v15, v47, v14
	s_waitcnt lgkmcnt(0)
	v_mul_f32_e32 v14, v89, v7
	v_mul_f32_e32 v7, v88, v7
	v_sub_f32_e32 v11, v11, v15
	v_fmac_f32_e32 v7, v89, v6
	v_sub_f32_e32 v10, v10, v18
	v_fma_f32 v14, v88, v6, -v14
	v_sub_f32_e32 v7, v11, v7
	v_sub_f32_e32 v10, v10, v14
	v_mul_f32_e32 v6, v93, v7
	v_mul_f32_e32 v7, v92, v7
	v_fma_f32 v6, v92, v10, -v6
	v_fmac_f32_e32 v7, v93, v10
	scratch_store_dwordx2 off, v[6:7], off offset:96
	scratch_load_dwordx4 v[18:21], off, off offset:88
	s_waitcnt vmcnt(7)
	v_mov_b32_e32 v11, v40
	v_mov_b32_e32 v40, v39
	v_pk_mul_f32 v[14:15], v[52:53], v[38:39]
	v_mov_b32_e32 v53, v57
	v_mov_b32_e32 v10, v38
	;; [unrolled: 1-line block ×3, first 2 shown]
	v_pk_mul_f32 v[30:31], v[52:53], v[40:41]
	v_sub_f32_e32 v14, v14, v15
	s_waitcnt vmcnt(6)
	v_mov_b32_e32 v15, v60
	v_mov_b32_e32 v60, v59
	v_pk_fma_f32 v[34:35], v[26:27], v[10:11], v[30:31] neg_lo:[0,0,1] neg_hi:[0,0,1]
	v_pk_fma_f32 v[10:11], v[26:27], v[10:11], v[30:31]
	v_mov_b32_e32 v26, v57
	v_mov_b32_e32 v57, v25
	scratch_load_dwordx4 v[52:55], off, off
	v_sub_f32_e32 v22, v22, v14
	v_mov_b32_e32 v14, v58
	v_pk_mov_b32 v[10:11], v[34:35], v[10:11] op_sel:[1,0]
	v_mov_b32_e32 v27, v24
	v_pk_mul_f32 v[30:31], v[56:57], v[60:61]
	v_pk_add_f32 v[10:11], v[22:23], v[10:11] neg_lo:[0,1] neg_hi:[0,1]
	s_waitcnt vmcnt(6)
	v_mov_b32_e32 v23, v72
	v_mov_b32_e32 v72, v71
	v_pk_fma_f32 v[34:35], v[26:27], v[14:15], v[30:31] neg_lo:[0,0,1] neg_hi:[0,0,1]
	v_pk_fma_f32 v[14:15], v[26:27], v[14:15], v[30:31]
	v_mov_b32_e32 v26, v25
	v_mov_b32_e32 v25, v29
	;; [unrolled: 1-line block ×4, first 2 shown]
	v_pk_mul_f32 v[24:25], v[24:25], v[72:73]
	v_pk_mov_b32 v[14:15], v[34:35], v[14:15] op_sel:[1,0]
	v_pk_fma_f32 v[34:35], v[26:27], v[22:23], v[24:25] neg_lo:[0,0,1] neg_hi:[0,0,1]
	v_pk_fma_f32 v[22:23], v[26:27], v[22:23], v[24:25]
	v_pk_add_f32 v[10:11], v[10:11], v[14:15] neg_lo:[0,1] neg_hi:[0,1]
	v_pk_mov_b32 v[22:23], v[34:35], v[22:23] op_sel:[1,0]
	s_waitcnt vmcnt(5)
	v_mov_b32_e32 v30, v79
	v_mov_b32_e32 v31, v81
	v_pk_add_f32 v[10:11], v[10:11], v[22:23] neg_lo:[0,1] neg_hi:[0,1]
	v_mov_b32_e32 v22, v29
	v_mov_b32_e32 v29, v63
	;; [unrolled: 1-line block ×5, first 2 shown]
	v_pk_mul_f32 v[24:25], v[28:29], v[30:31]
	scratch_load_dwordx4 v[56:59], off, off offset:8
	v_pk_fma_f32 v[26:27], v[22:23], v[14:15], v[24:25] neg_lo:[0,0,1] neg_hi:[0,0,1]
	v_pk_fma_f32 v[14:15], v[22:23], v[14:15], v[24:25]
	scratch_load_dwordx4 v[34:37], off, off offset:112
	v_pk_mov_b32 v[14:15], v[26:27], v[14:15] op_sel:[1,0]
	scratch_load_dwordx4 v[26:29], off, off offset:16
	v_pk_add_f32 v[10:11], v[10:11], v[14:15] neg_lo:[0,1] neg_hi:[0,1]
	v_mul_f32_e32 v14, v63, v80
	v_fmac_f32_e32 v14, v62, v81
	scratch_load_dwordx4 v[60:63], off, off offset:24
	scratch_load_dwordx4 v[78:81], off, off offset:64
	v_sub_f32_e32 v14, v11, v14
	scratch_store_dwordx2 off, v[10:11], off offset:104
	s_waitcnt vmcnt(9)
	v_mul_f32_e32 v11, v67, v49
	v_mul_f32_e32 v15, v66, v49
	v_fma_f32 v11, v66, v48, -v11
	v_fmac_f32_e32 v15, v67, v48
	scratch_load_dwordx4 v[64:67], off, off offset:32
	v_sub_f32_e32 v10, v10, v11
	v_sub_f32_e32 v11, v14, v15
	v_mul_f32_e32 v14, v75, v51
	v_fma_f32 v14, v74, v50, -v14
	v_mul_f32_e32 v15, v74, v51
	v_fmac_f32_e32 v15, v75, v50
	v_sub_f32_e32 v10, v10, v14
	v_mul_f32_e32 v14, v83, v95
	scratch_load_dwordx4 v[68:71], off, off offset:48
	v_sub_f32_e32 v11, v11, v15
	v_fma_f32 v14, v82, v94, -v14
	v_mul_f32_e32 v15, v82, v95
	v_fmac_f32_e32 v15, v83, v94
	v_sub_f32_e32 v10, v10, v14
	v_mul_f32_e32 v14, v43, v97
	v_sub_f32_e32 v11, v11, v15
	v_fma_f32 v14, v42, v96, -v14
	v_mul_f32_e32 v15, v42, v97
	v_fmac_f32_e32 v15, v43, v96
	v_sub_f32_e32 v10, v10, v14
	v_mul_f32_e32 v14, v85, v99
	;; [unrolled: 6-line block ×3, first 2 shown]
	v_sub_f32_e32 v11, v11, v15
	v_fma_f32 v14, v44, v100, -v14
	v_mul_f32_e32 v15, v44, v101
	v_fmac_f32_e32 v15, v45, v100
	v_sub_f32_e32 v10, v10, v14
	s_waitcnt vmcnt(9)
	v_mul_f32_e32 v14, v87, v19
	ds_read2_b64 v[30:33], v32 offset0:16 offset1:82
	v_sub_f32_e32 v11, v11, v15
	v_fma_f32 v14, v86, v18, -v14
	v_mul_f32_e32 v15, v86, v19
	v_fmac_f32_e32 v15, v87, v18
	v_sub_f32_e32 v10, v10, v14
	v_mul_f32_e32 v14, v91, v7
	v_mul_f32_e32 v7, v90, v7
	scratch_load_dwordx4 v[82:85], off, off offset:80
	v_sub_f32_e32 v11, v11, v15
	v_fmac_f32_e32 v7, v91, v6
	v_fma_f32 v14, v90, v6, -v14
	v_sub_f32_e32 v7, v11, v7
	v_sub_f32_e32 v10, v10, v14
	s_waitcnt lgkmcnt(0)
	v_mul_f32_e32 v6, v33, v7
	v_mul_f32_e32 v7, v32, v7
	v_fma_f32 v6, v32, v10, -v6
	v_fmac_f32_e32 v7, v33, v10
	scratch_store_dwordx2 off, v[6:7], off offset:104
	scratch_load_dwordx4 v[22:25], off, off offset:96
	scratch_load_dwordx4 v[86:89], off, off
	ds_read_b128 v[46:49], v140 offset:8064
	ds_read_b128 v[38:41], v140 offset:7808
	s_waitcnt vmcnt(12)
	v_mov_b32_e32 v11, v54
	v_mov_b32_e32 v54, v53
	;; [unrolled: 1-line block ×3, first 2 shown]
	s_waitcnt lgkmcnt(1)
	v_pk_mul_f32 v[14:15], v[48:49], v[52:53]
	v_mov_b32_e32 v18, v49
	s_waitcnt lgkmcnt(0)
	v_mov_b32_e32 v49, v41
	v_mov_b32_e32 v19, v40
	v_pk_mul_f32 v[32:33], v[48:49], v[54:55]
	ds_read_b128 v[48:51], v140 offset:7296
	ds_read_b128 v[52:55], v140 offset:7040
	v_pk_fma_f32 v[42:43], v[18:19], v[10:11], v[32:33] neg_lo:[0,0,1] neg_hi:[0,0,1]
	v_pk_fma_f32 v[10:11], v[18:19], v[10:11], v[32:33]
	v_sub_f32_e32 v14, v14, v15
	v_pk_mov_b32 v[10:11], v[42:43], v[10:11] op_sel:[1,0]
	ds_read_b128 v[42:45], v140 offset:7552
	s_waitcnt vmcnt(11)
	v_mov_b32_e32 v15, v58
	v_mov_b32_e32 v58, v57
	;; [unrolled: 1-line block ×3, first 2 shown]
	s_waitcnt vmcnt(10)
	v_sub_f32_e32 v34, v34, v14
	s_waitcnt lgkmcnt(0)
	v_mov_b32_e32 v41, v45
	v_mov_b32_e32 v14, v56
	s_waitcnt vmcnt(9)
	v_mov_b32_e32 v18, v26
	v_mov_b32_e32 v19, v28
	;; [unrolled: 1-line block ×4, first 2 shown]
	v_pk_mul_f32 v[26:27], v[40:41], v[58:59]
	v_pk_add_f32 v[10:11], v[34:35], v[10:11] neg_lo:[0,1] neg_hi:[0,1]
	v_pk_fma_f32 v[34:35], v[32:33], v[14:15], v[26:27] neg_lo:[0,0,1] neg_hi:[0,0,1]
	v_pk_fma_f32 v[14:15], v[32:33], v[14:15], v[26:27]
	v_mov_b32_e32 v26, v45
	v_mov_b32_e32 v45, v51
	v_pk_mov_b32 v[14:15], v[34:35], v[14:15] op_sel:[1,0]
	v_mov_b32_e32 v27, v50
	v_pk_mul_f32 v[28:29], v[44:45], v[28:29]
	v_pk_add_f32 v[10:11], v[10:11], v[14:15] neg_lo:[0,1] neg_hi:[0,1]
	s_waitcnt vmcnt(8)
	v_mov_b32_e32 v15, v62
	v_mov_b32_e32 v62, v61
	v_pk_fma_f32 v[32:33], v[26:27], v[18:19], v[28:29] neg_lo:[0,0,1] neg_hi:[0,0,1]
	v_pk_fma_f32 v[18:19], v[26:27], v[18:19], v[28:29]
	v_mov_b32_e32 v26, v51
	v_mov_b32_e32 v51, v55
	;; [unrolled: 1-line block ×3, first 2 shown]
	v_pk_mov_b32 v[18:19], v[32:33], v[18:19] op_sel:[1,0]
	v_mov_b32_e32 v27, v54
	v_pk_mul_f32 v[32:33], v[50:51], v[62:63]
	v_pk_add_f32 v[10:11], v[10:11], v[18:19] neg_lo:[0,1] neg_hi:[0,1]
	v_pk_fma_f32 v[40:41], v[26:27], v[14:15], v[32:33] neg_lo:[0,0,1] neg_hi:[0,0,1]
	v_pk_fma_f32 v[14:15], v[26:27], v[14:15], v[32:33]
	ds_read_b128 v[32:35], v140 offset:6784
	v_pk_mov_b32 v[14:15], v[40:41], v[14:15] op_sel:[1,0]
	s_waitcnt vmcnt(5)
	v_mov_b32_e32 v28, v65
	v_mov_b32_e32 v29, v67
	v_pk_add_f32 v[10:11], v[10:11], v[14:15] neg_lo:[0,1] neg_hi:[0,1]
	v_mov_b32_e32 v14, v55
	s_waitcnt lgkmcnt(0)
	v_mov_b32_e32 v55, v35
	v_mov_b32_e32 v18, v64
	;; [unrolled: 1-line block ×4, first 2 shown]
	v_pk_mul_f32 v[26:27], v[54:55], v[28:29]
	ds_read_b128 v[54:57], v140 offset:6528
	v_pk_fma_f32 v[28:29], v[14:15], v[18:19], v[26:27] neg_lo:[0,0,1] neg_hi:[0,0,1]
	v_pk_fma_f32 v[14:15], v[14:15], v[18:19], v[26:27]
	ds_read_b128 v[58:61], v140 offset:6272
	v_pk_mov_b32 v[14:15], v[28:29], v[14:15] op_sel:[1,0]
	ds_read_b128 v[62:65], v140 offset:6016
	v_pk_add_f32 v[10:11], v[10:11], v[14:15] neg_lo:[0,1] neg_hi:[0,1]
	v_mul_f32_e32 v14, v35, v66
	v_fmac_f32_e32 v14, v34, v67
	v_sub_f32_e32 v14, v11, v14
	scratch_store_dwordx2 off, v[10:11], off offset:112
	s_waitcnt vmcnt(5) lgkmcnt(2)
	v_mul_f32_e32 v11, v57, v69
	v_mul_f32_e32 v15, v56, v69
	scratch_load_dwordx4 v[90:93], off, off offset:8
	v_fma_f32 v11, v56, v68, -v11
	v_fmac_f32_e32 v15, v57, v68
	v_sub_f32_e32 v10, v10, v11
	v_sub_f32_e32 v11, v14, v15
	s_waitcnt lgkmcnt(1)
	v_mul_f32_e32 v14, v61, v71
	v_mul_f32_e32 v15, v60, v71
	scratch_load_dwordx4 v[94:97], off, off offset:16
	v_fma_f32 v14, v60, v70, -v14
	v_fmac_f32_e32 v15, v61, v70
	ds_read_b128 v[70:73], v140 offset:5760
	v_sub_f32_e32 v10, v10, v14
	v_sub_f32_e32 v11, v11, v15
	s_waitcnt lgkmcnt(1)
	v_mul_f32_e32 v14, v65, v79
	v_mul_f32_e32 v15, v64, v79
	v_fma_f32 v14, v64, v78, -v14
	scratch_load_dwordx4 v[98:101], off, off offset:24
	v_fmac_f32_e32 v15, v65, v78
	ds_read_b128 v[76:79], v140 offset:5504
	ds_read_b128 v[64:67], v140 offset:5248
	scratch_load_dwordx4 v[102:105], off, off offset:32
	scratch_load_dwordx4 v[122:125], off, off offset:40
	v_sub_f32_e32 v10, v10, v14
	v_sub_f32_e32 v11, v11, v15
	s_waitcnt lgkmcnt(2)
	v_mul_f32_e32 v14, v73, v81
	v_mul_f32_e32 v15, v72, v81
	v_fma_f32 v14, v72, v80, -v14
	v_fmac_f32_e32 v15, v73, v80
	v_sub_f32_e32 v10, v10, v14
	v_sub_f32_e32 v11, v11, v15
	s_waitcnt vmcnt(9) lgkmcnt(1)
	v_mul_f32_e32 v14, v79, v83
	v_mul_f32_e32 v15, v78, v83
	v_fma_f32 v14, v78, v82, -v14
	v_fmac_f32_e32 v15, v79, v82
	ds_read_b128 v[78:81], v140 offset:4992
	v_sub_f32_e32 v10, v10, v14
	v_sub_f32_e32 v11, v11, v15
	s_waitcnt lgkmcnt(1)
	v_mul_f32_e32 v14, v67, v85
	v_mul_f32_e32 v15, v66, v85
	v_fma_f32 v14, v66, v84, -v14
	v_fmac_f32_e32 v15, v67, v84
	ds_read_b128 v[66:69], v140 offset:4736
	v_sub_f32_e32 v10, v10, v14
	v_sub_f32_e32 v11, v11, v15
	s_waitcnt vmcnt(7) lgkmcnt(1)
	v_mul_f32_e32 v14, v81, v23
	v_mul_f32_e32 v15, v80, v23
	v_fma_f32 v14, v80, v22, -v14
	v_fmac_f32_e32 v15, v81, v22
	scratch_load_dwordx4 v[80:83], off, off offset:56
	v_sub_f32_e32 v10, v10, v14
	s_waitcnt lgkmcnt(0)
	v_mul_f32_e32 v14, v69, v7
	v_mul_f32_e32 v7, v68, v7
	v_sub_f32_e32 v11, v11, v15
	v_fma_f32 v14, v68, v6, -v14
	v_fmac_f32_e32 v7, v69, v6
	v_sub_f32_e32 v10, v10, v14
	v_sub_f32_e32 v7, v11, v7
	s_waitcnt vmcnt(7)
	v_mov_b32_e32 v11, v88
	v_mov_b32_e32 v88, v87
	v_pk_mul_f32 v[14:15], v[46:47], v[86:87]
	v_mov_b32_e32 v18, v47
	v_mov_b32_e32 v47, v39
	v_pk_mul_f32 v[22:23], v[46:47], v[88:89]
	scratch_load_dwordx4 v[44:47], off, off offset:72
	ds_read_b128 v[72:75], v140 offset:4480
	v_mov_b32_e32 v19, v38
	v_sub_f32_e32 v14, v14, v15
	v_sub_f32_e32 v36, v36, v14
	s_waitcnt lgkmcnt(0)
	v_mul_f32_e32 v6, v75, v7
	v_mul_f32_e32 v7, v74, v7
	v_fma_f32 v6, v74, v10, -v6
	v_fmac_f32_e32 v7, v75, v10
	v_mov_b32_e32 v10, v86
	scratch_load_dwordx4 v[84:87], off, off offset:88
	v_pk_fma_f32 v[34:35], v[18:19], v[10:11], v[22:23] neg_lo:[0,0,1] neg_hi:[0,0,1]
	v_pk_fma_f32 v[10:11], v[18:19], v[10:11], v[22:23]
	v_mov_b32_e32 v22, v39
	v_mov_b32_e32 v39, v43
	scratch_store_dwordx2 off, v[6:7], off offset:112
	s_waitcnt vmcnt(8)
	v_mov_b32_e32 v15, v92
	v_mov_b32_e32 v92, v91
	;; [unrolled: 1-line block ×3, first 2 shown]
	v_pk_mov_b32 v[10:11], v[34:35], v[10:11] op_sel:[1,0]
	v_mov_b32_e32 v23, v42
	v_pk_mul_f32 v[34:35], v[38:39], v[92:93]
	scratch_load_dwordx4 v[26:29], off, off offset:104
	v_pk_add_f32 v[10:11], v[36:37], v[10:11] neg_lo:[0,1] neg_hi:[0,1]
	s_waitcnt vmcnt(8)
	v_mov_b32_e32 v19, v96
	v_mov_b32_e32 v96, v95
	v_pk_fma_f32 v[36:37], v[22:23], v[14:15], v[34:35] neg_lo:[0,0,1] neg_hi:[0,0,1]
	v_pk_fma_f32 v[14:15], v[22:23], v[14:15], v[34:35]
	v_mov_b32_e32 v22, v43
	v_mov_b32_e32 v43, v49
	v_mov_b32_e32 v18, v94
	v_pk_mov_b32 v[14:15], v[36:37], v[14:15] op_sel:[1,0]
	v_mov_b32_e32 v23, v48
	v_pk_mul_f32 v[34:35], v[42:43], v[96:97]
	v_pk_add_f32 v[10:11], v[10:11], v[14:15] neg_lo:[0,1] neg_hi:[0,1]
	s_waitcnt vmcnt(7)
	v_mov_b32_e32 v15, v100
	v_mov_b32_e32 v100, v99
	v_pk_fma_f32 v[36:37], v[22:23], v[18:19], v[34:35] neg_lo:[0,0,1] neg_hi:[0,0,1]
	v_pk_fma_f32 v[18:19], v[22:23], v[18:19], v[34:35]
	v_mov_b32_e32 v22, v49
	v_mov_b32_e32 v49, v53
	v_mov_b32_e32 v14, v98
	v_pk_mov_b32 v[18:19], v[36:37], v[18:19] op_sel:[1,0]
	v_mov_b32_e32 v23, v52
	v_pk_mul_f32 v[34:35], v[48:49], v[100:101]
	;; [unrolled: 12-line block ×3, first 2 shown]
	scratch_load_dwordx4 v[40:43], off, off
	scratch_load_dwordx4 v[88:91], off, off offset:8
	v_pk_fma_f32 v[38:39], v[22:23], v[18:19], v[36:37] neg_lo:[0,0,1] neg_hi:[0,0,1]
	v_pk_fma_f32 v[18:19], v[22:23], v[18:19], v[36:37]
	v_pk_add_f32 v[10:11], v[10:11], v[14:15] neg_lo:[0,1] neg_hi:[0,1]
	scratch_load_dword v43, off, off offset:4
	scratch_load_dwordx4 v[96:99], off, off
	v_pk_mov_b32 v[18:19], v[38:39], v[18:19] op_sel:[1,0]
	s_waitcnt vmcnt(9)
	v_mov_b32_e32 v34, v123
	v_mov_b32_e32 v35, v125
	v_pk_add_f32 v[10:11], v[10:11], v[18:19] neg_lo:[0,1] neg_hi:[0,1]
	v_mov_b32_e32 v18, v33
	v_mov_b32_e32 v33, v55
	;; [unrolled: 1-line block ×5, first 2 shown]
	v_pk_mul_f32 v[22:23], v[32:33], v[34:35]
	scratch_load_dwordx4 v[36:39], off, off offset:128
	v_pk_fma_f32 v[32:33], v[18:19], v[14:15], v[22:23] neg_lo:[0,0,1] neg_hi:[0,0,1]
	v_pk_fma_f32 v[14:15], v[18:19], v[14:15], v[22:23]
	scratch_load_dwordx4 v[92:95], off, off offset:16
	scratch_load_dwordx4 v[100:103], off, off offset:16
	v_pk_mov_b32 v[14:15], v[32:33], v[14:15] op_sel:[1,0]
	ds_read_b128 v[50:53], v140 offset:7792
	v_pk_add_f32 v[10:11], v[10:11], v[14:15] neg_lo:[0,1] neg_hi:[0,1]
	v_mul_f32_e32 v14, v55, v124
	v_fmac_f32_e32 v14, v54, v125
	v_sub_f32_e32 v14, v11, v14
	scratch_store_dwordx2 off, v[10:11], off offset:120
	s_waitcnt vmcnt(12)
	v_mul_f32_e32 v11, v59, v81
	v_mul_f32_e32 v15, v58, v81
	v_fma_f32 v11, v58, v80, -v11
	v_fmac_f32_e32 v15, v59, v80
	v_sub_f32_e32 v10, v10, v11
	v_sub_f32_e32 v11, v14, v15
	v_mul_f32_e32 v14, v63, v83
	v_mul_f32_e32 v15, v62, v83
	scratch_load_dwordx4 v[58:61], off, off offset:24
	v_fma_f32 v14, v62, v82, -v14
	v_fmac_f32_e32 v15, v63, v82
	v_sub_f32_e32 v10, v10, v14
	v_sub_f32_e32 v11, v11, v15
	s_waitcnt vmcnt(12)
	v_mul_f32_e32 v14, v71, v45
	v_mul_f32_e32 v15, v70, v45
	v_fma_f32 v14, v70, v44, -v14
	v_fmac_f32_e32 v15, v71, v44
	v_sub_f32_e32 v10, v10, v14
	v_sub_f32_e32 v11, v11, v15
	v_mul_f32_e32 v14, v77, v47
	v_mul_f32_e32 v15, v76, v47
	v_fma_f32 v14, v76, v46, -v14
	v_fmac_f32_e32 v15, v77, v46
	scratch_load_dwordx4 v[74:77], off, off offset:32
	v_sub_f32_e32 v10, v10, v14
	v_sub_f32_e32 v11, v11, v15
	s_waitcnt vmcnt(12)
	v_mul_f32_e32 v14, v65, v85
	v_mul_f32_e32 v15, v64, v85
	v_fma_f32 v14, v64, v84, -v14
	v_fmac_f32_e32 v15, v65, v84
	scratch_load_dwordx4 v[62:65], off, off offset:40
	v_sub_f32_e32 v10, v10, v14
	v_sub_f32_e32 v11, v11, v15
	v_mul_f32_e32 v14, v79, v87
	v_mul_f32_e32 v15, v78, v87
	v_fma_f32 v14, v78, v86, -v14
	v_fmac_f32_e32 v15, v79, v86
	v_sub_f32_e32 v10, v10, v14
	v_sub_f32_e32 v11, v11, v15
	s_waitcnt vmcnt(11)
	v_mul_f32_e32 v14, v67, v27
	v_mul_f32_e32 v15, v66, v27
	v_fma_f32 v14, v66, v26, -v14
	v_fmac_f32_e32 v15, v67, v26
	scratch_load_dwordx4 v[66:69], off, off offset:48
	v_sub_f32_e32 v10, v10, v14
	v_mul_f32_e32 v14, v73, v7
	v_mul_f32_e32 v7, v72, v7
	v_sub_f32_e32 v11, v11, v15
	v_fma_f32 v14, v72, v6, -v14
	v_fmac_f32_e32 v7, v73, v6
	ds_read_b128 v[70:73], v140 offset:8048
	v_sub_f32_e32 v7, v11, v7
	v_sub_f32_e32 v10, v10, v14
	v_mul_f32_e32 v6, v31, v7
	v_mul_f32_e32 v7, v30, v7
	v_fma_f32 v6, v30, v10, -v6
	v_fmac_f32_e32 v7, v31, v10
	scratch_store_dwordx2 off, v[6:7], off offset:120
	s_waitcnt vmcnt(12)
	v_mov_b32_e32 v6, v40
	s_waitcnt vmcnt(10)
	v_mov_b32_e32 v7, v43
	ds_read_b128 v[54:57], v140 offset:7536
	v_mov_b32_e32 v41, v42
	s_waitcnt lgkmcnt(1)
	v_pk_mul_f32 v[6:7], v[72:73], v[6:7]
	v_mov_b32_e32 v10, v73
	v_mov_b32_e32 v11, v52
	v_mov_b32_e32 v42, v89
	v_sub_f32_e32 v6, v6, v7
	v_mov_b32_e32 v7, v90
	v_pk_mul_f32 v[10:11], v[10:11], v[40:41]
	v_mov_b32_e32 v90, v89
	v_mov_b32_e32 v14, v53
	;; [unrolled: 1-line block ×3, first 2 shown]
	scratch_load_dwordx4 v[84:87], off, off offset:64
	v_pk_fma_f32 v[18:19], v[14:15], v[90:91], v[10:11] op_sel:[0,0,1] op_sel_hi:[1,1,0] neg_lo:[1,0,0] neg_hi:[1,0,0]
	v_pk_fma_f32 v[10:11], v[14:15], v[42:43], v[10:11] op_sel:[0,0,1] op_sel_hi:[1,1,0]
	ds_read_b128 v[40:43], v140 offset:7280
	s_waitcnt vmcnt(9)
	v_sub_f32_e32 v36, v36, v6
	v_mov_b32_e32 v19, v11
	v_pk_add_f32 v[10:11], v[36:37], v[18:19] neg_lo:[0,1] neg_hi:[0,1]
	v_mov_b32_e32 v18, v53
	s_waitcnt lgkmcnt(1)
	v_mov_b32_e32 v53, v57
	v_mov_b32_e32 v6, v88
	;; [unrolled: 1-line block ×3, first 2 shown]
	v_pk_mul_f32 v[22:23], v[52:53], v[90:91]
	scratch_load_dwordx4 v[34:37], off, off offset:80
	v_pk_fma_f32 v[26:27], v[18:19], v[6:7], v[22:23] neg_lo:[0,0,1] neg_hi:[0,0,1]
	v_pk_fma_f32 v[6:7], v[18:19], v[6:7], v[22:23]
	ds_read_b128 v[44:47], v140 offset:7024
	s_waitcnt vmcnt(9)
	v_mov_b32_e32 v15, v94
	v_mov_b32_e32 v94, v93
	v_pk_mov_b32 v[6:7], v[26:27], v[6:7] op_sel:[1,0]
	v_mov_b32_e32 v18, v57
	s_waitcnt lgkmcnt(1)
	v_mov_b32_e32 v57, v43
	v_pk_add_f32 v[6:7], v[10:11], v[6:7] neg_lo:[0,1] neg_hi:[0,1]
	s_waitcnt vmcnt(6)
	v_mov_b32_e32 v10, v58
	v_mov_b32_e32 v11, v60
	;; [unrolled: 1-line block ×3, first 2 shown]
	v_pk_mul_f32 v[22:23], v[56:57], v[94:95]
	ds_read_b128 v[56:59], v140 offset:6768
	v_mov_b32_e32 v14, v92
	scratch_load_dwordx4 v[90:93], off, off offset:96
	v_mov_b32_e32 v19, v42
	v_pk_fma_f32 v[26:27], v[18:19], v[14:15], v[22:23] neg_lo:[0,0,1] neg_hi:[0,0,1]
	v_pk_fma_f32 v[14:15], v[18:19], v[14:15], v[22:23]
	v_mov_b32_e32 v18, v43
	s_waitcnt lgkmcnt(1)
	v_mov_b32_e32 v43, v47
	v_pk_mov_b32 v[14:15], v[26:27], v[14:15] op_sel:[1,0]
	v_mov_b32_e32 v19, v46
	v_pk_mul_f32 v[22:23], v[42:43], v[60:61]
	v_pk_add_f32 v[6:7], v[6:7], v[14:15] neg_lo:[0,1] neg_hi:[0,1]
	s_waitcnt vmcnt(6)
	v_mov_b32_e32 v15, v76
	v_mov_b32_e32 v76, v75
	v_pk_fma_f32 v[26:27], v[18:19], v[10:11], v[22:23] neg_lo:[0,0,1] neg_hi:[0,0,1]
	v_pk_fma_f32 v[10:11], v[18:19], v[10:11], v[22:23]
	v_mov_b32_e32 v18, v47
	s_waitcnt lgkmcnt(0)
	v_mov_b32_e32 v47, v59
	v_mov_b32_e32 v14, v74
	;; [unrolled: 1-line block ×3, first 2 shown]
	v_pk_mul_f32 v[22:23], v[46:47], v[76:77]
	scratch_load_dwordx4 v[30:33], off, off offset:112
	v_pk_mov_b32 v[10:11], v[26:27], v[10:11] op_sel:[1,0]
	v_pk_fma_f32 v[26:27], v[18:19], v[14:15], v[22:23] neg_lo:[0,0,1] neg_hi:[0,0,1]
	v_pk_fma_f32 v[14:15], v[18:19], v[14:15], v[22:23]
	v_pk_add_f32 v[6:7], v[6:7], v[10:11] neg_lo:[0,1] neg_hi:[0,1]
	v_pk_mov_b32 v[14:15], v[26:27], v[14:15] op_sel:[1,0]
	scratch_load_dwordx4 v[122:125], off, off offset:24
	v_pk_add_f32 v[6:7], v[6:7], v[14:15] neg_lo:[0,1] neg_hi:[0,1]
	scratch_load_dwordx2 v[14:15], off, off offset:120
	scratch_load_dwordx4 v[128:131], off, off offset:32
	scratch_load_dwordx4 v[132:135], off, off offset:40
	s_waitcnt vmcnt(10)
	v_mov_b32_e32 v10, v62
	v_mov_b32_e32 v11, v64
	;; [unrolled: 1-line block ×3, first 2 shown]
	ds_read_b128 v[60:63], v140 offset:6512
	ds_read_b128 v[46:49], v140 offset:6256
	;; [unrolled: 1-line block ×3, first 2 shown]
	v_mov_b32_e32 v22, v59
	s_waitcnt vmcnt(9)
	v_mov_b32_e32 v26, v67
	s_waitcnt lgkmcnt(2)
	v_mov_b32_e32 v59, v63
	v_mov_b32_e32 v23, v62
	v_pk_mul_f32 v[42:43], v[58:59], v[64:65]
	v_mov_b32_e32 v27, v69
	v_pk_fma_f32 v[52:53], v[22:23], v[10:11], v[42:43] neg_lo:[0,0,1] neg_hi:[0,0,1]
	v_pk_fma_f32 v[10:11], v[22:23], v[10:11], v[42:43]
	v_mov_b32_e32 v18, v66
	v_pk_mov_b32 v[10:11], v[52:53], v[10:11] op_sel:[1,0]
	v_mov_b32_e32 v19, v68
	v_pk_add_f32 v[6:7], v[6:7], v[10:11] neg_lo:[0,1] neg_hi:[0,1]
	v_mov_b32_e32 v10, v63
	s_waitcnt lgkmcnt(1)
	v_mov_b32_e32 v63, v49
	v_mov_b32_e32 v11, v48
	v_pk_mul_f32 v[22:23], v[62:63], v[26:27]
	ds_read_b128 v[80:83], v140 offset:6000
	v_pk_fma_f32 v[26:27], v[10:11], v[18:19], v[22:23] neg_lo:[0,0,1] neg_hi:[0,0,1]
	v_pk_fma_f32 v[10:11], v[10:11], v[18:19], v[22:23]
	ds_read_b128 v[62:65], v140 offset:5488
	v_pk_mov_b32 v[10:11], v[26:27], v[10:11] op_sel:[1,0]
	ds_read_b128 v[72:75], v140 offset:5232
	v_pk_add_f32 v[6:7], v[6:7], v[10:11] neg_lo:[0,1] neg_hi:[0,1]
	v_mul_f32_e32 v10, v49, v68
	v_fmac_f32_e32 v10, v48, v69
	ds_read_b128 v[66:69], v140 offset:5744
	v_sub_f32_e32 v7, v7, v10
	s_waitcnt vmcnt(7) lgkmcnt(3)
	v_mul_f32_e32 v10, v83, v85
	v_mul_f32_e32 v11, v82, v85
	v_fma_f32 v10, v82, v84, -v10
	v_fmac_f32_e32 v11, v83, v84
	v_sub_f32_e32 v6, v6, v10
	v_sub_f32_e32 v7, v7, v11
	s_waitcnt lgkmcnt(0)
	v_mul_f32_e32 v10, v69, v87
	v_mul_f32_e32 v11, v68, v87
	v_fma_f32 v10, v68, v86, -v10
	v_fmac_f32_e32 v11, v69, v86
	v_sub_f32_e32 v6, v6, v10
	v_sub_f32_e32 v7, v7, v11
	s_waitcnt vmcnt(6)
	v_mul_f32_e32 v10, v65, v35
	v_mul_f32_e32 v11, v64, v35
	v_fma_f32 v10, v64, v34, -v10
	v_fmac_f32_e32 v11, v65, v34
	ds_read_b128 v[86:89], v140 offset:4720
	v_sub_f32_e32 v6, v6, v10
	v_sub_f32_e32 v7, v7, v11
	v_mul_f32_e32 v10, v75, v37
	v_mul_f32_e32 v11, v74, v37
	v_fma_f32 v10, v74, v36, -v10
	v_fmac_f32_e32 v11, v75, v36
	v_sub_f32_e32 v6, v6, v10
	v_sub_f32_e32 v7, v7, v11
	s_waitcnt vmcnt(5)
	v_mul_f32_e32 v10, v79, v91
	v_mul_f32_e32 v11, v78, v91
	v_fma_f32 v10, v78, v90, -v10
	v_fmac_f32_e32 v11, v79, v90
	ds_read_b128 v[82:85], v140 offset:4464
	v_sub_f32_e32 v6, v6, v10
	v_sub_f32_e32 v7, v7, v11
	s_waitcnt lgkmcnt(1)
	v_mul_f32_e32 v10, v89, v93
	v_mul_f32_e32 v11, v88, v93
	v_fma_f32 v10, v88, v92, -v10
	v_fmac_f32_e32 v11, v89, v92
	ds_read_b128 v[92:95], v140 offset:4208
	ds_read_b128 v[88:91], v140 offset:3952
	v_sub_f32_e32 v7, v7, v11
	s_waitcnt vmcnt(4) lgkmcnt(2)
	v_mul_f32_e32 v11, v84, v31
	v_sub_f32_e32 v6, v6, v10
	v_mul_f32_e32 v10, v85, v31
	v_fmac_f32_e32 v11, v85, v30
	v_fma_f32 v10, v84, v30, -v10
	v_sub_f32_e32 v7, v7, v11
	scratch_load_dwordx4 v[136:139], off, off offset:48
	scratch_load_dwordx4 v[142:145], off, off offset:56
	s_waitcnt vmcnt(4) lgkmcnt(1)
	v_mul_f32_e32 v11, v94, v15
	v_sub_f32_e32 v6, v6, v10
	v_mul_f32_e32 v10, v95, v15
	v_fmac_f32_e32 v11, v95, v14
	v_fma_f32 v10, v94, v14, -v10
	v_sub_f32_e32 v7, v7, v11
	v_sub_f32_e32 v10, v6, v10
	s_waitcnt lgkmcnt(0)
	v_mul_f32_e32 v6, v91, v7
	v_mul_f32_e32 v7, v90, v7
	v_fma_f32 v6, v90, v10, -v6
	v_fmac_f32_e32 v7, v91, v10
	v_pk_mul_f32 v[10:11], v[70:71], v[96:97]
	v_mov_b32_e32 v15, v70
	v_sub_f32_e32 v10, v10, v11
	v_mov_b32_e32 v18, v99
	v_mov_b32_e32 v19, v97
	v_mov_b32_e32 v14, v51
	v_sub_f32_e32 v38, v38, v10
	v_mov_b32_e32 v11, v71
	v_pk_mul_f32 v[14:15], v[14:15], v[18:19]
	v_mov_b32_e32 v18, v98
	v_mov_b32_e32 v19, v96
	;; [unrolled: 1-line block ×3, first 2 shown]
	v_pk_fma_f32 v[10:11], v[10:11], v[18:19], v[14:15]
	v_mov_b32_e32 v19, v100
	v_pk_fma_f32 v[14:15], v[50:51], v[18:19], v[14:15] neg_lo:[0,0,1] neg_hi:[0,0,1]
	v_mov_b32_e32 v10, v51
	v_mov_b32_e32 v15, v11
	;; [unrolled: 1-line block ×3, first 2 shown]
	scratch_store_dwordx2 off, v[6:7], off offset:128
	v_mov_b32_e32 v98, v101
	v_pk_mul_f32 v[10:11], v[10:11], v[18:19]
	v_mov_b32_e32 v18, v55
	v_mov_b32_e32 v19, v50
	v_pk_fma_f32 v[22:23], v[18:19], v[98:99], v[10:11] op_sel:[0,0,1] op_sel_hi:[1,1,0] neg_lo:[1,0,0] neg_hi:[1,0,0]
	v_pk_fma_f32 v[10:11], v[18:19], v[98:99], v[10:11] op_sel:[0,0,1] op_sel_hi:[1,1,0]
	scratch_load_dwordx4 v[48:51], off, off offset:72
	scratch_load_dwordx4 v[34:37], off, off offset:120
	v_pk_add_f32 v[14:15], v[38:39], v[14:15] neg_lo:[0,1] neg_hi:[0,1]
	v_mov_b32_e32 v23, v11
	v_mov_b32_e32 v19, v102
	;; [unrolled: 1-line block ×3, first 2 shown]
	v_pk_add_f32 v[10:11], v[14:15], v[22:23] neg_lo:[0,1] neg_hi:[0,1]
	v_mov_b32_e32 v22, v55
	v_mov_b32_e32 v55, v41
	v_pk_mul_f32 v[26:27], v[54:55], v[102:103]
	scratch_load_dwordx4 v[52:55], off, off offset:88
	v_mov_b32_e32 v18, v100
	v_mov_b32_e32 v23, v40
	;; [unrolled: 1-line block ×4, first 2 shown]
	v_pk_fma_f32 v[30:31], v[22:23], v[18:19], v[26:27] neg_lo:[0,0,1] neg_hi:[0,0,1]
	v_pk_fma_f32 v[18:19], v[22:23], v[18:19], v[26:27]
	v_mov_b32_e32 v22, v41
	v_mov_b32_e32 v41, v45
	v_pk_mul_f32 v[26:27], v[40:41], v[124:125]
	scratch_load_dwordx4 v[38:41], off, off offset:104
	v_mov_b32_e32 v14, v122
	v_pk_mov_b32 v[18:19], v[30:31], v[18:19] op_sel:[1,0]
	v_mov_b32_e32 v23, v44
	v_pk_add_f32 v[10:11], v[10:11], v[18:19] neg_lo:[0,1] neg_hi:[0,1]
	s_waitcnt vmcnt(8)
	v_mov_b32_e32 v19, v130
	v_mov_b32_e32 v130, v129
	v_pk_fma_f32 v[30:31], v[22:23], v[14:15], v[26:27] neg_lo:[0,0,1] neg_hi:[0,0,1]
	v_pk_fma_f32 v[14:15], v[22:23], v[14:15], v[26:27]
	v_mov_b32_e32 v22, v45
	v_mov_b32_e32 v45, v57
	;; [unrolled: 1-line block ×3, first 2 shown]
	v_pk_mov_b32 v[14:15], v[30:31], v[14:15] op_sel:[1,0]
	v_mov_b32_e32 v23, v56
	v_pk_mul_f32 v[26:27], v[44:45], v[130:131]
	v_pk_add_f32 v[10:11], v[10:11], v[14:15] neg_lo:[0,1] neg_hi:[0,1]
	s_waitcnt vmcnt(7)
	v_mov_b32_e32 v15, v134
	v_mov_b32_e32 v134, v133
	v_pk_fma_f32 v[30:31], v[22:23], v[18:19], v[26:27] neg_lo:[0,0,1] neg_hi:[0,0,1]
	v_pk_fma_f32 v[18:19], v[22:23], v[18:19], v[26:27]
	v_mov_b32_e32 v22, v57
	v_mov_b32_e32 v57, v61
	v_pk_mul_f32 v[26:27], v[56:57], v[134:135]
	scratch_load_dwordx4 v[56:59], off, off
	v_mov_b32_e32 v14, v132
	v_pk_mov_b32 v[18:19], v[30:31], v[18:19] op_sel:[1,0]
	v_mov_b32_e32 v23, v60
	v_pk_add_f32 v[10:11], v[10:11], v[18:19] neg_lo:[0,1] neg_hi:[0,1]
	s_waitcnt vmcnt(7)
	v_mov_b32_e32 v19, v138
	v_mov_b32_e32 v138, v137
	v_pk_fma_f32 v[30:31], v[22:23], v[14:15], v[26:27] neg_lo:[0,0,1] neg_hi:[0,0,1]
	v_pk_fma_f32 v[14:15], v[22:23], v[14:15], v[26:27]
	v_mov_b32_e32 v22, v61
	v_mov_b32_e32 v61, v47
	;; [unrolled: 1-line block ×3, first 2 shown]
	v_pk_mov_b32 v[14:15], v[30:31], v[14:15] op_sel:[1,0]
	v_mov_b32_e32 v23, v46
	v_pk_mul_f32 v[30:31], v[60:61], v[138:139]
	v_pk_add_f32 v[10:11], v[10:11], v[14:15] neg_lo:[0,1] neg_hi:[0,1]
	v_pk_fma_f32 v[42:43], v[22:23], v[18:19], v[30:31] neg_lo:[0,0,1] neg_hi:[0,0,1]
	v_pk_fma_f32 v[18:19], v[22:23], v[18:19], v[30:31]
	s_waitcnt vmcnt(6)
	v_mov_b32_e32 v26, v143
	v_pk_mov_b32 v[18:19], v[42:43], v[18:19] op_sel:[1,0]
	v_mov_b32_e32 v27, v145
	v_pk_add_f32 v[10:11], v[10:11], v[18:19] neg_lo:[0,1] neg_hi:[0,1]
	v_mov_b32_e32 v18, v47
	v_mov_b32_e32 v47, v81
	;; [unrolled: 1-line block ×5, first 2 shown]
	v_pk_mul_f32 v[22:23], v[46:47], v[26:27]
	scratch_load_dwordx4 v[42:45], off, off offset:144
	v_pk_fma_f32 v[26:27], v[18:19], v[14:15], v[22:23] neg_lo:[0,0,1] neg_hi:[0,0,1]
	v_pk_fma_f32 v[14:15], v[18:19], v[14:15], v[22:23]
	scratch_load_dwordx4 v[68:71], off, off offset:16
	v_pk_mov_b32 v[14:15], v[26:27], v[14:15] op_sel:[1,0]
	s_waitcnt vmcnt(6)
	v_mul_f32_e32 v18, v62, v51
	v_pk_add_f32 v[10:11], v[10:11], v[14:15] neg_lo:[0,1] neg_hi:[0,1]
	v_mul_f32_e32 v14, v81, v144
	v_fmac_f32_e32 v14, v80, v145
	v_sub_f32_e32 v14, v11, v14
	scratch_store_dwordx2 off, v[10:11], off offset:136
	v_mul_f32_e32 v11, v67, v49
	v_mul_f32_e32 v15, v66, v49
	v_fma_f32 v11, v66, v48, -v11
	v_fmac_f32_e32 v15, v67, v48
	v_sub_f32_e32 v10, v10, v11
	v_sub_f32_e32 v11, v14, v15
	v_mul_f32_e32 v15, v63, v51
	v_fma_f32 v15, v62, v50, -v15
	v_fmac_f32_e32 v18, v63, v50
	v_sub_f32_e32 v10, v10, v15
	s_waitcnt vmcnt(5)
	v_mul_f32_e32 v15, v73, v53
	v_sub_f32_e32 v11, v11, v18
	v_fma_f32 v15, v72, v52, -v15
	v_mul_f32_e32 v18, v72, v53
	v_fmac_f32_e32 v18, v73, v52
	v_sub_f32_e32 v10, v10, v15
	v_mul_f32_e32 v15, v77, v55
	v_sub_f32_e32 v11, v11, v18
	v_fma_f32 v15, v76, v54, -v15
	v_mul_f32_e32 v18, v76, v55
	v_fmac_f32_e32 v18, v77, v54
	v_sub_f32_e32 v10, v10, v15
	s_waitcnt vmcnt(4)
	v_mul_f32_e32 v15, v87, v39
	v_sub_f32_e32 v11, v11, v18
	v_fma_f32 v15, v86, v38, -v15
	v_mul_f32_e32 v18, v86, v39
	scratch_load_dwordx4 v[64:67], off, off offset:24
	scratch_load_dword v14, off, off offset:20
	v_fmac_f32_e32 v18, v87, v38
	v_sub_f32_e32 v10, v10, v15
	v_mul_f32_e32 v15, v83, v41
	v_sub_f32_e32 v11, v11, v18
	v_fma_f32 v15, v82, v40, -v15
	v_mul_f32_e32 v18, v82, v41
	v_fmac_f32_e32 v18, v83, v40
	v_sub_f32_e32 v10, v10, v15
	v_mul_f32_e32 v15, v93, v35
	v_sub_f32_e32 v11, v11, v18
	v_fma_f32 v15, v92, v34, -v15
	v_mul_f32_e32 v18, v92, v35
	v_fmac_f32_e32 v18, v93, v34
	v_sub_f32_e32 v15, v10, v15
	v_mul_f32_e32 v10, v89, v7
	scratch_load_dwordx4 v[52:55], off, off offset:32
	scratch_load_dwordx4 v[76:79], off, off offset:56
	v_sub_f32_e32 v11, v11, v18
	v_fma_f32 v18, v88, v6, -v10
	v_add_u32_e64 v10, s4, 0
	ds_read2_b64 v[46:49], v10 offset0:140 offset1:206
	scratch_load_dwordx4 v[60:63], off, off offset:40
	v_mul_f32_e32 v7, v88, v7
	v_fmac_f32_e32 v7, v89, v6
	v_sub_f32_e32 v7, v11, v7
	v_sub_f32_e32 v15, v15, v18
	s_waitcnt lgkmcnt(0)
	v_mul_f32_e32 v6, v49, v7
	v_mul_f32_e32 v7, v48, v7
	ds_read_b128 v[96:99], v140 offset:8032
	ds_read_b128 v[102:105], v140 offset:7008
	v_fma_f32 v6, v48, v15, -v6
	v_fmac_f32_e32 v7, v49, v15
	ds_read_b128 v[48:51], v140 offset:7776
	scratch_load_dwordx4 v[72:75], off, off offset:48
	s_waitcnt vmcnt(9)
	v_mov_b32_e32 v19, v56
	scratch_store_dwordx2 off, v[6:7], off offset:136
	s_waitcnt lgkmcnt(2)
	v_mul_f32_e32 v6, v99, v57
	v_fma_f32 v6, v98, v56, -v6
	s_waitcnt lgkmcnt(0)
	v_mov_b32_e32 v22, v51
	v_mov_b32_e32 v23, v98
	;; [unrolled: 1-line block ×3, first 2 shown]
	v_pk_mul_f32 v[22:23], v[22:23], v[56:57]
	s_waitcnt vmcnt(8)
	v_mov_b32_e32 v69, v58
	v_mov_b32_e32 v18, v58
	;; [unrolled: 1-line block ×3, first 2 shown]
	v_pk_fma_f32 v[26:27], v[50:51], v[58:59], v[22:23] neg_lo:[0,0,1] neg_hi:[0,0,1]
	scratch_load_dwordx4 v[56:59], off, off offset:64
	scratch_load_dwordx4 v[122:125], off, off offset:80
	scratch_load_dwordx4 v[136:139], off, off
	ds_read_b128 v[90:93], v140 offset:7520
	v_mov_b32_e32 v7, v99
	ds_read_b128 v[98:101], v140 offset:7264
	scratch_load_dwordx4 v[128:131], off, off offset:96
	scratch_load_dwordx4 v[132:135], off, off offset:112
	v_sub_f32_e32 v42, v42, v6
	v_mov_b32_e32 v6, v50
	v_pk_fma_f32 v[6:7], v[6:7], v[18:19], v[22:23]
	s_waitcnt lgkmcnt(1)
	v_mov_b32_e32 v30, v93
	v_mov_b32_e32 v27, v7
	;; [unrolled: 1-line block ×3, first 2 shown]
	v_pk_add_f32 v[6:7], v[42:43], v[26:27] neg_lo:[0,1] neg_hi:[0,1]
	v_mov_b32_e32 v18, v68
	v_mov_b32_e32 v19, v70
	;; [unrolled: 1-line block ×4, first 2 shown]
	ds_read_b128 v[80:83], v140 offset:6752
	scratch_load_dwordx4 v[38:41], off, off offset:128
	ds_read_b128 v[86:89], v140 offset:5728
	s_waitcnt vmcnt(12)
	v_mov_b32_e32 v26, v65
	s_waitcnt vmcnt(11)
	v_mov_b32_e32 v27, v14
	v_pk_mul_f32 v[14:15], v[30:31], v[14:15]
	s_waitcnt vmcnt(5) lgkmcnt(0)
	v_mul_f32_e32 v11, v89, v58
	v_pk_fma_f32 v[30:31], v[92:93], v[18:19], v[14:15] neg_lo:[0,0,1] neg_hi:[0,0,1]
	v_pk_fma_f32 v[14:15], v[22:23], v[68:69], v[14:15]
	v_mov_b32_e32 v22, v93
	v_mov_b32_e32 v23, v100
	v_mov_b32_e32 v31, v15
	v_pk_mul_f32 v[18:19], v[22:23], v[18:19]
	v_mov_b32_e32 v22, v101
	v_mov_b32_e32 v23, v92
	ds_read_b128 v[92:95], v140 offset:6496
	v_pk_add_f32 v[6:7], v[6:7], v[30:31] neg_lo:[0,1] neg_hi:[0,1]
	v_mov_b32_e32 v15, v66
	v_mov_b32_e32 v66, v65
	v_pk_fma_f32 v[30:31], v[22:23], v[26:27], v[18:19] op_sel:[0,0,1] op_sel_hi:[1,1,0] neg_lo:[1,0,0] neg_hi:[1,0,0]
	v_pk_fma_f32 v[18:19], v[22:23], v[26:27], v[18:19] op_sel:[0,0,1] op_sel_hi:[1,1,0]
	v_mov_b32_e32 v101, v105
	v_mov_b32_e32 v14, v64
	;; [unrolled: 1-line block ×4, first 2 shown]
	v_pk_mul_f32 v[26:27], v[100:101], v[66:67]
	v_pk_add_f32 v[6:7], v[6:7], v[30:31] neg_lo:[0,1] neg_hi:[0,1]
	v_mov_b32_e32 v19, v54
	v_mov_b32_e32 v54, v53
	v_pk_fma_f32 v[30:31], v[22:23], v[14:15], v[26:27] neg_lo:[0,0,1] neg_hi:[0,0,1]
	v_pk_fma_f32 v[14:15], v[22:23], v[14:15], v[26:27]
	v_mov_b32_e32 v22, v105
	v_mov_b32_e32 v105, v83
	;; [unrolled: 1-line block ×3, first 2 shown]
	v_pk_mov_b32 v[14:15], v[30:31], v[14:15] op_sel:[1,0]
	v_mov_b32_e32 v23, v82
	v_pk_mul_f32 v[26:27], v[104:105], v[54:55]
	v_pk_add_f32 v[6:7], v[6:7], v[14:15] neg_lo:[0,1] neg_hi:[0,1]
	v_mov_b32_e32 v15, v62
	v_mov_b32_e32 v62, v61
	v_pk_fma_f32 v[30:31], v[22:23], v[18:19], v[26:27] neg_lo:[0,0,1] neg_hi:[0,0,1]
	v_pk_fma_f32 v[18:19], v[22:23], v[18:19], v[26:27]
	v_mov_b32_e32 v22, v83
	s_waitcnt lgkmcnt(0)
	v_mov_b32_e32 v83, v95
	v_mov_b32_e32 v14, v60
	;; [unrolled: 1-line block ×3, first 2 shown]
	v_pk_mul_f32 v[26:27], v[82:83], v[62:63]
	ds_read_b128 v[50:53], v140 offset:6240
	v_pk_mov_b32 v[18:19], v[30:31], v[18:19] op_sel:[1,0]
	v_pk_fma_f32 v[30:31], v[22:23], v[14:15], v[26:27] neg_lo:[0,0,1] neg_hi:[0,0,1]
	v_pk_fma_f32 v[14:15], v[22:23], v[14:15], v[26:27]
	scratch_load_dwordx2 v[26:27], off, off offset:136
	ds_read_b128 v[82:85], v140 offset:5984
	ds_read_b128 v[60:63], v140 offset:4448
	v_pk_add_f32 v[6:7], v[6:7], v[18:19] neg_lo:[0,1] neg_hi:[0,1]
	v_mov_b32_e32 v19, v74
	v_mov_b32_e32 v74, v73
	;; [unrolled: 1-line block ×3, first 2 shown]
	s_waitcnt lgkmcnt(2)
	v_mov_b32_e32 v95, v53
	v_mov_b32_e32 v18, v72
	v_pk_mov_b32 v[14:15], v[30:31], v[14:15] op_sel:[1,0]
	v_mov_b32_e32 v23, v52
	v_pk_mul_f32 v[30:31], v[94:95], v[74:75]
	v_pk_add_f32 v[6:7], v[6:7], v[14:15] neg_lo:[0,1] neg_hi:[0,1]
	v_mov_b32_e32 v15, v78
	v_mov_b32_e32 v78, v77
	v_pk_fma_f32 v[34:35], v[22:23], v[18:19], v[30:31] neg_lo:[0,0,1] neg_hi:[0,0,1]
	v_pk_fma_f32 v[18:19], v[22:23], v[18:19], v[30:31]
	v_mov_b32_e32 v22, v53
	s_waitcnt lgkmcnt(1)
	v_mov_b32_e32 v53, v85
	v_mov_b32_e32 v14, v76
	v_pk_mov_b32 v[18:19], v[34:35], v[18:19] op_sel:[1,0]
	v_mov_b32_e32 v23, v84
	v_pk_mul_f32 v[34:35], v[52:53], v[78:79]
	v_pk_add_f32 v[6:7], v[6:7], v[18:19] neg_lo:[0,1] neg_hi:[0,1]
	v_pk_fma_f32 v[42:43], v[22:23], v[14:15], v[34:35] neg_lo:[0,0,1] neg_hi:[0,0,1]
	v_pk_fma_f32 v[14:15], v[22:23], v[14:15], v[34:35]
	v_mov_b32_e32 v30, v57
	v_pk_mov_b32 v[14:15], v[42:43], v[14:15] op_sel:[1,0]
	v_mov_b32_e32 v31, v59
	v_pk_add_f32 v[6:7], v[6:7], v[14:15] neg_lo:[0,1] neg_hi:[0,1]
	v_mov_b32_e32 v14, v85
	v_mov_b32_e32 v85, v89
	ds_read_b128 v[64:67], v140 offset:5472
	v_mov_b32_e32 v18, v56
	v_mov_b32_e32 v19, v58
	;; [unrolled: 1-line block ×3, first 2 shown]
	v_pk_mul_f32 v[22:23], v[84:85], v[30:31]
	ds_read_b128 v[70:73], v140 offset:5216
	v_pk_fma_f32 v[30:31], v[14:15], v[18:19], v[22:23] neg_lo:[0,0,1] neg_hi:[0,0,1]
	v_pk_fma_f32 v[14:15], v[14:15], v[18:19], v[22:23]
	v_fmac_f32_e32 v11, v88, v59
	v_pk_mov_b32 v[14:15], v[30:31], v[14:15] op_sel:[1,0]
	ds_read_b128 v[74:77], v140 offset:4960
	v_pk_add_f32 v[6:7], v[6:7], v[14:15] neg_lo:[0,1] neg_hi:[0,1]
	s_waitcnt vmcnt(5) lgkmcnt(2)
	v_mul_f32_e32 v14, v66, v123
	v_sub_f32_e32 v7, v7, v11
	v_mul_f32_e32 v11, v67, v123
	v_fma_f32 v11, v66, v122, -v11
	v_fmac_f32_e32 v14, v67, v122
	v_sub_f32_e32 v6, v6, v11
	v_sub_f32_e32 v7, v7, v14
	s_waitcnt lgkmcnt(1)
	v_mul_f32_e32 v11, v73, v125
	v_mul_f32_e32 v14, v72, v125
	v_fma_f32 v11, v72, v124, -v11
	v_fmac_f32_e32 v14, v73, v124
	scratch_load_dwordx4 v[122:125], off, off offset:16
	ds_read_b128 v[56:59], v140 offset:4704
	v_sub_f32_e32 v6, v6, v11
	v_sub_f32_e32 v7, v7, v14
	s_waitcnt vmcnt(4) lgkmcnt(1)
	v_mul_f32_e32 v11, v77, v129
	v_mul_f32_e32 v14, v76, v129
	v_fma_f32 v11, v76, v128, -v11
	v_fmac_f32_e32 v14, v77, v128
	v_sub_f32_e32 v6, v6, v11
	v_sub_f32_e32 v7, v7, v14
	s_waitcnt lgkmcnt(0)
	v_mul_f32_e32 v11, v59, v131
	v_mul_f32_e32 v14, v58, v131
	v_fma_f32 v11, v58, v130, -v11
	v_fmac_f32_e32 v14, v59, v130
	scratch_load_dwordx4 v[128:131], off, off offset:32
	ds_read_b128 v[66:69], v140 offset:4192
	ds_read_b128 v[76:79], v140 offset:3936
	v_sub_f32_e32 v6, v6, v11
	v_sub_f32_e32 v7, v7, v14
	s_waitcnt vmcnt(4)
	v_mul_f32_e32 v11, v63, v133
	v_mul_f32_e32 v14, v62, v133
	v_fma_f32 v11, v62, v132, -v11
	v_fmac_f32_e32 v14, v63, v132
	ds_read_b128 v[52:55], v140 offset:3680
	v_sub_f32_e32 v6, v6, v11
	v_sub_f32_e32 v7, v7, v14
	s_waitcnt lgkmcnt(2)
	v_mul_f32_e32 v11, v69, v135
	v_mul_f32_e32 v14, v68, v135
	v_fma_f32 v11, v68, v134, -v11
	v_fmac_f32_e32 v14, v69, v134
	v_sub_f32_e32 v6, v6, v11
	v_sub_f32_e32 v11, v7, v14
	s_waitcnt vmcnt(3) lgkmcnt(1)
	v_mul_f32_e32 v7, v79, v39
	v_fma_f32 v7, v78, v38, -v7
	v_sub_f32_e32 v18, v6, v7
	s_waitcnt vmcnt(2) lgkmcnt(0)
	v_mul_f32_e32 v6, v55, v27
	v_fma_f32 v19, v54, v26, -v6
	v_mul_f32_e32 v6, v97, v137
	v_fma_f32 v6, v96, v136, -v6
	v_mul_f32_e32 v7, v96, v137
	v_sub_f32_e32 v44, v44, v6
	v_mul_f32_e32 v6, v49, v139
	v_fmac_f32_e32 v7, v97, v136
	v_fma_f32 v6, v48, v138, -v6
	v_pk_add_f32 v[14:15], v[44:45], v[6:7] neg_lo:[0,1] neg_hi:[0,1]
	scratch_load_dwordx4 v[42:45], off, off offset:40
	v_mul_f32_e32 v23, v78, v39
	v_mul_f32_e32 v22, v54, v27
	v_fmac_f32_e32 v23, v79, v38
	v_fmac_f32_e32 v22, v55, v26
	v_sub_f32_e32 v6, v11, v23
	v_sub_f32_e32 v7, v6, v22
	v_mov_b32_e32 v23, v48
	v_mov_b32_e32 v27, v138
	;; [unrolled: 1-line block ×3, first 2 shown]
	v_sub_f32_e32 v11, v18, v19
	v_mov_b32_e32 v19, v49
	v_mov_b32_e32 v18, v90
	scratch_load_dwordx4 v[132:135], off, off offset:56
	v_mov_b32_e32 v38, v93
	ds_read_b128 v[94:97], v140 offset:3424
	v_mov_b32_e32 v39, v50
	s_waitcnt lgkmcnt(0)
	v_mul_f32_e32 v6, v97, v7
	v_mul_f32_e32 v7, v96, v7
	v_fma_f32 v6, v96, v11, -v6
	v_fmac_f32_e32 v7, v97, v11
	scratch_store_dwordx2 off, v[6:7], off offset:144
	s_waitcnt vmcnt(4)
	v_mov_b32_e32 v138, v123
	v_pk_mul_f32 v[22:23], v[22:23], v[138:139]
	v_mov_b32_e32 v26, v122
	v_pk_fma_f32 v[18:19], v[18:19], v[26:27], v[22:23]
	v_mov_b32_e32 v26, v124
	v_mov_b32_e32 v27, v122
	v_pk_fma_f32 v[22:23], v[90:91], v[26:27], v[22:23] op_sel:[0,1,0] op_sel_hi:[1,0,1] neg_lo:[0,0,1] neg_hi:[0,0,1]
	v_mov_b32_e32 v122, v125
	v_mov_b32_e32 v23, v19
	v_pk_add_f32 v[14:15], v[14:15], v[22:23] neg_lo:[0,1] neg_hi:[0,1]
	v_mov_b32_e32 v19, v91
	v_mov_b32_e32 v23, v90
	scratch_load_dwordx4 v[88:91], off, off offset:48
	v_mov_b32_e32 v22, v99
	v_mov_b32_e32 v18, v98
	v_pk_mul_f32 v[22:23], v[22:23], v[122:123]
	s_waitcnt vmcnt(4)
	v_mov_b32_e32 v124, v129
	v_pk_fma_f32 v[18:19], v[18:19], v[26:27], v[22:23]
	v_mov_b32_e32 v27, v128
	v_pk_fma_f32 v[22:23], v[98:99], v[26:27], v[22:23] neg_lo:[0,0,1] neg_hi:[0,0,1]
	v_mov_b32_e32 v18, v99
	v_mov_b32_e32 v23, v19
	v_pk_add_f32 v[14:15], v[14:15], v[22:23] neg_lo:[0,1] neg_hi:[0,1]
	v_mov_b32_e32 v19, v102
	v_mov_b32_e32 v23, v98
	scratch_load_dwordx4 v[98:101], off, off offset:64
	v_pk_mul_f32 v[18:19], v[18:19], v[26:27]
	v_mov_b32_e32 v22, v103
	v_pk_fma_f32 v[26:27], v[22:23], v[124:125], v[18:19] op_sel:[0,0,1] op_sel_hi:[1,1,0] neg_lo:[1,0,0] neg_hi:[1,0,0]
	v_pk_fma_f32 v[18:19], v[22:23], v[124:125], v[18:19] op_sel:[0,0,1] op_sel_hi:[1,1,0]
	v_mov_b32_e32 v23, v130
	v_mov_b32_e32 v130, v129
	;; [unrolled: 1-line block ×4, first 2 shown]
	v_pk_mul_f32 v[30:31], v[102:103], v[130:131]
	scratch_load_dwordx4 v[102:105], off, off offset:72
	scratch_load_dwordx4 v[122:125], off, off offset:88
	v_mov_b32_e32 v22, v128
	v_mov_b32_e32 v27, v19
	;; [unrolled: 1-line block ×3, first 2 shown]
	v_pk_add_f32 v[14:15], v[14:15], v[26:27] neg_lo:[0,1] neg_hi:[0,1]
	v_pk_fma_f32 v[34:35], v[18:19], v[22:23], v[30:31] neg_lo:[0,0,1] neg_hi:[0,0,1]
	v_pk_fma_f32 v[18:19], v[18:19], v[22:23], v[30:31]
	v_mov_b32_e32 v22, v81
	v_mov_b32_e32 v81, v93
	s_waitcnt vmcnt(6)
	v_mov_b32_e32 v27, v44
	v_mov_b32_e32 v44, v43
	v_pk_mul_f32 v[30:31], v[80:81], v[44:45]
	scratch_load_dwordx4 v[78:81], off, off offset:104
	v_pk_mov_b32 v[18:19], v[34:35], v[18:19] op_sel:[1,0]
	v_mov_b32_e32 v93, v51
	v_mov_b32_e32 v26, v42
	v_mov_b32_e32 v23, v92
	scratch_load_dwordx4 v[42:45], off, off offset:136
	v_pk_add_f32 v[14:15], v[14:15], v[18:19] neg_lo:[0,1] neg_hi:[0,1]
	v_pk_fma_f32 v[18:19], v[22:23], v[26:27], v[30:31] neg_lo:[0,0,1] neg_hi:[0,0,1]
	v_pk_fma_f32 v[22:23], v[22:23], v[26:27], v[30:31]
	s_waitcnt vmcnt(5)
	v_mov_b32_e32 v35, v90
	v_mov_b32_e32 v90, v89
	;; [unrolled: 1-line block ×3, first 2 shown]
	v_pk_mul_f32 v[48:49], v[92:93], v[90:91]
	scratch_load_dwordx4 v[88:91], off, off offset:120
	v_pk_mov_b32 v[18:19], v[18:19], v[22:23] op_sel:[1,0]
	v_pk_fma_f32 v[22:23], v[38:39], v[34:35], v[48:49] neg_lo:[0,0,1] neg_hi:[0,0,1]
	v_pk_fma_f32 v[26:27], v[38:39], v[34:35], v[48:49]
	v_pk_add_f32 v[14:15], v[14:15], v[18:19] neg_lo:[0,1] neg_hi:[0,1]
	v_mov_b32_e32 v19, v134
	v_mov_b32_e32 v134, v133
	v_pk_mov_b32 v[22:23], v[22:23], v[26:27] op_sel:[1,0]
	v_mov_b32_e32 v26, v51
	v_mov_b32_e32 v51, v83
	;; [unrolled: 1-line block ×4, first 2 shown]
	v_pk_mul_f32 v[30:31], v[50:51], v[134:135]
	v_pk_add_f32 v[14:15], v[14:15], v[22:23] neg_lo:[0,1] neg_hi:[0,1]
	s_waitcnt vmcnt(5)
	v_mov_b32_e32 v23, v100
	v_mov_b32_e32 v100, v99
	v_pk_fma_f32 v[34:35], v[26:27], v[18:19], v[30:31] neg_lo:[0,0,1] neg_hi:[0,0,1]
	v_pk_fma_f32 v[18:19], v[26:27], v[18:19], v[30:31]
	v_mov_b32_e32 v26, v83
	v_mov_b32_e32 v83, v87
	;; [unrolled: 1-line block ×3, first 2 shown]
	v_pk_mov_b32 v[18:19], v[34:35], v[18:19] op_sel:[1,0]
	v_mov_b32_e32 v27, v86
	v_pk_mul_f32 v[34:35], v[82:83], v[100:101]
	scratch_load_dwordx4 v[96:99], off, off
	v_pk_fma_f32 v[38:39], v[26:27], v[22:23], v[34:35] neg_lo:[0,0,1] neg_hi:[0,0,1]
	v_pk_fma_f32 v[22:23], v[26:27], v[22:23], v[34:35]
	v_pk_add_f32 v[14:15], v[14:15], v[18:19] neg_lo:[0,1] neg_hi:[0,1]
	v_pk_mov_b32 v[22:23], v[38:39], v[22:23] op_sel:[1,0]
	s_waitcnt vmcnt(5)
	v_mov_b32_e32 v30, v103
	v_mov_b32_e32 v31, v105
	v_pk_add_f32 v[14:15], v[14:15], v[22:23] neg_lo:[0,1] neg_hi:[0,1]
	v_mov_b32_e32 v22, v87
	v_mov_b32_e32 v87, v65
	;; [unrolled: 1-line block ×4, first 2 shown]
	scratch_load_dwordx4 v[48:51], off, off offset:160
	v_mov_b32_e32 v23, v64
	v_pk_mul_f32 v[26:27], v[86:87], v[30:31]
	v_mul_f32_e32 v11, v65, v104
	v_pk_fma_f32 v[30:31], v[22:23], v[18:19], v[26:27] neg_lo:[0,0,1] neg_hi:[0,0,1]
	v_pk_fma_f32 v[18:19], v[22:23], v[18:19], v[26:27]
	scratch_load_dwordx4 v[82:85], off, off offset:16
	scratch_load_dwordx4 v[100:103], off, off offset:32
	v_pk_mov_b32 v[18:19], v[30:31], v[18:19] op_sel:[1,0]
	v_fmac_f32_e32 v11, v64, v105
	v_pk_add_f32 v[14:15], v[14:15], v[18:19] neg_lo:[0,1] neg_hi:[0,1]
	scratch_store_dwordx2 off, v[14:15], off offset:152
	v_sub_f32_e32 v11, v15, v11
	s_waitcnt vmcnt(8)
	v_mul_f32_e32 v15, v71, v123
	v_fma_f32 v15, v70, v122, -v15
	v_mul_f32_e32 v18, v70, v123
	v_fmac_f32_e32 v18, v71, v122
	v_sub_f32_e32 v14, v14, v15
	v_mul_f32_e32 v15, v75, v125
	v_sub_f32_e32 v11, v11, v18
	v_fma_f32 v15, v74, v124, -v15
	v_mul_f32_e32 v18, v74, v125
	v_fmac_f32_e32 v18, v75, v124
	v_sub_f32_e32 v15, v14, v15
	s_waitcnt vmcnt(7)
	v_mul_f32_e32 v14, v57, v79
	v_sub_f32_e32 v11, v11, v18
	v_fma_f32 v18, v56, v78, -v14
	scratch_load_dwordx4 v[122:125], off, off offset:40
	scratch_load_dword v14, off, off offset:36
	v_mul_f32_e32 v19, v56, v79
	v_fmac_f32_e32 v19, v57, v78
	v_sub_f32_e32 v15, v15, v18
	v_sub_f32_e32 v11, v11, v19
	v_mul_f32_e32 v18, v61, v81
	v_mul_f32_e32 v19, v60, v81
	v_fma_f32 v18, v60, v80, -v18
	v_fmac_f32_e32 v19, v61, v80
	v_sub_f32_e32 v15, v15, v18
	v_sub_f32_e32 v11, v11, v19
	scratch_load_dwordx4 v[128:131], off, off offset:64
	scratch_load_dwordx4 v[142:145], off, off
	ds_read_b128 v[60:63], v140 offset:8016
	ds_read_b128 v[72:75], v140 offset:7760
	;; [unrolled: 1-line block ×4, first 2 shown]
	s_waitcnt vmcnt(9)
	v_mul_f32_e32 v18, v67, v89
	v_mul_f32_e32 v19, v66, v89
	v_fma_f32 v18, v66, v88, -v18
	v_fmac_f32_e32 v19, v67, v88
	scratch_load_dwordx4 v[86:89], off, off offset:48
	v_sub_f32_e32 v15, v15, v18
	v_sub_f32_e32 v11, v11, v19
	v_mul_f32_e32 v18, v77, v91
	v_mul_f32_e32 v19, v76, v91
	v_fma_f32 v18, v76, v90, -v18
	v_fmac_f32_e32 v19, v77, v90
	scratch_load_dwordx4 v[76:79], off, off offset:56
	v_sub_f32_e32 v15, v15, v18
	v_mul_f32_e32 v18, v53, v43
	v_sub_f32_e32 v11, v11, v19
	v_fma_f32 v18, v52, v42, -v18
	v_mul_f32_e32 v19, v52, v43
	v_fmac_f32_e32 v19, v53, v42
	v_sub_f32_e32 v15, v15, v18
	v_mul_f32_e32 v18, v95, v7
	v_mul_f32_e32 v7, v94, v7
	v_sub_f32_e32 v11, v11, v19
	v_fmac_f32_e32 v7, v95, v6
	v_fma_f32 v18, v94, v6, -v18
	v_sub_f32_e32 v7, v11, v7
	v_sub_f32_e32 v15, v15, v18
	v_mul_f32_e32 v6, v47, v7
	v_mul_f32_e32 v7, v46, v7
	v_fma_f32 v6, v46, v15, -v6
	v_fmac_f32_e32 v7, v47, v15
	scratch_store_dwordx2 off, v[6:7], off offset:152
	s_waitcnt vmcnt(11) lgkmcnt(3)
	v_mul_f32_e32 v6, v63, v97
	v_mul_f32_e32 v7, v62, v97
	v_fma_f32 v6, v62, v96, -v6
	v_fmac_f32_e32 v7, v63, v96
	ds_read_b128 v[62:65], v140 offset:7504
	s_waitcnt vmcnt(10)
	v_sub_f32_e32 v48, v48, v6
	s_waitcnt lgkmcnt(3)
	v_mul_f32_e32 v6, v75, v99
	v_mul_f32_e32 v19, v74, v99
	v_fma_f32 v6, v74, v98, -v6
	v_fmac_f32_e32 v19, v75, v98
	scratch_load_dwordx4 v[96:99], off, off offset:72
	s_waitcnt vmcnt(10) lgkmcnt(0)
	v_mul_f32_e32 v11, v65, v83
	v_pk_add_f32 v[6:7], v[48:49], v[6:7] neg_lo:[0,1] neg_hi:[0,1]
	v_fma_f32 v18, v64, v82, -v11
	v_mov_b32_e32 v23, v82
	v_mov_b32_e32 v26, v59
	;; [unrolled: 1-line block ×4, first 2 shown]
	v_pk_add_f32 v[6:7], v[6:7], v[18:19] neg_lo:[0,1] neg_hi:[0,1]
	v_mov_b32_e32 v18, v58
	v_mov_b32_e32 v19, v65
	;; [unrolled: 1-line block ×3, first 2 shown]
	v_pk_mul_f32 v[26:27], v[26:27], v[82:83]
	scratch_load_dwordx4 v[132:135], off, off offset:80
	scratch_load_dwordx4 v[136:139], off, off offset:128
	v_pk_fma_f32 v[30:31], v[58:59], v[84:85], v[26:27] neg_lo:[0,0,1] neg_hi:[0,0,1]
	v_pk_fma_f32 v[18:19], v[18:19], v[22:23], v[26:27]
	ds_read_b128 v[64:67], v140 offset:6736
	v_mov_b32_e32 v31, v19
	v_mov_b32_e32 v15, v85
	v_pk_add_f32 v[6:7], v[6:7], v[30:31] neg_lo:[0,1] neg_hi:[0,1]
	v_mov_b32_e32 v30, v71
	v_mov_b32_e32 v31, v58
	ds_read_b128 v[46:49], v140 offset:6480
	s_waitcnt vmcnt(11)
	v_mov_b32_e32 v101, v84
	v_mov_b32_e32 v18, v100
	;; [unrolled: 1-line block ×5, first 2 shown]
	s_waitcnt vmcnt(8)
	v_mov_b32_e32 v27, v14
	v_pk_mul_f32 v[14:15], v[30:31], v[14:15]
	v_mov_b32_e32 v26, v123
	v_pk_fma_f32 v[30:31], v[70:71], v[18:19], v[14:15] neg_lo:[0,0,1] neg_hi:[0,0,1]
	v_pk_fma_f32 v[14:15], v[22:23], v[100:101], v[14:15]
	scratch_load_dwordx4 v[100:103], off, off offset:96
	v_mov_b32_e32 v22, v71
	s_waitcnt lgkmcnt(1)
	v_mov_b32_e32 v23, v66
	v_mov_b32_e32 v31, v15
	;; [unrolled: 1-line block ×3, first 2 shown]
	v_pk_mul_f32 v[18:19], v[22:23], v[18:19]
	v_mov_b32_e32 v124, v123
	v_mov_b32_e32 v22, v67
	;; [unrolled: 1-line block ×3, first 2 shown]
	s_waitcnt lgkmcnt(0)
	v_mov_b32_e32 v67, v49
	v_pk_add_f32 v[6:7], v[6:7], v[30:31] neg_lo:[0,1] neg_hi:[0,1]
	v_mov_b32_e32 v14, v122
	v_pk_fma_f32 v[30:31], v[22:23], v[26:27], v[18:19] op_sel:[0,0,1] op_sel_hi:[1,1,0] neg_lo:[1,0,0] neg_hi:[1,0,0]
	v_pk_fma_f32 v[18:19], v[22:23], v[26:27], v[18:19] op_sel:[0,0,1] op_sel_hi:[1,1,0]
	v_pk_mul_f32 v[26:27], v[66:67], v[124:125]
	scratch_load_dwordx4 v[122:125], off, off offset:112
	ds_read_b128 v[92:95], v140 offset:6224
	v_mov_b32_e32 v31, v19
	v_mov_b32_e32 v23, v48
	ds_read_b128 v[52:55], v140 offset:5968
	v_pk_add_f32 v[6:7], v[6:7], v[30:31] neg_lo:[0,1] neg_hi:[0,1]
	s_waitcnt vmcnt(7)
	v_mov_b32_e32 v19, v88
	v_mov_b32_e32 v88, v87
	v_pk_fma_f32 v[30:31], v[22:23], v[14:15], v[26:27] neg_lo:[0,0,1] neg_hi:[0,0,1]
	v_pk_fma_f32 v[14:15], v[22:23], v[14:15], v[26:27]
	v_mov_b32_e32 v22, v49
	s_waitcnt lgkmcnt(1)
	v_mov_b32_e32 v49, v95
	v_mov_b32_e32 v18, v86
	v_pk_mul_f32 v[26:27], v[48:49], v[88:89]
	ds_read_b128 v[86:89], v140 offset:5712
	v_pk_mov_b32 v[14:15], v[30:31], v[14:15] op_sel:[1,0]
	v_mov_b32_e32 v23, v94
	v_pk_add_f32 v[6:7], v[6:7], v[14:15] neg_lo:[0,1] neg_hi:[0,1]
	s_waitcnt vmcnt(6)
	v_mov_b32_e32 v15, v78
	v_mov_b32_e32 v78, v77
	v_pk_fma_f32 v[30:31], v[22:23], v[18:19], v[26:27] neg_lo:[0,0,1] neg_hi:[0,0,1]
	v_pk_fma_f32 v[18:19], v[22:23], v[18:19], v[26:27]
	v_mov_b32_e32 v22, v95
	s_waitcnt lgkmcnt(1)
	v_mov_b32_e32 v95, v55
	v_mov_b32_e32 v14, v76
	v_pk_mov_b32 v[18:19], v[30:31], v[18:19] op_sel:[1,0]
	v_mov_b32_e32 v23, v54
	v_pk_mul_f32 v[26:27], v[94:95], v[78:79]
	v_pk_add_f32 v[6:7], v[6:7], v[18:19] neg_lo:[0,1] neg_hi:[0,1]
	v_mov_b32_e32 v19, v130
	v_mov_b32_e32 v130, v129
	v_pk_fma_f32 v[30:31], v[22:23], v[14:15], v[26:27] neg_lo:[0,0,1] neg_hi:[0,0,1]
	v_pk_fma_f32 v[14:15], v[22:23], v[14:15], v[26:27]
	v_mov_b32_e32 v22, v55
	s_waitcnt lgkmcnt(0)
	v_mov_b32_e32 v55, v89
	scratch_load_dwordx2 v[34:35], off, off offset:152
	v_mov_b32_e32 v18, v128
	v_pk_mul_f32 v[26:27], v[54:55], v[130:131]
	scratch_load_dwordx4 v[128:131], off, off offset:16
	ds_read_b128 v[74:77], v140 offset:5456
	v_pk_mov_b32 v[14:15], v[30:31], v[14:15] op_sel:[1,0]
	v_mov_b32_e32 v23, v88
	ds_read_b128 v[78:81], v140 offset:5200
	v_pk_add_f32 v[6:7], v[6:7], v[14:15] neg_lo:[0,1] neg_hi:[0,1]
	s_waitcnt vmcnt(6)
	v_mov_b32_e32 v15, v98
	v_mov_b32_e32 v98, v97
	v_pk_fma_f32 v[30:31], v[22:23], v[18:19], v[26:27] neg_lo:[0,0,1] neg_hi:[0,0,1]
	v_pk_fma_f32 v[18:19], v[22:23], v[18:19], v[26:27]
	v_mov_b32_e32 v22, v89
	s_waitcnt lgkmcnt(1)
	v_mov_b32_e32 v89, v77
	v_mov_b32_e32 v14, v96
	v_pk_mov_b32 v[18:19], v[30:31], v[18:19] op_sel:[1,0]
	v_mov_b32_e32 v23, v76
	v_pk_mul_f32 v[30:31], v[88:89], v[98:99]
	v_pk_add_f32 v[6:7], v[6:7], v[18:19] neg_lo:[0,1] neg_hi:[0,1]
	v_pk_fma_f32 v[38:39], v[22:23], v[14:15], v[30:31] neg_lo:[0,0,1] neg_hi:[0,0,1]
	v_pk_fma_f32 v[14:15], v[22:23], v[14:15], v[30:31]
	s_waitcnt vmcnt(5)
	v_mov_b32_e32 v26, v133
	v_pk_mov_b32 v[14:15], v[38:39], v[14:15] op_sel:[1,0]
	v_mov_b32_e32 v27, v135
	v_pk_add_f32 v[6:7], v[6:7], v[14:15] neg_lo:[0,1] neg_hi:[0,1]
	v_mov_b32_e32 v14, v77
	s_waitcnt lgkmcnt(0)
	v_mov_b32_e32 v77, v81
	ds_read_b128 v[82:85], v140 offset:4944
	v_mov_b32_e32 v18, v132
	v_mov_b32_e32 v19, v134
	;; [unrolled: 1-line block ×3, first 2 shown]
	v_pk_mul_f32 v[22:23], v[76:77], v[26:27]
	ds_read_b128 v[88:91], v140 offset:4688
	v_pk_fma_f32 v[26:27], v[14:15], v[18:19], v[22:23] neg_lo:[0,0,1] neg_hi:[0,0,1]
	v_pk_fma_f32 v[14:15], v[14:15], v[18:19], v[22:23]
	v_mul_f32_e32 v11, v81, v134
	v_pk_mov_b32 v[14:15], v[26:27], v[14:15] op_sel:[1,0]
	v_fmac_f32_e32 v11, v80, v135
	v_pk_add_f32 v[6:7], v[6:7], v[14:15] neg_lo:[0,1] neg_hi:[0,1]
	ds_read_b128 v[94:97], v140 offset:4432
	v_sub_f32_e32 v7, v7, v11
	s_waitcnt vmcnt(3) lgkmcnt(2)
	v_mul_f32_e32 v11, v85, v101
	v_mul_f32_e32 v14, v84, v101
	v_fma_f32 v11, v84, v100, -v11
	v_fmac_f32_e32 v14, v85, v100
	ds_read_b128 v[98:101], v140 offset:4176
	v_sub_f32_e32 v6, v6, v11
	s_waitcnt lgkmcnt(2)
	v_mul_f32_e32 v11, v91, v103
	v_fma_f32 v11, v90, v102, -v11
	v_sub_f32_e32 v6, v6, v11
	s_waitcnt vmcnt(2) lgkmcnt(1)
	v_mul_f32_e32 v11, v97, v123
	v_fma_f32 v11, v96, v122, -v11
	v_sub_f32_e32 v7, v7, v14
	v_mul_f32_e32 v14, v90, v103
	v_sub_f32_e32 v6, v6, v11
	s_waitcnt lgkmcnt(0)
	v_mul_f32_e32 v11, v101, v125
	v_mul_f32_e32 v15, v100, v125
	v_fmac_f32_e32 v14, v91, v102
	v_fma_f32 v11, v100, v124, -v11
	v_fmac_f32_e32 v15, v101, v124
	ds_read_b128 v[100:103], v140 offset:3920
	v_sub_f32_e32 v7, v7, v14
	v_mul_f32_e32 v14, v96, v123
	v_fmac_f32_e32 v14, v97, v122
	v_sub_f32_e32 v7, v7, v14
	v_sub_f32_e32 v6, v6, v11
	;; [unrolled: 1-line block ×3, first 2 shown]
	s_waitcnt lgkmcnt(0)
	v_mul_f32_e32 v7, v103, v137
	v_fma_f32 v14, v102, v136, -v7
	v_mul_f32_e32 v7, v61, v143
	v_fma_f32 v15, v60, v142, -v7
	;; [unrolled: 2-line block ×3, first 2 shown]
	v_mul_f32_e32 v7, v72, v145
	v_fmac_f32_e32 v7, v73, v144
	ds_read_b128 v[70:73], v140 offset:3664
	v_mul_f32_e32 v18, v60, v143
	v_mul_f32_e32 v19, v102, v137
	v_fmac_f32_e32 v18, v61, v142
	v_fmac_f32_e32 v19, v103, v136
	ds_read_b128 v[58:61], v140 offset:3152
	scratch_load_dwordx4 v[102:105], off, off offset:32
	v_sub_f32_e32 v6, v6, v14
	s_waitcnt lgkmcnt(1)
	v_mul_f32_e32 v14, v73, v139
	v_fma_f32 v14, v72, v138, -v14
	v_sub_f32_e32 v11, v11, v19
	v_mul_f32_e32 v23, v72, v139
	s_waitcnt vmcnt(2) lgkmcnt(0)
	v_mul_f32_e32 v19, v61, v35
	v_sub_f32_e32 v72, v6, v14
	v_sub_f32_e32 v6, v50, v15
	v_fma_f32 v54, v60, v34, -v19
	v_mul_f32_e32 v55, v60, v35
	v_sub_f32_e32 v14, v6, v22
	s_waitcnt vmcnt(1)
	v_mul_f32_e32 v6, v63, v129
	v_mul_f32_e32 v19, v62, v129
	v_fmac_f32_e32 v55, v61, v34
	v_fma_f32 v6, v62, v128, -v6
	v_fmac_f32_e32 v19, v63, v128
	scratch_load_dwordx4 v[60:63], off, off offset:144
	v_sub_f32_e32 v15, v51, v18
	scratch_load_dwordx4 v[48:51], off, off offset:48
	v_fmac_f32_e32 v23, v73, v138
	v_pk_add_f32 v[6:7], v[14:15], v[6:7] neg_lo:[0,1] neg_hi:[0,1]
	v_mul_f32_e32 v14, v57, v131
	v_sub_f32_e32 v11, v11, v23
	v_fma_f32 v18, v56, v130, -v14
	v_mov_b32_e32 v23, v56
	v_mov_b32_e32 v27, v130
	;; [unrolled: 1-line block ×3, first 2 shown]
	v_pk_add_f32 v[6:7], v[6:7], v[18:19] neg_lo:[0,1] neg_hi:[0,1]
	v_mov_b32_e32 v18, v68
	v_mov_b32_e32 v19, v57
	scratch_load_dwordx4 v[122:125], off, off offset:64
	v_mov_b32_e32 v34, v65
	v_mov_b32_e32 v35, v46
	;; [unrolled: 1-line block ×4, first 2 shown]
	scratch_load_dwordx4 v[132:135], off, off offset:104
	scratch_load_dwordx4 v[136:139], off, off offset:120
	s_waitcnt vmcnt(5)
	v_mov_b32_e32 v130, v103
	v_mov_b32_e32 v14, v104
	;; [unrolled: 1-line block ×4, first 2 shown]
	v_pk_mul_f32 v[22:23], v[22:23], v[130:131]
	scratch_load_dwordx4 v[128:131], off, off offset:72
	v_pk_fma_f32 v[30:31], v[68:69], v[14:15], v[22:23] op_sel:[0,1,0] op_sel_hi:[1,0,1] neg_lo:[0,0,1] neg_hi:[0,0,1]
	v_pk_fma_f32 v[18:19], v[18:19], v[26:27], v[22:23]
	v_mov_b32_e32 v23, v69
	v_mov_b32_e32 v27, v68
	ds_read_b128 v[66:69], v140 offset:3408
	v_mov_b32_e32 v31, v19
	v_mov_b32_e32 v18, v104
	;; [unrolled: 1-line block ×3, first 2 shown]
	v_pk_add_f32 v[6:7], v[6:7], v[30:31] neg_lo:[0,1] neg_hi:[0,1]
	v_mov_b32_e32 v30, v93
	v_mov_b32_e32 v31, v52
	s_waitcnt vmcnt(5) lgkmcnt(0)
	v_mul_f32_e32 v22, v69, v61
	v_mul_f32_e32 v26, v68, v61
	v_fma_f32 v22, v68, v60, -v22
	v_fmac_f32_e32 v26, v69, v60
	v_sub_f32_e32 v22, v72, v22
	v_sub_f32_e32 v11, v11, v26
	;; [unrolled: 1-line block ×4, first 2 shown]
	scratch_load_dwordx4 v[54:57], off, off offset:56
	s_waitcnt vmcnt(5)
	v_mov_b32_e32 v19, v48
	v_mov_b32_e32 v104, v49
	v_pk_mul_f32 v[34:35], v[34:35], v[18:19]
	v_mov_b32_e32 v26, v65
	v_pk_fma_f32 v[42:43], v[38:39], v[104:105], v[34:35] op_sel:[0,0,1] op_sel_hi:[1,1,0] neg_lo:[1,0,0] neg_hi:[1,0,0]
	v_pk_fma_f32 v[34:35], v[38:39], v[104:105], v[34:35] op_sel:[0,0,1] op_sel_hi:[1,1,0]
	v_pk_mul_f32 v[26:27], v[26:27], v[102:103]
	ds_read_b128 v[102:105], v140 offset:2896
	v_pk_fma_f32 v[18:19], v[64:65], v[18:19], v[26:27] neg_lo:[0,0,1] neg_hi:[0,0,1]
	v_mov_b32_e32 v43, v35
	s_waitcnt lgkmcnt(0)
	v_mul_f32_e32 v22, v105, v11
	v_fma_f32 v38, v104, v60, -v22
	v_mov_b32_e32 v22, v64
	v_pk_fma_f32 v[14:15], v[22:23], v[14:15], v[26:27]
	v_mul_f32_e32 v39, v104, v11
	v_mov_b32_e32 v19, v15
	v_pk_add_f32 v[6:7], v[6:7], v[18:19] neg_lo:[0,1] neg_hi:[0,1]
	v_mov_b32_e32 v15, v50
	v_mov_b32_e32 v50, v49
	;; [unrolled: 1-line block ×5, first 2 shown]
	v_pk_mul_f32 v[22:23], v[46:47], v[50:51]
	scratch_load_dwordx4 v[46:49], off, off offset:80
	v_mov_b32_e32 v93, v53
	v_mov_b32_e32 v19, v92
	v_pk_add_f32 v[6:7], v[6:7], v[42:43] neg_lo:[0,1] neg_hi:[0,1]
	v_pk_fma_f32 v[42:43], v[18:19], v[14:15], v[22:23] neg_lo:[0,0,1] neg_hi:[0,0,1]
	v_pk_fma_f32 v[14:15], v[18:19], v[14:15], v[22:23]
	v_fmac_f32_e32 v39, v105, v60
	v_pk_mov_b32 v[14:15], v[42:43], v[14:15] op_sel:[1,0]
	scratch_store_dwordx2 off, v[38:39], off offset:160
	v_pk_add_f32 v[6:7], v[6:7], v[14:15] neg_lo:[0,1] neg_hi:[0,1]
	s_waitcnt vmcnt(6)
	v_mov_b32_e32 v15, v124
	v_mov_b32_e32 v124, v123
	;; [unrolled: 1-line block ×3, first 2 shown]
	s_waitcnt vmcnt(2)
	v_mov_b32_e32 v27, v56
	v_mov_b32_e32 v56, v55
	v_pk_mul_f32 v[34:35], v[92:93], v[56:57]
	scratch_load_dwordx4 v[90:93], off, off offset:88
	v_mov_b32_e32 v26, v54
	v_pk_fma_f32 v[18:19], v[30:31], v[26:27], v[34:35] neg_lo:[0,0,1] neg_hi:[0,0,1]
	v_pk_fma_f32 v[22:23], v[30:31], v[26:27], v[34:35]
	v_mov_b32_e32 v31, v130
	v_pk_mov_b32 v[18:19], v[18:19], v[22:23] op_sel:[1,0]
	v_mov_b32_e32 v22, v53
	v_mov_b32_e32 v53, v87
	v_pk_mul_f32 v[26:27], v[52:53], v[124:125]
	scratch_load_dwordx4 v[50:53], off, off offset:136
	v_mov_b32_e32 v130, v129
	v_mov_b32_e32 v34, v87
	;; [unrolled: 1-line block ×3, first 2 shown]
	v_pk_mul_f32 v[42:43], v[86:87], v[130:131]
	v_mov_b32_e32 v23, v86
	scratch_load_dwordx4 v[84:87], off, off offset:152
	v_mov_b32_e32 v30, v128
	v_pk_add_f32 v[6:7], v[6:7], v[18:19] neg_lo:[0,1] neg_hi:[0,1]
	v_pk_fma_f32 v[18:19], v[22:23], v[14:15], v[26:27] neg_lo:[0,0,1] neg_hi:[0,0,1]
	v_pk_fma_f32 v[14:15], v[22:23], v[14:15], v[26:27]
	v_mov_b32_e32 v35, v74
	v_pk_mov_b32 v[14:15], v[18:19], v[14:15] op_sel:[1,0]
	v_pk_fma_f32 v[18:19], v[34:35], v[30:31], v[42:43] neg_lo:[0,0,1] neg_hi:[0,0,1]
	v_pk_fma_f32 v[22:23], v[34:35], v[30:31], v[42:43]
	v_pk_add_f32 v[6:7], v[6:7], v[14:15] neg_lo:[0,1] neg_hi:[0,1]
	s_waitcnt vmcnt(4)
	v_mov_b32_e32 v15, v48
	v_mov_b32_e32 v48, v47
	v_pk_mov_b32 v[18:19], v[18:19], v[22:23] op_sel:[1,0]
	v_mov_b32_e32 v22, v75
	v_mov_b32_e32 v75, v79
	;; [unrolled: 1-line block ×4, first 2 shown]
	v_pk_mul_f32 v[30:31], v[74:75], v[48:49]
	v_pk_add_f32 v[6:7], v[6:7], v[18:19] neg_lo:[0,1] neg_hi:[0,1]
	v_pk_fma_f32 v[34:35], v[22:23], v[14:15], v[30:31] neg_lo:[0,0,1] neg_hi:[0,0,1]
	v_pk_fma_f32 v[14:15], v[22:23], v[14:15], v[30:31]
	ds_read2_b64 v[54:57], v126 offset1:32
	v_pk_mov_b32 v[14:15], v[34:35], v[14:15] op_sel:[1,0]
	s_waitcnt vmcnt(2)
	v_mov_b32_e32 v26, v91
	v_mov_b32_e32 v27, v93
	v_pk_add_f32 v[6:7], v[6:7], v[14:15] neg_lo:[0,1] neg_hi:[0,1]
	v_mov_b32_e32 v14, v79
	v_mov_b32_e32 v79, v83
	;; [unrolled: 1-line block ×5, first 2 shown]
	v_pk_mul_f32 v[22:23], v[78:79], v[26:27]
	v_mul_f32_e32 v11, v83, v92
	v_pk_fma_f32 v[26:27], v[14:15], v[18:19], v[22:23] neg_lo:[0,0,1] neg_hi:[0,0,1]
	v_pk_fma_f32 v[14:15], v[14:15], v[18:19], v[22:23]
	v_fmac_f32_e32 v11, v82, v93
	v_pk_mov_b32 v[14:15], v[26:27], v[14:15] op_sel:[1,0]
	s_nop 0
	v_pk_add_f32 v[6:7], v[6:7], v[14:15] neg_lo:[0,1] neg_hi:[0,1]
	scratch_store_dwordx2 off, v[6:7], off offset:168
	v_sub_f32_e32 v11, v7, v11
	v_mul_f32_e32 v7, v89, v133
	v_mul_f32_e32 v14, v88, v133
	v_fma_f32 v7, v88, v132, -v7
	v_fmac_f32_e32 v14, v89, v132
	v_sub_f32_e32 v6, v6, v7
	v_sub_f32_e32 v7, v11, v14
	v_mul_f32_e32 v11, v95, v135
	v_mul_f32_e32 v14, v94, v135
	v_fma_f32 v11, v94, v134, -v11
	v_fmac_f32_e32 v14, v95, v134
	v_sub_f32_e32 v6, v6, v11
	;; [unrolled: 6-line block ×4, first 2 shown]
	v_sub_f32_e32 v7, v7, v14
	s_waitcnt vmcnt(2)
	v_mul_f32_e32 v11, v71, v51
	v_mul_f32_e32 v14, v70, v51
	v_fma_f32 v11, v70, v50, -v11
	v_fmac_f32_e32 v14, v71, v50
	v_sub_f32_e32 v6, v6, v11
	v_sub_f32_e32 v7, v7, v14
	v_mul_f32_e32 v11, v67, v53
	v_mul_f32_e32 v14, v66, v53
	v_fma_f32 v11, v66, v52, -v11
	v_fmac_f32_e32 v14, v67, v52
	ds_read2_b64 v[50:53], v10 offset0:8 offset1:74
	v_sub_f32_e32 v6, v6, v11
	v_sub_f32_e32 v7, v7, v14
	s_waitcnt vmcnt(1)
	v_mul_f32_e32 v11, v59, v85
	v_mul_f32_e32 v14, v58, v85
	v_fma_f32 v11, v58, v84, -v11
	v_fmac_f32_e32 v14, v59, v84
	v_mul_f32_e32 v10, v102, v39
	v_sub_f32_e32 v6, v6, v11
	v_sub_f32_e32 v7, v7, v14
	v_mul_f32_e32 v11, v103, v39
	v_fmac_f32_e32 v10, v103, v38
	v_fma_f32 v11, v102, v38, -v11
	v_sub_f32_e32 v7, v7, v10
	v_sub_f32_e32 v11, v6, v11
	s_waitcnt lgkmcnt(0)
	v_mul_f32_e32 v6, v53, v7
	v_mul_f32_e32 v7, v52, v7
	v_fma_f32 v6, v52, v11, -v6
	v_fmac_f32_e32 v7, v53, v11
	scratch_store_dwordx2 off, v[6:7], off offset:168
	scratch_load_dwordx4 v[58:61], off, off offset:160
	scratch_load_dwordx4 v[46:49], off, off
	s_nop 0
	scratch_store_dwordx2 off, v[56:57], off offset:176
	scratch_load_dwordx2 v[6:7], off, off offset:176
	scratch_load_dwordx4 v[64:67], off, off offset:16
	scratch_load_dwordx4 v[68:71], off, off offset:32
	;; [unrolled: 1-line block ×4, first 2 shown]
	scratch_load_dword v10, off, off offset:52
	ds_write2_b64 v120, v[108:109], v[106:107] offset0:192 offset1:224
	ds_write2_b64 v120, v[112:113], v[110:111] offset0:128 offset1:160
	;; [unrolled: 1-line block ×3, first 2 shown]
	ds_write2_b64 v120, v[4:5], v[118:119] offset1:32
	ds_write2_b64 v121, v[8:9], v[2:3] offset0:192 offset1:224
	ds_write2_b64 v121, v[16:17], v[12:13] offset0:128 offset1:160
	;; [unrolled: 1-line block ×3, first 2 shown]
	ds_write2_b64 v121, v[32:33], v[28:29] offset1:32
	ds_read_b128 v[96:99], v140 offset:8000
	ds_write2_b64 v126, v[40:41], v[36:37] offset0:192 offset1:224
	scratch_load_dwordx4 v[14:17], off, off offset:64
	ds_write2_b64 v126, v[62:63], v[44:45] offset0:128 offset1:160
	s_waitcnt vmcnt(9)
	ds_write2_b64 v126, v[60:61], v[86:87] offset0:64 offset1:96
	ds_read_b128 v[40:43], v140 offset:7744
	ds_read_b128 v[110:113], v140 offset:7488
	s_waitcnt vmcnt(8) lgkmcnt(5)
	v_mul_f32_e32 v2, v99, v47
	ds_read_b128 v[82:85], v140 offset:7232
	ds_read_b128 v[118:121], v140 offset:6976
	v_fma_f32 v2, v98, v46, -v2
	s_waitcnt lgkmcnt(3)
	v_mul_f32_e32 v4, v43, v49
	v_mul_f32_e32 v3, v98, v47
	s_waitcnt vmcnt(6)
	v_sub_f32_e32 v2, v6, v2
	v_fma_f32 v4, v42, v48, -v4
	v_fmac_f32_e32 v3, v99, v46
	v_mul_f32_e32 v5, v42, v49
	v_sub_f32_e32 v2, v2, v4
	s_waitcnt vmcnt(5) lgkmcnt(2)
	v_mul_f32_e32 v4, v113, v65
	v_sub_f32_e32 v3, v7, v3
	scratch_load_dwordx4 v[18:21], off, off offset:72
	scratch_load_dwordx4 v[22:25], off, off offset:80
	v_fmac_f32_e32 v5, v43, v48
	v_fma_f32 v4, v112, v64, -v4
	ds_read_b128 v[6:9], v140 offset:6720
	v_sub_f32_e32 v3, v3, v5
	v_mul_f32_e32 v5, v112, v65
	v_sub_f32_e32 v2, v2, v4
	s_waitcnt lgkmcnt(2)
	v_mul_f32_e32 v4, v85, v67
	v_mul_f32_e32 v13, v84, v67
	v_fmac_f32_e32 v5, v113, v64
	v_fma_f32 v4, v84, v66, -v4
	v_fmac_f32_e32 v13, v85, v66
	ds_read_b128 v[84:87], v140 offset:6464
	v_pk_add_f32 v[2:3], v[2:3], v[4:5] neg_lo:[0,1] neg_hi:[0,1]
	s_waitcnt vmcnt(6) lgkmcnt(2)
	v_mul_f32_e32 v4, v121, v69
	v_fma_f32 v12, v120, v68, -v4
	scratch_load_dwordx4 v[26:29], off, off offset:88
	scratch_load_dwordx4 v[60:63], off, off offset:128
	v_pk_add_f32 v[2:3], v[2:3], v[12:13] neg_lo:[0,1] neg_hi:[0,1]
	v_mov_b32_e32 v13, v68
	s_waitcnt lgkmcnt(1)
	v_mov_b32_e32 v30, v9
	v_mov_b32_e32 v31, v120
	;; [unrolled: 1-line block ×6, first 2 shown]
	v_pk_mul_f32 v[30:31], v[30:31], v[68:69]
	ds_read_b128 v[112:115], v140 offset:6208
	v_mov_b32_e32 v11, v71
	v_pk_fma_f32 v[34:35], v[8:9], v[70:71], v[30:31] neg_lo:[0,0,1] neg_hi:[0,0,1]
	v_pk_fma_f32 v[4:5], v[4:5], v[12:13], v[30:31]
	s_waitcnt lgkmcnt(1)
	v_mov_b32_e32 v36, v87
	v_mov_b32_e32 v37, v8
	s_waitcnt vmcnt(7)
	v_mov_b32_e32 v73, v70
	v_mov_b32_e32 v35, v5
	scratch_load_dwordx4 v[30:33], off, off offset:96
	v_mov_b32_e32 v4, v72
	v_mov_b32_e32 v5, v74
	;; [unrolled: 1-line block ×4, first 2 shown]
	s_waitcnt vmcnt(6)
	v_pk_mul_f32 v[8:9], v[36:37], v[10:11]
	v_pk_add_f32 v[2:3], v[2:3], v[34:35] neg_lo:[0,1] neg_hi:[0,1]
	v_mov_b32_e32 v35, v10
	v_pk_fma_f32 v[10:11], v[86:87], v[4:5], v[8:9] neg_lo:[0,0,1] neg_hi:[0,0,1]
	v_pk_fma_f32 v[8:9], v[12:13], v[72:73], v[8:9]
	v_mov_b32_e32 v34, v77
	v_mov_b32_e32 v11, v9
	v_pk_add_f32 v[8:9], v[2:3], v[10:11] neg_lo:[0,1] neg_hi:[0,1]
	v_mov_b32_e32 v2, v87
	s_waitcnt lgkmcnt(0)
	v_mov_b32_e32 v3, v114
	v_pk_mul_f32 v[2:3], v[2:3], v[4:5]
	v_mov_b32_e32 v4, v115
	v_mov_b32_e32 v5, v86
	v_pk_fma_f32 v[38:39], v[4:5], v[34:35], v[2:3] op_sel:[0,0,1] op_sel_hi:[1,1,0] neg_lo:[1,0,0] neg_hi:[1,0,0]
	v_pk_fma_f32 v[2:3], v[4:5], v[34:35], v[2:3] op_sel:[0,0,1] op_sel_hi:[1,1,0]
	ds_read_b128 v[10:13], v140 offset:5952
	v_mov_b32_e32 v39, v3
	scratch_load_dwordx4 v[2:5], off, off offset:112
	ds_read_b128 v[90:93], v140 offset:5696
	ds_read_b128 v[102:105], v140 offset:5440
	v_mov_b32_e32 v37, v78
	v_mov_b32_e32 v78, v77
	v_pk_add_f32 v[8:9], v[8:9], v[38:39] neg_lo:[0,1] neg_hi:[0,1]
	v_mov_b32_e32 v38, v115
	s_waitcnt lgkmcnt(2)
	v_mov_b32_e32 v115, v13
	v_mov_b32_e32 v36, v76
	s_waitcnt vmcnt(6)
	v_mov_b32_e32 v34, v14
	v_mov_b32_e32 v35, v16
	;; [unrolled: 1-line block ×4, first 2 shown]
	v_pk_mul_f32 v[14:15], v[114:115], v[78:79]
	ds_read_b128 v[114:117], v140 offset:5184
	ds_read_b128 v[76:79], v140 offset:4416
	v_pk_fma_f32 v[42:43], v[38:39], v[36:37], v[14:15] neg_lo:[0,0,1] neg_hi:[0,0,1]
	v_pk_fma_f32 v[14:15], v[38:39], v[36:37], v[14:15]
	v_mov_b32_e32 v36, v13
	s_waitcnt lgkmcnt(3)
	v_mov_b32_e32 v13, v93
	v_mov_b32_e32 v37, v92
	v_pk_mul_f32 v[12:13], v[12:13], v[16:17]
	v_pk_mov_b32 v[14:15], v[42:43], v[14:15] op_sel:[1,0]
	v_pk_fma_f32 v[16:17], v[36:37], v[34:35], v[12:13] neg_lo:[0,0,1] neg_hi:[0,0,1]
	v_pk_fma_f32 v[12:13], v[36:37], v[34:35], v[12:13]
	scratch_load_dwordx4 v[46:49], off, off offset:144
	ds_read_b128 v[42:45], v140 offset:4928
	v_pk_add_f32 v[8:9], v[8:9], v[14:15] neg_lo:[0,1] neg_hi:[0,1]
	s_waitcnt vmcnt(6)
	v_mov_b32_e32 v15, v20
	v_mov_b32_e32 v20, v19
	v_pk_mov_b32 v[12:13], v[16:17], v[12:13] op_sel:[1,0]
	v_mov_b32_e32 v16, v93
	s_waitcnt lgkmcnt(3)
	v_mov_b32_e32 v93, v105
	v_mov_b32_e32 v14, v18
	;; [unrolled: 1-line block ×3, first 2 shown]
	v_pk_mul_f32 v[18:19], v[92:93], v[20:21]
	v_pk_add_f32 v[8:9], v[8:9], v[12:13] neg_lo:[0,1] neg_hi:[0,1]
	s_waitcnt vmcnt(5)
	v_mov_b32_e32 v13, v24
	v_mov_b32_e32 v24, v23
	v_pk_fma_f32 v[20:21], v[16:17], v[14:15], v[18:19] neg_lo:[0,0,1] neg_hi:[0,0,1]
	v_pk_fma_f32 v[14:15], v[16:17], v[14:15], v[18:19]
	v_mov_b32_e32 v16, v105
	s_waitcnt lgkmcnt(2)
	v_mov_b32_e32 v105, v117
	v_mov_b32_e32 v12, v22
	v_pk_mov_b32 v[14:15], v[20:21], v[14:15] op_sel:[1,0]
	v_mov_b32_e32 v17, v116
	v_pk_mul_f32 v[18:19], v[104:105], v[24:25]
	ds_read_b128 v[104:107], v140 offset:4672
	v_pk_add_f32 v[8:9], v[8:9], v[14:15] neg_lo:[0,1] neg_hi:[0,1]
	s_waitcnt vmcnt(4)
	v_mov_b32_e32 v15, v28
	v_mov_b32_e32 v28, v27
	v_pk_fma_f32 v[20:21], v[16:17], v[12:13], v[18:19] neg_lo:[0,0,1] neg_hi:[0,0,1]
	v_pk_fma_f32 v[12:13], v[16:17], v[12:13], v[18:19]
	v_mov_b32_e32 v16, v117
	s_waitcnt lgkmcnt(1)
	v_mov_b32_e32 v117, v45
	v_mov_b32_e32 v14, v26
	v_pk_mov_b32 v[12:13], v[20:21], v[12:13] op_sel:[1,0]
	v_mov_b32_e32 v17, v44
	scratch_load_dwordx2 v[52:53], off, off offset:168
	v_pk_mul_f32 v[20:21], v[116:117], v[28:29]
	v_pk_add_f32 v[8:9], v[8:9], v[12:13] neg_lo:[0,1] neg_hi:[0,1]
	v_pk_fma_f32 v[22:23], v[16:17], v[14:15], v[20:21] neg_lo:[0,0,1] neg_hi:[0,0,1]
	v_pk_fma_f32 v[14:15], v[16:17], v[14:15], v[20:21]
	s_waitcnt vmcnt(3)
	v_mov_b32_e32 v18, v31
	v_pk_mov_b32 v[14:15], v[22:23], v[14:15] op_sel:[1,0]
	v_mov_b32_e32 v19, v33
	v_pk_add_f32 v[8:9], v[8:9], v[14:15] neg_lo:[0,1] neg_hi:[0,1]
	v_mov_b32_e32 v14, v45
	s_waitcnt lgkmcnt(0)
	v_mov_b32_e32 v45, v107
	v_mov_b32_e32 v12, v30
	;; [unrolled: 1-line block ×4, first 2 shown]
	scratch_load_dwordx2 v[116:117], off, off
	scratch_load_dwordx4 v[28:31], off, off offset:16
	v_pk_mul_f32 v[16:17], v[44:45], v[18:19]
	ds_read_b128 v[92:95], v140 offset:4160
	v_pk_fma_f32 v[18:19], v[14:15], v[12:13], v[16:17] neg_lo:[0,0,1] neg_hi:[0,0,1]
	v_pk_fma_f32 v[12:13], v[14:15], v[12:13], v[16:17]
	scratch_load_dwordx4 v[36:39], off, off
	v_pk_mov_b32 v[12:13], v[18:19], v[12:13] op_sel:[1,0]
	scratch_load_dwordx4 v[24:27], off, off offset:24
	v_pk_add_f32 v[8:9], v[8:9], v[12:13] neg_lo:[0,1] neg_hi:[0,1]
	v_mul_f32_e32 v12, v107, v32
	v_fmac_f32_e32 v12, v106, v33
	ds_read_b128 v[106:109], v140 offset:3904
	v_sub_f32_e32 v9, v9, v12
	s_waitcnt vmcnt(6)
	v_mul_f32_e32 v12, v79, v3
	scratch_load_dwordx4 v[32:35], off, off offset:8
	v_fma_f32 v12, v78, v2, -v12
	v_mul_f32_e32 v13, v78, v3
	v_fmac_f32_e32 v13, v79, v2
	v_sub_f32_e32 v8, v8, v12
	s_waitcnt lgkmcnt(1)
	v_mul_f32_e32 v12, v95, v5
	v_sub_f32_e32 v9, v9, v13
	v_fma_f32 v12, v94, v4, -v12
	v_mul_f32_e32 v13, v94, v5
	v_fmac_f32_e32 v13, v95, v4
	v_sub_f32_e32 v8, v8, v12
	s_waitcnt lgkmcnt(0)
	v_mul_f32_e32 v12, v109, v61
	scratch_load_dwordx4 v[20:23], off, off offset:32
	v_sub_f32_e32 v9, v9, v13
	v_fma_f32 v44, v108, v60, -v12
	ds_read_b128 v[86:89], v140 offset:3648
	scratch_load_dwordx4 v[12:15], off, off offset:48
	scratch_load_dwordx4 v[16:19], off, off offset:40
	;; [unrolled: 1-line block ×3, first 2 shown]
	ds_read_b128 v[98:101], v140 offset:3392
	v_mul_f32_e32 v45, v108, v61
	v_fmac_f32_e32 v45, v109, v60
	ds_read_b128 v[78:81], v140 offset:3136
	ds_read_b128 v[68:71], v140 offset:2880
	v_sub_f32_e32 v9, v9, v45
	s_waitcnt lgkmcnt(3)
	v_mul_f32_e32 v45, v88, v63
	v_sub_f32_e32 v8, v8, v44
	v_mul_f32_e32 v44, v89, v63
	v_fmac_f32_e32 v45, v89, v62
	v_fma_f32 v44, v88, v62, -v44
	v_sub_f32_e32 v9, v9, v45
	s_waitcnt vmcnt(10) lgkmcnt(2)
	v_mul_f32_e32 v45, v100, v47
	v_sub_f32_e32 v8, v8, v44
	v_mul_f32_e32 v44, v101, v47
	v_fmac_f32_e32 v45, v101, v46
	ds_read_b128 v[72:75], v140 offset:2624
	ds_read_b128 v[64:67], v140 offset:2368
	v_fma_f32 v44, v100, v46, -v44
	v_sub_f32_e32 v9, v9, v45
	s_waitcnt lgkmcnt(3)
	v_mul_f32_e32 v45, v80, v49
	v_sub_f32_e32 v8, v8, v44
	v_mul_f32_e32 v44, v81, v49
	v_fmac_f32_e32 v45, v81, v48
	v_fma_f32 v44, v80, v48, -v44
	v_sub_f32_e32 v9, v9, v45
	s_waitcnt lgkmcnt(2)
	v_mul_f32_e32 v45, v70, v59
	v_sub_f32_e32 v8, v8, v44
	v_mul_f32_e32 v44, v71, v59
	v_fmac_f32_e32 v45, v71, v58
	v_fma_f32 v44, v70, v58, -v44
	v_sub_f32_e32 v9, v9, v45
	v_sub_f32_e32 v8, v8, v44
	s_waitcnt vmcnt(9) lgkmcnt(1)
	v_mul_f32_e32 v45, v74, v53
	v_mul_f32_e32 v44, v75, v53
	v_fmac_f32_e32 v45, v75, v52
	v_fma_f32 v44, v74, v52, -v44
	v_sub_f32_e32 v9, v9, v45
	v_sub_f32_e32 v8, v8, v44
	s_waitcnt lgkmcnt(0)
	v_mul_f32_e32 v44, v67, v9
	v_mul_f32_e32 v71, v66, v9
	scratch_load_dwordx4 v[56:59], off, off offset:72
	v_fma_f32 v70, v66, v8, -v44
	v_fmac_f32_e32 v71, v67, v8
	scratch_store_dwordx2 off, v[70:71], off offset:176
	s_waitcnt vmcnt(10)
	v_mul_f32_e32 v8, v97, v117
	v_mul_f32_e32 v9, v96, v117
	v_fma_f32 v8, v96, v116, -v8
	v_fmac_f32_e32 v9, v97, v116
	v_sub_f32_e32 v8, v54, v8
	v_sub_f32_e32 v9, v55, v9
	scratch_load_dwordx4 v[52:55], off, off offset:80
	s_waitcnt vmcnt(9)
	v_mul_f32_e32 v44, v41, v39
	v_mul_f32_e32 v39, v40, v39
	scratch_load_dwordx4 v[94:97], off, off offset:88
	v_fma_f32 v44, v40, v38, -v44
	v_fmac_f32_e32 v39, v41, v38
	v_sub_f32_e32 v8, v8, v44
	v_sub_f32_e32 v9, v9, v39
	v_mov_b32_e32 v39, v6
	s_waitcnt vmcnt(8)
	v_mul_f32_e32 v38, v111, v35
	v_mul_f32_e32 v35, v110, v35
	v_fma_f32 v38, v110, v34, -v38
	v_fmac_f32_e32 v35, v111, v34
	scratch_load_dwordx4 v[108:111], off, off offset:96
	v_mul_f32_e32 v34, v83, v31
	v_mul_f32_e32 v31, v82, v31
	v_sub_f32_e32 v8, v8, v38
	v_fma_f32 v34, v82, v30, -v34
	v_fmac_f32_e32 v31, v83, v30
	v_mul_f32_e32 v30, v119, v27
	v_mul_f32_e32 v27, v118, v27
	v_sub_f32_e32 v9, v9, v35
	v_sub_f32_e32 v8, v8, v34
	v_fma_f32 v30, v118, v26, -v30
	v_fmac_f32_e32 v27, v119, v26
	s_waitcnt vmcnt(8)
	v_mul_f32_e32 v26, v7, v23
	v_pk_add_f32 v[8:9], v[8:9], v[30:31] neg_lo:[0,1] neg_hi:[0,1]
	v_fma_f32 v26, v6, v22, -v26
	v_mov_b32_e32 v35, v22
	v_mov_b32_e32 v38, v85
	scratch_load_dwordx4 v[80:83], off, off offset:104
	s_waitcnt vmcnt(7)
	v_mov_b32_e32 v22, v19
	v_pk_add_f32 v[8:9], v[8:9], v[26:27] neg_lo:[0,1] neg_hi:[0,1]
	v_mov_b32_e32 v26, v14
	v_mov_b32_e32 v27, v18
	;; [unrolled: 1-line block ×5, first 2 shown]
	v_pk_mul_f32 v[6:7], v[38:39], v[22:23]
	v_mov_b32_e32 v18, v15
	v_pk_fma_f32 v[22:23], v[84:85], v[26:27], v[6:7] op_sel:[0,1,0] op_sel_hi:[1,0,1] neg_lo:[0,0,1] neg_hi:[0,0,1]
	v_pk_fma_f32 v[6:7], v[30:31], v[34:35], v[6:7]
	v_mov_b32_e32 v30, v113
	v_mov_b32_e32 v23, v7
	;; [unrolled: 1-line block ×3, first 2 shown]
	v_pk_add_f32 v[6:7], v[8:9], v[22:23] neg_lo:[0,1] neg_hi:[0,1]
	v_mov_b32_e32 v8, v14
	s_waitcnt vmcnt(6)
	v_mov_b32_e32 v9, v120
	v_mov_b32_e32 v22, v112
	v_mov_b32_e32 v23, v85
	v_pk_mul_f32 v[18:19], v[30:31], v[18:19]
	v_mov_b32_e32 v14, v121
	v_pk_fma_f32 v[30:31], v[112:113], v[8:9], v[18:19] neg_lo:[0,0,1] neg_hi:[0,0,1]
	v_pk_fma_f32 v[18:19], v[22:23], v[26:27], v[18:19]
	v_mov_b32_e32 v22, v113
	v_mov_b32_e32 v23, v10
	v_pk_mul_f32 v[8:9], v[22:23], v[8:9]
	v_mov_b32_e32 v22, v11
	v_mov_b32_e32 v23, v112
	;; [unrolled: 1-line block ×3, first 2 shown]
	v_pk_fma_f32 v[26:27], v[22:23], v[14:15], v[8:9] op_sel:[0,0,1] op_sel_hi:[1,1,0] neg_lo:[1,0,0] neg_hi:[1,0,0]
	v_pk_fma_f32 v[8:9], v[22:23], v[14:15], v[8:9] op_sel:[0,0,1] op_sel_hi:[1,1,0]
	v_pk_add_f32 v[6:7], v[6:7], v[30:31] neg_lo:[0,1] neg_hi:[0,1]
	v_mov_b32_e32 v27, v9
	v_pk_add_f32 v[14:15], v[6:7], v[26:27] neg_lo:[0,1] neg_hi:[0,1]
	scratch_load_dwordx4 v[6:9], off, off offset:120
	scratch_load_dwordx4 v[38:41], off, off offset:136
	v_mov_b32_e32 v19, v122
	v_mov_b32_e32 v122, v121
	;; [unrolled: 1-line block ×6, first 2 shown]
	v_pk_mul_f32 v[10:11], v[10:11], v[122:123]
	s_waitcnt vmcnt(7)
	v_mov_b32_e32 v23, v58
	v_mov_b32_e32 v58, v57
	v_pk_fma_f32 v[30:31], v[26:27], v[18:19], v[10:11] neg_lo:[0,0,1] neg_hi:[0,0,1]
	v_pk_fma_f32 v[10:11], v[26:27], v[18:19], v[10:11]
	v_mov_b32_e32 v18, v91
	v_mov_b32_e32 v91, v103
	v_mov_b32_e32 v22, v56
	v_pk_mov_b32 v[10:11], v[30:31], v[10:11] op_sel:[1,0]
	v_mov_b32_e32 v19, v102
	v_pk_mul_f32 v[26:27], v[90:91], v[58:59]
	scratch_load_dwordx4 v[56:59], off, off offset:152
	v_pk_add_f32 v[10:11], v[14:15], v[10:11] neg_lo:[0,1] neg_hi:[0,1]
	s_waitcnt vmcnt(6)
	v_mov_b32_e32 v15, v54
	v_mov_b32_e32 v54, v53
	v_pk_fma_f32 v[30:31], v[18:19], v[22:23], v[26:27] neg_lo:[0,0,1] neg_hi:[0,0,1]
	v_pk_fma_f32 v[18:19], v[18:19], v[22:23], v[26:27]
	v_mov_b32_e32 v22, v103
	v_mov_b32_e32 v103, v115
	;; [unrolled: 1-line block ×3, first 2 shown]
	v_pk_mov_b32 v[18:19], v[30:31], v[18:19] op_sel:[1,0]
	v_mov_b32_e32 v23, v114
	v_pk_mul_f32 v[26:27], v[102:103], v[54:55]
	scratch_load_dwordx4 v[52:55], off, off offset:160
	scratch_load_dwordx4 v[100:103], off, off offset:72
	v_pk_add_f32 v[10:11], v[10:11], v[18:19] neg_lo:[0,1] neg_hi:[0,1]
	s_waitcnt vmcnt(7)
	v_mov_b32_e32 v19, v96
	v_mov_b32_e32 v96, v95
	v_pk_fma_f32 v[30:31], v[22:23], v[14:15], v[26:27] neg_lo:[0,0,1] neg_hi:[0,0,1]
	v_pk_fma_f32 v[14:15], v[22:23], v[14:15], v[26:27]
	v_mov_b32_e32 v22, v115
	v_mov_b32_e32 v115, v43
	;; [unrolled: 1-line block ×3, first 2 shown]
	v_pk_mov_b32 v[14:15], v[30:31], v[14:15] op_sel:[1,0]
	v_mov_b32_e32 v23, v42
	v_pk_mul_f32 v[26:27], v[114:115], v[96:97]
	v_pk_add_f32 v[10:11], v[10:11], v[14:15] neg_lo:[0,1] neg_hi:[0,1]
	s_waitcnt vmcnt(6)
	v_mov_b32_e32 v15, v110
	v_mov_b32_e32 v110, v109
	v_pk_fma_f32 v[30:31], v[22:23], v[18:19], v[26:27] neg_lo:[0,0,1] neg_hi:[0,0,1]
	v_pk_fma_f32 v[18:19], v[22:23], v[18:19], v[26:27]
	v_mov_b32_e32 v22, v43
	v_mov_b32_e32 v43, v105
	;; [unrolled: 1-line block ×4, first 2 shown]
	v_pk_mul_f32 v[34:35], v[42:43], v[110:111]
	v_pk_mov_b32 v[18:19], v[30:31], v[18:19] op_sel:[1,0]
	v_pk_fma_f32 v[42:43], v[22:23], v[14:15], v[34:35] neg_lo:[0,0,1] neg_hi:[0,0,1]
	v_pk_fma_f32 v[14:15], v[22:23], v[14:15], v[34:35]
	v_pk_add_f32 v[10:11], v[10:11], v[18:19] neg_lo:[0,1] neg_hi:[0,1]
	v_pk_mov_b32 v[14:15], v[42:43], v[14:15] op_sel:[1,0]
	s_waitcnt vmcnt(5)
	v_mov_b32_e32 v26, v81
	v_mov_b32_e32 v27, v83
	v_pk_add_f32 v[10:11], v[10:11], v[14:15] neg_lo:[0,1] neg_hi:[0,1]
	v_mov_b32_e32 v14, v105
	v_mov_b32_e32 v105, v77
	;; [unrolled: 1-line block ×4, first 2 shown]
	scratch_load_dwordx2 v[30:31], off, off
	v_mov_b32_e32 v15, v76
	v_pk_mul_f32 v[26:27], v[104:105], v[26:27]
	scratch_load_dwordx2 v[22:23], off, off offset:8
	scratch_load_dwordx2 v[34:35], off, off offset:16
	v_pk_fma_f32 v[42:43], v[14:15], v[18:19], v[26:27] neg_lo:[0,0,1] neg_hi:[0,0,1]
	v_pk_fma_f32 v[14:15], v[14:15], v[18:19], v[26:27]
	scratch_load_dwordx4 v[108:111], off, off offset:96
	v_pk_mov_b32 v[14:15], v[42:43], v[14:15] op_sel:[1,0]
	scratch_load_dwordx4 v[112:115], off, off offset:104
	v_pk_add_f32 v[10:11], v[10:11], v[14:15] neg_lo:[0,1] neg_hi:[0,1]
	v_mul_f32_e32 v14, v77, v82
	v_fmac_f32_e32 v14, v76, v83
	scratch_load_dwordx4 v[74:77], off, off offset:80
	v_sub_f32_e32 v11, v11, v14
	v_mul_f32_e32 v14, v93, v5
	v_fma_f32 v14, v92, v4, -v14
	v_mul_f32_e32 v5, v92, v5
	v_fmac_f32_e32 v5, v93, v4
	v_sub_f32_e32 v4, v10, v14
	s_waitcnt vmcnt(10)
	v_mul_f32_e32 v10, v107, v9
	v_mul_f32_e32 v9, v106, v9
	v_fma_f32 v10, v106, v8, -v10
	v_fmac_f32_e32 v9, v107, v8
	scratch_load_dwordx4 v[104:107], off, off offset:88
	scratch_load_dwordx4 v[42:45], off, off offset:56
	;; [unrolled: 1-line block ×3, first 2 shown]
	scratch_load_dwordx2 v[14:15], off, off offset:24
	scratch_load_dwordx2 v[18:19], off, off offset:32
	v_sub_f32_e32 v5, v11, v5
	v_sub_f32_e32 v5, v5, v9
	v_mul_f32_e32 v9, v86, v63
	v_mul_f32_e32 v8, v87, v63
	v_fmac_f32_e32 v9, v87, v62
	v_sub_f32_e32 v4, v4, v10
	v_fma_f32 v8, v86, v62, -v8
	v_sub_f32_e32 v5, v5, v9
	s_waitcnt vmcnt(14)
	v_mul_f32_e32 v9, v98, v41
	v_sub_f32_e32 v4, v4, v8
	v_mul_f32_e32 v8, v99, v41
	v_fmac_f32_e32 v9, v99, v40
	v_fma_f32 v8, v98, v40, -v8
	v_sub_f32_e32 v5, v5, v9
	v_mul_f32_e32 v9, v78, v49
	v_sub_f32_e32 v4, v4, v8
	v_mul_f32_e32 v8, v79, v49
	v_fmac_f32_e32 v9, v79, v48
	v_fma_f32 v8, v78, v48, -v8
	v_sub_f32_e32 v5, v5, v9
	s_waitcnt vmcnt(13)
	v_mul_f32_e32 v9, v68, v59
	v_sub_f32_e32 v4, v4, v8
	v_mul_f32_e32 v8, v69, v59
	v_fmac_f32_e32 v9, v69, v58
	v_fma_f32 v8, v68, v58, -v8
	v_sub_f32_e32 v5, v5, v9
	s_waitcnt vmcnt(12)
	v_mul_f32_e32 v9, v72, v55
	v_sub_f32_e32 v4, v4, v8
	v_mul_f32_e32 v8, v73, v55
	v_fmac_f32_e32 v9, v73, v54
	v_fma_f32 v8, v72, v54, -v8
	v_sub_f32_e32 v5, v5, v9
	v_mul_f32_e32 v9, v64, v71
	v_sub_f32_e32 v4, v4, v8
	v_mul_f32_e32 v8, v65, v71
	v_fmac_f32_e32 v9, v65, v70
	ds_read_b128 v[92:95], v140 offset:7984
	v_fma_f32 v8, v64, v70, -v8
	v_sub_f32_e32 v5, v5, v9
	ds_read_b128 v[88:91], v140 offset:7728
	v_sub_f32_e32 v8, v4, v8
	v_mul_f32_e32 v4, v51, v5
	v_mul_f32_e32 v5, v50, v5
	ds_read_b128 v[96:99], v140 offset:7472
	v_fma_f32 v4, v50, v8, -v4
	v_fmac_f32_e32 v5, v51, v8
	ds_read_b128 v[48:51], v140 offset:5680
	ds_read_b128 v[84:87], v140 offset:5424
	;; [unrolled: 1-line block ×4, first 2 shown]
	s_waitcnt vmcnt(11)
	v_mov_b32_e32 v27, v100
	s_waitcnt vmcnt(10) lgkmcnt(6)
	v_mul_f32_e32 v8, v95, v31
	v_fma_f32 v120, v94, v30, -v8
	v_mul_f32_e32 v121, v94, v31
	s_waitcnt vmcnt(9) lgkmcnt(5)
	v_mul_f32_e32 v8, v91, v23
	v_fma_f32 v122, v90, v22, -v8
	s_waitcnt vmcnt(8) lgkmcnt(4)
	v_mul_f32_e32 v8, v99, v35
	v_mul_f32_e32 v35, v98, v35
	v_fma_f32 v123, v98, v34, -v8
	v_fmac_f32_e32 v35, v99, v34
	v_mov_b32_e32 v31, v102
	v_mov_b32_e32 v102, v101
	s_waitcnt lgkmcnt(3)
	v_mov_b32_e32 v34, v51
	v_mov_b32_e32 v54, v51
	s_waitcnt lgkmcnt(2)
	v_mov_b32_e32 v51, v87
	v_fmac_f32_e32 v121, v95, v30
	v_mul_f32_e32 v23, v90, v23
	v_mov_b32_e32 v30, v100
	s_waitcnt vmcnt(5)
	v_mov_b32_e32 v40, v74
	v_mov_b32_e32 v41, v76
	;; [unrolled: 1-line block ×4, first 2 shown]
	v_pk_mul_f32 v[58:59], v[50:51], v[102:103]
	ds_read_b128 v[72:75], v140 offset:4912
	v_fmac_f32_e32 v23, v91, v22
	v_pk_fma_f32 v[90:91], v[54:55], v[30:31], v[58:59] neg_lo:[0,0,1] neg_hi:[0,0,1]
	v_pk_fma_f32 v[30:31], v[54:55], v[30:31], v[58:59]
	v_mov_b32_e32 v58, v87
	s_waitcnt lgkmcnt(2)
	v_mov_b32_e32 v87, v83
	v_pk_mul_f32 v[62:63], v[86:87], v[76:77]
	ds_read_b128 v[76:79], v140 offset:4656
	v_mov_b32_e32 v59, v82
	s_waitcnt vmcnt(4)
	v_mov_b32_e32 v55, v106
	v_mov_b32_e32 v106, v105
	v_pk_fma_f32 v[86:87], v[58:59], v[40:41], v[62:63] neg_lo:[0,0,1] neg_hi:[0,0,1]
	v_pk_fma_f32 v[40:41], v[58:59], v[40:41], v[62:63]
	v_mov_b32_e32 v62, v83
	s_waitcnt lgkmcnt(1)
	v_mov_b32_e32 v83, v75
	v_mov_b32_e32 v54, v104
	;; [unrolled: 1-line block ×3, first 2 shown]
	v_pk_mul_f32 v[64:65], v[82:83], v[106:107]
	v_mov_b32_e32 v59, v110
	v_mov_b32_e32 v110, v109
	v_pk_fma_f32 v[82:83], v[62:63], v[54:55], v[64:65] neg_lo:[0,0,1] neg_hi:[0,0,1]
	v_pk_fma_f32 v[54:55], v[62:63], v[54:55], v[64:65]
	v_mov_b32_e32 v62, v75
	s_waitcnt lgkmcnt(0)
	v_mov_b32_e32 v75, v79
	v_mov_b32_e32 v58, v108
	;; [unrolled: 1-line block ×3, first 2 shown]
	v_pk_mul_f32 v[64:65], v[74:75], v[110:111]
	v_mov_b32_e32 v67, v114
	v_pk_fma_f32 v[74:75], v[62:63], v[58:59], v[64:65] neg_lo:[0,0,1] neg_hi:[0,0,1]
	v_pk_fma_f32 v[94:95], v[62:63], v[58:59], v[64:65]
	ds_read_b128 v[62:65], v140 offset:4144
	v_mov_b32_e32 v114, v113
	v_mov_b32_e32 v98, v79
	;; [unrolled: 1-line block ×5, first 2 shown]
	v_pk_mul_f32 v[78:79], v[78:79], v[114:115]
	ds_read_b128 v[8:11], v140 offset:7216
	s_waitcnt vmcnt(3)
	v_mov_b32_e32 v22, v44
	v_mov_b32_e32 v26, v44
	;; [unrolled: 1-line block ×3, first 2 shown]
	s_waitcnt vmcnt(2)
	v_mov_b32_e32 v100, v117
	v_mov_b32_e32 v101, v119
	v_pk_fma_f32 v[102:103], v[98:99], v[66:67], v[78:79] neg_lo:[0,0,1] neg_hi:[0,0,1]
	v_pk_fma_f32 v[78:79], v[98:99], v[66:67], v[78:79]
	v_mov_b32_e32 v66, v71
	s_waitcnt lgkmcnt(1)
	v_mov_b32_e32 v71, v65
	v_mov_b32_e32 v58, v116
	;; [unrolled: 1-line block ×4, first 2 shown]
	v_pk_mul_f32 v[70:71], v[70:71], v[100:101]
	v_mul_f32_e32 v100, v65, v118
	v_pk_fma_f32 v[98:99], v[66:67], v[58:59], v[70:71] neg_lo:[0,0,1] neg_hi:[0,0,1]
	v_pk_fma_f32 v[70:71], v[66:67], v[58:59], v[70:71]
	v_fmac_f32_e32 v100, v64, v119
	ds_read_b128 v[64:67], v140 offset:3888
	s_waitcnt vmcnt(1) lgkmcnt(1)
	v_mul_f32_e32 v51, v11, v15
	v_fma_f32 v51, v10, v14, -v51
	v_mul_f32_e32 v10, v10, v15
	v_fmac_f32_e32 v10, v11, v14
	s_waitcnt lgkmcnt(0)
	v_mul_f32_e32 v11, v67, v61
	v_mul_f32_e32 v104, v66, v61
	v_fma_f32 v101, v66, v60, -v11
	v_fmac_f32_e32 v104, v67, v60
	ds_read_b128 v[58:61], v140 offset:6960
	ds_read2_b64 v[116:119], v1 offset0:192 offset1:224
	ds_read_b128 v[112:115], v140 offset:6192
	ds_read_b128 v[108:111], v140 offset:5936
	s_waitcnt vmcnt(0) lgkmcnt(3)
	v_mul_f32_e32 v11, v61, v19
	v_fma_f32 v14, v60, v18, -v11
	v_mul_f32_e32 v11, v60, v19
	s_waitcnt lgkmcnt(2)
	v_sub_f32_e32 v15, v118, v120
	v_fmac_f32_e32 v11, v61, v18
	v_sub_f32_e32 v15, v15, v122
	v_sub_f32_e32 v18, v119, v121
	;; [unrolled: 1-line block ×8, first 2 shown]
	scratch_load_dwordx2 v[18:19], off, off offset:40
	ds_read_b128 v[118:121], v140 offset:6704
	scratch_load_dwordx2 v[60:61], off, off offset:56
	s_waitcnt lgkmcnt(1)
	v_mov_b32_e32 v35, v110
	s_waitcnt vmcnt(1) lgkmcnt(0)
	v_mul_f32_e32 v10, v121, v19
	v_fma_f32 v10, v120, v18, -v10
	v_pk_add_f32 v[10:11], v[14:15], v[10:11] neg_lo:[0,1] neg_hi:[0,1]
	scratch_load_dwordx2 v[14:15], off, off offset:48
	v_mul_f32_e32 v19, v120, v19
	v_fmac_f32_e32 v19, v121, v18
	ds_read_b128 v[120:123], v140 offset:6448
	s_waitcnt vmcnt(1)
	v_mov_b32_e32 v66, v60
	v_mov_b32_e32 v23, v60
	s_waitcnt vmcnt(0) lgkmcnt(0)
	v_mul_f32_e32 v18, v123, v15
	v_fma_f32 v18, v122, v14, -v18
	v_pk_add_f32 v[10:11], v[10:11], v[18:19] neg_lo:[0,1] neg_hi:[0,1]
	v_mov_b32_e32 v18, v115
	v_mov_b32_e32 v19, v122
	;; [unrolled: 1-line block ×4, first 2 shown]
	v_pk_mul_f32 v[14:15], v[18:19], v[14:15]
	v_mov_b32_e32 v18, v114
	v_mov_b32_e32 v19, v123
	v_pk_fma_f32 v[18:19], v[18:19], v[66:67], v[14:15]
	v_pk_fma_f32 v[14:15], v[114:115], v[60:61], v[14:15] neg_lo:[0,0,1] neg_hi:[0,0,1]
	v_mov_b32_e32 v60, v45
	v_mov_b32_e32 v15, v19
	v_pk_add_f32 v[10:11], v[10:11], v[14:15] neg_lo:[0,1] neg_hi:[0,1]
	v_mov_b32_e32 v14, v111
	v_mov_b32_e32 v15, v114
	v_pk_mul_f32 v[14:15], v[14:15], v[60:61]
	v_mov_b32_e32 v18, v110
	v_mov_b32_e32 v19, v115
	v_pk_fma_f32 v[18:19], v[18:19], v[22:23], v[14:15]
	v_pk_fma_f32 v[14:15], v[110:111], v[26:27], v[14:15] neg_lo:[0,0,1] neg_hi:[0,0,1]
	scratch_load_dwordx2 v[22:23], off, off offset:136
	v_mov_b32_e32 v15, v19
	v_pk_add_f32 v[10:11], v[10:11], v[14:15] neg_lo:[0,1] neg_hi:[0,1]
	v_mov_b32_e32 v14, v111
	v_mov_b32_e32 v15, v50
	v_pk_mul_f32 v[14:15], v[14:15], v[26:27]
	v_pk_mov_b32 v[26:27], v[74:75], v[94:95] op_sel:[1,0]
	v_pk_fma_f32 v[18:19], v[34:35], v[44:45], v[14:15] op_sel:[0,0,1] op_sel_hi:[1,1,0] neg_lo:[1,0,0] neg_hi:[1,0,0]
	v_pk_fma_f32 v[14:15], v[34:35], v[44:45], v[14:15] op_sel:[0,0,1] op_sel_hi:[1,1,0]
	v_pk_mov_b32 v[34:35], v[102:103], v[78:79] op_sel:[1,0]
	v_mov_b32_e32 v19, v15
	v_pk_add_f32 v[10:11], v[10:11], v[18:19] neg_lo:[0,1] neg_hi:[0,1]
	v_pk_mov_b32 v[14:15], v[90:91], v[30:31] op_sel:[1,0]
	v_pk_mov_b32 v[18:19], v[82:83], v[54:55] op_sel:[1,0]
	v_pk_add_f32 v[10:11], v[10:11], v[14:15] neg_lo:[0,1] neg_hi:[0,1]
	v_pk_mov_b32 v[14:15], v[86:87], v[40:41] op_sel:[1,0]
	scratch_load_dwordx2 v[30:31], off, off offset:16
	v_pk_add_f32 v[10:11], v[10:11], v[14:15] neg_lo:[0,1] neg_hi:[0,1]
	scratch_load_dwordx2 v[14:15], off, off
	v_pk_add_f32 v[10:11], v[10:11], v[18:19] neg_lo:[0,1] neg_hi:[0,1]
	scratch_load_dwordx2 v[18:19], off, off offset:8
	v_pk_add_f32 v[10:11], v[10:11], v[26:27] neg_lo:[0,1] neg_hi:[0,1]
	scratch_load_dwordx2 v[26:27], off, off offset:144
	scratch_load_dwordx2 v[40:41], off, off offset:152
	v_pk_add_f32 v[10:11], v[10:11], v[34:35] neg_lo:[0,1] neg_hi:[0,1]
	v_pk_mov_b32 v[44:45], v[98:99], v[70:71] op_sel:[1,0]
	scratch_load_dwordx2 v[34:35], off, off offset:24
	v_pk_add_f32 v[10:11], v[10:11], v[44:45] neg_lo:[0,1] neg_hi:[0,1]
	scratch_load_dwordx2 v[50:51], off, off offset:32
	v_sub_f32_e32 v55, v10, v101
	scratch_load_dwordx2 v[44:45], off, off offset:160
	v_sub_f32_e32 v54, v11, v100
	v_sub_f32_e32 v54, v54, v104
	ds_read_b128 v[102:105], v140 offset:3120
	ds_read_b128 v[98:101], v140 offset:2608
	s_waitcnt vmcnt(6)
	v_mul_f32_e32 v10, v93, v15
	v_mul_f32_e32 v67, v92, v15
	v_fma_f32 v66, v92, v14, -v10
	v_fmac_f32_e32 v67, v93, v14
	ds_read_b128 v[90:93], v140 offset:3632
	scratch_load_dwordx2 v[10:11], off, off offset:168
	s_waitcnt lgkmcnt(0)
	v_mul_f32_e32 v14, v93, v23
	v_mul_f32_e32 v23, v92, v23
	v_fma_f32 v60, v92, v22, -v14
	v_fmac_f32_e32 v23, v93, v22
	ds_read_b128 v[92:95], v140 offset:3376
	v_sub_f32_e32 v22, v55, v60
	v_sub_f32_e32 v23, v54, v23
	s_waitcnt vmcnt(6)
	v_mul_f32_e32 v54, v89, v19
	v_mul_f32_e32 v55, v88, v19
	scratch_load_dwordx2 v[14:15], off, off offset:176
	v_fma_f32 v54, v88, v18, -v54
	v_fmac_f32_e32 v55, v89, v18
	v_mul_f32_e32 v18, v97, v31
	v_fma_f32 v70, v96, v30, -v18
	scratch_load_dwordx2 v[18:19], off, off offset:40
	v_mul_f32_e32 v31, v96, v31
	v_fmac_f32_e32 v31, v97, v30
	s_waitcnt vmcnt(7) lgkmcnt(0)
	v_mul_f32_e32 v30, v95, v27
	v_fma_f32 v30, v94, v26, -v30
	v_mul_f32_e32 v27, v94, v27
	v_fmac_f32_e32 v27, v95, v26
	v_sub_f32_e32 v26, v22, v30
	s_waitcnt vmcnt(6)
	v_mul_f32_e32 v22, v105, v41
	v_sub_f32_e32 v27, v23, v27
	v_fma_f32 v30, v104, v40, -v22
	scratch_load_dwordx2 v[22:23], off, off offset:48
	v_mul_f32_e32 v41, v104, v41
	v_fmac_f32_e32 v41, v105, v40
	ds_read_b128 v[104:107], v140 offset:2864
	v_sub_f32_e32 v26, v26, v30
	s_waitcnt vmcnt(6)
	v_mul_f32_e32 v30, v9, v35
	v_fma_f32 v30, v8, v34, -v30
	v_mul_f32_e32 v35, v8, v35
	s_waitcnt vmcnt(5)
	v_mul_f32_e32 v8, v59, v51
	v_mul_f32_e32 v40, v58, v51
	v_fmac_f32_e32 v35, v9, v34
	v_fma_f32 v34, v58, v50, -v8
	v_fmac_f32_e32 v40, v59, v50
	ds_read_b128 v[58:61], v140 offset:2352
	s_waitcnt vmcnt(4) lgkmcnt(1)
	v_mul_f32_e32 v8, v107, v45
	v_fma_f32 v8, v106, v44, -v8
	v_mul_f32_e32 v9, v106, v45
	ds_read_b128 v[86:89], v140 offset:2096
	v_sub_f32_e32 v27, v27, v41
	v_fmac_f32_e32 v9, v107, v44
	v_sub_f32_e32 v8, v26, v8
	v_sub_f32_e32 v9, v27, v9
	ds_read_b128 v[94:97], v140 offset:1840
	v_sub_f32_e32 v41, v117, v67
	s_waitcnt vmcnt(3)
	v_mul_f32_e32 v26, v101, v11
	v_mul_f32_e32 v11, v100, v11
	v_fmac_f32_e32 v11, v101, v10
	v_fma_f32 v26, v100, v10, -v26
	v_sub_f32_e32 v9, v9, v11
	v_sub_f32_e32 v8, v8, v26
	s_waitcnt vmcnt(2) lgkmcnt(2)
	v_mul_f32_e32 v10, v61, v15
	v_mul_f32_e32 v11, v60, v15
	v_fma_f32 v10, v60, v14, -v10
	v_fmac_f32_e32 v11, v61, v14
	v_sub_f32_e32 v9, v9, v11
	s_waitcnt vmcnt(1)
	v_mul_f32_e32 v14, v119, v19
	v_fma_f32 v44, v118, v18, -v14
	s_waitcnt lgkmcnt(1)
	v_mul_f32_e32 v14, v88, v5
	v_mul_f32_e32 v11, v89, v5
	v_fmac_f32_e32 v14, v89, v4
	v_sub_f32_e32 v8, v8, v10
	v_fma_f32 v11, v88, v4, -v11
	v_sub_f32_e32 v9, v9, v14
	v_mul_f32_e32 v15, v118, v19
	v_sub_f32_e32 v8, v8, v11
	s_waitcnt lgkmcnt(0)
	v_mul_f32_e32 v11, v97, v9
	v_mul_f32_e32 v131, v96, v9
	v_sub_f32_e32 v10, v116, v66
	v_fmac_f32_e32 v15, v119, v18
	v_fma_f32 v130, v96, v8, -v11
	v_fmac_f32_e32 v131, v97, v8
	s_waitcnt vmcnt(0)
	v_mul_f32_e32 v8, v121, v23
	scratch_load_dwordx2 v[18:19], off, off offset:56
	v_sub_f32_e32 v45, v10, v54
	v_fma_f32 v14, v120, v22, -v8
	scratch_load_dwordx4 v[8:11], off, off offset:64
	scratch_load_dwordx2 v[26:27], off, off offset:64
	scratch_load_dwordx4 v[114:117], off, off offset:80
	scratch_load_dwordx2 v[74:75], off, off
	v_mul_f32_e32 v23, v120, v23
	v_fmac_f32_e32 v23, v121, v22
	v_sub_f32_e32 v22, v41, v55
	v_sub_f32_e32 v41, v45, v70
	;; [unrolled: 1-line block ×8, first 2 shown]
	v_mov_b32_e32 v41, v112
	v_mov_b32_e32 v40, v109
	v_pk_add_f32 v[14:15], v[30:31], v[14:15] neg_lo:[0,1] neg_hi:[0,1]
	v_mov_b32_e32 v30, v108
	v_mov_b32_e32 v31, v113
	scratch_load_dwordx4 v[118:121], off, off offset:96
	scratch_load_dwordx2 v[60:61], off, off offset:176
	scratch_load_dwordx2 v[54:55], off, off offset:168
	s_waitcnt vmcnt(7)
	v_mul_f32_e32 v22, v113, v19
	v_fma_f32 v22, v112, v18, -v22
	v_mov_b32_e32 v35, v18
	s_waitcnt vmcnt(5)
	v_mov_b32_e32 v18, v27
	v_mov_b32_e32 v34, v26
	v_pk_mul_f32 v[18:19], v[40:41], v[18:19]
	v_pk_add_f32 v[14:15], v[14:15], v[22:23] neg_lo:[0,1] neg_hi:[0,1]
	v_mov_b32_e32 v23, v26
	scratch_load_dwordx4 v[110:113], off, off offset:88
	v_mov_b32_e32 v41, v27
	v_pk_fma_f32 v[26:27], v[108:109], v[26:27], v[18:19] neg_lo:[0,0,1] neg_hi:[0,0,1]
	v_pk_fma_f32 v[18:19], v[30:31], v[34:35], v[18:19]
	v_mov_b32_e32 v40, v11
	v_mov_b32_e32 v27, v19
	;; [unrolled: 1-line block ×5, first 2 shown]
	v_pk_add_f32 v[14:15], v[14:15], v[26:27] neg_lo:[0,1] neg_hi:[0,1]
	v_mov_b32_e32 v18, v10
	s_waitcnt vmcnt(5)
	v_mov_b32_e32 v19, v114
	v_mov_b32_e32 v26, v48
	;; [unrolled: 1-line block ×3, first 2 shown]
	v_pk_mul_f32 v[30:31], v[30:31], v[40:41]
	scratch_load_dwordx4 v[106:109], off, off offset:104
	v_pk_fma_f32 v[22:23], v[26:27], v[22:23], v[30:31]
	v_pk_fma_f32 v[26:27], v[48:49], v[18:19], v[30:31] neg_lo:[0,0,1] neg_hi:[0,0,1]
	v_mov_b32_e32 v30, v85
	v_mov_b32_e32 v27, v23
	v_pk_add_f32 v[14:15], v[14:15], v[26:27] neg_lo:[0,1] neg_hi:[0,1]
	v_mov_b32_e32 v23, v116
	v_mov_b32_e32 v116, v115
	;; [unrolled: 1-line block ×4, first 2 shown]
	v_pk_mul_f32 v[34:35], v[84:85], v[116:117]
	v_mov_b32_e32 v41, v84
	scratch_load_dwordx4 v[82:85], off, off offset:112
	v_mov_b32_e32 v10, v115
	v_mov_b32_e32 v22, v114
	scratch_load_dwordx4 v[114:117], off, off offset:120
	v_mov_b32_e32 v40, v49
	v_mov_b32_e32 v27, v48
	v_pk_mul_f32 v[18:19], v[40:41], v[18:19]
	v_mov_b32_e32 v31, v80
	v_pk_fma_f32 v[40:41], v[26:27], v[10:11], v[18:19] op_sel:[0,0,1] op_sel_hi:[1,1,0] neg_lo:[1,0,0] neg_hi:[1,0,0]
	v_pk_fma_f32 v[10:11], v[26:27], v[10:11], v[18:19] op_sel:[0,0,1] op_sel_hi:[1,1,0]
	scratch_load_dwordx2 v[26:27], off, off offset:144
	v_mov_b32_e32 v41, v11
	v_pk_fma_f32 v[10:11], v[30:31], v[22:23], v[34:35] neg_lo:[0,0,1] neg_hi:[0,0,1]
	v_pk_fma_f32 v[18:19], v[30:31], v[22:23], v[34:35]
	scratch_load_dwordx2 v[30:31], off, off offset:152
	scratch_load_dwordx2 v[34:35], off, off offset:160
	v_pk_add_f32 v[14:15], v[14:15], v[40:41] neg_lo:[0,1] neg_hi:[0,1]
	v_pk_mov_b32 v[10:11], v[10:11], v[18:19] op_sel:[1,0]
	s_waitcnt vmcnt(9)
	v_mov_b32_e32 v41, v120
	v_pk_add_f32 v[10:11], v[14:15], v[10:11] neg_lo:[0,1] neg_hi:[0,1]
	v_mov_b32_e32 v14, v81
	v_mov_b32_e32 v81, v73
	;; [unrolled: 1-line block ×5, first 2 shown]
	ds_read2_b64 v[48:51], v1 offset0:128 offset1:160
	s_waitcnt vmcnt(6)
	v_mov_b32_e32 v23, v112
	v_mov_b32_e32 v112, v111
	;; [unrolled: 1-line block ×3, first 2 shown]
	v_pk_mul_f32 v[18:19], v[80:81], v[112:113]
	s_nop 0
	v_pk_fma_f32 v[44:45], v[14:15], v[22:23], v[18:19] neg_lo:[0,0,1] neg_hi:[0,0,1]
	v_pk_fma_f32 v[14:15], v[14:15], v[22:23], v[18:19]
	v_mov_b32_e32 v18, v73
	v_mov_b32_e32 v73, v77
	v_pk_mov_b32 v[14:15], v[44:45], v[14:15] op_sel:[1,0]
	v_mov_b32_e32 v19, v76
	v_pk_mul_f32 v[22:23], v[72:73], v[120:121]
	v_pk_add_f32 v[10:11], v[10:11], v[14:15] neg_lo:[0,1] neg_hi:[0,1]
	v_pk_fma_f32 v[44:45], v[18:19], v[40:41], v[22:23] neg_lo:[0,0,1] neg_hi:[0,0,1]
	v_pk_fma_f32 v[18:19], v[18:19], v[40:41], v[22:23]
	s_waitcnt vmcnt(5)
	v_mov_b32_e32 v15, v108
	v_mov_b32_e32 v108, v107
	;; [unrolled: 1-line block ×5, first 2 shown]
	v_pk_mov_b32 v[18:19], v[44:45], v[18:19] op_sel:[1,0]
	v_mov_b32_e32 v23, v68
	v_pk_mul_f32 v[40:41], v[76:77], v[108:109]
	v_pk_add_f32 v[10:11], v[10:11], v[18:19] neg_lo:[0,1] neg_hi:[0,1]
	v_pk_fma_f32 v[44:45], v[22:23], v[14:15], v[40:41] neg_lo:[0,0,1] neg_hi:[0,0,1]
	v_pk_fma_f32 v[14:15], v[22:23], v[14:15], v[40:41]
	v_mov_b32_e32 v22, v69
	s_waitcnt vmcnt(4)
	v_mov_b32_e32 v19, v84
	v_mov_b32_e32 v84, v83
	;; [unrolled: 1-line block ×4, first 2 shown]
	v_pk_mov_b32 v[14:15], v[44:45], v[14:15] op_sel:[1,0]
	v_mov_b32_e32 v23, v62
	v_pk_mul_f32 v[44:45], v[68:69], v[84:85]
	scratch_load_dwordx2 v[76:77], off, off offset:8
	v_pk_fma_f32 v[66:67], v[22:23], v[18:19], v[44:45] neg_lo:[0,0,1] neg_hi:[0,0,1]
	v_pk_fma_f32 v[18:19], v[22:23], v[18:19], v[44:45]
	v_pk_add_f32 v[10:11], v[10:11], v[14:15] neg_lo:[0,1] neg_hi:[0,1]
	s_waitcnt vmcnt(4)
	v_mov_b32_e32 v40, v115
	v_mov_b32_e32 v41, v117
	v_pk_mov_b32 v[18:19], v[66:67], v[18:19] op_sel:[1,0]
	v_mov_b32_e32 v22, v63
	v_mov_b32_e32 v63, v65
	;; [unrolled: 1-line block ×4, first 2 shown]
	v_pk_add_f32 v[18:19], v[10:11], v[18:19] neg_lo:[0,1] neg_hi:[0,1]
	v_mov_b32_e32 v23, v64
	v_pk_mul_f32 v[40:41], v[62:63], v[40:41]
	scratch_load_dwordx2 v[10:11], off, off offset:16
	v_pk_fma_f32 v[44:45], v[22:23], v[14:15], v[40:41] neg_lo:[0,0,1] neg_hi:[0,0,1]
	v_pk_fma_f32 v[14:15], v[22:23], v[14:15], v[40:41]
	v_mul_f32_e32 v22, v91, v39
	v_pk_mov_b32 v[14:15], v[44:45], v[14:15] op_sel:[1,0]
	v_mul_f32_e32 v23, v90, v39
	v_pk_add_f32 v[18:19], v[18:19], v[14:15] neg_lo:[0,1] neg_hi:[0,1]
	v_mul_f32_e32 v14, v65, v116
	v_fmac_f32_e32 v14, v64, v117
	v_sub_f32_e32 v19, v19, v14
	scratch_load_dwordx2 v[14:15], off, off offset:24
	v_fma_f32 v22, v90, v38, -v22
	v_fmac_f32_e32 v23, v91, v38
	s_waitcnt vmcnt(5)
	v_mul_f32_e32 v38, v93, v27
	v_mul_f32_e32 v27, v92, v27
	v_sub_f32_e32 v22, v18, v22
	v_sub_f32_e32 v23, v19, v23
	scratch_load_dwordx2 v[18:19], off, off offset:32
	v_fma_f32 v38, v92, v26, -v38
	v_fmac_f32_e32 v27, v93, v26
	v_sub_f32_e32 v26, v22, v38
	v_sub_f32_e32 v27, v23, v27
	s_waitcnt vmcnt(5)
	v_mul_f32_e32 v38, v103, v31
	scratch_load_dwordx2 v[22:23], off, off offset:40
	v_mul_f32_e32 v31, v102, v31
	v_fma_f32 v38, v102, v30, -v38
	v_fmac_f32_e32 v31, v103, v30
	v_sub_f32_e32 v30, v26, v38
	v_sub_f32_e32 v31, v27, v31
	s_waitcnt vmcnt(5)
	v_mul_f32_e32 v38, v105, v35
	scratch_load_dwordx2 v[26:27], off, off offset:48
	v_mul_f32_e32 v35, v104, v35
	v_fmac_f32_e32 v35, v105, v34
	v_fma_f32 v38, v104, v34, -v38
	v_sub_f32_e32 v31, v31, v35
	v_mul_f32_e32 v34, v99, v55
	scratch_load_dwordx2 v[44:45], off, off offset:56
	v_mul_f32_e32 v35, v98, v55
	v_sub_f32_e32 v30, v30, v38
	v_fma_f32 v34, v98, v54, -v34
	v_fmac_f32_e32 v35, v99, v54
	v_sub_f32_e32 v54, v30, v34
	v_sub_f32_e32 v55, v31, v35
	v_mul_f32_e32 v34, v59, v61
	scratch_load_dwordx2 v[30:31], off, off offset:64
	v_fma_f32 v62, v58, v60, -v34
	scratch_load_dwordx4 v[38:41], off, off offset:72
	scratch_load_dwordx2 v[34:35], off, off offset:72
	v_sub_f32_e32 v54, v54, v62
	scratch_load_dwordx4 v[62:65], off, off offset:88
	v_mul_f32_e32 v58, v58, v61
	v_fmac_f32_e32 v58, v59, v60
	v_sub_f32_e32 v55, v55, v58
	v_mul_f32_e32 v58, v87, v5
	v_mul_f32_e32 v59, v86, v5
	ds_read_b128 v[66:69], v140 offset:7968
	v_fma_f32 v58, v86, v4, -v58
	v_fmac_f32_e32 v59, v87, v4
	v_sub_f32_e32 v54, v54, v58
	v_sub_f32_e32 v55, v55, v59
	v_mul_f32_e32 v58, v95, v131
	v_mul_f32_e32 v59, v94, v131
	ds_read_b128 v[70:73], v140 offset:7712
	ds_read_b128 v[80:83], v140 offset:6688
	v_fma_f32 v58, v94, v130, -v58
	v_fmac_f32_e32 v59, v95, v130
	v_sub_f32_e32 v127, v54, v58
	v_sub_f32_e32 v128, v55, v59
	ds_read_b128 v[58:61], v140 offset:7456
	s_waitcnt lgkmcnt(3)
	v_mul_f32_e32 v54, v69, v75
	v_fma_f32 v54, v68, v74, -v54
	v_mul_f32_e32 v55, v68, v75
	v_fmac_f32_e32 v55, v69, v74
	v_sub_f32_e32 v50, v50, v54
	s_waitcnt vmcnt(10) lgkmcnt(2)
	v_mul_f32_e32 v54, v73, v77
	v_sub_f32_e32 v51, v51, v55
	v_fma_f32 v54, v72, v76, -v54
	v_mul_f32_e32 v55, v72, v77
	v_fmac_f32_e32 v55, v73, v76
	v_sub_f32_e32 v54, v50, v54
	ds_read_b128 v[72:75], v140 offset:7200
	ds_read_b128 v[76:79], v140 offset:6944
	s_waitcnt vmcnt(9) lgkmcnt(2)
	v_mul_f32_e32 v50, v61, v11
	v_mul_f32_e32 v11, v60, v11
	v_sub_f32_e32 v55, v51, v55
	v_fma_f32 v68, v60, v10, -v50
	scratch_load_dwordx2 v[50:51], off, off
	v_fmac_f32_e32 v11, v61, v10
	v_sub_f32_e32 v55, v55, v11
	scratch_load_dwordx2 v[10:11], off, off offset:8
	ds_read_b128 v[84:87], v140 offset:6432
	s_waitcnt vmcnt(10) lgkmcnt(2)
	v_mul_f32_e32 v60, v75, v15
	v_sub_f32_e32 v54, v54, v68
	v_fma_f32 v60, v74, v14, -v60
	v_mul_f32_e32 v15, v74, v15
	v_fmac_f32_e32 v15, v75, v14
	v_sub_f32_e32 v14, v54, v60
	ds_read_b128 v[134:137], v140 offset:6176
	ds_read_b128 v[142:145], v140 offset:5920
	s_waitcnt vmcnt(9) lgkmcnt(3)
	v_mul_f32_e32 v54, v79, v19
	v_mul_f32_e32 v19, v78, v19
	v_fma_f32 v54, v78, v18, -v54
	v_fmac_f32_e32 v19, v79, v18
	v_sub_f32_e32 v15, v55, v15
	s_waitcnt vmcnt(8)
	v_mul_f32_e32 v18, v83, v23
	v_sub_f32_e32 v14, v14, v54
	v_fma_f32 v18, v82, v22, -v18
	v_sub_f32_e32 v15, v15, v19
	v_mul_f32_e32 v19, v82, v23
	v_sub_f32_e32 v14, v14, v18
	scratch_load_dwordx4 v[88:91], off, off offset:96
	scratch_load_dwordx4 v[96:99], off, off offset:112
	s_waitcnt vmcnt(9) lgkmcnt(2)
	v_mul_f32_e32 v18, v87, v27
	ds_read_b128 v[112:115], v140 offset:5664
	ds_read_b128 v[108:111], v140 offset:5408
	v_fmac_f32_e32 v19, v83, v22
	v_fma_f32 v18, v86, v26, -v18
	v_sub_f32_e32 v15, v15, v19
	v_mul_f32_e32 v19, v86, v27
	v_sub_f32_e32 v14, v14, v18
	s_waitcnt vmcnt(8) lgkmcnt(3)
	v_mul_f32_e32 v18, v137, v45
	v_fmac_f32_e32 v19, v87, v26
	v_fma_f32 v18, v136, v44, -v18
	v_mul_f32_e32 v23, v136, v45
	v_pk_add_f32 v[14:15], v[14:15], v[18:19] neg_lo:[0,1] neg_hi:[0,1]
	scratch_load_dwordx4 v[92:95], off, off offset:104
	s_waitcnt vmcnt(8) lgkmcnt(2)
	v_mul_f32_e32 v18, v145, v31
	v_fmac_f32_e32 v23, v137, v44
	v_fma_f32 v22, v144, v30, -v18
	v_mov_b32_e32 v27, v30
	s_waitcnt lgkmcnt(1)
	v_mov_b32_e32 v54, v115
	v_mov_b32_e32 v55, v144
	s_waitcnt vmcnt(6)
	v_mov_b32_e32 v30, v35
	v_pk_add_f32 v[14:15], v[14:15], v[22:23] neg_lo:[0,1] neg_hi:[0,1]
	v_mov_b32_e32 v22, v114
	v_mov_b32_e32 v23, v145
	v_mov_b32_e32 v26, v34
	v_pk_mul_f32 v[30:31], v[54:55], v[30:31]
	v_mov_b32_e32 v19, v34
	v_mov_b32_e32 v45, v35
	v_pk_fma_f32 v[34:35], v[114:115], v[34:35], v[30:31] neg_lo:[0,0,1] neg_hi:[0,0,1]
	v_pk_fma_f32 v[22:23], v[22:23], v[26:27], v[30:31]
	v_mov_b32_e32 v44, v41
	v_mov_b32_e32 v35, v23
	v_pk_add_f32 v[14:15], v[14:15], v[34:35] neg_lo:[0,1] neg_hi:[0,1]
	s_waitcnt lgkmcnt(0)
	v_mov_b32_e32 v34, v111
	v_mov_b32_e32 v35, v114
	;; [unrolled: 1-line block ×4, first 2 shown]
	s_waitcnt vmcnt(5)
	v_mov_b32_e32 v23, v62
	v_mov_b32_e32 v26, v110
	scratch_load_dwordx2 v[30:31], off, off offset:16
	v_mov_b32_e32 v27, v115
	v_pk_mul_f32 v[34:35], v[34:35], v[44:45]
	scratch_load_dwordx4 v[136:139], off, off offset:120
	v_pk_fma_f32 v[44:45], v[110:111], v[22:23], v[34:35] neg_lo:[0,0,1] neg_hi:[0,0,1]
	v_pk_fma_f32 v[18:19], v[26:27], v[18:19], v[34:35]
	scratch_load_dwordx2 v[54:55], off, off offset:24
	v_mov_b32_e32 v45, v19
	scratch_load_dwordx2 v[18:19], off, off offset:32
	scratch_load_dwordx4 v[144:147], off, off offset:128
	ds_read_b128 v[118:121], v140 offset:5152
	ds_read_b128 v[122:125], v140 offset:4896
	v_mov_b32_e32 v40, v63
	ds_read_b128 v[114:117], v140 offset:4640
	v_pk_add_f32 v[14:15], v[14:15], v[44:45] neg_lo:[0,1] neg_hi:[0,1]
	s_waitcnt vmcnt(9)
	v_mul_f32_e32 v26, v67, v51
	v_fma_f32 v78, v66, v50, -v26
	v_mul_f32_e32 v51, v66, v51
	s_waitcnt vmcnt(8)
	v_mul_f32_e32 v26, v71, v11
	v_fmac_f32_e32 v51, v67, v50
	v_fma_f32 v50, v70, v10, -v26
	v_mov_b32_e32 v26, v111
	s_waitcnt lgkmcnt(2)
	v_mov_b32_e32 v27, v120
	v_pk_mul_f32 v[22:23], v[26:27], v[22:23]
	v_mov_b32_e32 v26, v121
	v_mov_b32_e32 v27, v110
	v_pk_fma_f32 v[34:35], v[26:27], v[40:41], v[22:23] op_sel:[0,0,1] op_sel_hi:[1,1,0] neg_lo:[1,0,0] neg_hi:[1,0,0]
	v_pk_fma_f32 v[22:23], v[26:27], v[40:41], v[22:23] op_sel:[0,0,1] op_sel_hi:[1,1,0]
	v_mul_f32_e32 v129, v70, v11
	v_mov_b32_e32 v11, v64
	v_mov_b32_e32 v64, v63
	;; [unrolled: 1-line block ×3, first 2 shown]
	s_waitcnt lgkmcnt(1)
	v_mov_b32_e32 v121, v125
	v_fmac_f32_e32 v129, v71, v10
	v_mov_b32_e32 v10, v62
	v_mov_b32_e32 v35, v23
	;; [unrolled: 1-line block ×3, first 2 shown]
	v_pk_mul_f32 v[26:27], v[120:121], v[64:65]
	v_pk_add_f32 v[14:15], v[14:15], v[34:35] neg_lo:[0,1] neg_hi:[0,1]
	v_pk_fma_f32 v[34:35], v[22:23], v[10:11], v[26:27] neg_lo:[0,0,1] neg_hi:[0,0,1]
	v_pk_fma_f32 v[10:11], v[22:23], v[10:11], v[26:27]
	ds_read_b128 v[100:103], v140 offset:4384
	ds_read_b128 v[104:107], v140 offset:4128
	v_pk_mov_b32 v[10:11], v[34:35], v[10:11] op_sel:[1,0]
	s_waitcnt vmcnt(7)
	v_mov_b32_e32 v23, v90
	v_mov_b32_e32 v90, v89
	v_pk_add_f32 v[10:11], v[14:15], v[10:11] neg_lo:[0,1] neg_hi:[0,1]
	v_mov_b32_e32 v14, v125
	s_waitcnt lgkmcnt(2)
	v_mov_b32_e32 v125, v117
	v_mov_b32_e32 v22, v88
	;; [unrolled: 1-line block ×3, first 2 shown]
	v_pk_mul_f32 v[26:27], v[124:125], v[90:91]
	ds_read_b128 v[68:71], v140 offset:3360
	v_pk_fma_f32 v[34:35], v[14:15], v[22:23], v[26:27] neg_lo:[0,0,1] neg_hi:[0,0,1]
	v_pk_fma_f32 v[14:15], v[14:15], v[22:23], v[26:27]
	s_waitcnt vmcnt(5)
	v_mov_b32_e32 v23, v94
	v_pk_mov_b32 v[14:15], v[34:35], v[14:15] op_sel:[1,0]
	v_mov_b32_e32 v94, v93
	v_pk_add_f32 v[10:11], v[10:11], v[14:15] neg_lo:[0,1] neg_hi:[0,1]
	v_mov_b32_e32 v14, v117
	s_waitcnt lgkmcnt(2)
	v_mov_b32_e32 v117, v103
	v_mov_b32_e32 v22, v92
	;; [unrolled: 1-line block ×3, first 2 shown]
	v_pk_mul_f32 v[26:27], v[116:117], v[94:95]
	ds_read_b128 v[92:95], v140 offset:3872
	v_pk_fma_f32 v[34:35], v[14:15], v[22:23], v[26:27] neg_lo:[0,0,1] neg_hi:[0,0,1]
	v_pk_fma_f32 v[14:15], v[14:15], v[22:23], v[26:27]
	v_mov_b32_e32 v23, v98
	v_pk_mov_b32 v[14:15], v[34:35], v[14:15] op_sel:[1,0]
	v_mov_b32_e32 v98, v97
	v_pk_add_f32 v[10:11], v[10:11], v[14:15] neg_lo:[0,1] neg_hi:[0,1]
	v_mov_b32_e32 v14, v103
	s_waitcnt lgkmcnt(2)
	v_mov_b32_e32 v103, v107
	v_mov_b32_e32 v22, v96
	;; [unrolled: 1-line block ×3, first 2 shown]
	v_pk_mul_f32 v[26:27], v[102:103], v[98:99]
	ds_read_b128 v[96:99], v140 offset:3616
	v_pk_fma_f32 v[34:35], v[14:15], v[22:23], v[26:27] neg_lo:[0,0,1] neg_hi:[0,0,1]
	v_pk_fma_f32 v[14:15], v[14:15], v[22:23], v[26:27]
	s_waitcnt vmcnt(4)
	v_mul_f32_e32 v26, v59, v31
	v_mul_f32_e32 v103, v58, v31
	v_fma_f32 v102, v58, v30, -v26
	v_fmac_f32_e32 v103, v59, v30
	ds_read2_b64 v[58:61], v140 offset0:132 offset1:198
	s_waitcnt vmcnt(3)
	v_mov_b32_e32 v23, v138
	v_mov_b32_e32 v138, v137
	s_waitcnt vmcnt(2)
	v_mul_f32_e32 v26, v73, v55
	v_mul_f32_e32 v55, v72, v55
	v_mov_b32_e32 v30, v107
	s_waitcnt vmcnt(1)
	v_mul_f32_e32 v40, v77, v19
	s_waitcnt lgkmcnt(2)
	v_mov_b32_e32 v107, v95
	v_mov_b32_e32 v22, v136
	v_fma_f32 v110, v72, v54, -v26
	v_fmac_f32_e32 v55, v73, v54
	v_mov_b32_e32 v31, v94
	v_fma_f32 v54, v76, v18, -v40
	v_mul_f32_e32 v111, v76, v19
	v_pk_mul_f32 v[40:41], v[106:107], v[138:139]
	v_fmac_f32_e32 v111, v77, v18
	s_waitcnt vmcnt(0)
	v_mov_b32_e32 v18, v145
	v_mov_b32_e32 v19, v147
	v_pk_fma_f32 v[44:45], v[30:31], v[22:23], v[40:41] neg_lo:[0,0,1] neg_hi:[0,0,1]
	v_pk_fma_f32 v[22:23], v[30:31], v[22:23], v[40:41]
	v_mov_b32_e32 v30, v95
	s_waitcnt lgkmcnt(1)
	v_mov_b32_e32 v95, v99
	v_mov_b32_e32 v26, v144
	;; [unrolled: 1-line block ×4, first 2 shown]
	v_pk_mul_f32 v[18:19], v[94:95], v[18:19]
	v_pk_mov_b32 v[14:15], v[34:35], v[14:15] op_sel:[1,0]
	v_pk_fma_f32 v[40:41], v[30:31], v[26:27], v[18:19] neg_lo:[0,0,1] neg_hi:[0,0,1]
	v_pk_fma_f32 v[18:19], v[30:31], v[26:27], v[18:19]
	s_waitcnt lgkmcnt(0)
	v_mul_f32_e32 v26, v61, v128
	v_pk_add_f32 v[10:11], v[10:11], v[14:15] neg_lo:[0,1] neg_hi:[0,1]
	scratch_load_dwordx2 v[14:15], off, off offset:40
	v_fma_f32 v132, v60, v127, -v26
	scratch_load_dwordx2 v[26:27], off, off offset:48
	v_pk_mov_b32 v[22:23], v[44:45], v[22:23] op_sel:[1,0]
	v_mul_f32_e32 v30, v71, v47
	v_pk_add_f32 v[10:11], v[10:11], v[22:23] neg_lo:[0,1] neg_hi:[0,1]
	scratch_load_dwordx2 v[22:23], off, off offset:152
	v_pk_mov_b32 v[18:19], v[40:41], v[18:19] op_sel:[1,0]
	v_fma_f32 v40, v70, v46, -v30
	scratch_load_dwordx2 v[30:31], off, off offset:160
	scratch_load_dwordx2 v[34:35], off, off offset:56
	v_mul_f32_e32 v44, v99, v146
	v_pk_add_f32 v[10:11], v[10:11], v[18:19] neg_lo:[0,1] neg_hi:[0,1]
	scratch_load_dwordx2 v[18:19], off, off offset:168
	v_fmac_f32_e32 v44, v98, v147
	v_sub_f32_e32 v44, v11, v44
	v_sub_f32_e32 v40, v10, v40
	scratch_load_dwordx2 v[10:11], off, off offset:176
	v_mul_f32_e32 v41, v70, v47
	v_fmac_f32_e32 v41, v71, v46
	v_sub_f32_e32 v41, v44, v41
	ds_read_b128 v[88:91], v140 offset:3104
	ds_read_b128 v[74:77], v140 offset:2592
	;; [unrolled: 1-line block ×4, first 2 shown]
	v_mul_f32_e32 v133, v60, v128
	v_fmac_f32_e32 v133, v61, v127
	ds_read_b128 v[60:63], v140 offset:1312
	s_waitcnt vmcnt(6)
	v_mul_f32_e32 v44, v81, v15
	v_mul_f32_e32 v45, v80, v15
	v_fma_f32 v44, v80, v14, -v44
	v_fmac_f32_e32 v45, v81, v14
	s_waitcnt vmcnt(5)
	v_mul_f32_e32 v14, v85, v27
	v_mul_f32_e32 v27, v84, v27
	v_fma_f32 v46, v84, v26, -v14
	v_fmac_f32_e32 v27, v85, v26
	ds_read_b128 v[84:87], v140 offset:2848
	s_waitcnt vmcnt(4) lgkmcnt(5)
	v_mul_f32_e32 v14, v91, v23
	ds_read_b128 v[80:83], v140 offset:2336
	v_fma_f32 v14, v90, v22, -v14
	v_mul_f32_e32 v15, v90, v23
	s_waitcnt vmcnt(3) lgkmcnt(1)
	v_mul_f32_e32 v23, v87, v31
	v_sub_f32_e32 v14, v40, v14
	v_fma_f32 v23, v86, v30, -v23
	v_fmac_f32_e32 v15, v91, v22
	v_mul_f32_e32 v31, v86, v31
	v_sub_f32_e32 v14, v14, v23
	s_waitcnt vmcnt(1)
	v_mul_f32_e32 v23, v77, v19
	v_sub_f32_e32 v22, v41, v15
	v_fmac_f32_e32 v31, v87, v30
	v_fma_f32 v23, v76, v18, -v23
	v_mul_f32_e32 v19, v76, v19
	v_fmac_f32_e32 v19, v77, v18
	v_sub_f32_e32 v18, v22, v31
	v_sub_f32_e32 v14, v14, v23
	s_waitcnt vmcnt(0) lgkmcnt(0)
	v_mul_f32_e32 v22, v83, v11
	v_mul_f32_e32 v23, v82, v11
	v_fma_f32 v22, v82, v10, -v22
	v_fmac_f32_e32 v23, v83, v10
	scratch_load_dwordx2 v[10:11], off, off offset:64
	v_sub_f32_e32 v18, v18, v19
	v_sub_f32_e32 v19, v14, v22
	v_mul_f32_e32 v14, v67, v5
	v_sub_f32_e32 v30, v48, v78
	v_fma_f32 v22, v66, v4, -v14
	ds_read_b128 v[76:79], v140 offset:1568
	v_sub_f32_e32 v18, v18, v23
	v_sub_f32_e32 v19, v19, v22
	v_mul_f32_e32 v22, v72, v131
	v_fmac_f32_e32 v22, v73, v130
	v_mul_f32_e32 v15, v135, v35
	v_fma_f32 v26, v134, v34, -v15
	v_mul_f32_e32 v15, v134, v35
	v_fmac_f32_e32 v15, v135, v34
	v_sub_f32_e32 v31, v49, v51
	v_mov_b32_e32 v34, v123
	v_mov_b32_e32 v35, v114
	s_waitcnt vmcnt(0)
	v_mul_f32_e32 v14, v143, v11
	v_mul_f32_e32 v11, v142, v11
	v_fma_f32 v14, v142, v10, -v14
	v_fmac_f32_e32 v11, v143, v10
	v_mul_f32_e32 v10, v66, v5
	v_fmac_f32_e32 v10, v67, v4
	v_sub_f32_e32 v10, v18, v10
	v_mul_f32_e32 v18, v73, v131
	v_fma_f32 v18, v72, v130, -v18
	v_sub_f32_e32 v18, v19, v18
	s_waitcnt lgkmcnt(0)
	v_mul_f32_e32 v19, v79, v133
	v_fma_f32 v19, v78, v132, -v19
	v_sub_f32_e32 v18, v18, v19
	v_mul_f32_e32 v19, v78, v133
	v_sub_f32_e32 v10, v10, v22
	v_fmac_f32_e32 v19, v79, v132
	v_sub_f32_e32 v10, v10, v19
	v_mul_f32_e32 v19, v63, v10
	v_mul_f32_e32 v135, v62, v10
	v_fma_f32 v134, v62, v18, -v19
	v_fmac_f32_e32 v135, v63, v18
	v_sub_f32_e32 v18, v31, v129
	v_sub_f32_e32 v18, v18, v103
	;; [unrolled: 1-line block ×3, first 2 shown]
	scratch_load_dwordx2 v[18:19], off, off offset:72
	v_sub_f32_e32 v10, v30, v50
	v_sub_f32_e32 v30, v22, v111
	scratch_load_dwordx2 v[22:23], off, off offset:80
	v_sub_f32_e32 v10, v10, v102
	v_sub_f32_e32 v10, v10, v110
	;; [unrolled: 1-line block ×4, first 2 shown]
	scratch_load_dwordx4 v[48:51], off, off offset:80
	v_sub_f32_e32 v30, v30, v45
	v_sub_f32_e32 v10, v10, v46
	scratch_load_dwordx4 v[44:47], off, off offset:96
	v_sub_f32_e32 v27, v30, v27
	v_sub_f32_e32 v26, v10, v26
	v_pk_add_f32 v[14:15], v[26:27], v[14:15] neg_lo:[0,1] neg_hi:[0,1]
	v_mov_b32_e32 v31, v112
	v_mov_b32_e32 v30, v109
	;; [unrolled: 1-line block ×4, first 2 shown]
	s_waitcnt vmcnt(3)
	v_mul_f32_e32 v10, v113, v19
	v_fma_f32 v10, v112, v18, -v10
	v_pk_add_f32 v[10:11], v[14:15], v[10:11] neg_lo:[0,1] neg_hi:[0,1]
	v_mov_b32_e32 v15, v113
	scratch_load_dwordx4 v[110:113], off, off offset:104
	v_mov_b32_e32 v27, v18
	s_waitcnt vmcnt(3)
	v_mov_b32_e32 v18, v23
	v_pk_mul_f32 v[18:19], v[30:31], v[18:19]
	v_mov_b32_e32 v14, v108
	v_mov_b32_e32 v26, v22
	v_pk_fma_f32 v[14:15], v[14:15], v[26:27], v[18:19]
	v_pk_fma_f32 v[18:19], v[108:109], v[22:23], v[18:19] neg_lo:[0,0,1] neg_hi:[0,0,1]
	v_mov_b32_e32 v27, v22
	v_mov_b32_e32 v19, v15
	v_pk_add_f32 v[10:11], v[10:11], v[18:19] neg_lo:[0,1] neg_hi:[0,1]
	v_mov_b32_e32 v19, v108
	s_waitcnt vmcnt(2)
	v_mov_b32_e32 v22, v51
	v_mov_b32_e32 v18, v119
	;; [unrolled: 1-line block ×4, first 2 shown]
	v_pk_mul_f32 v[18:19], v[18:19], v[22:23]
	v_mov_b32_e32 v22, v50
	s_waitcnt vmcnt(1)
	v_mov_b32_e32 v23, v44
	v_mov_b32_e32 v14, v118
	v_pk_fma_f32 v[14:15], v[14:15], v[26:27], v[18:19]
	v_pk_fma_f32 v[18:19], v[118:119], v[22:23], v[18:19] neg_lo:[0,0,1] neg_hi:[0,0,1]
	v_mov_b32_e32 v30, v123
	v_mov_b32_e32 v19, v15
	;; [unrolled: 1-line block ×7, first 2 shown]
	v_pk_mul_f32 v[40:41], v[122:123], v[46:47]
	scratch_load_dwordx4 v[44:47], off, off offset:112
	scratch_load_dwordx4 v[106:109], off, off offset:120
	v_mov_b32_e32 v115, v101
	v_mov_b32_e32 v26, v119
	;; [unrolled: 1-line block ×4, first 2 shown]
	v_pk_mul_f32 v[22:23], v[26:27], v[22:23]
	v_pk_add_f32 v[10:11], v[10:11], v[18:19] neg_lo:[0,1] neg_hi:[0,1]
	v_pk_fma_f32 v[26:27], v[30:31], v[50:51], v[22:23] op_sel:[0,0,1] op_sel_hi:[1,1,0] neg_lo:[1,0,0] neg_hi:[1,0,0]
	v_pk_fma_f32 v[22:23], v[30:31], v[50:51], v[22:23] op_sel:[0,0,1] op_sel_hi:[1,1,0]
	v_pk_fma_f32 v[18:19], v[34:35], v[14:15], v[40:41] neg_lo:[0,0,1] neg_hi:[0,0,1]
	v_mov_b32_e32 v27, v23
	scratch_load_dwordx2 v[22:23], off, off offset:160
	v_pk_fma_f32 v[14:15], v[34:35], v[14:15], v[40:41]
	v_pk_add_f32 v[10:11], v[10:11], v[26:27] neg_lo:[0,1] neg_hi:[0,1]
	scratch_load_dwordx2 v[26:27], off, off offset:168
	v_pk_mov_b32 v[14:15], v[18:19], v[14:15] op_sel:[1,0]
	scratch_load_dwordx2 v[18:19], off, off offset:176
	v_pk_add_f32 v[10:11], v[10:11], v[14:15] neg_lo:[0,1] neg_hi:[0,1]
	s_waitcnt vmcnt(5)
	v_mov_b32_e32 v55, v112
	v_mov_b32_e32 v112, v111
	;; [unrolled: 1-line block ×3, first 2 shown]
	v_pk_mul_f32 v[66:67], v[114:115], v[112:113]
	scratch_load_dwordx4 v[110:113], off, off offset:128
	scratch_load_dwordx4 v[114:117], off, off offset:136
	v_pk_fma_f32 v[30:31], v[62:63], v[54:55], v[66:67] neg_lo:[0,0,1] neg_hi:[0,0,1]
	v_pk_fma_f32 v[34:35], v[62:63], v[54:55], v[66:67]
	s_waitcnt vmcnt(6)
	v_mov_b32_e32 v15, v46
	v_mov_b32_e32 v46, v45
	v_pk_mov_b32 v[30:31], v[30:31], v[34:35] op_sel:[1,0]
	v_mov_b32_e32 v34, v101
	v_mov_b32_e32 v101, v105
	;; [unrolled: 1-line block ×4, first 2 shown]
	v_pk_mul_f32 v[40:41], v[100:101], v[46:47]
	v_pk_add_f32 v[10:11], v[10:11], v[30:31] neg_lo:[0,1] neg_hi:[0,1]
	s_waitcnt vmcnt(5)
	v_mov_b32_e32 v31, v108
	v_mov_b32_e32 v108, v107
	v_pk_fma_f32 v[44:45], v[34:35], v[14:15], v[40:41] neg_lo:[0,0,1] neg_hi:[0,0,1]
	v_pk_fma_f32 v[14:15], v[34:35], v[14:15], v[40:41]
	v_mov_b32_e32 v34, v105
	v_mov_b32_e32 v105, v93
	;; [unrolled: 1-line block ×4, first 2 shown]
	v_pk_mul_f32 v[40:41], v[104:105], v[108:109]
	v_pk_mov_b32 v[14:15], v[44:45], v[14:15] op_sel:[1,0]
	v_pk_fma_f32 v[44:45], v[34:35], v[30:31], v[40:41] neg_lo:[0,0,1] neg_hi:[0,0,1]
	v_pk_fma_f32 v[30:31], v[34:35], v[30:31], v[40:41]
	v_pk_add_f32 v[10:11], v[10:11], v[14:15] neg_lo:[0,1] neg_hi:[0,1]
	v_pk_mov_b32 v[30:31], v[44:45], v[30:31] op_sel:[1,0]
	v_mov_b32_e32 v40, v93
	v_pk_add_f32 v[30:31], v[10:11], v[30:31] neg_lo:[0,1] neg_hi:[0,1]
	scratch_load_dwordx2 v[10:11], off, off
	v_mov_b32_e32 v93, v97
	v_mov_b32_e32 v41, v96
	s_waitcnt vmcnt(2)
	v_mov_b32_e32 v15, v112
	v_mov_b32_e32 v112, v111
	;; [unrolled: 1-line block ×3, first 2 shown]
	v_pk_mul_f32 v[46:47], v[92:93], v[112:113]
	s_waitcnt vmcnt(1)
	v_mov_b32_e32 v44, v115
	v_pk_fma_f32 v[50:51], v[40:41], v[14:15], v[46:47] neg_lo:[0,0,1] neg_hi:[0,0,1]
	v_pk_fma_f32 v[14:15], v[40:41], v[14:15], v[46:47]
	v_mov_b32_e32 v45, v117
	v_pk_mov_b32 v[40:41], v[50:51], v[14:15] op_sel:[1,0]
	scratch_load_dwordx2 v[14:15], off, off offset:8
	v_pk_add_f32 v[30:31], v[30:31], v[40:41] neg_lo:[0,1] neg_hi:[0,1]
	v_mov_b32_e32 v40, v97
	v_mov_b32_e32 v97, v69
	;; [unrolled: 1-line block ×5, first 2 shown]
	v_pk_mul_f32 v[44:45], v[96:97], v[44:45]
	scratch_load_dwordx4 v[92:95], off, off offset:104
	v_pk_fma_f32 v[46:47], v[40:41], v[34:35], v[44:45] neg_lo:[0,0,1] neg_hi:[0,0,1]
	v_pk_fma_f32 v[34:35], v[40:41], v[34:35], v[44:45]
	s_nop 0
	v_pk_mov_b32 v[34:35], v[46:47], v[34:35] op_sel:[1,0]
	scratch_load_dwordx4 v[44:47], off, off offset:88
	v_pk_add_f32 v[30:31], v[30:31], v[34:35] neg_lo:[0,1] neg_hi:[0,1]
	v_mul_f32_e32 v34, v69, v116
	v_fmac_f32_e32 v34, v68, v117
	v_sub_f32_e32 v31, v31, v34
	v_mul_f32_e32 v34, v89, v57
	v_fma_f32 v34, v88, v56, -v34
	v_sub_f32_e32 v30, v30, v34
	scratch_load_dwordx4 v[66:69], off, off offset:112
	v_mul_f32_e32 v34, v85, v23
	v_mul_f32_e32 v23, v84, v23
	v_fma_f32 v34, v84, v22, -v34
	v_fmac_f32_e32 v23, v85, v22
	scratch_load_dwordx4 v[82:85], off, off offset:120
	v_mul_f32_e32 v35, v88, v57
	v_fmac_f32_e32 v35, v89, v56
	v_sub_f32_e32 v31, v31, v35
	v_sub_f32_e32 v22, v30, v34
	v_mul_f32_e32 v30, v75, v27
	v_mul_f32_e32 v27, v74, v27
	v_sub_f32_e32 v23, v31, v23
	v_fma_f32 v30, v74, v26, -v30
	v_fmac_f32_e32 v27, v75, v26
	v_mul_f32_e32 v26, v81, v19
	v_mul_f32_e32 v19, v80, v19
	v_sub_f32_e32 v22, v22, v30
	v_sub_f32_e32 v23, v23, v27
	v_fma_f32 v26, v80, v18, -v26
	v_fmac_f32_e32 v19, v81, v18
	v_sub_f32_e32 v18, v22, v26
	v_sub_f32_e32 v19, v23, v19
	v_mul_f32_e32 v22, v65, v5
	v_mul_f32_e32 v23, v64, v5
	v_fma_f32 v22, v64, v4, -v22
	v_fmac_f32_e32 v23, v65, v4
	v_sub_f32_e32 v18, v18, v22
	v_sub_f32_e32 v19, v19, v23
	v_mul_f32_e32 v22, v71, v131
	v_mul_f32_e32 v23, v70, v131
	v_fma_f32 v22, v70, v130, -v22
	v_fmac_f32_e32 v23, v71, v130
	scratch_load_dwordx4 v[72:75], off, off offset:128
	v_sub_f32_e32 v18, v18, v22
	v_sub_f32_e32 v22, v19, v23
	v_mul_f32_e32 v19, v77, v133
	v_fma_f32 v19, v76, v132, -v19
	v_sub_f32_e32 v26, v18, v19
	scratch_load_dwordx2 v[18:19], off, off
	v_mul_f32_e32 v23, v76, v133
	v_fmac_f32_e32 v23, v77, v132
	v_sub_f32_e32 v27, v22, v23
	v_mul_f32_e32 v22, v61, v135
	v_fma_f32 v30, v60, v134, -v22
	v_mul_f32_e32 v31, v60, v135
	scratch_load_dwordx2 v[22:23], off, off offset:8
	v_fmac_f32_e32 v31, v61, v134
	ds_read_b128 v[60:63], v140 offset:7952
	v_sub_f32_e32 v27, v27, v31
	v_sub_f32_e32 v26, v26, v30
	v_mul_f32_e32 v30, v59, v27
	v_mul_f32_e32 v137, v58, v27
	v_fma_f32 v136, v58, v26, -v30
	v_fmac_f32_e32 v137, v59, v26
	s_waitcnt vmcnt(8) lgkmcnt(0)
	v_mul_f32_e32 v30, v63, v11
	scratch_load_dwordx2 v[26:27], off, off offset:16
	v_fma_f32 v65, v62, v10, -v30
	scratch_load_dwordx2 v[30:31], off, off offset:16
	ds_read_b128 v[76:79], v140 offset:7696
	v_mul_f32_e32 v81, v62, v11
	v_fmac_f32_e32 v81, v63, v10
	s_waitcnt vmcnt(9) lgkmcnt(0)
	v_mul_f32_e32 v10, v79, v15
	v_mul_f32_e32 v113, v78, v15
	v_fma_f32 v112, v78, v14, -v10
	v_fmac_f32_e32 v113, v79, v14
	scratch_load_dwordx2 v[10:11], off, off offset:24
	scratch_load_dwordx2 v[14:15], off, off offset:32
	;; [unrolled: 1-line block ×8, first 2 shown]
	s_waitcnt vmcnt(15)
	v_mov_b32_e32 v64, v46
	v_mov_b32_e32 v70, v46
	;; [unrolled: 1-line block ×4, first 2 shown]
	ds_read_b128 v[108:111], v140 offset:4624
	v_mov_b32_e32 v58, v92
	v_mov_b32_e32 v59, v94
	;; [unrolled: 1-line block ×3, first 2 shown]
	ds_read_b128 v[90:93], v140 offset:4368
	s_waitcnt lgkmcnt(1)
	v_mov_b32_e32 v80, v111
	v_mov_b32_e32 v86, v111
	s_waitcnt vmcnt(14)
	v_mov_b32_e32 v62, v66
	v_mov_b32_e32 v63, v68
	s_waitcnt lgkmcnt(0)
	v_mov_b32_e32 v111, v93
	v_mov_b32_e32 v87, v92
	v_mov_b32_e32 v68, v67
	v_pk_mul_f32 v[66:67], v[110:111], v[94:95]
	ds_read_b128 v[54:57], v140 offset:4112
	ds_read_b128 v[104:107], v140 offset:3856
	v_pk_fma_f32 v[120:121], v[86:87], v[58:59], v[66:67] neg_lo:[0,0,1] neg_hi:[0,0,1]
	v_pk_fma_f32 v[66:67], v[86:87], v[58:59], v[66:67]
	s_waitcnt vmcnt(13)
	v_mov_b32_e32 v58, v82
	v_mov_b32_e32 v59, v84
	;; [unrolled: 1-line block ×3, first 2 shown]
	scratch_load_dwordx2 v[82:83], off, off offset:40
	v_mov_b32_e32 v86, v93
	s_waitcnt lgkmcnt(1)
	v_mov_b32_e32 v93, v57
	v_pk_mul_f32 v[68:69], v[92:93], v[68:69]
	ds_read_b128 v[92:95], v140 offset:3600
	v_mov_b32_e32 v87, v56
	v_pk_fma_f32 v[122:123], v[86:87], v[62:63], v[68:69] neg_lo:[0,0,1] neg_hi:[0,0,1]
	v_pk_fma_f32 v[68:69], v[86:87], v[62:63], v[68:69]
	v_mov_b32_e32 v86, v57
	s_waitcnt lgkmcnt(1)
	v_mov_b32_e32 v57, v107
	v_mov_b32_e32 v87, v106
	v_pk_mul_f32 v[56:57], v[56:57], v[84:85]
	s_waitcnt vmcnt(13)
	v_mov_b32_e32 v63, v74
	v_pk_fma_f32 v[84:85], v[86:87], v[58:59], v[56:57] neg_lo:[0,0,1] neg_hi:[0,0,1]
	v_pk_fma_f32 v[86:87], v[86:87], v[58:59], v[56:57]
	v_mov_b32_e32 v74, v73
	v_mov_b32_e32 v56, v107
	s_waitcnt lgkmcnt(0)
	v_mov_b32_e32 v107, v95
	v_mov_b32_e32 v62, v72
	;; [unrolled: 1-line block ×3, first 2 shown]
	v_pk_mul_f32 v[58:59], v[106:107], v[74:75]
	s_waitcnt vmcnt(12)
	v_mul_f32_e32 v107, v60, v19
	v_pk_fma_f32 v[72:73], v[56:57], v[62:63], v[58:59] neg_lo:[0,0,1] neg_hi:[0,0,1]
	v_pk_fma_f32 v[74:75], v[56:57], v[62:63], v[58:59]
	v_mul_f32_e32 v56, v61, v19
	v_fma_f32 v106, v60, v18, -v56
	v_fmac_f32_e32 v107, v61, v18
	scratch_load_dwordx2 v[18:19], off, off offset:56
	scratch_load_dwordx4 v[56:59], off, off offset:136
	s_waitcnt vmcnt(13)
	v_mul_f32_e32 v60, v77, v23
	v_fma_f32 v111, v76, v22, -v60
	ds_read_b128 v[60:63], v140 offset:7440
	v_mul_f32_e32 v124, v76, v23
	v_fmac_f32_e32 v124, v77, v22
	ds_read_b128 v[100:103], v140 offset:3088
	ds_write2_b64 v1, v[132:133], v[130:131] offset0:192 offset1:224
	s_waitcnt vmcnt(12) lgkmcnt(2)
	v_mul_f32_e32 v22, v63, v27
	v_fma_f32 v114, v62, v26, -v22
	v_mul_f32_e32 v115, v62, v27
	s_waitcnt vmcnt(11)
	v_mul_f32_e32 v22, v61, v31
	v_mul_f32_e32 v127, v60, v31
	v_fmac_f32_e32 v115, v63, v26
	v_fma_f32 v125, v60, v30, -v22
	v_fmac_f32_e32 v127, v61, v30
	ds_read_b128 v[60:63], v140 offset:7184
	s_waitcnt lgkmcnt(2)
	v_mov_b32_e32 v27, v102
	s_waitcnt vmcnt(10) lgkmcnt(0)
	v_mul_f32_e32 v22, v63, v11
	v_mul_f32_e32 v117, v62, v11
	v_fma_f32 v116, v62, v10, -v22
	v_fmac_f32_e32 v117, v63, v10
	s_waitcnt vmcnt(5)
	v_mul_f32_e32 v10, v61, v79
	v_mul_f32_e32 v129, v60, v79
	v_fma_f32 v128, v60, v78, -v10
	v_fmac_f32_e32 v129, v61, v78
	ds_read_b128 v[60:63], v140 offset:6928
	ds_read_b128 v[76:79], v140 offset:2832
	s_waitcnt lgkmcnt(1)
	v_mul_f32_e32 v10, v63, v15
	v_fma_f32 v118, v62, v14, -v10
	v_mul_f32_e32 v119, v62, v15
	s_waitcnt vmcnt(4)
	v_mul_f32_e32 v10, v61, v89
	v_mul_f32_e32 v142, v60, v89
	v_fmac_f32_e32 v119, v63, v14
	v_fma_f32 v141, v60, v88, -v10
	v_fmac_f32_e32 v142, v61, v88
	ds_read_b128 v[60:63], v140 offset:6672
	v_mov_b32_e32 v14, v95
	s_waitcnt lgkmcnt(0)
	v_mul_f32_e32 v10, v63, v35
	v_fma_f32 v88, v62, v34, -v10
	v_mul_f32_e32 v35, v62, v35
	s_waitcnt vmcnt(2)
	v_mul_f32_e32 v10, v61, v83
	v_mul_f32_e32 v144, v60, v83
	v_fmac_f32_e32 v35, v63, v34
	v_fma_f32 v143, v60, v82, -v10
	v_fmac_f32_e32 v144, v61, v82
	ds_read_b128 v[60:63], v140 offset:6416
	s_waitcnt lgkmcnt(0)
	v_mul_f32_e32 v10, v63, v41
	v_fma_f32 v34, v62, v40, -v10
	v_mul_f32_e32 v41, v62, v41
	v_mul_f32_e32 v10, v61, v97
	;; [unrolled: 1-line block ×3, first 2 shown]
	v_fmac_f32_e32 v41, v63, v40
	v_fma_f32 v145, v60, v96, -v10
	v_fmac_f32_e32 v146, v61, v96
	ds_read_b128 v[60:63], v140 offset:6160
	ds_read_b128 v[96:99], v140 offset:3344
	s_waitcnt lgkmcnt(1)
	v_mul_f32_e32 v10, v63, v51
	v_fma_f32 v40, v62, v50, -v10
	s_waitcnt lgkmcnt(0)
	v_mov_b32_e32 v95, v99
	v_mov_b32_e32 v15, v98
	v_mov_b32_e32 v26, v99
	v_mov_b32_e32 v99, v103
	s_waitcnt vmcnt(1)
	v_mul_f32_e32 v10, v61, v19
	v_mul_f32_e32 v148, v60, v19
	s_waitcnt vmcnt(0)
	v_mov_b32_e32 v11, v58
	v_mov_b32_e32 v58, v57
	v_fma_f32 v147, v60, v18, -v10
	v_fmac_f32_e32 v148, v61, v18
	v_mov_b32_e32 v10, v56
	v_pk_mul_f32 v[18:19], v[94:95], v[58:59]
	scratch_load_dwordx4 v[56:59], off, off offset:144
	v_pk_fma_f32 v[22:23], v[14:15], v[10:11], v[18:19] neg_lo:[0,0,1] neg_hi:[0,0,1]
	v_pk_fma_f32 v[10:11], v[14:15], v[10:11], v[18:19]
	v_mul_f32_e32 v62, v62, v51
	v_mul_f32_e32 v95, v78, v53
	v_fmac_f32_e32 v62, v63, v50
	v_fmac_f32_e32 v95, v79, v52
	v_pk_mov_b32 v[10:11], v[22:23], v[10:11] op_sel:[1,0]
	scratch_load_dwordx2 v[22:23], off, off offset:64
	s_waitcnt vmcnt(1)
	v_mov_b32_e32 v18, v57
	v_mov_b32_e32 v19, v59
	;; [unrolled: 1-line block ×4, first 2 shown]
	v_pk_mul_f32 v[18:19], v[98:99], v[18:19]
	v_mul_f32_e32 v89, v103, v58
	v_pk_fma_f32 v[30:31], v[26:27], v[14:15], v[18:19] neg_lo:[0,0,1] neg_hi:[0,0,1]
	v_pk_fma_f32 v[14:15], v[26:27], v[14:15], v[18:19]
	v_mul_f32_e32 v18, v79, v53
	v_fma_f32 v94, v78, v52, -v18
	scratch_load_dwordx2 v[18:19], off, off offset:64
	ds_read_b128 v[50:53], v140 offset:5904
	v_fmac_f32_e32 v89, v102, v59
	ds_read2_b64 v[56:59], v1 offset0:64 offset1:96
	v_pk_mov_b32 v[14:15], v[30:31], v[14:15] op_sel:[1,0]
	s_waitcnt lgkmcnt(0)
	v_sub_f32_e32 v27, v59, v81
	v_sub_f32_e32 v27, v27, v113
	;; [unrolled: 1-line block ×8, first 2 shown]
	s_waitcnt vmcnt(0)
	v_mul_f32_e32 v26, v53, v19
	v_mul_f32_e32 v19, v52, v19
	v_fma_f32 v26, v52, v18, -v26
	v_fmac_f32_e32 v19, v53, v18
	v_sub_f32_e32 v18, v58, v65
	v_sub_f32_e32 v18, v18, v112
	;; [unrolled: 1-line block ×7, first 2 shown]
	scratch_load_dwordx2 v[34:35], off, off offset:72
	ds_read_b128 v[58:61], v140 offset:5648
	v_sub_f32_e32 v18, v18, v40
	v_sub_f32_e32 v26, v18, v26
	scratch_load_dwordx2 v[40:41], off, off offset:88
	ds_read_b128 v[112:115], v140 offset:5136
	ds_read_b128 v[116:119], v140 offset:4880
	s_waitcnt lgkmcnt(0)
	v_mov_b32_e32 v81, v118
	s_waitcnt vmcnt(1)
	v_mul_f32_e32 v18, v61, v35
	v_fma_f32 v18, v60, v34, -v18
	v_pk_add_f32 v[18:19], v[26:27], v[18:19] neg_lo:[0,1] neg_hi:[0,1]
	scratch_load_dwordx2 v[26:27], off, off offset:80
	v_mul_f32_e32 v35, v60, v35
	v_fmac_f32_e32 v35, v61, v34
	ds_read_b128 v[60:63], v140 offset:5392
	s_waitcnt vmcnt(1)
	v_mov_b32_e32 v52, v40
	v_mov_b32_e32 v65, v40
	s_waitcnt vmcnt(0) lgkmcnt(0)
	v_mul_f32_e32 v34, v63, v27
	v_fma_f32 v34, v62, v26, -v34
	v_pk_add_f32 v[18:19], v[18:19], v[34:35] neg_lo:[0,1] neg_hi:[0,1]
	v_mov_b32_e32 v34, v115
	v_mov_b32_e32 v35, v62
	;; [unrolled: 1-line block ×4, first 2 shown]
	v_pk_mul_f32 v[26:27], v[34:35], v[26:27]
	v_mov_b32_e32 v34, v114
	v_mov_b32_e32 v35, v63
	v_pk_fma_f32 v[34:35], v[34:35], v[52:53], v[26:27]
	v_pk_fma_f32 v[26:27], v[114:115], v[40:41], v[26:27] neg_lo:[0,0,1] neg_hi:[0,0,1]
	v_mov_b32_e32 v40, v47
	v_mov_b32_e32 v27, v35
	v_pk_add_f32 v[18:19], v[18:19], v[26:27] neg_lo:[0,1] neg_hi:[0,1]
	v_mov_b32_e32 v26, v119
	v_mov_b32_e32 v27, v114
	v_pk_mul_f32 v[26:27], v[26:27], v[40:41]
	v_mov_b32_e32 v34, v118
	v_mov_b32_e32 v35, v115
	v_pk_fma_f32 v[34:35], v[34:35], v[64:65], v[26:27]
	v_pk_fma_f32 v[26:27], v[118:119], v[70:71], v[26:27] neg_lo:[0,0,1] neg_hi:[0,0,1]
	v_mov_b32_e32 v40, v105
	v_mov_b32_e32 v27, v35
	v_pk_add_f32 v[18:19], v[18:19], v[26:27] neg_lo:[0,1] neg_hi:[0,1]
	v_mov_b32_e32 v26, v119
	v_mov_b32_e32 v27, v110
	v_pk_mul_f32 v[26:27], v[26:27], v[70:71]
	s_nop 0
	v_pk_fma_f32 v[34:35], v[80:81], v[46:47], v[26:27] op_sel:[0,0,1] op_sel_hi:[1,1,0] neg_lo:[1,0,0] neg_hi:[1,0,0]
	v_pk_fma_f32 v[26:27], v[80:81], v[46:47], v[26:27] op_sel:[0,0,1] op_sel_hi:[1,1,0]
	scratch_load_dwordx4 v[78:81], off, off offset:168
	v_mov_b32_e32 v35, v27
	v_pk_add_f32 v[18:19], v[18:19], v[34:35] neg_lo:[0,1] neg_hi:[0,1]
	v_pk_mov_b32 v[26:27], v[120:121], v[66:67] op_sel:[1,0]
	ds_read_b128 v[64:67], v140 offset:1296
	v_pk_add_f32 v[18:19], v[18:19], v[26:27] neg_lo:[0,1] neg_hi:[0,1]
	v_pk_mov_b32 v[26:27], v[122:123], v[68:69] op_sel:[1,0]
	ds_read_b128 v[68:71], v140 offset:1552
	v_pk_add_f32 v[18:19], v[18:19], v[26:27] neg_lo:[0,1] neg_hi:[0,1]
	v_pk_mov_b32 v[26:27], v[84:85], v[86:87] op_sel:[1,0]
	v_mov_b32_e32 v35, v90
	v_pk_add_f32 v[18:19], v[18:19], v[26:27] neg_lo:[0,1] neg_hi:[0,1]
	v_pk_mov_b32 v[26:27], v[72:73], v[74:75] op_sel:[1,0]
	ds_read_b128 v[72:75], v140 offset:1808
	v_pk_add_f32 v[18:19], v[18:19], v[26:27] neg_lo:[0,1] neg_hi:[0,1]
	v_mul_f32_e32 v26, v51, v23
	v_pk_add_f32 v[10:11], v[18:19], v[10:11] neg_lo:[0,1] neg_hi:[0,1]
	scratch_load_dwordx2 v[18:19], off, off offset:168
	v_mul_f32_e32 v27, v50, v23
	v_fma_f32 v26, v50, v22, -v26
	v_fmac_f32_e32 v27, v51, v22
	scratch_load_dwordx2 v[22:23], off, off offset:72
	scratch_load_dwordx4 v[50:53], off, off offset:96
	v_pk_add_f32 v[10:11], v[10:11], v[14:15] neg_lo:[0,1] neg_hi:[0,1]
	scratch_load_dwordx4 v[118:121], off, off offset:120
	v_sub_f32_e32 v30, v11, v89
	v_sub_f32_e32 v31, v10, v94
	scratch_load_dwordx2 v[10:11], off, off offset:80
	ds_read_b128 v[86:89], v140 offset:2320
	s_waitcnt vmcnt(5)
	ds_write2_b64 v126, v[4:5], v[80:81] offset1:32
	ds_read_b128 v[80:83], v140 offset:2576
	s_waitcnt vmcnt(4) lgkmcnt(0)
	v_mul_f32_e32 v14, v83, v19
	v_fma_f32 v34, v82, v18, -v14
	scratch_load_dwordx2 v[14:15], off, off offset:176
	v_mul_f32_e32 v19, v82, v19
	v_fmac_f32_e32 v19, v83, v18
	v_sub_f32_e32 v18, v30, v95
	ds_read_b128 v[82:85], v140 offset:2064
	v_sub_f32_e32 v30, v31, v34
	v_sub_f32_e32 v31, v18, v19
	s_waitcnt vmcnt(4)
	v_mul_f32_e32 v18, v59, v23
	v_fma_f32 v34, v58, v22, -v18
	s_waitcnt vmcnt(1)
	v_mul_f32_e32 v18, v61, v11
	v_mul_f32_e32 v11, v60, v11
	v_fma_f32 v18, v60, v10, -v18
	v_fmac_f32_e32 v11, v61, v10
	v_mul_f32_e32 v19, v58, v23
	v_fmac_f32_e32 v19, v59, v22
	s_waitcnt lgkmcnt(0)
	v_mul_f32_e32 v22, v84, v5
	v_mul_f32_e32 v23, v71, v133
	v_fmac_f32_e32 v22, v85, v4
	v_fma_f32 v23, v70, v132, -v23
	ds_read_b128 v[60:63], v140 offset:1040
	s_waitcnt vmcnt(0)
	v_mul_f32_e32 v10, v89, v15
	v_mul_f32_e32 v15, v88, v15
	v_fmac_f32_e32 v15, v89, v14
	v_fma_f32 v10, v88, v14, -v10
	v_sub_f32_e32 v14, v31, v15
	v_mul_f32_e32 v15, v85, v5
	v_sub_f32_e32 v10, v30, v10
	v_fma_f32 v15, v84, v4, -v15
	v_sub_f32_e32 v10, v10, v15
	v_mul_f32_e32 v15, v75, v131
	v_fma_f32 v15, v74, v130, -v15
	v_sub_f32_e32 v10, v10, v15
	v_mul_f32_e32 v15, v74, v131
	v_sub_f32_e32 v14, v14, v22
	v_fmac_f32_e32 v15, v75, v130
	v_sub_f32_e32 v10, v10, v23
	v_mul_f32_e32 v23, v70, v133
	v_sub_f32_e32 v14, v14, v15
	v_fmac_f32_e32 v23, v71, v132
	v_sub_f32_e32 v14, v14, v23
	v_mul_f32_e32 v23, v67, v135
	v_fma_f32 v23, v66, v134, -v23
	v_sub_f32_e32 v10, v10, v23
	v_mul_f32_e32 v23, v66, v135
	v_fmac_f32_e32 v23, v67, v134
	v_sub_f32_e32 v15, v56, v106
	v_sub_f32_e32 v22, v57, v107
	;; [unrolled: 1-line block ×3, first 2 shown]
	s_waitcnt lgkmcnt(0)
	v_mul_f32_e32 v23, v63, v137
	ds_read_b128 v[56:59], v140 offset:784
	v_fma_f32 v23, v62, v136, -v23
	v_sub_f32_e32 v41, v10, v23
	v_mul_f32_e32 v10, v62, v137
	v_fmac_f32_e32 v10, v63, v136
	v_sub_f32_e32 v10, v14, v10
	s_waitcnt lgkmcnt(0)
	v_mul_f32_e32 v14, v59, v10
	v_fma_f32 v138, v58, v41, -v14
	v_sub_f32_e32 v14, v22, v124
	v_sub_f32_e32 v14, v14, v127
	;; [unrolled: 1-line block ×6, first 2 shown]
	v_mul_f32_e32 v139, v58, v10
	v_sub_f32_e32 v10, v15, v111
	v_sub_f32_e32 v22, v14, v148
	scratch_load_dwordx2 v[14:15], off, off offset:88
	v_sub_f32_e32 v10, v10, v125
	v_sub_f32_e32 v10, v10, v128
	;; [unrolled: 1-line block ×8, first 2 shown]
	scratch_load_dwordx2 v[26:27], off, off offset:96
	v_sub_f32_e32 v22, v10, v34
	v_pk_add_f32 v[18:19], v[22:23], v[18:19] neg_lo:[0,1] neg_hi:[0,1]
	v_mov_b32_e32 v31, v112
	v_mov_b32_e32 v30, v117
	;; [unrolled: 1-line block ×3, first 2 shown]
	v_fmac_f32_e32 v139, v59, v41
	v_mov_b32_e32 v41, v92
	v_mul_f32_e32 v143, v56, v139
	v_fmac_f32_e32 v143, v57, v138
	scratch_load_dwordx2 v[84:85], off, off offset:88
	scratch_load_dwordx4 v[122:125], off, off offset:128
	scratch_load_dwordx4 v[126:129], off, off offset:136
	s_waitcnt vmcnt(4)
	v_mul_f32_e32 v10, v113, v15
	v_fma_f32 v10, v112, v14, -v10
	v_pk_add_f32 v[10:11], v[18:19], v[10:11] neg_lo:[0,1] neg_hi:[0,1]
	v_mov_b32_e32 v19, v113
	scratch_load_dwordx4 v[110:113], off, off offset:112
	v_mov_b32_e32 v23, v14
	v_mov_b32_e32 v18, v116
	s_waitcnt vmcnt(4)
	v_mov_b32_e32 v14, v27
	v_pk_mul_f32 v[14:15], v[30:31], v[14:15]
	v_mov_b32_e32 v22, v26
	v_pk_fma_f32 v[18:19], v[18:19], v[22:23], v[14:15]
	v_pk_fma_f32 v[14:15], v[116:117], v[26:27], v[14:15] neg_lo:[0,0,1] neg_hi:[0,0,1]
	v_mov_b32_e32 v23, v26
	v_mov_b32_e32 v15, v19
	;; [unrolled: 1-line block ×5, first 2 shown]
	v_pk_add_f32 v[10:11], v[10:11], v[14:15] neg_lo:[0,1] neg_hi:[0,1]
	v_mov_b32_e32 v15, v117
	v_mov_b32_e32 v22, v52
	v_pk_mul_f32 v[18:19], v[18:19], v[26:27]
	v_mov_b32_e32 v26, v52
	v_mov_b32_e32 v14, v108
	v_pk_fma_f32 v[14:15], v[14:15], v[22:23], v[18:19]
	v_mov_b32_e32 v22, v91
	v_mov_b32_e32 v23, v54
	ds_read_b128 v[114:117], v140 offset:5376
	s_waitcnt vmcnt(0)
	v_mov_b32_e32 v27, v110
	v_pk_fma_f32 v[18:19], v[108:109], v[26:27], v[18:19] neg_lo:[0,0,1] neg_hi:[0,0,1]
	v_mov_b32_e32 v52, v111
	v_mov_b32_e32 v19, v15
	v_pk_add_f32 v[10:11], v[10:11], v[18:19] neg_lo:[0,1] neg_hi:[0,1]
	v_mov_b32_e32 v19, v108
	scratch_load_dwordx4 v[106:109], off, off offset:128
	v_mov_b32_e32 v15, v112
	v_mov_b32_e32 v112, v111
	;; [unrolled: 1-line block ×4, first 2 shown]
	v_pk_mul_f32 v[30:31], v[90:91], v[112:113]
	scratch_load_dwordx4 v[88:91], off, off offset:120
	v_pk_mul_f32 v[26:27], v[34:35], v[26:27]
	v_mov_b32_e32 v14, v110
	v_pk_fma_f32 v[34:35], v[18:19], v[52:53], v[26:27] op_sel:[0,0,1] op_sel_hi:[1,1,0] neg_lo:[1,0,0] neg_hi:[1,0,0]
	v_pk_fma_f32 v[18:19], v[18:19], v[52:53], v[26:27] op_sel:[0,0,1] op_sel_hi:[1,1,0]
	scratch_load_dwordx4 v[110:113], off, off offset:136
	v_mov_b32_e32 v35, v19
	v_pk_add_f32 v[10:11], v[10:11], v[34:35] neg_lo:[0,1] neg_hi:[0,1]
	v_mov_b32_e32 v26, v55
	v_mov_b32_e32 v55, v105
	;; [unrolled: 1-line block ×3, first 2 shown]
	v_pk_fma_f32 v[18:19], v[22:23], v[14:15], v[30:31] neg_lo:[0,0,1] neg_hi:[0,0,1]
	v_pk_fma_f32 v[14:15], v[22:23], v[14:15], v[30:31]
	v_mov_b32_e32 v27, v104
	v_pk_mov_b32 v[14:15], v[18:19], v[14:15] op_sel:[1,0]
	scratch_load_dwordx2 v[18:19], off, off offset:176
	v_pk_add_f32 v[10:11], v[10:11], v[14:15] neg_lo:[0,1] neg_hi:[0,1]
	s_waitcnt vmcnt(3)
	v_mov_b32_e32 v35, v108
	v_mov_b32_e32 v108, v107
	;; [unrolled: 1-line block ×3, first 2 shown]
	v_pk_mul_f32 v[46:47], v[104:105], v[108:109]
	scratch_load_dwordx4 v[106:109], off, off offset:144
	s_waitcnt vmcnt(3)
	v_mov_b32_e32 v23, v90
	v_mov_b32_e32 v90, v89
	;; [unrolled: 1-line block ×3, first 2 shown]
	v_pk_mul_f32 v[30:31], v[54:55], v[90:91]
	scratch_load_dwordx4 v[88:91], off, off offset:152
	v_pk_fma_f32 v[14:15], v[26:27], v[22:23], v[30:31] neg_lo:[0,0,1] neg_hi:[0,0,1]
	v_pk_fma_f32 v[22:23], v[26:27], v[22:23], v[30:31]
	v_pk_fma_f32 v[26:27], v[40:41], v[34:35], v[46:47]
	v_pk_mov_b32 v[14:15], v[14:15], v[22:23] op_sel:[1,0]
	v_pk_fma_f32 v[22:23], v[40:41], v[34:35], v[46:47] neg_lo:[0,0,1] neg_hi:[0,0,1]
	v_pk_add_f32 v[10:11], v[10:11], v[14:15] neg_lo:[0,1] neg_hi:[0,1]
	v_pk_mov_b32 v[22:23], v[22:23], v[26:27] op_sel:[1,0]
	s_waitcnt vmcnt(3)
	v_mov_b32_e32 v15, v112
	v_mov_b32_e32 v112, v111
	v_pk_add_f32 v[10:11], v[10:11], v[22:23] neg_lo:[0,1] neg_hi:[0,1]
	v_mov_b32_e32 v22, v93
	v_mov_b32_e32 v93, v97
	;; [unrolled: 1-line block ×4, first 2 shown]
	v_pk_mul_f32 v[30:31], v[92:93], v[112:113]
	ds_read2_b64 v[52:55], v1 offset1:32
	v_pk_fma_f32 v[34:35], v[22:23], v[14:15], v[30:31] neg_lo:[0,0,1] neg_hi:[0,0,1]
	v_pk_fma_f32 v[14:15], v[22:23], v[14:15], v[30:31]
	ds_read_b128 v[92:95], v140 offset:4096
	v_pk_mov_b32 v[14:15], v[34:35], v[14:15] op_sel:[1,0]
	v_mov_b32_e32 v34, v97
	v_mov_b32_e32 v97, v101
	;; [unrolled: 1-line block ×3, first 2 shown]
	v_pk_add_f32 v[30:31], v[10:11], v[14:15] neg_lo:[0,1] neg_hi:[0,1]
	scratch_load_dwordx2 v[10:11], off, off
	scratch_load_dwordx2 v[14:15], off, off offset:8
	s_waitcnt vmcnt(3)
	v_mov_b32_e32 v27, v108
	v_mov_b32_e32 v108, v107
	;; [unrolled: 1-line block ×3, first 2 shown]
	v_pk_mul_f32 v[46:47], v[96:97], v[108:109]
	ds_read_b128 v[108:111], v140 offset:6144
	ds_read_b128 v[96:99], v140 offset:3840
	v_pk_fma_f32 v[58:59], v[34:35], v[26:27], v[46:47] neg_lo:[0,0,1] neg_hi:[0,0,1]
	v_pk_fma_f32 v[26:27], v[34:35], v[26:27], v[46:47]
	s_waitcnt vmcnt(2)
	v_mov_b32_e32 v40, v89
	v_pk_mov_b32 v[26:27], v[58:59], v[26:27] op_sel:[1,0]
	v_mov_b32_e32 v41, v91
	v_pk_add_f32 v[26:27], v[30:31], v[26:27] neg_lo:[0,1] neg_hi:[0,1]
	v_mov_b32_e32 v30, v101
	v_mov_b32_e32 v101, v77
	v_pk_mul_f32 v[34:35], v[100:101], v[40:41]
	scratch_load_dwordx2 v[40:41], off, off offset:16
	v_mov_b32_e32 v22, v88
	v_mov_b32_e32 v23, v90
	;; [unrolled: 1-line block ×3, first 2 shown]
	v_pk_fma_f32 v[46:47], v[30:31], v[22:23], v[34:35] neg_lo:[0,0,1] neg_hi:[0,0,1]
	v_pk_fma_f32 v[22:23], v[30:31], v[22:23], v[34:35]
	scratch_load_dwordx2 v[34:35], off, off offset:24
	v_pk_mov_b32 v[22:23], v[46:47], v[22:23] op_sel:[1,0]
	scratch_load_dwordx2 v[46:47], off, off offset:32
	v_pk_add_f32 v[22:23], v[26:27], v[22:23] neg_lo:[0,1] neg_hi:[0,1]
	v_mul_f32_e32 v26, v77, v90
	v_fmac_f32_e32 v26, v76, v91
	v_sub_f32_e32 v23, v23, v26
	v_mul_f32_e32 v26, v81, v79
	v_fma_f32 v26, v80, v78, -v26
	v_sub_f32_e32 v22, v22, v26
	v_mul_f32_e32 v26, v87, v19
	v_fma_f32 v26, v86, v18, -v26
	v_mul_f32_e32 v19, v86, v19
	v_fmac_f32_e32 v19, v87, v18
	v_sub_f32_e32 v18, v22, v26
	v_mul_f32_e32 v22, v83, v5
	v_fma_f32 v22, v82, v4, -v22
	v_mul_f32_e32 v27, v80, v79
	v_sub_f32_e32 v22, v18, v22
	v_mul_f32_e32 v18, v73, v131
	v_fmac_f32_e32 v27, v81, v78
	v_fma_f32 v26, v72, v130, -v18
	v_sub_f32_e32 v23, v23, v27
	v_sub_f32_e32 v26, v22, v26
	v_mul_f32_e32 v22, v69, v133
	v_sub_f32_e32 v19, v23, v19
	scratch_load_dwordx2 v[86:87], off, off offset:40
	v_mul_f32_e32 v23, v82, v5
	v_fma_f32 v30, v68, v132, -v22
	v_fmac_f32_e32 v23, v83, v4
	v_mul_f32_e32 v27, v72, v131
	v_sub_f32_e32 v30, v26, v30
	v_mul_f32_e32 v26, v65, v135
	v_sub_f32_e32 v23, v19, v23
	scratch_load_dwordx2 v[18:19], off, off offset:48
	v_fmac_f32_e32 v27, v73, v130
	v_mul_f32_e32 v31, v68, v133
	v_fma_f32 v58, v64, v134, -v26
	v_sub_f32_e32 v27, v23, v27
	v_fmac_f32_e32 v31, v69, v132
	v_mul_f32_e32 v59, v64, v135
	v_sub_f32_e32 v58, v30, v58
	v_mul_f32_e32 v30, v61, v137
	scratch_load_dwordx2 v[22:23], off, off offset:56
	v_sub_f32_e32 v31, v27, v31
	v_fmac_f32_e32 v59, v65, v134
	v_fma_f32 v62, v60, v136, -v30
	v_mul_f32_e32 v60, v60, v137
	v_sub_f32_e32 v59, v31, v59
	v_fmac_f32_e32 v60, v61, v136
	v_sub_f32_e32 v62, v58, v62
	v_mul_f32_e32 v58, v57, v139
	v_sub_f32_e32 v141, v59, v60
	v_fma_f32 v63, v56, v138, -v58
	ds_read_b128 v[58:61], v140 offset:7936
	ds_read_b128 v[78:81], v140 offset:7680
	scratch_load_dwordx2 v[26:27], off, off offset:64
	ds_read_b128 v[72:75], v140 offset:7424
	scratch_load_dwordx2 v[30:31], off, off offset:72
	s_waitcnt vmcnt(9) lgkmcnt(2)
	v_mul_f32_e32 v56, v61, v11
	v_mul_f32_e32 v11, v60, v11
	scratch_load_dwordx2 v[88:89], off, off offset:80
	v_fma_f32 v56, v60, v10, -v56
	v_fmac_f32_e32 v11, v61, v10
	s_waitcnt vmcnt(9) lgkmcnt(1)
	v_mul_f32_e32 v10, v81, v15
	v_sub_f32_e32 v54, v54, v56
	v_fma_f32 v56, v80, v14, -v10
	v_mul_f32_e32 v15, v80, v15
	v_sub_f32_e32 v55, v55, v11
	v_fmac_f32_e32 v15, v81, v14
	v_sub_f32_e32 v14, v54, v56
	v_sub_f32_e32 v15, v55, v15
	scratch_load_dwordx2 v[10:11], off, off offset:96
	ds_read_b128 v[68:71], v140 offset:6912
	s_waitcnt vmcnt(9) lgkmcnt(1)
	v_mul_f32_e32 v54, v75, v41
	v_fma_f32 v60, v74, v40, -v54
	ds_read_b128 v[54:57], v140 offset:7168
	v_mul_f32_e32 v41, v74, v41
	v_fmac_f32_e32 v41, v75, v40
	v_sub_f32_e32 v40, v14, v60
	v_sub_f32_e32 v41, v15, v41
	s_waitcnt vmcnt(8) lgkmcnt(0)
	v_mul_f32_e32 v14, v57, v35
	v_fma_f32 v60, v56, v34, -v14
	scratch_load_dwordx2 v[14:15], off, off offset:104
	scratch_load_dwordx4 v[74:77], off, off offset:104
	v_mul_f32_e32 v35, v56, v35
	v_sub_f32_e32 v142, v62, v63
	v_fmac_f32_e32 v35, v57, v34
	v_sub_f32_e32 v34, v40, v60
	ds_read_b128 v[60:63], v140 offset:6656
	ds_read_b128 v[64:67], v140 offset:6400
	s_waitcnt vmcnt(9)
	v_mul_f32_e32 v40, v71, v47
	v_fma_f32 v40, v70, v46, -v40
	v_sub_f32_e32 v34, v34, v40
	ds_read_b128 v[80:83], v140 offset:5888
	v_sub_f32_e32 v35, v41, v35
	v_mul_f32_e32 v41, v70, v47
	v_fmac_f32_e32 v41, v71, v46
	v_sub_f32_e32 v35, v35, v41
	ds_read_b128 v[100:103], v140 offset:5120
	ds_read_b128 v[104:107], v140 offset:4864
	v_mul_f32_e32 v47, v58, v37
	v_fmac_f32_e32 v47, v59, v36
	s_waitcnt vmcnt(8) lgkmcnt(4)
	v_mul_f32_e32 v40, v63, v87
	v_fma_f32 v40, v62, v86, -v40
	v_sub_f32_e32 v34, v34, v40
	v_mul_f32_e32 v41, v62, v87
	v_fmac_f32_e32 v41, v63, v86
	v_sub_f32_e32 v35, v35, v41
	s_waitcnt vmcnt(7) lgkmcnt(3)
	v_mul_f32_e32 v40, v67, v19
	v_fma_f32 v40, v66, v18, -v40
	v_mul_f32_e32 v19, v66, v19
	v_fmac_f32_e32 v19, v67, v18
	v_sub_f32_e32 v18, v34, v40
	v_sub_f32_e32 v19, v35, v19
	s_waitcnt lgkmcnt(0)
	v_mov_b32_e32 v35, v106
	s_waitcnt vmcnt(6)
	v_mul_f32_e32 v34, v111, v23
	v_mul_f32_e32 v23, v110, v23
	v_fma_f32 v34, v110, v22, -v34
	v_fmac_f32_e32 v23, v111, v22
	ds_read_b128 v[110:113], v140 offset:5632
	v_sub_f32_e32 v18, v18, v34
	v_sub_f32_e32 v19, v19, v23
	s_waitcnt vmcnt(5)
	v_mul_f32_e32 v22, v83, v27
	v_fma_f32 v22, v82, v26, -v22
	v_sub_f32_e32 v18, v18, v22
	s_waitcnt vmcnt(4) lgkmcnt(0)
	v_mul_f32_e32 v22, v113, v31
	v_fma_f32 v22, v112, v30, -v22
	v_sub_f32_e32 v18, v18, v22
	s_waitcnt vmcnt(3)
	v_mul_f32_e32 v22, v117, v89
	v_mul_f32_e32 v23, v82, v27
	v_fma_f32 v22, v116, v88, -v22
	v_fmac_f32_e32 v23, v83, v26
	v_sub_f32_e32 v18, v18, v22
	v_mul_f32_e32 v22, v59, v37
	v_sub_f32_e32 v19, v19, v23
	v_mul_f32_e32 v23, v112, v31
	v_fma_f32 v46, v58, v36, -v22
	v_mul_f32_e32 v22, v103, v85
	v_mul_f32_e32 v27, v102, v85
	v_fmac_f32_e32 v23, v113, v30
	v_fma_f32 v22, v102, v84, -v22
	v_fmac_f32_e32 v27, v103, v84
	ds_read_b128 v[84:87], v140 offset:4608
	v_sub_f32_e32 v19, v19, v23
	v_mul_f32_e32 v23, v116, v89
	v_fmac_f32_e32 v23, v117, v88
	v_pk_add_f32 v[18:19], v[18:19], v[22:23] neg_lo:[0,1] neg_hi:[0,1]
	s_waitcnt vmcnt(2)
	v_mul_f32_e32 v22, v107, v11
	v_fma_f32 v26, v106, v10, -v22
	ds_read_b128 v[88:91], v140 offset:4352
	v_pk_add_f32 v[18:19], v[18:19], v[26:27] neg_lo:[0,1] neg_hi:[0,1]
	v_mov_b32_e32 v27, v10
	s_waitcnt lgkmcnt(1)
	v_mov_b32_e32 v34, v87
	s_waitcnt vmcnt(1)
	v_mov_b32_e32 v10, v15
	v_pk_mul_f32 v[10:11], v[34:35], v[10:11]
	v_mov_b32_e32 v34, v86
	v_mov_b32_e32 v35, v107
	;; [unrolled: 1-line block ×3, first 2 shown]
	v_pk_fma_f32 v[26:27], v[34:35], v[26:27], v[10:11]
	v_pk_fma_f32 v[10:11], v[86:87], v[14:15], v[10:11] neg_lo:[0,0,1] neg_hi:[0,0,1]
	v_mul_f32_e32 v23, v79, v33
	v_mov_b32_e32 v11, v27
	v_fma_f32 v82, v78, v32, -v23
	v_mov_b32_e32 v23, v14
	s_waitcnt vmcnt(0)
	v_mov_b32_e32 v14, v77
	v_pk_add_f32 v[10:11], v[18:19], v[10:11] neg_lo:[0,1] neg_hi:[0,1]
	s_waitcnt lgkmcnt(0)
	v_mov_b32_e32 v18, v91
	v_mov_b32_e32 v19, v86
	;; [unrolled: 1-line block ×3, first 2 shown]
	v_pk_mul_f32 v[14:15], v[18:19], v[14:15]
	v_mov_b32_e32 v18, v90
	v_mov_b32_e32 v19, v87
	v_pk_fma_f32 v[18:19], v[18:19], v[22:23], v[14:15]
	v_mov_b32_e32 v23, v118
	v_mul_f32_e32 v78, v78, v33
	v_pk_fma_f32 v[14:15], v[90:91], v[22:23], v[14:15] neg_lo:[0,0,1] neg_hi:[0,0,1]
	v_mul_f32_e32 v18, v73, v29
	v_fmac_f32_e32 v78, v79, v32
	scratch_load_dwordx4 v[30:33], off, off offset:144
	v_mov_b32_e32 v15, v19
	v_fma_f32 v79, v72, v28, -v18
	v_mov_b32_e32 v18, v91
	v_mov_b32_e32 v19, v94
	;; [unrolled: 1-line block ×3, first 2 shown]
	v_pk_mul_f32 v[18:19], v[18:19], v[22:23]
	v_mov_b32_e32 v22, v95
	v_mov_b32_e32 v23, v90
	v_pk_fma_f32 v[26:27], v[22:23], v[76:77], v[18:19] op_sel:[0,0,1] op_sel_hi:[1,1,0] neg_lo:[1,0,0] neg_hi:[1,0,0]
	v_pk_fma_f32 v[18:19], v[22:23], v[76:77], v[18:19] op_sel:[0,0,1] op_sel_hi:[1,1,0]
	v_mul_f32_e32 v77, v54, v25
	v_mul_f32_e32 v18, v55, v25
	v_fma_f32 v76, v54, v24, -v18
	v_fmac_f32_e32 v77, v55, v24
	ds_read_b128 v[54:57], v140 offset:3584
	ds_read_b128 v[34:37], v140 offset:3328
	v_mul_f32_e32 v83, v72, v29
	v_pk_add_f32 v[10:11], v[10:11], v[14:15] neg_lo:[0,1] neg_hi:[0,1]
	v_mov_b32_e32 v15, v120
	v_mov_b32_e32 v120, v119
	;; [unrolled: 1-line block ×3, first 2 shown]
	v_fmac_f32_e32 v83, v73, v28
	v_mov_b32_e32 v14, v118
	v_mov_b32_e32 v27, v19
	;; [unrolled: 1-line block ×3, first 2 shown]
	scratch_load_dwordx4 v[70:73], off, off offset:152
	v_pk_mul_f32 v[24:25], v[94:95], v[120:121]
	v_pk_add_f32 v[10:11], v[10:11], v[26:27] neg_lo:[0,1] neg_hi:[0,1]
	v_mov_b32_e32 v19, v124
	v_mov_b32_e32 v124, v123
	v_pk_fma_f32 v[26:27], v[22:23], v[14:15], v[24:25] neg_lo:[0,0,1] neg_hi:[0,0,1]
	v_pk_fma_f32 v[14:15], v[22:23], v[14:15], v[24:25]
	v_mov_b32_e32 v22, v99
	s_waitcnt lgkmcnt(1)
	v_mov_b32_e32 v99, v57
	v_mov_b32_e32 v18, v122
	v_pk_mov_b32 v[14:15], v[26:27], v[14:15] op_sel:[1,0]
	v_mov_b32_e32 v23, v56
	v_pk_mul_f32 v[24:25], v[98:99], v[124:125]
	v_pk_add_f32 v[10:11], v[10:11], v[14:15] neg_lo:[0,1] neg_hi:[0,1]
	v_mov_b32_e32 v15, v128
	v_mov_b32_e32 v128, v127
	v_pk_fma_f32 v[26:27], v[22:23], v[18:19], v[24:25] neg_lo:[0,0,1] neg_hi:[0,0,1]
	v_pk_fma_f32 v[18:19], v[22:23], v[18:19], v[24:25]
	v_mov_b32_e32 v22, v57
	s_waitcnt lgkmcnt(0)
	v_mov_b32_e32 v57, v37
	v_pk_mul_f32 v[24:25], v[56:57], v[128:129]
	scratch_load_dwordx4 v[56:59], off, off offset:160
	v_mov_b32_e32 v14, v126
	v_mov_b32_e32 v23, v36
	v_pk_mov_b32 v[18:19], v[26:27], v[18:19] op_sel:[1,0]
	v_pk_fma_f32 v[26:27], v[22:23], v[14:15], v[24:25] neg_lo:[0,0,1] neg_hi:[0,0,1]
	v_pk_fma_f32 v[14:15], v[22:23], v[14:15], v[24:25]
	ds_read_b128 v[22:25], v140 offset:3072
	v_pk_add_f32 v[10:11], v[10:11], v[18:19] neg_lo:[0,1] neg_hi:[0,1]
	v_pk_mov_b32 v[14:15], v[26:27], v[14:15] op_sel:[1,0]
	v_mov_b32_e32 v26, v37
	v_mul_f32_e32 v87, v68, v21
	s_waitcnt lgkmcnt(0)
	v_mov_b32_e32 v37, v25
	v_mov_b32_e32 v27, v24
	v_pk_add_f32 v[10:11], v[10:11], v[14:15] neg_lo:[0,1] neg_hi:[0,1]
	v_fmac_f32_e32 v87, v69, v20
	s_waitcnt vmcnt(2)
	v_mov_b32_e32 v19, v32
	v_mov_b32_e32 v32, v31
	;; [unrolled: 1-line block ×3, first 2 shown]
	v_pk_mul_f32 v[28:29], v[36:37], v[32:33]
	s_waitcnt vmcnt(1)
	v_mov_b32_e32 v15, v72
	v_pk_fma_f32 v[30:31], v[26:27], v[18:19], v[28:29] neg_lo:[0,0,1] neg_hi:[0,0,1]
	v_pk_fma_f32 v[18:19], v[26:27], v[18:19], v[28:29]
	v_mul_f32_e32 v26, v69, v21
	v_fma_f32 v86, v68, v20, -v26
	ds_read_b128 v[26:29], v140 offset:2816
	v_pk_mov_b32 v[18:19], v[30:31], v[18:19] op_sel:[1,0]
	ds_read_b128 v[30:33], v140 offset:2560
	v_mov_b32_e32 v72, v71
	v_mov_b32_e32 v20, v25
	s_waitcnt lgkmcnt(1)
	v_mov_b32_e32 v25, v29
	v_mov_b32_e32 v14, v70
	;; [unrolled: 1-line block ×3, first 2 shown]
	v_pk_mul_f32 v[24:25], v[24:25], v[72:73]
	v_pk_add_f32 v[10:11], v[10:11], v[18:19] neg_lo:[0,1] neg_hi:[0,1]
	v_pk_fma_f32 v[40:41], v[20:21], v[14:15], v[24:25] neg_lo:[0,0,1] neg_hi:[0,0,1]
	v_pk_fma_f32 v[14:15], v[20:21], v[14:15], v[24:25]
	v_sub_f32_e32 v25, v141, v143
	v_pk_mov_b32 v[14:15], v[40:41], v[14:15] op_sel:[1,0]
	ds_read_b128 v[66:69], v140 offset:768
	v_pk_add_f32 v[10:11], v[10:11], v[14:15] neg_lo:[0,1] neg_hi:[0,1]
	s_waitcnt vmcnt(0)
	v_mov_b32_e32 v36, v57
	v_mov_b32_e32 v37, v59
	;; [unrolled: 1-line block ×3, first 2 shown]
	s_waitcnt lgkmcnt(1)
	v_mov_b32_e32 v29, v33
	v_mov_b32_e32 v18, v56
	;; [unrolled: 1-line block ×4, first 2 shown]
	v_pk_mul_f32 v[20:21], v[28:29], v[36:37]
	s_nop 0
	v_pk_fma_f32 v[28:29], v[14:15], v[18:19], v[20:21] neg_lo:[0,0,1] neg_hi:[0,0,1]
	v_pk_fma_f32 v[14:15], v[14:15], v[18:19], v[20:21]
	ds_read2_b64 v[18:21], v140 offset1:66
	v_pk_mov_b32 v[14:15], v[28:29], v[14:15] op_sel:[1,0]
	scratch_load_dwordx2 v[28:29], off, off offset:176
	v_pk_add_f32 v[10:11], v[10:11], v[14:15] neg_lo:[0,1] neg_hi:[0,1]
	v_mul_f32_e32 v14, v33, v58
	s_waitcnt lgkmcnt(0)
	v_mul_f32_e32 v24, v21, v25
	v_mul_f32_e32 v25, v20, v25
	v_fmac_f32_e32 v14, v32, v59
	ds_read_b128 v[56:59], v140 offset:2304
	v_fmac_f32_e32 v25, v21, v142
	v_sub_f32_e32 v11, v11, v14
	v_mul_f32_e32 v14, v61, v17
	v_mul_f32_e32 v21, v60, v17
	v_fma_f32 v24, v20, v142, -v24
	v_fma_f32 v20, v60, v16, -v14
	v_fmac_f32_e32 v21, v61, v16
	ds_read_b128 v[60:63], v140 offset:2048
	s_waitcnt vmcnt(0) lgkmcnt(1)
	v_mul_f32_e32 v14, v59, v29
	v_fma_f32 v14, v58, v28, -v14
	v_mul_f32_e32 v15, v58, v29
	v_fmac_f32_e32 v15, v59, v28
	v_sub_f32_e32 v10, v10, v14
	s_waitcnt lgkmcnt(0)
	v_mul_f32_e32 v14, v63, v5
	v_sub_f32_e32 v11, v11, v15
	v_fma_f32 v28, v62, v4, -v14
	ds_read_b128 v[14:17], v140 offset:1792
	v_mul_f32_e32 v29, v62, v5
	v_fmac_f32_e32 v29, v63, v4
	v_sub_f32_e32 v32, v10, v28
	v_sub_f32_e32 v33, v11, v29
	s_waitcnt lgkmcnt(0)
	v_mul_f32_e32 v10, v17, v131
	v_fma_f32 v36, v16, v130, -v10
	v_mul_f32_e32 v10, v65, v13
	v_mul_f32_e32 v29, v64, v13
	v_fma_f32 v28, v64, v12, -v10
	v_fmac_f32_e32 v29, v65, v12
	ds_read_b128 v[10:13], v140 offset:1536
	ds_read_b128 v[62:65], v140 offset:1024
	v_mul_f32_e32 v16, v16, v131
	v_fmac_f32_e32 v16, v17, v130
	v_sub_f32_e32 v33, v33, v16
	s_waitcnt lgkmcnt(1)
	v_mul_f32_e32 v16, v13, v133
	v_sub_f32_e32 v32, v32, v36
	v_fma_f32 v36, v12, v132, -v16
	v_mul_f32_e32 v16, v109, v43
	v_mul_f32_e32 v17, v108, v43
	v_fma_f32 v16, v108, v42, -v16
	v_fmac_f32_e32 v17, v109, v42
	ds_read_b128 v[40:43], v140 offset:1280
	v_mul_f32_e32 v12, v12, v133
	v_fmac_f32_e32 v12, v13, v132
	v_sub_f32_e32 v13, v32, v36
	v_sub_f32_e32 v12, v33, v12
	s_waitcnt lgkmcnt(0)
	v_mul_f32_e32 v32, v43, v135
	v_fma_f32 v32, v42, v134, -v32
	v_mul_f32_e32 v33, v42, v135
	v_fmac_f32_e32 v33, v43, v134
	v_sub_f32_e32 v13, v13, v32
	v_mul_f32_e32 v32, v65, v137
	v_mul_f32_e32 v37, v64, v137
	v_sub_f32_e32 v12, v12, v33
	v_fma_f32 v32, v64, v136, -v32
	v_fmac_f32_e32 v37, v65, v136
	v_sub_f32_e32 v13, v13, v32
	v_sub_f32_e32 v12, v12, v37
	v_mul_f32_e32 v32, v69, v139
	v_mul_f32_e32 v37, v68, v139
	v_fma_f32 v32, v68, v138, -v32
	v_fmac_f32_e32 v37, v69, v138
	ds_read_b128 v[68:71], v140 offset:512
	v_sub_f32_e32 v13, v13, v32
	v_sub_f32_e32 v12, v12, v37
	;; [unrolled: 1-line block ×4, first 2 shown]
	s_waitcnt lgkmcnt(0)
	v_mul_f32_e32 v32, v71, v25
	v_fma_f32 v32, v70, v24, -v32
	v_sub_f32_e32 v32, v13, v32
	v_mul_f32_e32 v13, v70, v25
	v_fmac_f32_e32 v13, v71, v24
	ds_read_b128 v[70:73], v140 offset:256
	v_sub_f32_e32 v13, v12, v13
	scratch_load_dwordx4 v[106:109], off, off offset:128
	s_waitcnt lgkmcnt(0)
	v_mul_f32_e32 v12, v73, v13
	v_mul_f32_e32 v13, v72, v13
	v_fma_f32 v12, v72, v32, -v12
	v_fmac_f32_e32 v13, v73, v32
	v_sub_f32_e32 v32, v33, v82
	v_sub_f32_e32 v33, v36, v78
	;; [unrolled: 1-line block ×13, first 2 shown]
	v_mul_f32_e32 v20, v81, v9
	v_mul_f32_e32 v9, v80, v9
	scratch_load_dwordx4 v[76:79], off, off offset:136
	v_sub_f32_e32 v17, v21, v17
	v_fma_f32 v20, v80, v8, -v20
	v_fmac_f32_e32 v9, v81, v8
	ds_write2_b64 v1, v[136:137], v[134:135] offset0:128 offset1:160
	ds_write2_b64 v1, v[24:25], v[138:139] offset0:64 offset1:96
	v_sub_f32_e32 v8, v16, v20
	v_sub_f32_e32 v9, v17, v9
	v_mul_f32_e32 v16, v111, v39
	v_mul_f32_e32 v17, v110, v39
	scratch_load_dwordx4 v[80:83], off, off offset:144
	v_fma_f32 v16, v110, v38, -v16
	v_fmac_f32_e32 v17, v111, v38
	v_sub_f32_e32 v8, v8, v16
	v_sub_f32_e32 v9, v9, v17
	v_mul_f32_e32 v16, v115, v49
	v_mul_f32_e32 v17, v114, v49
	v_fma_f32 v16, v114, v48, -v16
	v_fmac_f32_e32 v17, v115, v48
	scratch_load_dwordx4 v[36:39], off, off offset:152
	v_sub_f32_e32 v8, v8, v16
	v_sub_f32_e32 v9, v9, v17
	v_mul_f32_e32 v16, v101, v45
	v_mul_f32_e32 v17, v100, v45
	v_fma_f32 v16, v100, v44, -v16
	v_fmac_f32_e32 v17, v101, v44
	scratch_load_dwordx4 v[42:45], off, off offset:160
	scratch_load_dwordx4 v[46:49], off, off offset:168
	v_sub_f32_e32 v8, v8, v16
	v_mul_f32_e32 v16, v105, v51
	v_fma_f32 v16, v104, v50, -v16
	v_mul_f32_e32 v21, v104, v51
	v_pk_add_f32 v[8:9], v[8:9], v[16:17] neg_lo:[0,1] neg_hi:[0,1]
	v_mul_f32_e32 v16, v85, v75
	v_fmac_f32_e32 v21, v105, v50
	v_fma_f32 v20, v84, v74, -v16
	v_mov_b32_e32 v29, v74
	v_mov_b32_e32 v50, v89
	;; [unrolled: 1-line block ×4, first 2 shown]
	v_pk_add_f32 v[16:17], v[8:9], v[20:21] neg_lo:[0,1] neg_hi:[0,1]
	v_mov_b32_e32 v20, v88
	v_mov_b32_e32 v21, v85
	;; [unrolled: 1-line block ×3, first 2 shown]
	v_pk_mul_f32 v[50:51], v[50:51], v[74:75]
	v_mov_b32_e32 v9, v2
	v_mov_b32_e32 v32, v7
	;; [unrolled: 1-line block ×3, first 2 shown]
	v_pk_fma_f32 v[2:3], v[88:89], v[2:3], v[50:51] neg_lo:[0,0,1] neg_hi:[0,0,1]
	v_pk_fma_f32 v[20:21], v[20:21], v[28:29], v[50:51]
	v_mov_b32_e32 v28, v93
	v_mov_b32_e32 v29, v88
	;; [unrolled: 1-line block ×6, first 2 shown]
	v_pk_mul_f32 v[28:29], v[28:29], v[32:33]
	v_pk_add_f32 v[2:3], v[16:17], v[2:3] neg_lo:[0,1] neg_hi:[0,1]
	v_mov_b32_e32 v16, v6
	s_waitcnt vmcnt(5)
	v_mov_b32_e32 v17, v106
	v_pk_fma_f32 v[8:9], v[20:21], v[8:9], v[28:29]
	v_mov_b32_e32 v20, v93
	v_mov_b32_e32 v21, v96
	;; [unrolled: 1-line block ×3, first 2 shown]
	v_pk_fma_f32 v[32:33], v[92:93], v[16:17], v[28:29] neg_lo:[0,0,1] neg_hi:[0,0,1]
	v_pk_mul_f32 v[16:17], v[20:21], v[16:17]
	v_mov_b32_e32 v20, v97
	v_mov_b32_e32 v21, v92
	v_mov_b32_e32 v33, v9
	v_mov_b32_e32 v9, v108
	v_mov_b32_e32 v108, v107
	v_pk_fma_f32 v[28:29], v[20:21], v[6:7], v[16:17] op_sel:[0,0,1] op_sel_hi:[1,1,0] neg_lo:[1,0,0] neg_hi:[1,0,0]
	v_pk_fma_f32 v[6:7], v[20:21], v[6:7], v[16:17] op_sel:[0,0,1] op_sel_hi:[1,1,0]
	v_mov_b32_e32 v16, v97
	v_mov_b32_e32 v97, v55
	v_pk_add_f32 v[2:3], v[2:3], v[32:33] neg_lo:[0,1] neg_hi:[0,1]
	v_mov_b32_e32 v8, v106
	v_mov_b32_e32 v29, v7
	;; [unrolled: 1-line block ×3, first 2 shown]
	v_pk_mul_f32 v[20:21], v[96:97], v[108:109]
	v_pk_add_f32 v[2:3], v[2:3], v[28:29] neg_lo:[0,1] neg_hi:[0,1]
	s_waitcnt vmcnt(4)
	v_mov_b32_e32 v7, v78
	v_mov_b32_e32 v78, v77
	v_pk_fma_f32 v[28:29], v[16:17], v[8:9], v[20:21] neg_lo:[0,0,1] neg_hi:[0,0,1]
	v_pk_fma_f32 v[8:9], v[16:17], v[8:9], v[20:21]
	v_mov_b32_e32 v16, v55
	v_mov_b32_e32 v55, v35
	v_mov_b32_e32 v6, v76
	v_pk_mov_b32 v[8:9], v[28:29], v[8:9] op_sel:[1,0]
	v_mov_b32_e32 v17, v34
	v_pk_mul_f32 v[20:21], v[54:55], v[78:79]
	v_pk_add_f32 v[8:9], v[2:3], v[8:9] neg_lo:[0,1] neg_hi:[0,1]
	s_waitcnt vmcnt(3)
	v_mov_b32_e32 v3, v82
	v_mov_b32_e32 v82, v81
	v_pk_fma_f32 v[28:29], v[16:17], v[6:7], v[20:21] neg_lo:[0,0,1] neg_hi:[0,0,1]
	v_pk_fma_f32 v[6:7], v[16:17], v[6:7], v[20:21]
	v_mov_b32_e32 v16, v35
	v_mov_b32_e32 v35, v23
	v_mov_b32_e32 v2, v80
	v_pk_mov_b32 v[6:7], v[28:29], v[6:7] op_sel:[1,0]
	v_mov_b32_e32 v17, v22
	;; [unrolled: 12-line block ×4, first 2 shown]
	v_pk_mul_f32 v[22:23], v[26:27], v[44:45]
	v_pk_add_f32 v[2:3], v[2:3], v[8:9] neg_lo:[0,1] neg_hi:[0,1]
	v_pk_fma_f32 v[26:27], v[16:17], v[6:7], v[22:23] neg_lo:[0,0,1] neg_hi:[0,0,1]
	v_pk_fma_f32 v[6:7], v[16:17], v[6:7], v[22:23]
	s_waitcnt vmcnt(0)
	v_mov_b32_e32 v20, v47
	v_pk_mov_b32 v[6:7], v[26:27], v[6:7] op_sel:[1,0]
	v_mov_b32_e32 v21, v49
	v_pk_add_f32 v[2:3], v[2:3], v[6:7] neg_lo:[0,1] neg_hi:[0,1]
	v_mov_b32_e32 v6, v31
	v_mov_b32_e32 v31, v57
	;; [unrolled: 1-line block ×5, first 2 shown]
	v_pk_mul_f32 v[16:17], v[30:31], v[20:21]
	s_nop 0
	v_pk_fma_f32 v[20:21], v[6:7], v[8:9], v[16:17] neg_lo:[0,0,1] neg_hi:[0,0,1]
	v_pk_fma_f32 v[6:7], v[6:7], v[8:9], v[16:17]
	v_mov_b32_e32 v8, v49
	v_pk_mov_b32 v[6:7], v[20:21], v[6:7] op_sel:[1,0]
	v_mov_b32_e32 v9, v5
	v_pk_add_f32 v[2:3], v[2:3], v[6:7] neg_lo:[0,1] neg_hi:[0,1]
	v_mov_b32_e32 v6, v56
	v_mov_b32_e32 v7, v60
	v_pk_mul_f32 v[6:7], v[6:7], v[8:9]
	v_mov_b32_e32 v8, v57
	v_mov_b32_e32 v9, v61
	;; [unrolled: 1-line block ×3, first 2 shown]
	v_mul_f32_e32 v5, v61, v5
	v_pk_fma_f32 v[6:7], v[8:9], v[48:49], v[6:7]
	v_fma_f32 v4, v60, v4, -v5
	v_sub_f32_e32 v2, v2, v4
	v_sub_f32_e32 v3, v3, v6
	v_mul_f32_e32 v4, v15, v131
	v_mul_f32_e32 v5, v14, v131
	v_sub_f32_e32 v3, v3, v7
	v_fma_f32 v4, v14, v130, -v4
	v_fmac_f32_e32 v5, v15, v130
	v_sub_f32_e32 v2, v2, v4
	v_sub_f32_e32 v3, v3, v5
	v_mul_f32_e32 v4, v11, v133
	v_mul_f32_e32 v5, v10, v133
	v_fma_f32 v4, v10, v132, -v4
	v_fmac_f32_e32 v5, v11, v132
	v_sub_f32_e32 v2, v2, v4
	v_sub_f32_e32 v3, v3, v5
	v_mul_f32_e32 v4, v41, v135
	v_mul_f32_e32 v5, v40, v135
	;; [unrolled: 6-line block ×6, first 2 shown]
	v_fma_f32 v4, v70, v12, -v4
	v_fmac_f32_e32 v5, v71, v12
	v_sub_f32_e32 v2, v2, v4
	v_sub_f32_e32 v4, v3, v5
	v_pk_mul_f32 v[4:5], v[18:19], v[4:5] op_sel:[1,0] op_sel_hi:[0,0]
	v_pk_fma_f32 v[6:7], v[18:19], v[2:3], v[4:5] neg_lo:[0,0,1] neg_hi:[0,0,1]
	v_pk_fma_f32 v[2:3], v[18:19], v[2:3], v[4:5] op_sel_hi:[1,0,1]
	s_nop 0
	v_mov_b32_e32 v7, v3
	ds_write2_b64 v1, v[6:7], v[12:13] offset1:32
.LBB168_46:
	s_cmp_gt_i32 s6, -1
	s_cbranch_scc0 .LBB168_73
; %bb.47:
	s_cmp_lt_u32 s6, 27
	s_cbranch_scc1 .LBB168_55
; %bb.48:
	s_lshl_b32 s10, s6, 8
	v_add_u32_e32 v52, s10, v1
	v_add_u32_e32 v2, 0xffffff00, v52
	;; [unrolled: 1-line block ×4, first 2 shown]
	ds_read_b64 v[6:7], v52
	ds_read_b64 v[8:9], v2
	;; [unrolled: 1-line block ×4, first 2 shown]
	v_add_u32_e32 v18, 0xfffff600, v52
	v_add_u32_e32 v20, 0xfffff500, v52
	s_waitcnt lgkmcnt(2)
	scratch_store_dwordx4 off, v[6:9], off
	s_waitcnt lgkmcnt(0)
	scratch_store_dwordx4 off, v[2:5], off offset:16
	v_add_u32_e32 v6, 0xfffffc00, v52
	v_add_u32_e32 v7, 0xfffffb00, v52
	ds_read_b64 v[10:11], v6
	ds_read_b64 v[12:13], v7
	v_add_u32_e32 v6, 0xfffffa00, v52
	v_add_u32_e32 v7, 0xfffff900, v52
	ds_read_b64 v[14:15], v6
	ds_read_b64 v[16:17], v7
	v_add_u32_e32 v6, 0xfffff800, v52
	s_waitcnt lgkmcnt(2)
	scratch_store_dwordx4 off, v[10:13], off offset:32
	v_add_u32_e32 v7, 0xfffff700, v52
	ds_read_b64 v[22:23], v6
	ds_read_b64 v[24:25], v7
	;; [unrolled: 1-line block ×4, first 2 shown]
	v_add_u32_e32 v6, 0xfffff400, v52
	v_add_u32_e32 v26, 0xfffff200, v52
	;; [unrolled: 1-line block ×4, first 2 shown]
	ds_read_b64 v[30:31], v6
	ds_read_b64 v[32:33], v7
	;; [unrolled: 1-line block ×4, first 2 shown]
	s_waitcnt lgkmcnt(8)
	scratch_store_dwordx4 off, v[14:17], off offset:48
	s_waitcnt lgkmcnt(6)
	scratch_store_dwordx4 off, v[22:25], off offset:64
	;; [unrolled: 2-line block ×5, first 2 shown]
	v_add_u32_e32 v6, 0xfffff000, v52
	v_add_u32_e32 v7, 0xffffef00, v52
	ds_read_b64 v[34:35], v6
	ds_read_b64 v[36:37], v7
	v_add_u32_e32 v6, 0xffffee00, v52
	v_add_u32_e32 v7, 0xffffed00, v52
	ds_read_b64 v[38:39], v6
	ds_read_b64 v[40:41], v7
	v_add_u32_e32 v6, 0xffffec00, v52
	s_waitcnt lgkmcnt(2)
	scratch_store_dwordx4 off, v[34:37], off offset:128
	v_add_u32_e32 v7, 0xffffeb00, v52
	v_add_u32_e32 v46, 0xffffea00, v52
	;; [unrolled: 1-line block ×3, first 2 shown]
	ds_read_b64 v[42:43], v6
	ds_read_b64 v[44:45], v7
	;; [unrolled: 1-line block ×4, first 2 shown]
	v_add_u32_e32 v6, 0xffffe800, v52
	v_add_u32_e32 v7, 0xffffe700, v52
	;; [unrolled: 1-line block ×4, first 2 shown]
	ds_read_b64 v[88:89], v6
	ds_read_b64 v[128:129], v7
	;; [unrolled: 1-line block ×4, first 2 shown]
	s_cmp_gt_i32 s7, s6
	s_waitcnt lgkmcnt(8)
	scratch_store_dwordx4 off, v[38:41], off offset:144
	s_waitcnt lgkmcnt(6)
	scratch_store_dwordx4 off, v[42:45], off offset:160
	s_waitcnt lgkmcnt(5)
	scratch_store_dwordx2 off, v[50:51], off offset:176
	s_cbranch_scc1 .LBB168_50
; %bb.49:
	scratch_load_dwordx4 v[46:49], off, off
	scratch_load_dwordx2 v[6:7], off, off offset:16
	s_cbranch_execz .LBB168_51
	s_branch .LBB168_54
.LBB168_50:
                                        ; implicit-def: $vgpr47
                                        ; implicit-def: $vgpr6
.LBB168_51:
	scratch_load_dwordx2 v[6:7], off, off
	s_lshl_b32 s4, s28, 8
	s_lshl_b32 s5, s6, 3
	s_waitcnt vmcnt(2)
	v_lshl_or_b32 v46, v0, 3, s4
	s_add_i32 s4, s4, s5
	v_add_u32_e32 v48, 0x1f00, v46
	s_addk_i32 s4, 0xfe28
	s_mov_b32 s5, s7
.LBB168_52:                             ; =>This Inner Loop Header: Depth=1
	ds_read_b64 v[46:47], v48
	v_mov_b32_e32 v49, s4
	ds_read2_b64 v[54:57], v49 offset0:26 offset1:27
	ds_read2_b64 v[58:61], v49 offset0:24 offset1:25
	;; [unrolled: 1-line block ×13, first 2 shown]
	s_add_i32 s5, s5, -1
	s_addk_i32 s4, 0xff00
	s_waitcnt lgkmcnt(12)
	v_pk_mul_f32 v[86:87], v[56:57], v[46:47] op_sel:[0,1]
	v_pk_mul_f32 v[112:113], v[54:55], v[46:47] op_sel:[0,1]
	v_pk_fma_f32 v[164:165], v[56:57], v[46:47], v[86:87] op_sel:[0,0,1] op_sel_hi:[1,1,0] neg_lo:[0,0,1] neg_hi:[0,0,1]
	v_pk_fma_f32 v[86:87], v[56:57], v[46:47], v[86:87] op_sel:[0,0,1] op_sel_hi:[1,0,0]
	v_pk_fma_f32 v[166:167], v[54:55], v[46:47], v[112:113] op_sel:[0,0,1] op_sel_hi:[1,1,0] neg_lo:[0,0,1] neg_hi:[0,0,1]
	v_pk_fma_f32 v[112:113], v[54:55], v[46:47], v[112:113] op_sel:[0,0,1] op_sel_hi:[1,0,0]
	ds_read2_b64 v[54:57], v49 offset1:1
	s_waitcnt lgkmcnt(12)
	v_pk_mul_f32 v[114:115], v[60:61], v[46:47] op_sel:[0,1]
	v_pk_mul_f32 v[116:117], v[58:59], v[46:47] op_sel:[0,1]
	s_waitcnt lgkmcnt(11)
	v_pk_mul_f32 v[118:119], v[64:65], v[46:47] op_sel:[0,1]
	v_pk_mul_f32 v[120:121], v[62:63], v[46:47] op_sel:[0,1]
	;; [unrolled: 3-line block ×11, first 2 shown]
	v_pk_fma_f32 v[168:169], v[60:61], v[46:47], v[114:115] op_sel:[0,0,1] op_sel_hi:[1,1,0] neg_lo:[0,0,1] neg_hi:[0,0,1]
	v_pk_fma_f32 v[60:61], v[60:61], v[46:47], v[114:115] op_sel:[0,0,1] op_sel_hi:[1,0,0]
	v_pk_fma_f32 v[114:115], v[58:59], v[46:47], v[116:117] op_sel:[0,0,1] op_sel_hi:[1,1,0] neg_lo:[0,0,1] neg_hi:[0,0,1]
	v_pk_fma_f32 v[58:59], v[58:59], v[46:47], v[116:117] op_sel:[0,0,1] op_sel_hi:[1,0,0]
	;; [unrolled: 2-line block ×22, first 2 shown]
	s_waitcnt lgkmcnt(1)
	v_pk_mul_f32 v[162:163], v[110:111], v[46:47] op_sel:[0,1]
	v_mov_b32_e32 v165, v87
	v_pk_fma_f32 v[170:171], v[110:111], v[46:47], v[162:163] op_sel:[0,0,1] op_sel_hi:[1,1,0] neg_lo:[0,0,1] neg_hi:[0,0,1]
	v_pk_fma_f32 v[110:111], v[110:111], v[46:47], v[162:163] op_sel:[0,0,1] op_sel_hi:[1,0,0]
	v_pk_mul_f32 v[162:163], v[108:109], v[46:47] op_sel:[0,1]
	v_mov_b32_e32 v167, v113
	v_pk_fma_f32 v[172:173], v[108:109], v[46:47], v[162:163] op_sel:[0,0,1] op_sel_hi:[1,1,0] neg_lo:[0,0,1] neg_hi:[0,0,1]
	v_pk_fma_f32 v[108:109], v[108:109], v[46:47], v[162:163] op_sel:[0,0,1] op_sel_hi:[1,0,0]
	s_waitcnt lgkmcnt(0)
	v_pk_mul_f32 v[162:163], v[56:57], v[46:47] op_sel:[0,1]
	v_mov_b32_e32 v169, v61
	v_pk_fma_f32 v[174:175], v[56:57], v[46:47], v[162:163] op_sel:[0,0,1] op_sel_hi:[1,1,0] neg_lo:[0,0,1] neg_hi:[0,0,1]
	v_pk_fma_f32 v[56:57], v[56:57], v[46:47], v[162:163] op_sel:[0,0,1] op_sel_hi:[1,0,0]
	v_pk_mul_f32 v[162:163], v[54:55], v[46:47] op_sel:[0,1]
	v_mov_b32_e32 v115, v59
	v_pk_fma_f32 v[176:177], v[54:55], v[46:47], v[162:163] op_sel:[0,0,1] op_sel_hi:[1,1,0] neg_lo:[0,0,1] neg_hi:[0,0,1]
	v_pk_fma_f32 v[46:47], v[54:55], v[46:47], v[162:163] op_sel:[0,0,1] op_sel_hi:[1,0,0]
	v_mov_b32_e32 v117, v65
	v_mov_b32_e32 v119, v63
	;; [unrolled: 1-line block ×24, first 2 shown]
	v_add_u32_e32 v48, 0xffffff00, v48
	s_cmp_gt_i32 s5, s6
	s_waitcnt vmcnt(0)
	v_pk_add_f32 v[6:7], v[6:7], v[164:165] neg_lo:[0,1] neg_hi:[0,1]
	v_pk_add_f32 v[8:9], v[8:9], v[166:167] neg_lo:[0,1] neg_hi:[0,1]
	;; [unrolled: 1-line block ×28, first 2 shown]
	s_cbranch_scc1 .LBB168_52
; %bb.53:
	scratch_store_dwordx4 off, v[6:9], off
	scratch_store_dwordx4 off, v[2:5], off offset:16
	scratch_store_dwordx4 off, v[10:13], off offset:32
	;; [unrolled: 1-line block ×10, first 2 shown]
	scratch_store_dwordx2 off, v[50:51], off offset:176
	v_mov_b32_e32 v47, v7
	v_mov_b32_e32 v46, v6
	;; [unrolled: 1-line block ×6, first 2 shown]
.LBB168_54:
	s_add_i32 s4, s6, -1
	s_lshl_b32 s5, s4, 3
	s_add_i32 s11, s5, s10
	v_mov_b32_e32 v2, s11
	ds_read2_b64 v[2:5], v2 offset1:1
	s_lshl_b32 s11, s4, 8
	s_add_i32 s4, s5, s11
	s_add_i32 s22, s6, -13
	s_add_i32 s24, s6, -15
	s_waitcnt vmcnt(1) lgkmcnt(0)
	v_mul_f32_e32 v19, v4, v47
	v_mul_f32_e32 v8, v5, v47
	v_fmac_f32_e32 v19, v5, v46
	v_fma_f32 v18, v4, v46, -v8
	v_mul_f32_e32 v4, v3, v19
	v_fma_f32 v4, v2, v18, -v4
	v_mul_f32_e32 v2, v2, v19
	v_fmac_f32_e32 v2, v3, v18
	v_sub_f32_e32 v5, v49, v2
	v_mov_b32_e32 v2, s4
	ds_read_b64 v[2:3], v2
	s_add_i32 s4, s6, -3
	v_sub_f32_e32 v4, v48, v4
	s_lshl_b32 s13, s4, 3
	s_add_i32 s5, s13, s10
	s_waitcnt lgkmcnt(0)
	v_mul_f32_e32 v8, v3, v5
	v_mul_f32_e32 v21, v2, v5
	v_fma_f32 v20, v2, v4, -v8
	v_fmac_f32_e32 v21, v3, v4
	v_add_u32_e32 v2, s11, v1
	ds_write_b64 v2, v[20:21]
	v_mov_b32_e32 v2, s5
	ds_read2_b64 v[2:5], v2 offset1:1
	s_add_i32 s5, s13, s11
	scratch_store_dwordx2 off, v[18:19], off
	scratch_store_dwordx2 off, v[20:21], off offset:8
	ds_write_b64 v52, v[18:19]
	s_waitcnt lgkmcnt(1)
	v_mul_f32_e32 v8, v5, v19
	v_fma_f32 v8, v4, v18, -v8
	v_mul_f32_e32 v4, v4, v19
	v_fmac_f32_e32 v4, v5, v18
	s_waitcnt vmcnt(2)
	v_sub_f32_e32 v9, v7, v4
	v_mov_b32_e32 v4, s5
	v_sub_f32_e32 v8, v6, v8
	ds_read2_b64 v[4:7], v4 offset1:1
	s_add_i32 s5, s10, 0xfffffe00
	s_add_i32 s12, s13, s5
	s_lshl_b32 s25, s24, 3
	s_sub_i32 s26, s6, 17
	s_waitcnt lgkmcnt(0)
	v_mul_f32_e32 v10, v7, v21
	v_fma_f32 v10, v6, v20, -v10
	v_mul_f32_e32 v6, v6, v21
	v_fmac_f32_e32 v6, v7, v20
	v_sub_f32_e32 v11, v9, v6
	v_mov_b32_e32 v6, s12
	v_sub_f32_e32 v10, v8, v10
	ds_read2_b64 v[6:9], v6 offset1:1
	s_lshl_b32 s12, s4, 8
	s_add_i32 s4, s13, s12
	s_lshl_b32 s24, s24, 8
	s_lshl_b32 s27, s26, 3
	s_waitcnt lgkmcnt(0)
	v_mul_f32_e32 v12, v9, v11
	v_mul_f32_e32 v23, v8, v11
	v_fma_f32 v22, v8, v10, -v12
	v_fmac_f32_e32 v23, v9, v10
	v_add_u32_e32 v8, s5, v1
	ds_write_b64 v8, v[22:23]
	scratch_load_dwordx4 v[8:11], off, off offset:24
	v_mul_f32_e32 v12, v3, v19
	v_fma_f32 v12, v2, v18, -v12
	v_mul_f32_e32 v2, v2, v19
	v_fmac_f32_e32 v2, v3, v18
	scratch_store_dwordx2 off, v[22:23], off offset:16
	s_lshl_b32 s26, s26, 8
	s_sub_i32 s30, s6, 19
	s_lshl_b32 s31, s30, 3
	s_lshl_b32 s30, s30, 8
	s_sub_i32 s33, s6, 21
	s_lshl_b32 s34, s33, 3
	s_lshl_b32 s33, s33, 8
	s_waitcnt vmcnt(1)
	v_sub_f32_e32 v3, v8, v12
	v_mul_f32_e32 v8, v5, v21
	v_fma_f32 v8, v4, v20, -v8
	v_mul_f32_e32 v4, v4, v21
	v_sub_f32_e32 v2, v9, v2
	v_fmac_f32_e32 v4, v5, v20
	v_mul_f32_e32 v5, v6, v23
	v_sub_f32_e32 v2, v2, v4
	v_mul_f32_e32 v4, v7, v23
	v_fmac_f32_e32 v5, v7, v22
	v_sub_f32_e32 v3, v3, v8
	v_fma_f32 v4, v6, v22, -v4
	v_sub_f32_e32 v5, v2, v5
	v_mov_b32_e32 v2, s4
	v_sub_f32_e32 v4, v3, v4
	ds_read_b64 v[2:3], v2
	s_add_i32 s4, s6, -5
	s_lshl_b32 s15, s4, 3
	s_add_i32 s13, s15, s10
	s_waitcnt lgkmcnt(0)
	v_mul_f32_e32 v6, v3, v5
	v_mul_f32_e32 v25, v2, v5
	v_fma_f32 v24, v2, v4, -v6
	v_fmac_f32_e32 v25, v3, v4
	v_add_u32_e32 v2, s12, v1
	ds_write_b64 v2, v[24:25]
	v_mov_b32_e32 v2, s13
	ds_read2_b64 v[6:9], v2 offset1:1
	s_add_i32 s13, s15, s11
	v_mov_b32_e32 v4, s13
	s_add_i32 s13, s15, s5
	scratch_store_dwordx2 off, v[24:25], off offset:24
	s_waitcnt lgkmcnt(0)
	v_mul_f32_e32 v2, v9, v19
	v_mul_f32_e32 v3, v8, v19
	v_fma_f32 v2, v8, v18, -v2
	v_fmac_f32_e32 v3, v9, v18
	v_sub_f32_e32 v2, v10, v2
	v_sub_f32_e32 v3, v11, v3
	ds_read2_b64 v[8:11], v4 offset1:1
	s_waitcnt lgkmcnt(0)
	v_mul_f32_e32 v4, v11, v21
	v_fma_f32 v4, v10, v20, -v4
	v_mul_f32_e32 v5, v10, v21
	v_sub_f32_e32 v2, v2, v4
	v_mov_b32_e32 v4, s13
	v_fmac_f32_e32 v5, v11, v20
	ds_read2_b64 v[10:13], v4 offset1:1
	s_add_i32 s13, s15, s12
	v_sub_f32_e32 v3, v3, v5
	s_waitcnt lgkmcnt(0)
	v_mul_f32_e32 v4, v13, v23
	v_fma_f32 v4, v12, v22, -v4
	v_mul_f32_e32 v5, v12, v23
	v_sub_f32_e32 v2, v2, v4
	v_mov_b32_e32 v4, s13
	v_fmac_f32_e32 v5, v13, v22
	ds_read2_b64 v[12:15], v4 offset1:1
	s_add_i32 s13, s10, 0xfffffc00
	s_add_i32 s14, s15, s13
	v_sub_f32_e32 v3, v3, v5
	s_waitcnt lgkmcnt(0)
	v_mul_f32_e32 v4, v15, v25
	v_fma_f32 v4, v14, v24, -v4
	v_mul_f32_e32 v5, v14, v25
	v_sub_f32_e32 v2, v2, v4
	v_mov_b32_e32 v4, s14
	v_fmac_f32_e32 v5, v15, v24
	ds_read2_b64 v[14:17], v4 offset1:1
	v_sub_f32_e32 v3, v3, v5
	s_lshl_b32 s14, s4, 8
	s_add_i32 s4, s15, s14
	s_waitcnt lgkmcnt(0)
	v_mul_f32_e32 v4, v17, v3
	v_mul_f32_e32 v27, v16, v3
	v_fma_f32 v26, v16, v2, -v4
	v_fmac_f32_e32 v27, v17, v2
	v_add_u32_e32 v2, s13, v1
	ds_write_b64 v2, v[26:27]
	scratch_load_dwordx4 v[2:5], off, off offset:40
	v_mul_f32_e32 v16, v7, v19
	v_fma_f32 v16, v6, v18, -v16
	v_mul_f32_e32 v6, v6, v19
	v_fmac_f32_e32 v6, v7, v18
	v_mul_f32_e32 v7, v8, v21
	v_fmac_f32_e32 v7, v9, v20
	scratch_store_dwordx2 off, v[26:27], off offset:32
	s_waitcnt vmcnt(1)
	v_sub_f32_e32 v3, v3, v6
	v_mul_f32_e32 v6, v9, v21
	v_sub_f32_e32 v2, v2, v16
	v_fma_f32 v6, v8, v20, -v6
	v_sub_f32_e32 v2, v2, v6
	v_mul_f32_e32 v6, v11, v23
	v_sub_f32_e32 v3, v3, v7
	v_fma_f32 v6, v10, v22, -v6
	v_mul_f32_e32 v7, v10, v23
	v_fmac_f32_e32 v7, v11, v22
	v_sub_f32_e32 v2, v2, v6
	v_mul_f32_e32 v6, v13, v25
	v_sub_f32_e32 v3, v3, v7
	v_fma_f32 v6, v12, v24, -v6
	v_mul_f32_e32 v7, v12, v25
	v_fmac_f32_e32 v7, v13, v24
	;; [unrolled: 6-line block ×3, first 2 shown]
	v_sub_f32_e32 v6, v2, v6
	v_mov_b32_e32 v2, s4
	v_sub_f32_e32 v7, v3, v7
	ds_read_b64 v[2:3], v2
	s_add_i32 s4, s6, -7
	s_lshl_b32 s17, s4, 3
	s_add_i32 s15, s17, s10
	s_waitcnt lgkmcnt(0)
	v_mul_f32_e32 v8, v3, v7
	v_mul_f32_e32 v15, v2, v7
	v_fma_f32 v14, v2, v6, -v8
	v_fmac_f32_e32 v15, v3, v6
	v_add_u32_e32 v2, s14, v1
	ds_write_b64 v2, v[14:15]
	v_mov_b32_e32 v2, s15
	ds_read2_b64 v[6:9], v2 offset1:1
	s_add_i32 s15, s17, s11
	scratch_store_dwordx2 off, v[14:15], off offset:40
	s_waitcnt lgkmcnt(0)
	v_mul_f32_e32 v2, v9, v19
	v_fma_f32 v2, v8, v18, -v2
	v_mul_f32_e32 v3, v8, v19
	v_sub_f32_e32 v2, v4, v2
	v_mov_b32_e32 v4, s15
	v_fmac_f32_e32 v3, v9, v18
	ds_read2_b64 v[8:11], v4 offset1:1
	s_add_i32 s15, s17, s5
	v_sub_f32_e32 v3, v5, v3
	v_mul_f32_e32 v16, v7, v19
	v_fma_f32 v16, v6, v18, -v16
	s_waitcnt lgkmcnt(0)
	v_mul_f32_e32 v4, v11, v21
	v_fma_f32 v4, v10, v20, -v4
	v_mul_f32_e32 v5, v10, v21
	v_sub_f32_e32 v2, v2, v4
	v_mov_b32_e32 v4, s15
	v_fmac_f32_e32 v5, v11, v20
	ds_read2_b64 v[10:13], v4 offset1:1
	s_add_i32 s15, s17, s12
	v_sub_f32_e32 v3, v3, v5
	v_mul_f32_e32 v6, v6, v19
	v_fmac_f32_e32 v6, v7, v18
	s_waitcnt lgkmcnt(0)
	v_mul_f32_e32 v4, v13, v23
	v_fma_f32 v4, v12, v22, -v4
	v_sub_f32_e32 v2, v2, v4
	v_mov_b32_e32 v4, s15
	ds_read2_b64 v[28:31], v4 offset1:1
	v_mul_f32_e32 v5, v12, v23
	v_fmac_f32_e32 v5, v13, v22
	s_add_i32 s15, s17, s13
	v_sub_f32_e32 v3, v3, v5
	s_waitcnt lgkmcnt(0)
	v_mul_f32_e32 v4, v31, v25
	v_fma_f32 v4, v30, v24, -v4
	v_mul_f32_e32 v5, v30, v25
	v_sub_f32_e32 v2, v2, v4
	v_mov_b32_e32 v4, s15
	v_fmac_f32_e32 v5, v31, v24
	ds_read2_b64 v[30:33], v4 offset1:1
	s_add_i32 s15, s17, s14
	v_sub_f32_e32 v3, v3, v5
	v_mul_f32_e32 v7, v8, v21
	v_fmac_f32_e32 v7, v9, v20
	s_waitcnt lgkmcnt(0)
	v_mul_f32_e32 v4, v33, v27
	v_fma_f32 v4, v32, v26, -v4
	v_mul_f32_e32 v5, v32, v27
	v_sub_f32_e32 v2, v2, v4
	v_mov_b32_e32 v4, s15
	v_fmac_f32_e32 v5, v33, v26
	ds_read2_b64 v[32:35], v4 offset1:1
	s_add_i32 s15, s10, 0xfffffa00
	s_add_i32 s16, s17, s15
	v_sub_f32_e32 v3, v3, v5
	s_waitcnt lgkmcnt(0)
	v_mul_f32_e32 v4, v35, v15
	v_fma_f32 v4, v34, v14, -v4
	v_mul_f32_e32 v5, v34, v15
	v_sub_f32_e32 v2, v2, v4
	v_mov_b32_e32 v4, s16
	v_fmac_f32_e32 v5, v35, v14
	ds_read2_b64 v[34:37], v4 offset1:1
	v_sub_f32_e32 v3, v3, v5
	s_lshl_b32 s16, s4, 8
	s_add_i32 s4, s17, s16
	s_waitcnt lgkmcnt(0)
	v_mul_f32_e32 v4, v37, v3
	v_mul_f32_e32 v13, v36, v3
	v_fma_f32 v12, v36, v2, -v4
	v_fmac_f32_e32 v13, v37, v2
	v_add_u32_e32 v2, s15, v1
	ds_write_b64 v2, v[12:13]
	scratch_load_dwordx4 v[2:5], off, off offset:56
	s_waitcnt vmcnt(0)
	v_sub_f32_e32 v3, v3, v6
	v_mul_f32_e32 v6, v9, v21
	v_sub_f32_e32 v2, v2, v16
	v_fma_f32 v6, v8, v20, -v6
	v_sub_f32_e32 v2, v2, v6
	v_mul_f32_e32 v6, v11, v23
	v_sub_f32_e32 v3, v3, v7
	v_fma_f32 v6, v10, v22, -v6
	v_mul_f32_e32 v7, v10, v23
	v_fmac_f32_e32 v7, v11, v22
	v_sub_f32_e32 v2, v2, v6
	v_mul_f32_e32 v6, v29, v25
	v_sub_f32_e32 v3, v3, v7
	v_fma_f32 v6, v28, v24, -v6
	v_mul_f32_e32 v7, v28, v25
	v_fmac_f32_e32 v7, v29, v24
	;; [unrolled: 6-line block ×5, first 2 shown]
	v_sub_f32_e32 v6, v2, v6
	v_mov_b32_e32 v2, s4
	v_sub_f32_e32 v7, v3, v7
	ds_read_b64 v[2:3], v2
	scratch_store_dwordx2 off, v[12:13], off offset:48
	s_add_i32 s4, s6, -9
	s_lshl_b32 s19, s4, 3
	s_add_i32 s17, s19, s10
	s_waitcnt lgkmcnt(0)
	v_mul_f32_e32 v8, v3, v7
	v_mul_f32_e32 v13, v2, v7
	v_fma_f32 v12, v2, v6, -v8
	v_fmac_f32_e32 v13, v3, v6
	scratch_store_dwordx2 off, v[12:13], off offset:56
	scratch_load_dwordx4 v[6:9], off, off offset:48
	v_add_u32_e32 v2, s16, v1
	s_waitcnt vmcnt(0)
	ds_write_b64 v2, v[8:9]
	scratch_load_dwordx4 v[8:11], off, off
	v_mov_b32_e32 v2, s17
	ds_read2_b64 v[26:29], v2 offset1:1
	s_add_i32 s17, s19, s11
	s_waitcnt vmcnt(0) lgkmcnt(0)
	v_mul_f32_e32 v2, v29, v9
	v_fma_f32 v2, v28, v8, -v2
	v_mul_f32_e32 v3, v28, v9
	v_sub_f32_e32 v2, v4, v2
	v_mov_b32_e32 v4, s17
	v_fmac_f32_e32 v3, v29, v8
	ds_read2_b64 v[28:31], v4 offset1:1
	v_sub_f32_e32 v3, v5, v3
	s_add_i32 s17, s19, s5
	s_waitcnt lgkmcnt(0)
	v_mul_f32_e32 v4, v31, v11
	v_mul_f32_e32 v5, v30, v11
	v_fma_f32 v4, v30, v10, -v4
	v_fmac_f32_e32 v5, v31, v10
	v_sub_f32_e32 v8, v2, v4
	v_sub_f32_e32 v9, v3, v5
	scratch_load_dwordx4 v[2:5], off, off offset:16
	v_mov_b32_e32 v10, s17
	ds_read2_b64 v[20:23], v10 offset1:1
	s_add_i32 s17, s19, s12
	s_waitcnt vmcnt(0) lgkmcnt(0)
	v_mul_f32_e32 v10, v23, v3
	v_fma_f32 v10, v22, v2, -v10
	v_mul_f32_e32 v3, v22, v3
	v_fmac_f32_e32 v3, v23, v2
	v_sub_f32_e32 v2, v8, v10
	v_mov_b32_e32 v8, s17
	ds_read2_b64 v[22:25], v8 offset1:1
	v_sub_f32_e32 v3, v9, v3
	s_add_i32 s17, s19, s13
	v_mov_b32_e32 v10, s17
	ds_read2_b64 v[14:17], v10 offset1:1
	s_waitcnt lgkmcnt(1)
	v_mul_f32_e32 v8, v25, v5
	v_mul_f32_e32 v5, v24, v5
	v_fma_f32 v8, v24, v4, -v8
	v_fmac_f32_e32 v5, v25, v4
	v_sub_f32_e32 v8, v2, v8
	v_sub_f32_e32 v9, v3, v5
	scratch_load_dwordx4 v[2:5], off, off offset:32
	s_add_i32 s17, s19, s14
	s_waitcnt vmcnt(0) lgkmcnt(0)
	v_mul_f32_e32 v10, v17, v3
	v_fma_f32 v10, v16, v2, -v10
	v_mul_f32_e32 v3, v16, v3
	v_fmac_f32_e32 v3, v17, v2
	v_sub_f32_e32 v2, v8, v10
	v_mov_b32_e32 v8, s17
	ds_read2_b64 v[16:19], v8 offset1:1
	s_add_i32 s17, s19, s15
	v_sub_f32_e32 v3, v9, v3
	s_waitcnt lgkmcnt(0)
	v_mul_f32_e32 v8, v19, v5
	v_fma_f32 v8, v18, v4, -v8
	v_mul_f32_e32 v5, v18, v5
	v_fmac_f32_e32 v5, v19, v4
	v_sub_f32_e32 v8, v2, v8
	v_mov_b32_e32 v2, s17
	v_sub_f32_e32 v9, v3, v5
	ds_read2_b64 v[2:5], v2 offset1:1
	s_add_i32 s17, s19, s16
	s_waitcnt lgkmcnt(0)
	v_mul_f32_e32 v10, v5, v7
	v_fma_f32 v10, v4, v6, -v10
	v_mul_f32_e32 v4, v4, v7
	v_fmac_f32_e32 v4, v5, v6
	v_mov_b32_e32 v6, s17
	v_sub_f32_e32 v5, v8, v10
	v_sub_f32_e32 v4, v9, v4
	ds_read2_b64 v[8:11], v6 offset1:1
	s_add_i32 s17, s10, 0xfffff800
	s_add_i32 s18, s19, s17
	s_waitcnt lgkmcnt(0)
	v_mul_f32_e32 v6, v11, v13
	v_fma_f32 v6, v10, v12, -v6
	v_mul_f32_e32 v7, v10, v13
	v_sub_f32_e32 v5, v5, v6
	v_mov_b32_e32 v6, s18
	v_fmac_f32_e32 v7, v11, v12
	ds_read2_b64 v[10:13], v6 offset1:1
	v_sub_f32_e32 v4, v4, v7
	s_lshl_b32 s18, s4, 8
	s_add_i32 s4, s19, s18
	s_waitcnt lgkmcnt(0)
	v_mul_f32_e32 v6, v13, v4
	v_mul_f32_e32 v19, v12, v4
	v_fma_f32 v18, v12, v5, -v6
	v_fmac_f32_e32 v19, v13, v5
	v_add_u32_e32 v4, s17, v1
	scratch_store_dwordx2 off, v[18:19], off offset:64
	ds_write_b64 v4, v[18:19]
	scratch_load_dwordx4 v[4:7], off, off offset:72
	scratch_load_dwordx4 v[30:33], off, off
	s_waitcnt vmcnt(0)
	v_mul_f32_e32 v12, v27, v31
	v_mul_f32_e32 v13, v26, v31
	v_fma_f32 v12, v26, v30, -v12
	v_fmac_f32_e32 v13, v27, v30
	scratch_load_dwordx4 v[24:27], off, off offset:16
	v_sub_f32_e32 v4, v4, v12
	v_sub_f32_e32 v5, v5, v13
	v_mul_f32_e32 v12, v29, v33
	v_mul_f32_e32 v13, v28, v33
	v_fma_f32 v12, v28, v32, -v12
	v_fmac_f32_e32 v13, v29, v32
	scratch_store_dword off, v4, off offset:72
	v_sub_f32_e32 v4, v4, v12
	v_sub_f32_e32 v5, v5, v13
	s_waitcnt vmcnt(1)
	v_mul_f32_e32 v12, v21, v25
	v_mul_f32_e32 v13, v20, v25
	v_fma_f32 v12, v20, v24, -v12
	v_fmac_f32_e32 v13, v21, v24
	v_sub_f32_e32 v4, v4, v12
	v_sub_f32_e32 v5, v5, v13
	v_mul_f32_e32 v12, v23, v27
	v_mul_f32_e32 v13, v22, v27
	v_fma_f32 v12, v22, v26, -v12
	v_fmac_f32_e32 v13, v23, v26
	scratch_load_dwordx4 v[20:23], off, off offset:32
	scratch_load_dwordx4 v[26:29], off, off offset:32
	v_sub_f32_e32 v4, v4, v12
	v_sub_f32_e32 v5, v5, v13
	s_waitcnt vmcnt(1)
	v_mul_f32_e32 v12, v15, v21
	v_mul_f32_e32 v13, v14, v21
	v_fma_f32 v12, v14, v20, -v12
	v_fmac_f32_e32 v13, v15, v20
	v_sub_f32_e32 v4, v4, v12
	v_sub_f32_e32 v5, v5, v13
	v_mul_f32_e32 v12, v17, v23
	v_mul_f32_e32 v13, v16, v23
	v_fma_f32 v12, v16, v22, -v12
	v_fmac_f32_e32 v13, v17, v22
	v_sub_f32_e32 v4, v4, v12
	v_sub_f32_e32 v5, v5, v13
	scratch_load_dwordx4 v[12:15], off, off offset:48
	s_waitcnt vmcnt(0)
	v_mul_f32_e32 v16, v3, v13
	v_fma_f32 v16, v2, v12, -v16
	v_mul_f32_e32 v2, v2, v13
	v_fmac_f32_e32 v2, v3, v12
	v_sub_f32_e32 v2, v5, v2
	v_mul_f32_e32 v5, v8, v15
	v_sub_f32_e32 v3, v4, v16
	v_mul_f32_e32 v4, v9, v15
	v_fmac_f32_e32 v5, v9, v14
	v_fma_f32 v4, v8, v14, -v4
	v_sub_f32_e32 v2, v2, v5
	v_mul_f32_e32 v5, v10, v19
	v_sub_f32_e32 v3, v3, v4
	v_mul_f32_e32 v4, v11, v19
	v_fmac_f32_e32 v5, v11, v18
	v_fma_f32 v4, v10, v18, -v4
	v_sub_f32_e32 v5, v2, v5
	v_mov_b32_e32 v2, s4
	v_sub_f32_e32 v4, v3, v4
	ds_read_b64 v[2:3], v2
	s_add_i32 s4, s6, -11
	s_lshl_b32 s21, s4, 3
	s_add_i32 s19, s21, s10
	s_waitcnt lgkmcnt(0)
	v_mul_f32_e32 v8, v3, v5
	v_mul_f32_e32 v31, v2, v5
	v_fma_f32 v30, v2, v4, -v8
	v_fmac_f32_e32 v31, v3, v4
	scratch_store_dwordx2 off, v[30:31], off offset:72
	scratch_load_dwordx4 v[12:15], off, off offset:64
	v_add_u32_e32 v2, s18, v1
	s_waitcnt vmcnt(0)
	ds_write_b64 v2, v[14:15]
	scratch_load_dwordx4 v[14:17], off, off
	v_mov_b32_e32 v2, s19
	ds_read2_b64 v[2:5], v2 offset1:1
	s_add_i32 s19, s21, s11
	s_waitcnt vmcnt(0) lgkmcnt(0)
	v_pk_mul_f32 v[8:9], v[4:5], v[14:15]
	s_nop 0
	v_sub_f32_e32 v8, v8, v9
	v_sub_f32_e32 v6, v6, v8
	v_mov_b32_e32 v8, s19
	ds_read2_b64 v[8:11], v8 offset1:1
	v_mov_b32_e32 v18, v14
	v_mov_b32_e32 v20, v15
	;; [unrolled: 1-line block ×4, first 2 shown]
	s_waitcnt lgkmcnt(0)
	v_mov_b32_e32 v5, v11
	v_mov_b32_e32 v19, v16
	;; [unrolled: 1-line block ×3, first 2 shown]
	v_pk_mul_f32 v[4:5], v[4:5], v[20:21]
	s_add_i32 s19, s21, s5
	v_pk_fma_f32 v[20:21], v[14:15], v[18:19], v[4:5] neg_lo:[0,0,1] neg_hi:[0,0,1]
	v_pk_fma_f32 v[4:5], v[14:15], v[18:19], v[4:5]
	s_nop 0
	v_pk_mov_b32 v[4:5], v[20:21], v[4:5] op_sel:[1,0]
	scratch_load_dwordx4 v[20:23], off, off offset:16
	v_pk_add_f32 v[4:5], v[6:7], v[4:5] neg_lo:[0,1] neg_hi:[0,1]
	v_mul_f32_e32 v6, v11, v16
	v_fmac_f32_e32 v6, v10, v17
	v_sub_f32_e32 v6, v5, v6
	scratch_store_dwordx2 off, v[4:5], off offset:80
	v_mov_b32_e32 v5, s19
	ds_read2_b64 v[16:19], v5 offset1:1
	s_add_i32 s19, s21, s12
	s_waitcnt vmcnt(1) lgkmcnt(0)
	v_mul_f32_e32 v5, v19, v21
	v_fma_f32 v5, v18, v20, -v5
	v_mul_f32_e32 v7, v18, v21
	v_fmac_f32_e32 v7, v19, v20
	v_sub_f32_e32 v10, v4, v5
	v_mov_b32_e32 v4, s19
	v_sub_f32_e32 v11, v6, v7
	ds_read2_b64 v[4:7], v4 offset1:1
	s_add_i32 s19, s21, s13
	s_waitcnt lgkmcnt(0)
	v_mul_f32_e32 v14, v7, v23
	v_fma_f32 v14, v6, v22, -v14
	v_mul_f32_e32 v6, v6, v23
	v_fmac_f32_e32 v6, v7, v22
	v_sub_f32_e32 v7, v10, v14
	v_mov_b32_e32 v10, s19
	ds_read2_b64 v[22:25], v10 offset1:1
	s_add_i32 s19, s21, s14
	v_sub_f32_e32 v6, v11, v6
	s_waitcnt lgkmcnt(0)
	v_mul_f32_e32 v10, v25, v27
	v_fma_f32 v10, v24, v26, -v10
	v_sub_f32_e32 v7, v7, v10
	v_mov_b32_e32 v10, s19
	ds_read2_b64 v[18:21], v10 offset1:1
	v_mul_f32_e32 v11, v24, v27
	v_fmac_f32_e32 v11, v25, v26
	v_sub_f32_e32 v6, v6, v11
	s_add_i32 s19, s21, s15
	s_waitcnt lgkmcnt(0)
	v_mul_f32_e32 v10, v21, v29
	v_mul_f32_e32 v11, v20, v29
	v_fma_f32 v10, v20, v28, -v10
	v_fmac_f32_e32 v11, v21, v28
	scratch_load_dwordx4 v[26:29], off, off offset:48
	v_sub_f32_e32 v7, v7, v10
	v_mov_b32_e32 v10, s19
	ds_read2_b64 v[32:35], v10 offset1:1
	s_add_i32 s19, s21, s16
	v_sub_f32_e32 v6, v6, v11
	s_waitcnt vmcnt(0) lgkmcnt(0)
	v_mul_f32_e32 v10, v35, v27
	v_fma_f32 v10, v34, v26, -v10
	v_mul_f32_e32 v11, v34, v27
	v_sub_f32_e32 v7, v7, v10
	v_mov_b32_e32 v10, s19
	v_fmac_f32_e32 v11, v35, v26
	ds_read2_b64 v[24:27], v10 offset1:1
	s_add_i32 s19, s21, s17
	v_sub_f32_e32 v6, v6, v11
	s_waitcnt lgkmcnt(0)
	v_mul_f32_e32 v10, v27, v29
	v_fma_f32 v10, v26, v28, -v10
	v_mul_f32_e32 v11, v26, v29
	v_sub_f32_e32 v7, v7, v10
	v_mov_b32_e32 v10, s19
	v_fmac_f32_e32 v11, v27, v28
	ds_read2_b64 v[26:29], v10 offset1:1
	v_sub_f32_e32 v6, v6, v11
	s_add_i32 s19, s21, s18
	s_waitcnt lgkmcnt(0)
	v_mul_f32_e32 v10, v29, v13
	v_fma_f32 v10, v28, v12, -v10
	v_mul_f32_e32 v11, v28, v13
	v_fmac_f32_e32 v11, v29, v12
	v_sub_f32_e32 v7, v7, v10
	v_mov_b32_e32 v10, s19
	v_sub_f32_e32 v6, v6, v11
	ds_read2_b64 v[10:13], v10 offset1:1
	s_add_i32 s19, s10, 0xfffff600
	s_add_i32 s20, s21, s19
	s_waitcnt lgkmcnt(0)
	v_mul_f32_e32 v14, v13, v31
	v_fma_f32 v14, v12, v30, -v14
	v_mul_f32_e32 v12, v12, v31
	v_fmac_f32_e32 v12, v13, v30
	v_sub_f32_e32 v13, v7, v14
	v_sub_f32_e32 v7, v6, v12
	v_mov_b32_e32 v6, s20
	ds_read2_b64 v[28:31], v6 offset1:1
	v_add_u32_e32 v12, s19, v1
	s_lshl_b32 s20, s4, 8
	s_add_i32 s4, s21, s20
	s_waitcnt lgkmcnt(0)
	v_mul_f32_e32 v6, v31, v7
	v_mul_f32_e32 v7, v30, v7
	v_fma_f32 v6, v30, v13, -v6
	v_fmac_f32_e32 v7, v31, v13
	scratch_store_dwordx2 off, v[6:7], off offset:80
	scratch_load_dwordx4 v[34:37], off, off offset:72
	s_waitcnt vmcnt(0)
	ds_write_b64 v12, v[36:37]
	scratch_load_dwordx4 v[12:15], off, off offset:88
	scratch_load_dwordx4 v[36:39], off, off
	scratch_load_dwordx4 v[40:43], off, off offset:8
	s_waitcnt vmcnt(1)
	v_mov_b32_e32 v20, v36
	v_mov_b32_e32 v21, v38
	;; [unrolled: 1-line block ×3, first 2 shown]
	v_pk_mul_f32 v[30:31], v[2:3], v[36:37]
	v_mov_b32_e32 v36, v3
	v_mov_b32_e32 v3, v9
	;; [unrolled: 1-line block ×3, first 2 shown]
	v_pk_mul_f32 v[2:3], v[2:3], v[38:39]
	v_sub_f32_e32 v30, v30, v31
	v_pk_fma_f32 v[38:39], v[36:37], v[20:21], v[2:3] neg_lo:[0,0,1] neg_hi:[0,0,1]
	v_pk_fma_f32 v[2:3], v[36:37], v[20:21], v[2:3]
	v_sub_f32_e32 v12, v12, v30
	v_pk_mov_b32 v[2:3], v[38:39], v[2:3] op_sel:[1,0]
	scratch_load_dwordx4 v[36:39], off, off offset:24
	s_waitcnt vmcnt(1)
	v_mov_b32_e32 v30, v40
	v_mov_b32_e32 v40, v41
	;; [unrolled: 1-line block ×3, first 2 shown]
	v_pk_add_f32 v[2:3], v[12:13], v[2:3] neg_lo:[0,1] neg_hi:[0,1]
	v_mov_b32_e32 v12, v9
	v_mov_b32_e32 v9, v17
	;; [unrolled: 1-line block ×4, first 2 shown]
	v_pk_mul_f32 v[8:9], v[8:9], v[40:41]
	s_nop 0
	v_pk_fma_f32 v[20:21], v[12:13], v[30:31], v[8:9] neg_lo:[0,0,1] neg_hi:[0,0,1]
	v_pk_fma_f32 v[8:9], v[12:13], v[30:31], v[8:9]
	s_nop 0
	v_pk_mov_b32 v[8:9], v[20:21], v[8:9] op_sel:[1,0]
	s_nop 0
	v_pk_add_f32 v[2:3], v[2:3], v[8:9] neg_lo:[0,1] neg_hi:[0,1]
	v_mul_f32_e32 v8, v17, v42
	v_fmac_f32_e32 v8, v16, v43
	v_sub_f32_e32 v8, v3, v8
	scratch_store_dwordx2 off, v[2:3], off offset:88
	s_waitcnt vmcnt(1)
	v_mul_f32_e32 v3, v5, v37
	v_fma_f32 v3, v4, v36, -v3
	v_mul_f32_e32 v4, v4, v37
	v_fmac_f32_e32 v4, v5, v36
	v_sub_f32_e32 v2, v2, v3
	v_sub_f32_e32 v3, v8, v4
	v_mul_f32_e32 v4, v23, v39
	v_mul_f32_e32 v5, v22, v39
	v_fma_f32 v4, v22, v38, -v4
	v_fmac_f32_e32 v5, v23, v38
	v_sub_f32_e32 v8, v2, v4
	v_sub_f32_e32 v9, v3, v5
	scratch_load_dwordx4 v[2:5], off, off offset:40
	s_waitcnt vmcnt(0)
	v_mul_f32_e32 v12, v19, v3
	v_fma_f32 v12, v18, v2, -v12
	v_mul_f32_e32 v3, v18, v3
	v_fmac_f32_e32 v3, v19, v2
	v_sub_f32_e32 v2, v8, v12
	v_mul_f32_e32 v8, v33, v5
	v_mul_f32_e32 v5, v32, v5
	v_sub_f32_e32 v3, v9, v3
	v_fma_f32 v8, v32, v4, -v8
	v_fmac_f32_e32 v5, v33, v4
	v_sub_f32_e32 v8, v2, v8
	v_sub_f32_e32 v9, v3, v5
	scratch_load_dwordx4 v[2:5], off, off offset:56
	s_waitcnt vmcnt(0)
	v_mul_f32_e32 v12, v25, v3
	v_fma_f32 v12, v24, v2, -v12
	v_mul_f32_e32 v3, v24, v3
	v_fmac_f32_e32 v3, v25, v2
	v_sub_f32_e32 v2, v8, v12
	v_mul_f32_e32 v8, v27, v5
	v_mul_f32_e32 v5, v26, v5
	v_sub_f32_e32 v3, v9, v3
	v_fma_f32 v8, v26, v4, -v8
	v_fmac_f32_e32 v5, v27, v4
	v_mul_f32_e32 v4, v11, v35
	v_sub_f32_e32 v2, v2, v8
	v_sub_f32_e32 v3, v3, v5
	v_fma_f32 v4, v10, v34, -v4
	v_mul_f32_e32 v5, v10, v35
	v_fmac_f32_e32 v5, v11, v34
	v_sub_f32_e32 v2, v2, v4
	v_mul_f32_e32 v4, v29, v7
	v_sub_f32_e32 v3, v3, v5
	v_fma_f32 v4, v28, v6, -v4
	v_mul_f32_e32 v5, v28, v7
	v_fmac_f32_e32 v5, v29, v6
	v_sub_f32_e32 v4, v2, v4
	v_mov_b32_e32 v2, s4
	v_sub_f32_e32 v5, v3, v5
	ds_read_b64 v[2:3], v2
	s_lshl_b32 s4, s22, 3
	s_add_i32 s21, s4, s10
	s_lshl_b32 s22, s22, 8
	s_waitcnt lgkmcnt(0)
	v_mul_f32_e32 v6, v3, v5
	v_mul_f32_e32 v31, v2, v5
	v_fma_f32 v30, v2, v4, -v6
	v_fmac_f32_e32 v31, v3, v4
	scratch_store_dwordx2 off, v[30:31], off offset:88
	scratch_load_dwordx4 v[10:13], off, off offset:80
	v_add_u32_e32 v2, s20, v1
	s_waitcnt vmcnt(0)
	ds_write_b64 v2, v[12:13]
	v_mov_b32_e32 v2, s21
	ds_read2_b64 v[2:5], v2 offset1:1
	scratch_load_dwordx4 v[16:19], off, off
	scratch_load_dwordx4 v[20:23], off, off offset:8
	scratch_load_dwordx4 v[24:27], off, off offset:16
	s_add_i32 s21, s4, s11
	s_waitcnt lgkmcnt(0)
	v_mov_b32_e32 v28, v5
	s_waitcnt vmcnt(2)
	v_pk_mul_f32 v[6:7], v[4:5], v[16:17]
	s_nop 0
	v_sub_f32_e32 v6, v6, v7
	v_sub_f32_e32 v14, v14, v6
	v_mov_b32_e32 v6, s21
	ds_read2_b64 v[6:9], v6 offset1:1
	v_mov_b32_e32 v13, v18
	v_mov_b32_e32 v18, v17
	;; [unrolled: 1-line block ×3, first 2 shown]
	s_add_i32 s21, s4, s5
	s_waitcnt lgkmcnt(0)
	v_mov_b32_e32 v5, v9
	v_mov_b32_e32 v29, v8
	v_pk_mul_f32 v[4:5], v[4:5], v[18:19]
	s_waitcnt vmcnt(1)
	v_mov_b32_e32 v17, v22
	v_pk_fma_f32 v[18:19], v[28:29], v[12:13], v[4:5] neg_lo:[0,0,1] neg_hi:[0,0,1]
	v_pk_fma_f32 v[4:5], v[28:29], v[12:13], v[4:5]
	v_mov_b32_e32 v12, s21
	v_pk_mov_b32 v[4:5], v[18:19], v[4:5] op_sel:[1,0]
	v_mov_b32_e32 v22, v21
	v_pk_add_f32 v[4:5], v[14:15], v[4:5] neg_lo:[0,1] neg_hi:[0,1]
	ds_read2_b64 v[12:15], v12 offset1:1
	v_mov_b32_e32 v18, v9
	v_mov_b32_e32 v16, v20
	s_add_i32 s21, s4, s12
	s_waitcnt vmcnt(0)
	v_mov_b32_e32 v20, v24
	s_waitcnt lgkmcnt(0)
	v_mov_b32_e32 v9, v15
	v_mov_b32_e32 v19, v14
	v_pk_mul_f32 v[8:9], v[8:9], v[22:23]
	v_mov_b32_e32 v24, v25
	v_pk_fma_f32 v[22:23], v[18:19], v[16:17], v[8:9] neg_lo:[0,0,1] neg_hi:[0,0,1]
	v_pk_fma_f32 v[8:9], v[18:19], v[16:17], v[8:9]
	v_mov_b32_e32 v25, v27
	v_pk_mov_b32 v[8:9], v[22:23], v[8:9] op_sel:[1,0]
	v_mov_b32_e32 v21, v26
	v_pk_add_f32 v[4:5], v[4:5], v[8:9] neg_lo:[0,1] neg_hi:[0,1]
	v_mov_b32_e32 v8, s21
	ds_read2_b64 v[16:19], v8 offset1:1
	v_mov_b32_e32 v8, v15
	s_add_i32 s21, s4, s13
	s_waitcnt lgkmcnt(0)
	v_mov_b32_e32 v15, v19
	v_mov_b32_e32 v9, v18
	v_pk_mul_f32 v[14:15], v[14:15], v[24:25]
	s_nop 0
	v_pk_fma_f32 v[22:23], v[8:9], v[20:21], v[14:15] neg_lo:[0,0,1] neg_hi:[0,0,1]
	v_pk_fma_f32 v[8:9], v[8:9], v[20:21], v[14:15]
	s_nop 0
	v_pk_mov_b32 v[8:9], v[22:23], v[8:9] op_sel:[1,0]
	scratch_load_dwordx4 v[20:23], off, off offset:32
	v_pk_add_f32 v[4:5], v[4:5], v[8:9] neg_lo:[0,1] neg_hi:[0,1]
	v_mul_f32_e32 v8, v19, v26
	v_fmac_f32_e32 v8, v18, v27
	v_sub_f32_e32 v8, v5, v8
	scratch_store_dwordx2 off, v[4:5], off offset:96
	v_mov_b32_e32 v5, s21
	ds_read2_b64 v[42:45], v5 offset1:1
	s_add_i32 s21, s4, s14
	s_waitcnt vmcnt(1) lgkmcnt(0)
	v_mul_f32_e32 v5, v45, v21
	v_mul_f32_e32 v9, v44, v21
	v_fma_f32 v5, v44, v20, -v5
	v_fmac_f32_e32 v9, v45, v20
	v_sub_f32_e32 v4, v4, v5
	v_sub_f32_e32 v5, v8, v9
	v_mov_b32_e32 v8, s21
	ds_read2_b64 v[18:21], v8 offset1:1
	s_add_i32 s21, s4, s15
	s_waitcnt lgkmcnt(0)
	v_mul_f32_e32 v8, v21, v23
	v_mul_f32_e32 v9, v20, v23
	v_fma_f32 v8, v20, v22, -v8
	v_fmac_f32_e32 v9, v21, v22
	scratch_load_dwordx4 v[22:25], off, off offset:48
	v_sub_f32_e32 v4, v4, v8
	v_mov_b32_e32 v8, s21
	ds_read2_b64 v[32:35], v8 offset1:1
	s_add_i32 s21, s4, s16
	v_sub_f32_e32 v5, v5, v9
	s_waitcnt vmcnt(0) lgkmcnt(0)
	v_mul_f32_e32 v8, v35, v23
	v_fma_f32 v8, v34, v22, -v8
	v_mul_f32_e32 v9, v34, v23
	v_sub_f32_e32 v4, v4, v8
	v_mov_b32_e32 v8, s21
	v_fmac_f32_e32 v9, v35, v22
	ds_read2_b64 v[20:23], v8 offset1:1
	v_sub_f32_e32 v5, v5, v9
	s_add_i32 s21, s4, s17
	s_waitcnt lgkmcnt(0)
	v_mul_f32_e32 v8, v23, v25
	v_mul_f32_e32 v9, v22, v25
	v_fma_f32 v8, v22, v24, -v8
	v_fmac_f32_e32 v9, v23, v24
	scratch_load_dwordx4 v[24:27], off, off offset:64
	v_sub_f32_e32 v4, v4, v8
	v_mov_b32_e32 v8, s21
	ds_read2_b64 v[38:41], v8 offset1:1
	s_add_i32 s21, s4, s18
	v_sub_f32_e32 v5, v5, v9
	s_waitcnt vmcnt(0) lgkmcnt(0)
	v_mul_f32_e32 v8, v41, v25
	v_fma_f32 v8, v40, v24, -v8
	v_mul_f32_e32 v9, v40, v25
	v_sub_f32_e32 v4, v4, v8
	v_mov_b32_e32 v8, s21
	v_fmac_f32_e32 v9, v41, v24
	ds_read2_b64 v[22:25], v8 offset1:1
	s_add_i32 s21, s4, s19
	v_sub_f32_e32 v5, v5, v9
	s_waitcnt lgkmcnt(0)
	v_mul_f32_e32 v8, v25, v27
	v_fma_f32 v8, v24, v26, -v8
	v_mul_f32_e32 v9, v24, v27
	v_sub_f32_e32 v4, v4, v8
	v_mov_b32_e32 v8, s21
	v_fmac_f32_e32 v9, v25, v26
	ds_read2_b64 v[24:27], v8 offset1:1
	s_add_i32 s21, s4, s20
	v_sub_f32_e32 v5, v5, v9
	s_waitcnt lgkmcnt(0)
	v_mul_f32_e32 v8, v27, v11
	v_fma_f32 v8, v26, v10, -v8
	v_mul_f32_e32 v9, v26, v11
	v_sub_f32_e32 v4, v4, v8
	v_mov_b32_e32 v8, s21
	v_fmac_f32_e32 v9, v27, v10
	ds_read2_b64 v[26:29], v8 offset1:1
	s_add_i32 s21, s10, 0xfffff400
	s_add_i32 s4, s4, s21
	v_sub_f32_e32 v5, v5, v9
	s_waitcnt lgkmcnt(0)
	v_mul_f32_e32 v8, v29, v31
	v_fma_f32 v8, v28, v30, -v8
	v_mul_f32_e32 v9, v28, v31
	v_sub_f32_e32 v8, v4, v8
	v_mov_b32_e32 v4, s4
	v_fmac_f32_e32 v9, v29, v30
	ds_read2_b64 v[28:31], v4 offset1:1
	v_sub_f32_e32 v5, v5, v9
	s_mul_i32 s4, s6, 0x108
	s_add_i32 s23, s4, 0xfffff298
	s_waitcnt lgkmcnt(0)
	v_mul_f32_e32 v4, v31, v5
	v_mul_f32_e32 v5, v30, v5
	v_fma_f32 v4, v30, v8, -v4
	v_fmac_f32_e32 v5, v31, v8
	scratch_store_dwordx2 off, v[4:5], off offset:96
	scratch_load_dwordx4 v[34:37], off, off offset:88
	v_add_u32_e32 v8, s21, v1
	s_waitcnt vmcnt(0)
	ds_write_b64 v8, v[36:37]
	scratch_load_dwordx4 v[8:11], off, off offset:104
	scratch_load_dwordx4 v[44:47], off, off
	scratch_load_dwordx4 v[48:51], off, off offset:8
	scratch_load_dwordx4 v[52:55], off, off offset:16
	;; [unrolled: 1-line block ×3, first 2 shown]
	v_mov_b32_e32 v36, v3
	v_mov_b32_e32 v37, v6
	s_waitcnt vmcnt(3)
	v_mov_b32_e32 v15, v46
	v_mov_b32_e32 v46, v45
	v_pk_mul_f32 v[30:31], v[2:3], v[44:45]
	v_mov_b32_e32 v3, v7
	v_mov_b32_e32 v14, v44
	v_pk_mul_f32 v[2:3], v[2:3], v[46:47]
	v_sub_f32_e32 v30, v30, v31
	s_waitcnt vmcnt(2)
	v_mov_b32_e32 v31, v50
	v_mov_b32_e32 v50, v49
	v_pk_fma_f32 v[40:41], v[36:37], v[14:15], v[2:3] neg_lo:[0,0,1] neg_hi:[0,0,1]
	v_pk_fma_f32 v[2:3], v[36:37], v[14:15], v[2:3]
	v_mov_b32_e32 v14, v7
	v_mov_b32_e32 v7, v13
	v_sub_f32_e32 v8, v8, v30
	v_mov_b32_e32 v30, v48
	v_pk_mov_b32 v[2:3], v[40:41], v[2:3] op_sel:[1,0]
	v_mov_b32_e32 v15, v12
	v_pk_mul_f32 v[6:7], v[6:7], v[50:51]
	v_pk_add_f32 v[2:3], v[8:9], v[2:3] neg_lo:[0,1] neg_hi:[0,1]
	s_waitcnt vmcnt(1)
	v_mov_b32_e32 v9, v54
	v_mov_b32_e32 v54, v53
	v_pk_fma_f32 v[36:37], v[14:15], v[30:31], v[6:7] neg_lo:[0,0,1] neg_hi:[0,0,1]
	v_pk_fma_f32 v[6:7], v[14:15], v[30:31], v[6:7]
	v_mov_b32_e32 v14, v13
	v_mov_b32_e32 v13, v17
	;; [unrolled: 1-line block ×4, first 2 shown]
	v_pk_mul_f32 v[12:13], v[12:13], v[54:55]
	v_pk_mov_b32 v[6:7], v[36:37], v[6:7] op_sel:[1,0]
	v_pk_fma_f32 v[36:37], v[14:15], v[8:9], v[12:13] neg_lo:[0,0,1] neg_hi:[0,0,1]
	v_pk_fma_f32 v[8:9], v[14:15], v[8:9], v[12:13]
	v_pk_add_f32 v[2:3], v[2:3], v[6:7] neg_lo:[0,1] neg_hi:[0,1]
	v_pk_mov_b32 v[8:9], v[36:37], v[8:9] op_sel:[1,0]
	s_waitcnt vmcnt(0)
	v_mov_b32_e32 v30, v57
	v_mov_b32_e32 v31, v59
	v_pk_add_f32 v[2:3], v[2:3], v[8:9] neg_lo:[0,1] neg_hi:[0,1]
	v_mov_b32_e32 v8, v17
	v_mov_b32_e32 v17, v43
	;; [unrolled: 1-line block ×5, first 2 shown]
	v_pk_mul_f32 v[12:13], v[16:17], v[30:31]
	s_nop 0
	v_pk_fma_f32 v[14:15], v[8:9], v[6:7], v[12:13] neg_lo:[0,0,1] neg_hi:[0,0,1]
	v_pk_fma_f32 v[6:7], v[8:9], v[6:7], v[12:13]
	s_nop 0
	v_pk_mov_b32 v[6:7], v[14:15], v[6:7] op_sel:[1,0]
	s_nop 0
	v_pk_add_f32 v[2:3], v[2:3], v[6:7] neg_lo:[0,1] neg_hi:[0,1]
	v_mul_f32_e32 v6, v43, v58
	v_fmac_f32_e32 v6, v42, v59
	v_sub_f32_e32 v12, v3, v6
	scratch_load_dwordx4 v[6:9], off, off offset:40
	s_nop 0
	scratch_store_dwordx2 off, v[2:3], off offset:104
	s_waitcnt vmcnt(1)
	v_mul_f32_e32 v3, v19, v7
	v_mul_f32_e32 v7, v18, v7
	v_fma_f32 v3, v18, v6, -v3
	v_fmac_f32_e32 v7, v19, v6
	v_sub_f32_e32 v2, v2, v3
	v_sub_f32_e32 v3, v12, v7
	v_mul_f32_e32 v6, v33, v9
	v_mul_f32_e32 v7, v32, v9
	v_fma_f32 v6, v32, v8, -v6
	v_fmac_f32_e32 v7, v33, v8
	v_sub_f32_e32 v2, v2, v6
	v_sub_f32_e32 v3, v3, v7
	scratch_load_dwordx4 v[6:9], off, off offset:56
	s_waitcnt vmcnt(0)
	v_mul_f32_e32 v12, v21, v7
	v_mul_f32_e32 v7, v20, v7
	v_fmac_f32_e32 v7, v21, v6
	v_fma_f32 v12, v20, v6, -v12
	v_sub_f32_e32 v3, v3, v7
	v_mul_f32_e32 v6, v39, v9
	v_mul_f32_e32 v7, v38, v9
	v_sub_f32_e32 v2, v2, v12
	v_fma_f32 v6, v38, v8, -v6
	v_fmac_f32_e32 v7, v39, v8
	v_sub_f32_e32 v2, v2, v6
	v_sub_f32_e32 v3, v3, v7
	scratch_load_dwordx4 v[6:9], off, off offset:72
	s_waitcnt vmcnt(0)
	v_mul_f32_e32 v12, v23, v7
	v_mul_f32_e32 v7, v22, v7
	v_fma_f32 v12, v22, v6, -v12
	v_fmac_f32_e32 v7, v23, v6
	v_mul_f32_e32 v6, v25, v9
	v_sub_f32_e32 v2, v2, v12
	v_fma_f32 v6, v24, v8, -v6
	v_sub_f32_e32 v3, v3, v7
	v_mul_f32_e32 v7, v24, v9
	v_sub_f32_e32 v2, v2, v6
	v_mul_f32_e32 v6, v27, v35
	v_fmac_f32_e32 v7, v25, v8
	v_fma_f32 v6, v26, v34, -v6
	v_sub_f32_e32 v3, v3, v7
	v_mul_f32_e32 v7, v26, v35
	v_sub_f32_e32 v2, v2, v6
	v_mul_f32_e32 v6, v29, v5
	v_fmac_f32_e32 v7, v27, v34
	v_fma_f32 v6, v28, v4, -v6
	v_mul_f32_e32 v5, v28, v5
	v_sub_f32_e32 v3, v3, v7
	v_fmac_f32_e32 v5, v29, v4
	v_sub_f32_e32 v4, v2, v6
	v_mov_b32_e32 v2, s23
	v_sub_f32_e32 v5, v3, v5
	ds_read_b64 v[2:3], v2
	s_add_i32 s23, s25, s10
	s_waitcnt lgkmcnt(0)
	v_mul_f32_e32 v6, v3, v5
	v_mul_f32_e32 v49, v2, v5
	v_fma_f32 v48, v2, v4, -v6
	v_fmac_f32_e32 v49, v3, v4
	scratch_store_dwordx2 off, v[48:49], off offset:104
	scratch_load_dwordx4 v[28:31], off, off offset:96
	v_add_u32_e32 v2, s22, v1
	s_waitcnt vmcnt(0)
	ds_write_b64 v2, v[30:31]
	v_mov_b32_e32 v2, s23
	ds_read2_b64 v[2:5], v2 offset1:1
	scratch_load_dwordx4 v[12:15], off, off
	scratch_load_dwordx4 v[16:19], off, off offset:8
	scratch_load_dwordx4 v[20:23], off, off offset:16
	;; [unrolled: 1-line block ×4, first 2 shown]
	s_add_i32 s23, s25, s11
	s_waitcnt vmcnt(4) lgkmcnt(0)
	v_pk_mul_f32 v[6:7], v[4:5], v[12:13]
	s_nop 0
	v_sub_f32_e32 v6, v6, v7
	v_sub_f32_e32 v10, v10, v6
	v_mov_b32_e32 v6, s23
	ds_read2_b64 v[6:9], v6 offset1:1
	v_mov_b32_e32 v34, v12
	v_mov_b32_e32 v35, v14
	;; [unrolled: 1-line block ×4, first 2 shown]
	s_waitcnt lgkmcnt(0)
	v_mov_b32_e32 v5, v9
	v_mov_b32_e32 v13, v8
	v_pk_mul_f32 v[4:5], v[4:5], v[14:15]
	s_add_i32 s23, s25, s5
	v_pk_fma_f32 v[14:15], v[12:13], v[34:35], v[4:5] neg_lo:[0,0,1] neg_hi:[0,0,1]
	v_pk_fma_f32 v[4:5], v[12:13], v[34:35], v[4:5]
	s_waitcnt vmcnt(3)
	v_mov_b32_e32 v37, v18
	v_pk_mov_b32 v[4:5], v[14:15], v[4:5] op_sel:[1,0]
	v_mov_b32_e32 v18, v17
	v_pk_add_f32 v[4:5], v[10:11], v[4:5] neg_lo:[0,1] neg_hi:[0,1]
	v_mov_b32_e32 v10, s23
	ds_read2_b64 v[10:13], v10 offset1:1
	v_mov_b32_e32 v14, v9
	v_mov_b32_e32 v36, v16
	s_add_i32 s23, s25, s12
	s_waitcnt vmcnt(2)
	v_mov_b32_e32 v35, v22
	s_waitcnt lgkmcnt(0)
	v_mov_b32_e32 v9, v13
	v_mov_b32_e32 v15, v12
	v_pk_mul_f32 v[8:9], v[8:9], v[18:19]
	v_mov_b32_e32 v22, v21
	v_pk_fma_f32 v[16:17], v[14:15], v[36:37], v[8:9] neg_lo:[0,0,1] neg_hi:[0,0,1]
	v_pk_fma_f32 v[8:9], v[14:15], v[36:37], v[8:9]
	v_mov_b32_e32 v18, v13
	v_pk_mov_b32 v[8:9], v[16:17], v[8:9] op_sel:[1,0]
	v_mov_b32_e32 v34, v20
	v_pk_add_f32 v[4:5], v[4:5], v[8:9] neg_lo:[0,1] neg_hi:[0,1]
	v_mov_b32_e32 v8, s23
	ds_read2_b64 v[14:17], v8 offset1:1
	s_add_i32 s23, s25, s13
	s_waitcnt vmcnt(1)
	v_mov_b32_e32 v9, v26
	v_mov_b32_e32 v26, v25
	;; [unrolled: 1-line block ×3, first 2 shown]
	s_waitcnt lgkmcnt(0)
	v_mov_b32_e32 v13, v17
	v_mov_b32_e32 v19, v16
	v_pk_mul_f32 v[12:13], v[12:13], v[22:23]
	v_mov_b32_e32 v22, v17
	v_pk_fma_f32 v[20:21], v[18:19], v[34:35], v[12:13] neg_lo:[0,0,1] neg_hi:[0,0,1]
	v_pk_fma_f32 v[12:13], v[18:19], v[34:35], v[12:13]
	s_nop 0
	v_pk_mov_b32 v[12:13], v[20:21], v[12:13] op_sel:[1,0]
	s_nop 0
	v_pk_add_f32 v[4:5], v[4:5], v[12:13] neg_lo:[0,1] neg_hi:[0,1]
	v_mov_b32_e32 v12, s23
	ds_read2_b64 v[18:21], v12 offset1:1
	s_add_i32 s23, s25, s14
	s_waitcnt vmcnt(0)
	v_mov_b32_e32 v12, v30
	v_mov_b32_e32 v30, v31
	;; [unrolled: 1-line block ×3, first 2 shown]
	s_waitcnt lgkmcnt(0)
	v_mov_b32_e32 v17, v21
	v_mov_b32_e32 v23, v20
	v_pk_mul_f32 v[16:17], v[16:17], v[26:27]
	v_mov_b32_e32 v13, v32
	v_pk_fma_f32 v[24:25], v[22:23], v[8:9], v[16:17] neg_lo:[0,0,1] neg_hi:[0,0,1]
	v_pk_fma_f32 v[8:9], v[22:23], v[8:9], v[16:17]
	s_nop 0
	v_pk_mov_b32 v[8:9], v[24:25], v[8:9] op_sel:[1,0]
	s_nop 0
	v_pk_add_f32 v[4:5], v[4:5], v[8:9] neg_lo:[0,1] neg_hi:[0,1]
	v_mov_b32_e32 v8, s23
	ds_read2_b64 v[22:25], v8 offset1:1
	v_mov_b32_e32 v8, v21
	s_add_i32 s23, s25, s15
	s_waitcnt lgkmcnt(0)
	v_mov_b32_e32 v21, v25
	v_mov_b32_e32 v9, v24
	v_pk_mul_f32 v[16:17], v[20:21], v[30:31]
	s_nop 0
	v_pk_fma_f32 v[20:21], v[8:9], v[12:13], v[16:17] neg_lo:[0,0,1] neg_hi:[0,0,1]
	v_pk_fma_f32 v[8:9], v[8:9], v[12:13], v[16:17]
	v_mov_b32_e32 v16, v3
	v_pk_mov_b32 v[8:9], v[20:21], v[8:9] op_sel:[1,0]
	v_mov_b32_e32 v17, v6
	v_pk_add_f32 v[4:5], v[4:5], v[8:9] neg_lo:[0,1] neg_hi:[0,1]
	v_mul_f32_e32 v8, v25, v32
	v_fmac_f32_e32 v8, v24, v33
	scratch_load_dwordx4 v[30:33], off, off offset:48
	v_sub_f32_e32 v8, v5, v8
	scratch_store_dwordx2 off, v[4:5], off offset:112
	v_mov_b32_e32 v5, s23
	ds_read2_b64 v[38:41], v5 offset1:1
	s_add_i32 s23, s25, s16
	s_waitcnt vmcnt(1) lgkmcnt(0)
	v_mul_f32_e32 v5, v41, v31
	v_mul_f32_e32 v9, v40, v31
	v_fma_f32 v5, v40, v30, -v5
	v_fmac_f32_e32 v9, v41, v30
	scratch_load_dwordx4 v[40:43], off, off offset:64
	v_sub_f32_e32 v4, v4, v5
	v_sub_f32_e32 v5, v8, v9
	v_mov_b32_e32 v8, s23
	ds_read2_b64 v[24:27], v8 offset1:1
	s_add_i32 s23, s25, s17
	s_waitcnt lgkmcnt(0)
	v_mul_f32_e32 v8, v27, v33
	v_fma_f32 v8, v26, v32, -v8
	v_sub_f32_e32 v4, v4, v8
	v_mov_b32_e32 v8, s23
	ds_read2_b64 v[34:37], v8 offset1:1
	s_add_i32 s23, s25, s18
	v_mul_f32_e32 v9, v26, v33
	v_fmac_f32_e32 v9, v27, v32
	v_sub_f32_e32 v5, v5, v9
	s_waitcnt vmcnt(0) lgkmcnt(0)
	v_mul_f32_e32 v8, v37, v41
	v_fma_f32 v8, v36, v40, -v8
	v_sub_f32_e32 v4, v4, v8
	v_mov_b32_e32 v8, s23
	ds_read2_b64 v[30:33], v8 offset1:1
	v_mul_f32_e32 v9, v36, v41
	v_fmac_f32_e32 v9, v37, v40
	v_sub_f32_e32 v5, v5, v9
	s_add_i32 s23, s25, s19
	s_waitcnt lgkmcnt(0)
	v_mul_f32_e32 v8, v33, v43
	v_mul_f32_e32 v9, v32, v43
	v_fma_f32 v8, v32, v42, -v8
	v_fmac_f32_e32 v9, v33, v42
	scratch_load_dwordx4 v[42:45], off, off offset:80
	v_sub_f32_e32 v4, v4, v8
	v_mov_b32_e32 v8, s23
	ds_read2_b64 v[50:53], v8 offset1:1
	s_add_i32 s23, s25, s20
	v_sub_f32_e32 v5, v5, v9
	s_waitcnt vmcnt(0) lgkmcnt(0)
	v_mul_f32_e32 v8, v53, v43
	v_fma_f32 v8, v52, v42, -v8
	v_mul_f32_e32 v9, v52, v43
	v_sub_f32_e32 v4, v4, v8
	v_mov_b32_e32 v8, s23
	v_fmac_f32_e32 v9, v53, v42
	ds_read2_b64 v[40:43], v8 offset1:1
	s_add_i32 s23, s25, s21
	v_sub_f32_e32 v5, v5, v9
	s_waitcnt lgkmcnt(0)
	v_mul_f32_e32 v8, v43, v45
	v_fma_f32 v8, v42, v44, -v8
	v_mul_f32_e32 v9, v42, v45
	v_sub_f32_e32 v4, v4, v8
	v_mov_b32_e32 v8, s23
	v_fmac_f32_e32 v9, v43, v44
	ds_read2_b64 v[42:45], v8 offset1:1
	s_add_i32 s23, s25, s22
	v_sub_f32_e32 v5, v5, v9
	s_waitcnt lgkmcnt(0)
	v_mul_f32_e32 v8, v45, v29
	v_fma_f32 v8, v44, v28, -v8
	v_mul_f32_e32 v9, v44, v29
	v_sub_f32_e32 v4, v4, v8
	v_mov_b32_e32 v8, s23
	v_fmac_f32_e32 v9, v45, v28
	ds_read2_b64 v[44:47], v8 offset1:1
	s_add_i32 s23, s10, 0xfffff200
	s_add_i32 s25, s25, s23
	v_sub_f32_e32 v5, v5, v9
	s_waitcnt lgkmcnt(0)
	v_mul_f32_e32 v8, v47, v49
	v_fma_f32 v8, v46, v48, -v8
	v_mul_f32_e32 v9, v46, v49
	v_sub_f32_e32 v8, v4, v8
	v_mov_b32_e32 v4, s25
	v_fmac_f32_e32 v9, v47, v48
	ds_read2_b64 v[46:49], v4 offset1:1
	v_sub_f32_e32 v5, v5, v9
	s_add_i32 s25, s4, 0xfffff088
	s_waitcnt lgkmcnt(0)
	v_mul_f32_e32 v4, v49, v5
	v_mul_f32_e32 v5, v48, v5
	v_fma_f32 v4, v48, v8, -v4
	v_fmac_f32_e32 v5, v49, v8
	scratch_store_dwordx2 off, v[4:5], off offset:112
	scratch_load_dwordx4 v[52:55], off, off offset:104
	v_add_u32_e32 v8, s23, v1
	s_waitcnt vmcnt(0)
	ds_write_b64 v8, v[54:55]
	scratch_load_dwordx4 v[26:29], off, off offset:120
	scratch_load_dwordx4 v[54:57], off, off
	scratch_load_dwordx4 v[58:61], off, off offset:8
	scratch_load_dwordx4 v[62:65], off, off offset:16
	;; [unrolled: 1-line block ×4, first 2 shown]
	s_waitcnt vmcnt(4)
	v_mov_b32_e32 v9, v56
	v_mov_b32_e32 v56, v55
	v_pk_mul_f32 v[12:13], v[2:3], v[54:55]
	v_mov_b32_e32 v3, v7
	v_mov_b32_e32 v8, v54
	v_pk_mul_f32 v[2:3], v[2:3], v[56:57]
	scratch_load_dwordx4 v[54:57], off, off offset:40
	v_sub_f32_e32 v12, v12, v13
	s_waitcnt vmcnt(4)
	v_mov_b32_e32 v13, v60
	v_mov_b32_e32 v60, v59
	v_pk_fma_f32 v[20:21], v[16:17], v[8:9], v[2:3] neg_lo:[0,0,1] neg_hi:[0,0,1]
	v_pk_fma_f32 v[2:3], v[16:17], v[8:9], v[2:3]
	v_mov_b32_e32 v16, v7
	v_mov_b32_e32 v7, v11
	v_sub_f32_e32 v26, v26, v12
	v_mov_b32_e32 v12, v58
	v_mov_b32_e32 v17, v10
	v_pk_mul_f32 v[6:7], v[6:7], v[60:61]
	v_pk_mov_b32 v[2:3], v[20:21], v[2:3] op_sel:[1,0]
	s_waitcnt vmcnt(3)
	v_mov_b32_e32 v9, v64
	v_mov_b32_e32 v64, v63
	v_pk_fma_f32 v[20:21], v[16:17], v[12:13], v[6:7] neg_lo:[0,0,1] neg_hi:[0,0,1]
	v_pk_fma_f32 v[6:7], v[16:17], v[12:13], v[6:7]
	v_mov_b32_e32 v12, v11
	v_mov_b32_e32 v11, v15
	v_pk_add_f32 v[2:3], v[26:27], v[2:3] neg_lo:[0,1] neg_hi:[0,1]
	v_mov_b32_e32 v8, v62
	v_pk_mov_b32 v[6:7], v[20:21], v[6:7] op_sel:[1,0]
	v_mov_b32_e32 v13, v14
	v_pk_mul_f32 v[10:11], v[10:11], v[64:65]
	v_pk_add_f32 v[2:3], v[2:3], v[6:7] neg_lo:[0,1] neg_hi:[0,1]
	s_waitcnt vmcnt(2)
	v_mov_b32_e32 v7, v68
	v_mov_b32_e32 v68, v67
	v_pk_fma_f32 v[16:17], v[12:13], v[8:9], v[10:11] neg_lo:[0,0,1] neg_hi:[0,0,1]
	v_pk_fma_f32 v[8:9], v[12:13], v[8:9], v[10:11]
	v_mov_b32_e32 v10, v15
	v_mov_b32_e32 v15, v19
	;; [unrolled: 1-line block ×3, first 2 shown]
	v_pk_mov_b32 v[8:9], v[16:17], v[8:9] op_sel:[1,0]
	v_mov_b32_e32 v11, v18
	v_pk_mul_f32 v[12:13], v[14:15], v[68:69]
	v_pk_add_f32 v[2:3], v[2:3], v[8:9] neg_lo:[0,1] neg_hi:[0,1]
	s_waitcnt vmcnt(1)
	v_mov_b32_e32 v9, v72
	v_mov_b32_e32 v72, v71
	v_pk_fma_f32 v[14:15], v[10:11], v[6:7], v[12:13] neg_lo:[0,0,1] neg_hi:[0,0,1]
	v_pk_fma_f32 v[6:7], v[10:11], v[6:7], v[12:13]
	v_mov_b32_e32 v10, v19
	v_mov_b32_e32 v19, v23
	;; [unrolled: 1-line block ×3, first 2 shown]
	v_pk_mov_b32 v[6:7], v[14:15], v[6:7] op_sel:[1,0]
	v_mov_b32_e32 v11, v22
	v_pk_mul_f32 v[14:15], v[18:19], v[72:73]
	v_pk_add_f32 v[2:3], v[2:3], v[6:7] neg_lo:[0,1] neg_hi:[0,1]
	v_pk_fma_f32 v[16:17], v[10:11], v[8:9], v[14:15] neg_lo:[0,0,1] neg_hi:[0,0,1]
	v_pk_fma_f32 v[8:9], v[10:11], v[8:9], v[14:15]
	s_waitcnt vmcnt(0)
	v_mov_b32_e32 v12, v55
	v_pk_mov_b32 v[8:9], v[16:17], v[8:9] op_sel:[1,0]
	v_mov_b32_e32 v13, v57
	v_pk_add_f32 v[2:3], v[2:3], v[8:9] neg_lo:[0,1] neg_hi:[0,1]
	v_mov_b32_e32 v8, v23
	v_mov_b32_e32 v23, v39
	v_mov_b32_e32 v6, v54
	v_mov_b32_e32 v7, v56
	v_mov_b32_e32 v9, v38
	v_pk_mul_f32 v[10:11], v[22:23], v[12:13]
	s_nop 0
	v_pk_fma_f32 v[12:13], v[8:9], v[6:7], v[10:11] neg_lo:[0,0,1] neg_hi:[0,0,1]
	v_pk_fma_f32 v[6:7], v[8:9], v[6:7], v[10:11]
	scratch_load_dword v11, off, off offset:4
	v_pk_mov_b32 v[6:7], v[12:13], v[6:7] op_sel:[1,0]
	s_nop 0
	v_pk_add_f32 v[2:3], v[2:3], v[6:7] neg_lo:[0,1] neg_hi:[0,1]
	v_mul_f32_e32 v6, v39, v56
	v_fmac_f32_e32 v6, v38, v57
	v_sub_f32_e32 v10, v3, v6
	scratch_load_dwordx4 v[6:9], off, off offset:56
	s_nop 0
	scratch_store_dwordx2 off, v[2:3], off offset:120
	s_waitcnt vmcnt(1)
	v_mul_f32_e32 v3, v25, v7
	v_mul_f32_e32 v7, v24, v7
	v_fma_f32 v3, v24, v6, -v3
	v_fmac_f32_e32 v7, v25, v6
	v_sub_f32_e32 v2, v2, v3
	v_sub_f32_e32 v3, v10, v7
	v_mul_f32_e32 v6, v35, v9
	v_mul_f32_e32 v7, v34, v9
	v_fma_f32 v6, v34, v8, -v6
	v_fmac_f32_e32 v7, v35, v8
	v_sub_f32_e32 v2, v2, v6
	v_sub_f32_e32 v3, v3, v7
	scratch_load_dwordx4 v[6:9], off, off offset:72
	s_waitcnt vmcnt(0)
	v_mul_f32_e32 v10, v31, v7
	v_mul_f32_e32 v7, v30, v7
	v_fmac_f32_e32 v7, v31, v6
	v_fma_f32 v10, v30, v6, -v10
	v_sub_f32_e32 v3, v3, v7
	v_mul_f32_e32 v6, v51, v9
	v_mul_f32_e32 v7, v50, v9
	v_sub_f32_e32 v2, v2, v10
	v_fma_f32 v6, v50, v8, -v6
	v_fmac_f32_e32 v7, v51, v8
	v_sub_f32_e32 v2, v2, v6
	v_sub_f32_e32 v3, v3, v7
	scratch_load_dwordx4 v[6:9], off, off offset:88
	s_waitcnt vmcnt(0)
	v_mul_f32_e32 v10, v41, v7
	v_mul_f32_e32 v7, v40, v7
	v_fma_f32 v10, v40, v6, -v10
	v_fmac_f32_e32 v7, v41, v6
	v_mul_f32_e32 v6, v43, v9
	v_sub_f32_e32 v2, v2, v10
	v_fma_f32 v6, v42, v8, -v6
	v_sub_f32_e32 v3, v3, v7
	v_mul_f32_e32 v7, v42, v9
	v_sub_f32_e32 v2, v2, v6
	v_mul_f32_e32 v6, v45, v53
	v_fmac_f32_e32 v7, v43, v8
	v_fma_f32 v6, v44, v52, -v6
	v_sub_f32_e32 v3, v3, v7
	v_mul_f32_e32 v7, v44, v53
	v_sub_f32_e32 v2, v2, v6
	v_mul_f32_e32 v6, v47, v5
	v_fmac_f32_e32 v7, v45, v52
	v_fma_f32 v6, v46, v4, -v6
	v_mul_f32_e32 v5, v46, v5
	v_sub_f32_e32 v3, v3, v7
	v_fmac_f32_e32 v5, v47, v4
	v_sub_f32_e32 v6, v2, v6
	v_mov_b32_e32 v2, s25
	v_sub_f32_e32 v5, v3, v5
	ds_read_b64 v[2:3], v2
	s_add_i32 s25, s27, s10
	v_mov_b32_e32 v7, v11
	s_waitcnt lgkmcnt(0)
	v_mul_f32_e32 v4, v3, v5
	v_mul_f32_e32 v5, v2, v5
	v_fma_f32 v4, v2, v6, -v4
	v_fmac_f32_e32 v5, v3, v6
	scratch_store_dwordx2 off, v[4:5], off offset:120
	scratch_load_dwordx4 v[18:21], off, off offset:112
	v_add_u32_e32 v2, s24, v1
	s_waitcnt vmcnt(0)
	ds_write_b64 v2, v[20:21]
	v_mov_b32_e32 v2, s25
	ds_read2_b64 v[2:5], v2 offset1:1
	scratch_load_dwordx4 v[12:15], off, off offset:8
	scratch_load_dwordx4 v[20:23], off, off
	scratch_load_dwordx4 v[24:27], off, off offset:16
	scratch_load_dwordx4 v[30:33], off, off offset:24
	;; [unrolled: 1-line block ×5, first 2 shown]
	s_add_i32 s25, s27, s11
	s_waitcnt vmcnt(6)
	v_mov_b32_e32 v10, v13
	s_waitcnt vmcnt(5)
	v_mov_b32_e32 v6, v20
	s_waitcnt lgkmcnt(0)
	v_pk_mul_f32 v[6:7], v[4:5], v[6:7]
	v_mov_b32_e32 v21, v22
	v_sub_f32_e32 v6, v6, v7
	v_sub_f32_e32 v28, v28, v6
	v_mov_b32_e32 v6, s25
	ds_read2_b64 v[6:9], v6 offset1:1
	v_mov_b32_e32 v22, v5
	v_mov_b32_e32 v16, v12
	;; [unrolled: 1-line block ×4, first 2 shown]
	s_waitcnt lgkmcnt(0)
	v_mov_b32_e32 v23, v8
	v_pk_mul_f32 v[20:21], v[22:23], v[20:21]
	v_mov_b32_e32 v12, v9
	v_mov_b32_e32 v13, v4
	v_pk_fma_f32 v[10:11], v[12:13], v[10:11], v[20:21] op_sel:[0,0,1] op_sel_hi:[1,1,0]
	s_add_i32 s25, s27, s5
	v_pk_fma_f32 v[4:5], v[12:13], v[14:15], v[20:21] op_sel:[0,0,1] op_sel_hi:[1,1,0] neg_lo:[1,0,0] neg_hi:[1,0,0]
	v_mov_b32_e32 v10, s25
	v_mov_b32_e32 v5, v11
	ds_read2_b64 v[10:13], v10 offset1:1
	v_mov_b32_e32 v22, v9
	v_pk_add_f32 v[4:5], v[28:29], v[4:5] neg_lo:[0,1] neg_hi:[0,1]
	s_add_i32 s25, s27, s12
	s_waitcnt vmcnt(4)
	v_mov_b32_e32 v21, v26
	s_waitcnt lgkmcnt(0)
	v_mov_b32_e32 v9, v13
	v_mov_b32_e32 v23, v12
	v_pk_mul_f32 v[8:9], v[8:9], v[14:15]
	v_mov_b32_e32 v26, v25
	v_pk_fma_f32 v[14:15], v[22:23], v[16:17], v[8:9] neg_lo:[0,0,1] neg_hi:[0,0,1]
	v_pk_fma_f32 v[8:9], v[22:23], v[16:17], v[8:9]
	v_mov_b32_e32 v22, v13
	v_pk_mov_b32 v[8:9], v[14:15], v[8:9] op_sel:[1,0]
	v_mov_b32_e32 v20, v24
	v_pk_add_f32 v[4:5], v[4:5], v[8:9] neg_lo:[0,1] neg_hi:[0,1]
	v_mov_b32_e32 v8, s25
	ds_read2_b64 v[14:17], v8 offset1:1
	s_add_i32 s25, s27, s13
	s_waitcnt vmcnt(3)
	v_mov_b32_e32 v9, v32
	v_mov_b32_e32 v32, v31
	;; [unrolled: 1-line block ×3, first 2 shown]
	s_waitcnt lgkmcnt(0)
	v_mov_b32_e32 v13, v17
	v_mov_b32_e32 v23, v16
	v_pk_mul_f32 v[12:13], v[12:13], v[26:27]
	s_nop 0
	v_pk_fma_f32 v[24:25], v[22:23], v[20:21], v[12:13] neg_lo:[0,0,1] neg_hi:[0,0,1]
	v_pk_fma_f32 v[12:13], v[22:23], v[20:21], v[12:13]
	s_nop 0
	v_pk_mov_b32 v[12:13], v[24:25], v[12:13] op_sel:[1,0]
	v_mov_b32_e32 v24, v17
	v_pk_add_f32 v[4:5], v[4:5], v[12:13] neg_lo:[0,1] neg_hi:[0,1]
	v_mov_b32_e32 v12, s25
	ds_read2_b64 v[20:23], v12 offset1:1
	s_add_i32 s25, s27, s14
	s_waitcnt vmcnt(2)
	v_mov_b32_e32 v13, v36
	v_mov_b32_e32 v36, v35
	;; [unrolled: 1-line block ×3, first 2 shown]
	s_waitcnt lgkmcnt(0)
	v_mov_b32_e32 v17, v23
	v_mov_b32_e32 v25, v22
	v_pk_mul_f32 v[16:17], v[16:17], v[32:33]
	s_nop 0
	v_pk_fma_f32 v[26:27], v[24:25], v[8:9], v[16:17] neg_lo:[0,0,1] neg_hi:[0,0,1]
	v_pk_fma_f32 v[8:9], v[24:25], v[8:9], v[16:17]
	v_mov_b32_e32 v16, v23
	v_pk_mov_b32 v[8:9], v[26:27], v[8:9] op_sel:[1,0]
	s_nop 0
	v_pk_add_f32 v[4:5], v[4:5], v[8:9] neg_lo:[0,1] neg_hi:[0,1]
	v_mov_b32_e32 v8, s25
	ds_read2_b64 v[24:27], v8 offset1:1
	s_waitcnt vmcnt(1)
	v_mov_b32_e32 v8, v38
	v_mov_b32_e32 v9, v40
	;; [unrolled: 1-line block ×3, first 2 shown]
	s_add_i32 s25, s27, s15
	s_waitcnt lgkmcnt(0)
	v_mov_b32_e32 v23, v27
	v_pk_mul_f32 v[22:23], v[22:23], v[36:37]
	scratch_load_dwordx4 v[36:39], off, off offset:64
	v_mov_b32_e32 v17, v26
	v_pk_fma_f32 v[28:29], v[16:17], v[12:13], v[22:23] neg_lo:[0,0,1] neg_hi:[0,0,1]
	v_pk_fma_f32 v[12:13], v[16:17], v[12:13], v[22:23]
	v_mov_b32_e32 v16, v27
	v_pk_mov_b32 v[12:13], v[28:29], v[12:13] op_sel:[1,0]
	s_waitcnt vmcnt(1)
	v_mov_b32_e32 v22, v43
	v_pk_add_f32 v[4:5], v[4:5], v[12:13] neg_lo:[0,1] neg_hi:[0,1]
	v_mov_b32_e32 v12, s25
	ds_read2_b64 v[28:31], v12 offset1:1
	s_add_i32 s25, s27, s16
	v_mov_b32_e32 v23, v45
	v_mov_b32_e32 v12, v42
	;; [unrolled: 1-line block ×3, first 2 shown]
	s_waitcnt lgkmcnt(0)
	v_mov_b32_e32 v27, v31
	v_mov_b32_e32 v17, v30
	v_pk_mul_f32 v[26:27], v[26:27], v[40:41]
	s_nop 0
	v_pk_fma_f32 v[32:33], v[16:17], v[8:9], v[26:27] neg_lo:[0,0,1] neg_hi:[0,0,1]
	v_pk_fma_f32 v[8:9], v[16:17], v[8:9], v[26:27]
	v_mov_b32_e32 v26, v6
	v_pk_mov_b32 v[8:9], v[32:33], v[8:9] op_sel:[1,0]
	v_mov_b32_e32 v27, v3
	v_pk_add_f32 v[4:5], v[4:5], v[8:9] neg_lo:[0,1] neg_hi:[0,1]
	v_mov_b32_e32 v8, s25
	ds_read2_b64 v[32:35], v8 offset1:1
	v_mov_b32_e32 v8, v31
	s_add_i32 s25, s27, s17
	s_waitcnt lgkmcnt(0)
	v_mov_b32_e32 v31, v35
	v_mov_b32_e32 v9, v34
	v_pk_mul_f32 v[16:17], v[30:31], v[22:23]
	v_mov_b32_e32 v30, v7
	v_pk_fma_f32 v[22:23], v[8:9], v[12:13], v[16:17] neg_lo:[0,0,1] neg_hi:[0,0,1]
	v_pk_fma_f32 v[8:9], v[8:9], v[12:13], v[16:17]
	v_mov_b32_e32 v31, v2
	v_pk_mov_b32 v[8:9], v[22:23], v[8:9] op_sel:[1,0]
	s_nop 0
	v_pk_add_f32 v[4:5], v[4:5], v[8:9] neg_lo:[0,1] neg_hi:[0,1]
	v_mul_f32_e32 v8, v35, v44
	v_fmac_f32_e32 v8, v34, v45
	v_sub_f32_e32 v8, v5, v8
	scratch_store_dwordx2 off, v[4:5], off offset:128
	v_mov_b32_e32 v5, s25
	ds_read2_b64 v[46:49], v5 offset1:1
	s_add_i32 s25, s27, s18
	s_waitcnt vmcnt(1) lgkmcnt(0)
	v_mul_f32_e32 v5, v49, v37
	v_mul_f32_e32 v9, v48, v37
	v_fma_f32 v5, v48, v36, -v5
	v_fmac_f32_e32 v9, v49, v36
	scratch_load_dwordx4 v[48:51], off, off offset:80
	v_sub_f32_e32 v4, v4, v5
	v_sub_f32_e32 v5, v8, v9
	v_mov_b32_e32 v8, s25
	ds_read2_b64 v[34:37], v8 offset1:1
	s_add_i32 s25, s27, s19
	s_waitcnt lgkmcnt(0)
	v_mul_f32_e32 v8, v37, v39
	v_fma_f32 v8, v36, v38, -v8
	v_sub_f32_e32 v4, v4, v8
	v_mov_b32_e32 v8, s25
	ds_read2_b64 v[40:43], v8 offset1:1
	s_add_i32 s25, s27, s20
	v_mul_f32_e32 v9, v36, v39
	v_fmac_f32_e32 v9, v37, v38
	v_sub_f32_e32 v5, v5, v9
	s_waitcnt vmcnt(0) lgkmcnt(0)
	v_mul_f32_e32 v8, v43, v49
	v_fma_f32 v8, v42, v48, -v8
	v_sub_f32_e32 v4, v4, v8
	v_mov_b32_e32 v8, s25
	ds_read2_b64 v[36:39], v8 offset1:1
	v_mul_f32_e32 v9, v42, v49
	v_fmac_f32_e32 v9, v43, v48
	v_sub_f32_e32 v5, v5, v9
	s_add_i32 s25, s27, s21
	s_waitcnt lgkmcnt(0)
	v_mul_f32_e32 v8, v39, v51
	v_mul_f32_e32 v9, v38, v51
	v_fma_f32 v8, v38, v50, -v8
	v_fmac_f32_e32 v9, v39, v50
	scratch_load_dwordx4 v[48:51], off, off offset:96
	v_sub_f32_e32 v4, v4, v8
	v_mov_b32_e32 v8, s25
	ds_read2_b64 v[52:55], v8 offset1:1
	s_add_i32 s25, s27, s22
	v_sub_f32_e32 v5, v5, v9
	s_waitcnt vmcnt(0) lgkmcnt(0)
	v_mul_f32_e32 v8, v55, v49
	v_fma_f32 v8, v54, v48, -v8
	v_sub_f32_e32 v4, v4, v8
	v_mov_b32_e32 v8, s25
	ds_read2_b64 v[42:45], v8 offset1:1
	v_mul_f32_e32 v9, v54, v49
	v_fmac_f32_e32 v9, v55, v48
	s_add_i32 s25, s27, s23
	v_sub_f32_e32 v5, v5, v9
	s_waitcnt lgkmcnt(0)
	v_mul_f32_e32 v8, v45, v51
	v_fma_f32 v8, v44, v50, -v8
	v_mul_f32_e32 v9, v44, v51
	v_sub_f32_e32 v4, v4, v8
	v_mov_b32_e32 v8, s25
	v_fmac_f32_e32 v9, v45, v50
	ds_read2_b64 v[48:51], v8 offset1:1
	v_sub_f32_e32 v5, v5, v9
	s_add_i32 s25, s27, s24
	v_mov_b32_e32 v12, s25
	ds_read2_b64 v[54:57], v12 offset1:1
	s_waitcnt lgkmcnt(1)
	v_mul_f32_e32 v8, v51, v19
	v_mul_f32_e32 v9, v50, v19
	v_fma_f32 v8, v50, v18, -v8
	v_fmac_f32_e32 v9, v51, v18
	v_sub_f32_e32 v8, v4, v8
	v_sub_f32_e32 v9, v5, v9
	scratch_load_dwordx2 v[4:5], off, off offset:120
	s_add_i32 s25, s10, 0xfffff000
	s_add_i32 s27, s27, s25
	s_waitcnt vmcnt(0) lgkmcnt(0)
	v_mul_f32_e32 v12, v57, v5
	v_mul_f32_e32 v5, v56, v5
	v_fma_f32 v12, v56, v4, -v12
	v_fmac_f32_e32 v5, v57, v4
	v_mov_b32_e32 v4, s27
	ds_read2_b64 v[56:59], v4 offset1:1
	v_sub_f32_e32 v5, v9, v5
	v_sub_f32_e32 v8, v8, v12
	s_add_i32 s27, s4, 0xffffee78
	s_waitcnt lgkmcnt(0)
	v_mul_f32_e32 v4, v59, v5
	v_mul_f32_e32 v5, v58, v5
	v_fma_f32 v4, v58, v8, -v4
	v_fmac_f32_e32 v5, v59, v8
	scratch_store_dwordx2 off, v[4:5], off offset:128
	scratch_load_dwordx4 v[58:61], off, off offset:120
	v_add_u32_e32 v8, s25, v1
	s_waitcnt vmcnt(0)
	ds_write_b64 v8, v[60:61]
	scratch_load_dwordx4 v[16:19], off, off offset:136
	scratch_load_dwordx4 v[60:63], off, off
	scratch_load_dwordx4 v[64:67], off, off offset:16
	scratch_load_dwordx4 v[68:71], off, off offset:24
	;; [unrolled: 1-line block ×4, first 2 shown]
	s_waitcnt vmcnt(4)
	v_pk_mul_f32 v[22:23], v[2:3], v[60:61]
	v_mov_b32_e32 v12, v63
	v_mov_b32_e32 v13, v61
	v_sub_f32_e32 v22, v22, v23
	v_mov_b32_e32 v8, v62
	v_mov_b32_e32 v9, v60
	v_sub_f32_e32 v16, v16, v22
	v_mov_b32_e32 v22, v62
	s_waitcnt vmcnt(3)
	v_mov_b32_e32 v23, v64
	v_pk_mul_f32 v[2:3], v[30:31], v[12:13]
	v_mov_b32_e32 v62, v65
	v_pk_fma_f32 v[12:13], v[6:7], v[22:23], v[2:3] neg_lo:[0,0,1] neg_hi:[0,0,1]
	v_pk_fma_f32 v[2:3], v[26:27], v[8:9], v[2:3]
	v_mov_b32_e32 v8, v7
	v_mov_b32_e32 v13, v3
	;; [unrolled: 1-line block ×3, first 2 shown]
	v_pk_add_f32 v[2:3], v[16:17], v[12:13] neg_lo:[0,1] neg_hi:[0,1]
	v_pk_mul_f32 v[8:9], v[8:9], v[22:23]
	v_mov_b32_e32 v16, v11
	v_mov_b32_e32 v17, v6
	v_pk_fma_f32 v[6:7], v[16:17], v[62:63], v[8:9] op_sel:[0,0,1] op_sel_hi:[1,1,0] neg_lo:[1,0,0] neg_hi:[1,0,0]
	v_pk_fma_f32 v[8:9], v[16:17], v[62:63], v[8:9] op_sel:[0,0,1] op_sel_hi:[1,1,0]
	v_mov_b32_e32 v13, v66
	v_mov_b32_e32 v7, v9
	v_pk_add_f32 v[2:3], v[2:3], v[6:7] neg_lo:[0,1] neg_hi:[0,1]
	scratch_load_dwordx4 v[6:9], off, off offset:48
	v_mov_b32_e32 v66, v65
	v_mov_b32_e32 v22, v11
	;; [unrolled: 1-line block ×5, first 2 shown]
	v_pk_mul_f32 v[10:11], v[10:11], v[66:67]
	s_waitcnt vmcnt(3)
	v_mov_b32_e32 v17, v70
	v_pk_fma_f32 v[26:27], v[22:23], v[12:13], v[10:11] neg_lo:[0,0,1] neg_hi:[0,0,1]
	v_pk_fma_f32 v[10:11], v[22:23], v[12:13], v[10:11]
	v_mov_b32_e32 v70, v69
	v_pk_mov_b32 v[10:11], v[26:27], v[10:11] op_sel:[1,0]
	v_mov_b32_e32 v26, v15
	v_pk_add_f32 v[2:3], v[2:3], v[10:11] neg_lo:[0,1] neg_hi:[0,1]
	scratch_load_dwordx4 v[10:13], off, off offset:56
	v_mov_b32_e32 v15, v21
	v_mov_b32_e32 v16, v68
	;; [unrolled: 1-line block ×3, first 2 shown]
	v_pk_mul_f32 v[14:15], v[14:15], v[70:71]
	s_waitcnt vmcnt(3)
	v_mov_b32_e32 v23, v74
	v_mov_b32_e32 v74, v73
	v_pk_fma_f32 v[30:31], v[26:27], v[16:17], v[14:15] neg_lo:[0,0,1] neg_hi:[0,0,1]
	v_pk_fma_f32 v[14:15], v[26:27], v[16:17], v[14:15]
	v_mov_b32_e32 v16, v21
	v_mov_b32_e32 v21, v25
	;; [unrolled: 1-line block ×4, first 2 shown]
	v_pk_mul_f32 v[20:21], v[20:21], v[74:75]
	v_pk_mov_b32 v[14:15], v[30:31], v[14:15] op_sel:[1,0]
	v_pk_fma_f32 v[26:27], v[16:17], v[22:23], v[20:21] neg_lo:[0,0,1] neg_hi:[0,0,1]
	v_pk_fma_f32 v[16:17], v[16:17], v[22:23], v[20:21]
	v_pk_add_f32 v[2:3], v[2:3], v[14:15] neg_lo:[0,1] neg_hi:[0,1]
	s_waitcnt vmcnt(2)
	v_mov_b32_e32 v15, v78
	v_mov_b32_e32 v78, v77
	v_pk_mov_b32 v[16:17], v[26:27], v[16:17] op_sel:[1,0]
	v_mov_b32_e32 v20, v25
	v_mov_b32_e32 v25, v29
	;; [unrolled: 1-line block ×3, first 2 shown]
	v_pk_add_f32 v[2:3], v[2:3], v[16:17] neg_lo:[0,1] neg_hi:[0,1]
	v_mov_b32_e32 v21, v28
	s_waitcnt vmcnt(1)
	v_mov_b32_e32 v16, v6
	v_mov_b32_e32 v17, v8
	;; [unrolled: 1-line block ×3, first 2 shown]
	v_pk_mul_f32 v[6:7], v[24:25], v[78:79]
	s_nop 0
	v_pk_fma_f32 v[22:23], v[20:21], v[14:15], v[6:7] neg_lo:[0,0,1] neg_hi:[0,0,1]
	v_pk_fma_f32 v[6:7], v[20:21], v[14:15], v[6:7]
	v_mov_b32_e32 v14, v29
	v_mov_b32_e32 v29, v33
	;; [unrolled: 1-line block ×3, first 2 shown]
	v_pk_mul_f32 v[8:9], v[28:29], v[8:9]
	v_pk_mov_b32 v[6:7], v[22:23], v[6:7] op_sel:[1,0]
	v_pk_fma_f32 v[20:21], v[14:15], v[16:17], v[8:9] neg_lo:[0,0,1] neg_hi:[0,0,1]
	v_pk_fma_f32 v[8:9], v[14:15], v[16:17], v[8:9]
	v_pk_add_f32 v[2:3], v[2:3], v[6:7] neg_lo:[0,1] neg_hi:[0,1]
	v_pk_mov_b32 v[8:9], v[20:21], v[8:9] op_sel:[1,0]
	s_waitcnt vmcnt(0)
	v_mov_b32_e32 v6, v10
	v_mov_b32_e32 v10, v11
	;; [unrolled: 1-line block ×3, first 2 shown]
	v_pk_add_f32 v[2:3], v[2:3], v[8:9] neg_lo:[0,1] neg_hi:[0,1]
	v_mov_b32_e32 v8, v33
	v_mov_b32_e32 v33, v47
	v_mov_b32_e32 v7, v12
	v_mov_b32_e32 v9, v46
	v_pk_mul_f32 v[10:11], v[32:33], v[10:11]
	s_nop 0
	v_pk_fma_f32 v[14:15], v[8:9], v[6:7], v[10:11] neg_lo:[0,0,1] neg_hi:[0,0,1]
	v_pk_fma_f32 v[6:7], v[8:9], v[6:7], v[10:11]
	s_nop 0
	v_pk_mov_b32 v[6:7], v[14:15], v[6:7] op_sel:[1,0]
	s_nop 0
	v_pk_add_f32 v[2:3], v[2:3], v[6:7] neg_lo:[0,1] neg_hi:[0,1]
	v_mul_f32_e32 v6, v47, v12
	v_fmac_f32_e32 v6, v46, v13
	v_sub_f32_e32 v10, v3, v6
	scratch_load_dwordx4 v[6:9], off, off offset:72
	s_nop 0
	scratch_store_dwordx2 off, v[2:3], off offset:136
	s_waitcnt vmcnt(1)
	v_mul_f32_e32 v3, v35, v7
	v_mul_f32_e32 v7, v34, v7
	v_fma_f32 v3, v34, v6, -v3
	v_fmac_f32_e32 v7, v35, v6
	v_sub_f32_e32 v2, v2, v3
	v_sub_f32_e32 v3, v10, v7
	v_mul_f32_e32 v6, v41, v9
	v_mul_f32_e32 v7, v40, v9
	v_fma_f32 v6, v40, v8, -v6
	v_fmac_f32_e32 v7, v41, v8
	v_sub_f32_e32 v2, v2, v6
	v_sub_f32_e32 v3, v3, v7
	scratch_load_dwordx4 v[6:9], off, off offset:88
	s_waitcnt vmcnt(0)
	v_mul_f32_e32 v10, v37, v7
	v_mul_f32_e32 v7, v36, v7
	v_fmac_f32_e32 v7, v37, v6
	v_fma_f32 v10, v36, v6, -v10
	v_sub_f32_e32 v3, v3, v7
	v_mul_f32_e32 v6, v53, v9
	v_mul_f32_e32 v7, v52, v9
	v_sub_f32_e32 v2, v2, v10
	v_fma_f32 v6, v52, v8, -v6
	v_fmac_f32_e32 v7, v53, v8
	v_sub_f32_e32 v2, v2, v6
	v_sub_f32_e32 v3, v3, v7
	scratch_load_dwordx4 v[6:9], off, off offset:104
	s_waitcnt vmcnt(0)
	v_mul_f32_e32 v10, v43, v7
	v_mul_f32_e32 v7, v42, v7
	v_fma_f32 v10, v42, v6, -v10
	v_fmac_f32_e32 v7, v43, v6
	v_mul_f32_e32 v6, v49, v9
	v_sub_f32_e32 v2, v2, v10
	v_fma_f32 v6, v48, v8, -v6
	v_sub_f32_e32 v3, v3, v7
	v_mul_f32_e32 v7, v48, v9
	v_sub_f32_e32 v2, v2, v6
	v_mul_f32_e32 v6, v55, v59
	v_fmac_f32_e32 v7, v49, v8
	v_fma_f32 v6, v54, v58, -v6
	v_sub_f32_e32 v3, v3, v7
	v_mul_f32_e32 v7, v54, v59
	v_sub_f32_e32 v2, v2, v6
	v_mul_f32_e32 v6, v57, v5
	v_fmac_f32_e32 v7, v55, v58
	v_fma_f32 v6, v56, v4, -v6
	v_mul_f32_e32 v5, v56, v5
	v_sub_f32_e32 v3, v3, v7
	v_fmac_f32_e32 v5, v57, v4
	v_sub_f32_e32 v6, v2, v6
	v_mov_b32_e32 v2, s27
	v_sub_f32_e32 v5, v3, v5
	ds_read_b64 v[2:3], v2
	s_add_i32 s27, s31, s10
	v_mov_b32_e32 v8, s27
	s_add_i32 s27, s31, s11
	s_waitcnt lgkmcnt(0)
	v_mul_f32_e32 v4, v3, v5
	v_mul_f32_e32 v5, v2, v5
	v_fma_f32 v4, v2, v6, -v4
	v_fmac_f32_e32 v5, v3, v6
	scratch_store_dwordx2 off, v[4:5], off offset:136
	scratch_load_dwordx4 v[2:5], off, off offset:128
	v_add_u32_e32 v6, s26, v1
	s_waitcnt vmcnt(0)
	ds_write_b64 v6, v[4:5]
	scratch_load_dwordx4 v[4:7], off, off
	scratch_load_dword v16, off, off offset:20
	ds_read2_b64 v[24:27], v8 offset1:1
	s_waitcnt vmcnt(1) lgkmcnt(0)
	v_mul_f32_e32 v8, v27, v5
	v_fma_f32 v8, v26, v4, -v8
	v_sub_f32_e32 v18, v18, v8
	v_mov_b32_e32 v8, s27
	ds_read2_b64 v[20:23], v8 offset1:1
	scratch_load_dwordx4 v[8:11], off, off offset:24
	scratch_load_dwordx4 v[12:15], off, off offset:16
	;; [unrolled: 1-line block ×3, first 2 shown]
	v_mov_b32_e32 v35, v4
	v_mov_b32_e32 v37, v26
	s_waitcnt lgkmcnt(0)
	v_mov_b32_e32 v36, v23
	v_mov_b32_e32 v4, v7
	;; [unrolled: 1-line block ×5, first 2 shown]
	v_pk_mul_f32 v[4:5], v[36:37], v[4:5]
	s_waitcnt vmcnt(1)
	v_mov_b32_e32 v13, v6
	v_mov_b32_e32 v17, v7
	v_pk_fma_f32 v[6:7], v[22:23], v[6:7], v[4:5] neg_lo:[0,0,1] neg_hi:[0,0,1]
	v_pk_fma_f32 v[4:5], v[28:29], v[34:35], v[4:5]
	s_add_i32 s27, s31, s5
	v_mov_b32_e32 v4, s27
	ds_read2_b64 v[26:29], v4 offset1:1
	v_mov_b32_e32 v7, v5
	v_pk_add_f32 v[18:19], v[18:19], v[6:7] neg_lo:[0,1] neg_hi:[0,1]
	scratch_load_dwordx4 v[4:7], off, off offset:40
	v_mov_b32_e32 v35, v22
	s_waitcnt lgkmcnt(0)
	v_mov_b32_e32 v34, v29
	v_mov_b32_e32 v15, v23
	;; [unrolled: 1-line block ×3, first 2 shown]
	v_pk_mul_f32 v[16:17], v[34:35], v[16:17]
	s_add_i32 s27, s31, s12
	v_mov_b32_e32 v40, v9
	v_mov_b32_e32 v39, v14
	;; [unrolled: 1-line block ×4, first 2 shown]
	v_pk_fma_f32 v[12:13], v[14:15], v[12:13], v[16:17]
	v_pk_fma_f32 v[22:23], v[28:29], v[38:39], v[16:17] neg_lo:[0,0,1] neg_hi:[0,0,1]
	v_mov_b32_e32 v12, s27
	ds_read2_b64 v[34:37], v12 offset1:1
	v_mov_b32_e32 v23, v13
	v_mov_b32_e32 v12, v29
	v_pk_add_f32 v[16:17], v[18:19], v[22:23] neg_lo:[0,1] neg_hi:[0,1]
	v_mov_b32_e32 v22, v8
	s_waitcnt lgkmcnt(0)
	v_mov_b32_e32 v13, v36
	v_pk_mul_f32 v[18:19], v[12:13], v[38:39]
	scratch_load_dwordx4 v[12:15], off, off offset:48
	v_mov_b32_e32 v23, v10
	v_mov_b32_e32 v10, v9
	;; [unrolled: 1-line block ×4, first 2 shown]
	v_pk_fma_f32 v[28:29], v[8:9], v[40:41], v[18:19] op_sel:[0,0,1] op_sel_hi:[1,1,0] neg_lo:[1,0,0] neg_hi:[1,0,0]
	v_pk_fma_f32 v[8:9], v[8:9], v[40:41], v[18:19] op_sel:[0,0,1] op_sel_hi:[1,1,0]
	s_add_i32 s27, s31, s13
	v_mov_b32_e32 v29, v9
	v_pk_add_f32 v[8:9], v[16:17], v[28:29] neg_lo:[0,1] neg_hi:[0,1]
	v_mov_b32_e32 v16, s27
	ds_read2_b64 v[40:43], v16 offset1:1
	scratch_load_dwordx4 v[16:19], off, off offset:56
	v_mov_b32_e32 v38, v37
	s_waitcnt vmcnt(3)
	v_mov_b32_e32 v28, v30
	v_mov_b32_e32 v29, v32
	s_waitcnt lgkmcnt(0)
	v_mov_b32_e32 v37, v43
	v_mov_b32_e32 v39, v42
	v_pk_mul_f32 v[10:11], v[36:37], v[10:11]
	v_mov_b32_e32 v32, v31
	v_pk_fma_f32 v[30:31], v[38:39], v[22:23], v[10:11] neg_lo:[0,0,1] neg_hi:[0,0,1]
	v_pk_fma_f32 v[10:11], v[38:39], v[22:23], v[10:11]
	s_add_i32 s27, s31, s14
	v_pk_mov_b32 v[10:11], v[30:31], v[10:11] op_sel:[1,0]
	v_mov_b32_e32 v36, v43
	v_pk_add_f32 v[22:23], v[8:9], v[10:11] neg_lo:[0,1] neg_hi:[0,1]
	v_mov_b32_e32 v8, s27
	ds_read2_b64 v[46:49], v8 offset1:1
	s_waitcnt vmcnt(2)
	v_mov_b32_e32 v30, v4
	v_mov_b32_e32 v31, v6
	;; [unrolled: 1-line block ×3, first 2 shown]
	s_add_i32 s27, s31, s15
	s_waitcnt lgkmcnt(0)
	v_mov_b32_e32 v43, v49
	v_mov_b32_e32 v37, v48
	v_pk_mul_f32 v[4:5], v[42:43], v[32:33]
	s_nop 0
	v_pk_fma_f32 v[32:33], v[36:37], v[28:29], v[4:5] neg_lo:[0,0,1] neg_hi:[0,0,1]
	v_pk_fma_f32 v[4:5], v[36:37], v[28:29], v[4:5]
	v_mov_b32_e32 v28, v49
	v_pk_mov_b32 v[4:5], v[32:33], v[4:5] op_sel:[1,0]
	s_nop 0
	v_pk_add_f32 v[4:5], v[22:23], v[4:5] neg_lo:[0,1] neg_hi:[0,1]
	v_mov_b32_e32 v22, s27
	ds_read2_b64 v[50:53], v22 offset1:1
	s_add_i32 s27, s31, s16
	s_waitcnt lgkmcnt(0)
	v_mov_b32_e32 v49, v53
	v_mov_b32_e32 v29, v52
	v_pk_mul_f32 v[6:7], v[48:49], v[6:7]
	s_waitcnt vmcnt(1)
	v_mov_b32_e32 v22, v12
	v_mov_b32_e32 v23, v14
	;; [unrolled: 1-line block ×3, first 2 shown]
	v_pk_fma_f32 v[12:13], v[28:29], v[30:31], v[6:7] neg_lo:[0,0,1] neg_hi:[0,0,1]
	v_pk_fma_f32 v[6:7], v[28:29], v[30:31], v[6:7]
	s_nop 0
	v_pk_mov_b32 v[6:7], v[12:13], v[6:7] op_sel:[1,0]
	v_mov_b32_e32 v12, v53
	v_pk_add_f32 v[4:5], v[4:5], v[6:7] neg_lo:[0,1] neg_hi:[0,1]
	v_mov_b32_e32 v6, s27
	ds_read2_b64 v[54:57], v6 offset1:1
	s_add_i32 s27, s31, s17
	s_waitcnt vmcnt(0)
	v_mov_b32_e32 v6, v16
	v_mov_b32_e32 v7, v18
	;; [unrolled: 1-line block ×3, first 2 shown]
	s_waitcnt lgkmcnt(0)
	v_mov_b32_e32 v53, v57
	v_mov_b32_e32 v13, v56
	v_pk_mul_f32 v[14:15], v[52:53], v[14:15]
	s_nop 0
	v_pk_fma_f32 v[16:17], v[12:13], v[22:23], v[14:15] neg_lo:[0,0,1] neg_hi:[0,0,1]
	v_pk_fma_f32 v[12:13], v[12:13], v[22:23], v[14:15]
	v_mov_b32_e32 v14, v57
	v_pk_mov_b32 v[12:13], v[16:17], v[12:13] op_sel:[1,0]
	s_nop 0
	v_pk_add_f32 v[4:5], v[4:5], v[12:13] neg_lo:[0,1] neg_hi:[0,1]
	v_mov_b32_e32 v12, s27
	ds_read2_b64 v[58:61], v12 offset1:1
	scratch_load_dwordx4 v[8:11], off, off offset:64
	s_add_i32 s27, s31, s18
	s_waitcnt lgkmcnt(0)
	v_mov_b32_e32 v57, v61
	v_mov_b32_e32 v15, v60
	v_pk_mul_f32 v[16:17], v[56:57], v[18:19]
	s_waitcnt vmcnt(0)
	v_mov_b32_e32 v12, v8
	v_pk_fma_f32 v[18:19], v[14:15], v[6:7], v[16:17] neg_lo:[0,0,1] neg_hi:[0,0,1]
	v_pk_fma_f32 v[6:7], v[14:15], v[6:7], v[16:17]
	v_mov_b32_e32 v8, v9
	v_pk_mov_b32 v[6:7], v[18:19], v[6:7] op_sel:[1,0]
	v_mov_b32_e32 v9, v11
	v_pk_add_f32 v[4:5], v[4:5], v[6:7] neg_lo:[0,1] neg_hi:[0,1]
	v_mov_b32_e32 v6, s27
	ds_read2_b64 v[62:65], v6 offset1:1
	v_mov_b32_e32 v6, v61
	v_mov_b32_e32 v13, v10
	s_add_i32 s27, s31, s19
	s_waitcnt lgkmcnt(0)
	v_mov_b32_e32 v61, v65
	v_mov_b32_e32 v7, v64
	v_pk_mul_f32 v[8:9], v[60:61], v[8:9]
	s_nop 0
	v_pk_fma_f32 v[14:15], v[6:7], v[12:13], v[8:9] neg_lo:[0,0,1] neg_hi:[0,0,1]
	v_pk_fma_f32 v[6:7], v[6:7], v[12:13], v[8:9]
	s_nop 0
	v_pk_mov_b32 v[6:7], v[14:15], v[6:7] op_sel:[1,0]
	s_nop 0
	v_pk_add_f32 v[8:9], v[4:5], v[6:7] neg_lo:[0,1] neg_hi:[0,1]
	v_mul_f32_e32 v4, v65, v10
	v_fmac_f32_e32 v4, v64, v11
	v_sub_f32_e32 v9, v9, v4
	scratch_load_dwordx4 v[4:7], off, off offset:80
	v_mov_b32_e32 v10, s27
	ds_read2_b64 v[64:67], v10 offset1:1
	s_add_i32 s27, s31, s20
	s_waitcnt vmcnt(0) lgkmcnt(0)
	v_mul_f32_e32 v10, v67, v5
	v_fma_f32 v10, v66, v4, -v10
	v_mul_f32_e32 v5, v66, v5
	v_fmac_f32_e32 v5, v67, v4
	v_sub_f32_e32 v4, v8, v10
	v_mov_b32_e32 v8, s27
	ds_read2_b64 v[36:39], v8 offset1:1
	v_sub_f32_e32 v5, v9, v5
	s_add_i32 s27, s31, s21
	v_mov_b32_e32 v10, s27
	ds_read2_b64 v[42:45], v10 offset1:1
	s_waitcnt lgkmcnt(1)
	v_mul_f32_e32 v8, v39, v7
	v_mul_f32_e32 v7, v38, v7
	v_fma_f32 v8, v38, v6, -v8
	v_fmac_f32_e32 v7, v39, v6
	v_sub_f32_e32 v8, v4, v8
	v_sub_f32_e32 v9, v5, v7
	scratch_load_dwordx4 v[4:7], off, off offset:96
	s_add_i32 s27, s31, s22
	s_waitcnt vmcnt(0) lgkmcnt(0)
	v_mul_f32_e32 v10, v45, v5
	v_fma_f32 v10, v44, v4, -v10
	v_mul_f32_e32 v5, v44, v5
	v_fmac_f32_e32 v5, v45, v4
	v_sub_f32_e32 v4, v8, v10
	v_mov_b32_e32 v8, s27
	ds_read2_b64 v[28:31], v8 offset1:1
	v_sub_f32_e32 v5, v9, v5
	s_add_i32 s27, s31, s23
	v_mov_b32_e32 v44, v27
	v_mov_b32_e32 v45, v20
	s_waitcnt lgkmcnt(0)
	v_mul_f32_e32 v8, v31, v7
	v_fma_f32 v8, v30, v6, -v8
	v_sub_f32_e32 v4, v4, v8
	scratch_load_dwordx4 v[8:11], off, off offset:112
	v_mul_f32_e32 v7, v30, v7
	v_fmac_f32_e32 v7, v31, v6
	v_mov_b32_e32 v6, s27
	ds_read2_b64 v[30:33], v6 offset1:1
	v_sub_f32_e32 v5, v5, v7
	s_add_i32 s27, s31, s24
	s_waitcnt vmcnt(0) lgkmcnt(0)
	v_mul_f32_e32 v6, v33, v9
	v_fma_f32 v6, v32, v8, -v6
	v_mul_f32_e32 v7, v32, v9
	v_fmac_f32_e32 v7, v33, v8
	v_sub_f32_e32 v4, v4, v6
	v_mov_b32_e32 v6, s27
	v_sub_f32_e32 v5, v5, v7
	ds_read2_b64 v[6:9], v6 offset1:1
	s_add_i32 s27, s31, s25
	v_mov_b32_e32 v32, v26
	v_mov_b32_e32 v33, v21
	s_waitcnt lgkmcnt(0)
	v_mul_f32_e32 v12, v9, v11
	v_fma_f32 v12, v8, v10, -v12
	v_mul_f32_e32 v8, v8, v11
	v_fmac_f32_e32 v8, v9, v10
	v_sub_f32_e32 v5, v5, v8
	v_mov_b32_e32 v8, s27
	ds_read2_b64 v[8:11], v8 offset1:1
	v_sub_f32_e32 v4, v4, v12
	s_add_i32 s27, s31, s26
	s_waitcnt lgkmcnt(0)
	v_mul_f32_e32 v12, v11, v3
	v_mul_f32_e32 v3, v10, v3
	v_fmac_f32_e32 v3, v11, v2
	v_fma_f32 v12, v10, v2, -v12
	v_sub_f32_e32 v5, v5, v3
	scratch_load_dwordx2 v[2:3], off, off offset:136
	v_mov_b32_e32 v10, s27
	v_sub_f32_e32 v4, v4, v12
	ds_read2_b64 v[10:13], v10 offset1:1
	s_add_i32 s27, s10, 0xffffee00
	s_add_i32 s31, s31, s27
	s_waitcnt vmcnt(0) lgkmcnt(0)
	v_mul_f32_e32 v14, v13, v3
	v_fma_f32 v14, v12, v2, -v14
	v_mul_f32_e32 v3, v12, v3
	v_fmac_f32_e32 v3, v13, v2
	v_sub_f32_e32 v2, v4, v14
	v_mov_b32_e32 v4, s31
	ds_read2_b64 v[12:15], v4 offset1:1
	v_sub_f32_e32 v3, v5, v3
	s_add_i32 s31, s4, 0xffffec68
	s_waitcnt lgkmcnt(0)
	v_mul_f32_e32 v4, v15, v3
	v_mul_f32_e32 v19, v14, v3
	v_fma_f32 v18, v14, v2, -v4
	v_fmac_f32_e32 v19, v15, v2
	scratch_store_dwordx2 off, v[18:19], off offset:144
	scratch_load_dwordx4 v[14:17], off, off offset:136
	v_add_u32_e32 v2, s27, v1
	s_waitcnt vmcnt(0)
	ds_write_b64 v2, v[16:17]
	scratch_load_dwordx4 v[2:5], off, off offset:152
	scratch_load_dwordx4 v[66:69], off, off
	scratch_load_dwordx4 v[70:73], off, off offset:32
	scratch_load_dwordx4 v[74:77], off, off offset:40
	s_waitcnt vmcnt(2)
	v_mul_f32_e32 v16, v25, v67
	v_mul_f32_e32 v17, v24, v67
	v_fma_f32 v16, v24, v66, -v16
	v_fmac_f32_e32 v17, v25, v66
	scratch_load_dwordx4 v[22:25], off, off offset:16
	v_sub_f32_e32 v2, v2, v16
	v_mul_f32_e32 v16, v21, v69
	v_fma_f32 v16, v20, v68, -v16
	v_mov_b32_e32 v39, v68
	v_pk_add_f32 v[2:3], v[2:3], v[16:17] neg_lo:[0,1] neg_hi:[0,1]
	s_waitcnt vmcnt(0)
	v_mov_b32_e32 v68, v23
	v_mov_b32_e32 v16, v24
	;; [unrolled: 1-line block ×4, first 2 shown]
	v_pk_mul_f32 v[20:21], v[44:45], v[68:69]
	v_mov_b32_e32 v22, v25
	v_pk_fma_f32 v[44:45], v[26:27], v[16:17], v[20:21] op_sel:[0,1,0] op_sel_hi:[1,0,1] neg_lo:[0,0,1] neg_hi:[0,0,1]
	v_pk_fma_f32 v[20:21], v[32:33], v[38:39], v[20:21]
	v_mov_b32_e32 v38, v35
	v_mov_b32_e32 v39, v26
	;; [unrolled: 1-line block ×7, first 2 shown]
	v_pk_mul_f32 v[22:23], v[38:39], v[22:23]
	v_pk_add_f32 v[2:3], v[2:3], v[44:45] neg_lo:[0,1] neg_hi:[0,1]
	v_pk_fma_f32 v[26:27], v[34:35], v[20:21], v[22:23] neg_lo:[0,0,1] neg_hi:[0,0,1]
	v_pk_fma_f32 v[16:17], v[32:33], v[16:17], v[22:23]
	scratch_load_dwordx4 v[66:69], off, off offset:48
	v_mov_b32_e32 v27, v17
	v_mov_b32_e32 v22, v35
	;; [unrolled: 1-line block ×3, first 2 shown]
	v_pk_add_f32 v[2:3], v[2:3], v[26:27] neg_lo:[0,1] neg_hi:[0,1]
	v_pk_mul_f32 v[26:27], v[22:23], v[20:21]
	scratch_load_dwordx4 v[20:23], off, off offset:56
	v_mov_b32_e32 v24, v71
	v_mov_b32_e32 v32, v41
	;; [unrolled: 1-line block ×3, first 2 shown]
	v_pk_fma_f32 v[34:35], v[32:33], v[24:25], v[26:27] op_sel:[0,0,1] op_sel_hi:[1,1,0] neg_lo:[1,0,0] neg_hi:[1,0,0]
	v_pk_fma_f32 v[24:25], v[32:33], v[24:25], v[26:27] op_sel:[0,0,1] op_sel_hi:[1,1,0]
	v_mov_b32_e32 v17, v72
	v_mov_b32_e32 v72, v71
	;; [unrolled: 1-line block ×3, first 2 shown]
	scratch_load_dwordx4 v[24:27], off, off offset:64
	v_mov_b32_e32 v41, v47
	v_mov_b32_e32 v16, v70
	v_pk_add_f32 v[2:3], v[2:3], v[34:35] neg_lo:[0,1] neg_hi:[0,1]
	v_mov_b32_e32 v33, v46
	v_pk_mul_f32 v[34:35], v[40:41], v[72:73]
	v_mov_b32_e32 v39, v76
	v_pk_fma_f32 v[40:41], v[32:33], v[16:17], v[34:35] neg_lo:[0,0,1] neg_hi:[0,0,1]
	v_pk_fma_f32 v[16:17], v[32:33], v[16:17], v[34:35]
	scratch_load_dwordx4 v[32:35], off, off offset:72
	v_mov_b32_e32 v76, v75
	v_pk_mov_b32 v[16:17], v[40:41], v[16:17] op_sel:[1,0]
	v_mov_b32_e32 v40, v47
	v_mov_b32_e32 v47, v51
	;; [unrolled: 1-line block ×4, first 2 shown]
	v_pk_mul_f32 v[44:45], v[46:47], v[76:77]
	v_pk_add_f32 v[2:3], v[2:3], v[16:17] neg_lo:[0,1] neg_hi:[0,1]
	v_pk_fma_f32 v[46:47], v[40:41], v[38:39], v[44:45] neg_lo:[0,0,1] neg_hi:[0,0,1]
	v_pk_fma_f32 v[38:39], v[40:41], v[38:39], v[44:45]
	v_mov_b32_e32 v40, v51
	v_pk_mov_b32 v[38:39], v[46:47], v[38:39] op_sel:[1,0]
	v_mov_b32_e32 v51, v55
	v_pk_add_f32 v[2:3], v[2:3], v[38:39] neg_lo:[0,1] neg_hi:[0,1]
	v_mov_b32_e32 v41, v54
	s_waitcnt vmcnt(3)
	v_mov_b32_e32 v17, v68
	v_mov_b32_e32 v68, v67
	;; [unrolled: 1-line block ×3, first 2 shown]
	s_waitcnt vmcnt(2)
	v_mov_b32_e32 v38, v20
	v_mov_b32_e32 v39, v22
	;; [unrolled: 1-line block ×3, first 2 shown]
	v_pk_mul_f32 v[20:21], v[50:51], v[68:69]
	s_nop 0
	v_pk_fma_f32 v[44:45], v[40:41], v[16:17], v[20:21] neg_lo:[0,0,1] neg_hi:[0,0,1]
	v_pk_fma_f32 v[16:17], v[40:41], v[16:17], v[20:21]
	v_mov_b32_e32 v20, v55
	v_mov_b32_e32 v55, v59
	v_pk_mov_b32 v[16:17], v[44:45], v[16:17] op_sel:[1,0]
	v_mov_b32_e32 v21, v58
	v_pk_mul_f32 v[22:23], v[54:55], v[22:23]
	v_pk_add_f32 v[2:3], v[2:3], v[16:17] neg_lo:[0,1] neg_hi:[0,1]
	s_waitcnt vmcnt(1)
	v_mov_b32_e32 v16, v24
	v_mov_b32_e32 v17, v26
	;; [unrolled: 1-line block ×3, first 2 shown]
	v_pk_fma_f32 v[24:25], v[20:21], v[38:39], v[22:23] neg_lo:[0,0,1] neg_hi:[0,0,1]
	v_pk_fma_f32 v[20:21], v[20:21], v[38:39], v[22:23]
	v_mov_b32_e32 v22, v59
	v_mov_b32_e32 v59, v63
	v_pk_mov_b32 v[20:21], v[24:25], v[20:21] op_sel:[1,0]
	v_mov_b32_e32 v23, v62
	v_pk_mul_f32 v[26:27], v[58:59], v[26:27]
	v_pk_add_f32 v[2:3], v[2:3], v[20:21] neg_lo:[0,1] neg_hi:[0,1]
	s_waitcnt vmcnt(0)
	v_mov_b32_e32 v20, v32
	v_mov_b32_e32 v24, v33
	v_pk_fma_f32 v[32:33], v[22:23], v[16:17], v[26:27] neg_lo:[0,0,1] neg_hi:[0,0,1]
	v_pk_fma_f32 v[16:17], v[22:23], v[16:17], v[26:27]
	v_mov_b32_e32 v25, v35
	v_pk_mov_b32 v[16:17], v[32:33], v[16:17] op_sel:[1,0]
	v_mov_b32_e32 v21, v34
	v_pk_add_f32 v[2:3], v[2:3], v[16:17] neg_lo:[0,1] neg_hi:[0,1]
	v_mov_b32_e32 v16, v63
	v_mov_b32_e32 v63, v65
	;; [unrolled: 1-line block ×3, first 2 shown]
	v_pk_mul_f32 v[22:23], v[62:63], v[24:25]
	s_nop 0
	v_pk_fma_f32 v[24:25], v[16:17], v[20:21], v[22:23] neg_lo:[0,0,1] neg_hi:[0,0,1]
	v_pk_fma_f32 v[16:17], v[16:17], v[20:21], v[22:23]
	scratch_load_dwordx4 v[20:23], off, off offset:88
	v_pk_mov_b32 v[16:17], v[24:25], v[16:17] op_sel:[1,0]
	s_nop 0
	v_pk_add_f32 v[2:3], v[2:3], v[16:17] neg_lo:[0,1] neg_hi:[0,1]
	v_mul_f32_e32 v16, v65, v34
	v_fmac_f32_e32 v16, v64, v35
	v_sub_f32_e32 v16, v3, v16
	scratch_store_dwordx2 off, v[2:3], off offset:152
	s_waitcnt vmcnt(1)
	v_mul_f32_e32 v3, v37, v21
	v_mul_f32_e32 v17, v36, v21
	v_fma_f32 v3, v36, v20, -v3
	v_fmac_f32_e32 v17, v37, v20
	v_sub_f32_e32 v2, v2, v3
	v_sub_f32_e32 v3, v16, v17
	v_mul_f32_e32 v16, v43, v23
	v_mul_f32_e32 v17, v42, v23
	v_fma_f32 v16, v42, v22, -v16
	v_fmac_f32_e32 v17, v43, v22
	scratch_load_dwordx4 v[20:23], off, off offset:104
	v_sub_f32_e32 v2, v2, v16
	v_sub_f32_e32 v3, v3, v17
	s_waitcnt vmcnt(0)
	v_mul_f32_e32 v16, v29, v21
	v_mul_f32_e32 v17, v28, v21
	v_fma_f32 v16, v28, v20, -v16
	v_fmac_f32_e32 v17, v29, v20
	v_sub_f32_e32 v2, v2, v16
	v_sub_f32_e32 v3, v3, v17
	v_mul_f32_e32 v16, v31, v23
	v_mul_f32_e32 v17, v30, v23
	v_fma_f32 v16, v30, v22, -v16
	v_fmac_f32_e32 v17, v31, v22
	scratch_load_dwordx4 v[20:23], off, off offset:120
	v_sub_f32_e32 v2, v2, v16
	v_sub_f32_e32 v3, v3, v17
	s_waitcnt vmcnt(0)
	v_mul_f32_e32 v16, v7, v21
	v_fma_f32 v16, v6, v20, -v16
	v_mul_f32_e32 v6, v6, v21
	v_fmac_f32_e32 v6, v7, v20
	v_sub_f32_e32 v3, v3, v6
	v_mul_f32_e32 v6, v9, v23
	v_sub_f32_e32 v2, v2, v16
	v_fma_f32 v6, v8, v22, -v6
	v_mul_f32_e32 v7, v8, v23
	v_fmac_f32_e32 v7, v9, v22
	v_sub_f32_e32 v2, v2, v6
	v_mul_f32_e32 v6, v11, v15
	v_sub_f32_e32 v3, v3, v7
	;; [unrolled: 6-line block ×3, first 2 shown]
	v_fma_f32 v6, v12, v18, -v6
	v_mul_f32_e32 v7, v12, v19
	v_fmac_f32_e32 v7, v13, v18
	v_sub_f32_e32 v8, v2, v6
	v_mov_b32_e32 v2, s31
	v_sub_f32_e32 v7, v3, v7
	ds_read_b64 v[2:3], v2
	s_add_i32 s31, s34, s10
	s_waitcnt lgkmcnt(0)
	v_mul_f32_e32 v6, v3, v7
	v_mul_f32_e32 v7, v2, v7
	v_fma_f32 v6, v2, v8, -v6
	v_fmac_f32_e32 v7, v3, v8
	scratch_store_dwordx2 off, v[6:7], off offset:152
	scratch_load_dwordx4 v[6:9], off, off offset:144
	v_add_u32_e32 v2, s30, v1
	s_waitcnt vmcnt(0)
	ds_write_b64 v2, v[8:9]
	scratch_load_dwordx4 v[8:11], off, off
	v_mov_b32_e32 v2, s31
	ds_read2_b64 v[72:75], v2 offset1:1
	s_add_i32 s31, s34, s11
	s_waitcnt vmcnt(0) lgkmcnt(0)
	v_mul_f32_e32 v2, v75, v9
	v_fma_f32 v2, v74, v8, -v2
	v_mul_f32_e32 v3, v74, v9
	v_sub_f32_e32 v4, v4, v2
	v_mov_b32_e32 v2, s31
	v_fmac_f32_e32 v3, v75, v8
	ds_read2_b64 v[74:77], v2 offset1:1
	s_add_i32 s31, s34, s5
	s_waitcnt lgkmcnt(0)
	v_mul_f32_e32 v2, v77, v11
	v_mul_f32_e32 v13, v76, v11
	v_fma_f32 v2, v76, v10, -v2
	v_fmac_f32_e32 v13, v77, v10
	scratch_load_dwordx4 v[8:11], off, off offset:16
	scratch_load_dword v20, off, off offset:36
	v_pk_add_f32 v[2:3], v[4:5], v[2:3] neg_lo:[0,1] neg_hi:[0,1]
	v_mov_b32_e32 v4, s31
	ds_read2_b64 v[68:71], v4 offset1:1
	s_add_i32 s31, s34, s12
	s_waitcnt vmcnt(1) lgkmcnt(0)
	v_mul_f32_e32 v4, v71, v9
	v_fma_f32 v12, v70, v8, -v4
	v_pk_add_f32 v[22:23], v[2:3], v[12:13] neg_lo:[0,1] neg_hi:[0,1]
	v_mov_b32_e32 v2, s31
	ds_read2_b64 v[64:67], v2 offset1:1
	scratch_load_dwordx4 v[2:5], off, off offset:40
	scratch_load_dwordx4 v[12:15], off, off offset:32
	;; [unrolled: 1-line block ×3, first 2 shown]
	v_mov_b32_e32 v27, v8
	v_mov_b32_e32 v29, v70
	s_waitcnt lgkmcnt(0)
	v_mov_b32_e32 v28, v67
	v_mov_b32_e32 v8, v11
	;; [unrolled: 1-line block ×5, first 2 shown]
	v_pk_mul_f32 v[8:9], v[28:29], v[8:9]
	s_waitcnt vmcnt(1)
	v_mov_b32_e32 v13, v10
	v_mov_b32_e32 v21, v11
	v_pk_fma_f32 v[10:11], v[66:67], v[10:11], v[8:9] neg_lo:[0,0,1] neg_hi:[0,0,1]
	v_pk_fma_f32 v[8:9], v[24:25], v[26:27], v[8:9]
	s_add_i32 s31, s34, s13
	v_mov_b32_e32 v8, s31
	ds_read2_b64 v[60:63], v8 offset1:1
	v_mov_b32_e32 v29, v66
	v_mov_b32_e32 v15, v67
	;; [unrolled: 1-line block ×3, first 2 shown]
	s_add_i32 s31, s34, s14
	s_waitcnt lgkmcnt(0)
	v_mov_b32_e32 v28, v63
	v_pk_mul_f32 v[20:21], v[28:29], v[20:21]
	v_mov_b32_e32 v11, v9
	v_pk_add_f32 v[22:23], v[22:23], v[10:11] neg_lo:[0,1] neg_hi:[0,1]
	v_mov_b32_e32 v26, v3
	v_mov_b32_e32 v25, v14
	;; [unrolled: 1-line block ×4, first 2 shown]
	v_pk_fma_f32 v[12:13], v[14:15], v[12:13], v[20:21]
	v_pk_fma_f32 v[28:29], v[62:63], v[24:25], v[20:21] neg_lo:[0,0,1] neg_hi:[0,0,1]
	v_mov_b32_e32 v12, s31
	ds_read2_b64 v[56:59], v12 offset1:1
	v_mov_b32_e32 v29, v13
	v_mov_b32_e32 v12, v63
	v_pk_add_f32 v[20:21], v[22:23], v[28:29] neg_lo:[0,1] neg_hi:[0,1]
	v_mov_b32_e32 v28, v2
	s_waitcnt lgkmcnt(0)
	v_mov_b32_e32 v13, v58
	v_mov_b32_e32 v29, v4
	v_pk_mul_f32 v[22:23], v[12:13], v[24:25]
	v_mov_b32_e32 v4, v3
	v_mov_b32_e32 v2, v59
	;; [unrolled: 1-line block ×3, first 2 shown]
	v_pk_fma_f32 v[24:25], v[2:3], v[26:27], v[22:23] op_sel:[0,0,1] op_sel_hi:[1,1,0] neg_lo:[1,0,0] neg_hi:[1,0,0]
	v_pk_fma_f32 v[2:3], v[2:3], v[26:27], v[22:23] op_sel:[0,0,1] op_sel_hi:[1,1,0]
	s_add_i32 s31, s34, s15
	v_mov_b32_e32 v25, v3
	v_pk_add_f32 v[2:3], v[20:21], v[24:25] neg_lo:[0,1] neg_hi:[0,1]
	v_mov_b32_e32 v20, s31
	ds_read2_b64 v[52:55], v20 offset1:1
	v_mov_b32_e32 v26, v59
	s_waitcnt vmcnt(0)
	v_mov_b32_e32 v24, v16
	v_mov_b32_e32 v25, v18
	;; [unrolled: 1-line block ×3, first 2 shown]
	s_waitcnt lgkmcnt(0)
	v_mov_b32_e32 v59, v55
	v_mov_b32_e32 v27, v54
	v_pk_mul_f32 v[4:5], v[58:59], v[4:5]
	s_add_i32 s31, s34, s16
	v_pk_fma_f32 v[16:17], v[26:27], v[28:29], v[4:5] neg_lo:[0,0,1] neg_hi:[0,0,1]
	v_pk_fma_f32 v[4:5], v[26:27], v[28:29], v[4:5]
	scratch_load_dwordx4 v[12:15], off, off offset:64
	v_pk_mov_b32 v[4:5], v[16:17], v[4:5] op_sel:[1,0]
	scratch_load_dwordx4 v[20:23], off, off offset:72
	v_pk_add_f32 v[16:17], v[2:3], v[4:5] neg_lo:[0,1] neg_hi:[0,1]
	v_mov_b32_e32 v2, s31
	ds_read2_b64 v[48:51], v2 offset1:1
	scratch_load_dwordx4 v[8:11], off, off offset:56
	scratch_load_dwordx4 v[2:5], off, off offset:80
	v_mov_b32_e32 v28, v55
	s_add_i32 s31, s34, s17
	s_waitcnt lgkmcnt(0)
	v_mov_b32_e32 v55, v51
	v_mov_b32_e32 v29, v50
	s_waitcnt vmcnt(1)
	v_mov_b32_e32 v26, v8
	v_mov_b32_e32 v27, v10
	;; [unrolled: 1-line block ×3, first 2 shown]
	v_pk_mul_f32 v[8:9], v[54:55], v[18:19]
	s_nop 0
	v_pk_fma_f32 v[18:19], v[28:29], v[24:25], v[8:9] neg_lo:[0,0,1] neg_hi:[0,0,1]
	v_pk_fma_f32 v[8:9], v[28:29], v[24:25], v[8:9]
	s_nop 0
	v_pk_mov_b32 v[8:9], v[18:19], v[8:9] op_sel:[1,0]
	v_mov_b32_e32 v18, v51
	v_pk_add_f32 v[8:9], v[16:17], v[8:9] neg_lo:[0,1] neg_hi:[0,1]
	v_mov_b32_e32 v16, s31
	ds_read2_b64 v[40:43], v16 offset1:1
	v_mov_b32_e32 v16, v12
	v_mov_b32_e32 v17, v14
	;; [unrolled: 1-line block ×3, first 2 shown]
	s_add_i32 s31, s34, s18
	s_waitcnt lgkmcnt(0)
	v_mov_b32_e32 v51, v43
	v_mov_b32_e32 v19, v42
	v_pk_mul_f32 v[10:11], v[50:51], v[10:11]
	s_nop 0
	v_pk_fma_f32 v[12:13], v[18:19], v[26:27], v[10:11] neg_lo:[0,0,1] neg_hi:[0,0,1]
	v_pk_fma_f32 v[10:11], v[18:19], v[26:27], v[10:11]
	s_nop 0
	v_pk_mov_b32 v[10:11], v[12:13], v[10:11] op_sel:[1,0]
	v_mov_b32_e32 v12, v43
	v_pk_add_f32 v[8:9], v[8:9], v[10:11] neg_lo:[0,1] neg_hi:[0,1]
	v_mov_b32_e32 v10, s31
	ds_read2_b64 v[32:35], v10 offset1:1
	s_add_i32 s31, s34, s19
	v_mov_b32_e32 v11, v22
	v_mov_b32_e32 v22, v21
	;; [unrolled: 1-line block ×3, first 2 shown]
	s_waitcnt lgkmcnt(0)
	v_mov_b32_e32 v43, v35
	v_mov_b32_e32 v13, v34
	v_pk_mul_f32 v[14:15], v[42:43], v[14:15]
	s_nop 0
	v_pk_fma_f32 v[18:19], v[12:13], v[16:17], v[14:15] neg_lo:[0,0,1] neg_hi:[0,0,1]
	v_pk_fma_f32 v[12:13], v[12:13], v[16:17], v[14:15]
	v_mov_b32_e32 v14, v35
	v_pk_mov_b32 v[12:13], v[18:19], v[12:13] op_sel:[1,0]
	s_nop 0
	v_pk_add_f32 v[8:9], v[8:9], v[12:13] neg_lo:[0,1] neg_hi:[0,1]
	v_mov_b32_e32 v12, s31
	ds_read2_b64 v[36:39], v12 offset1:1
	s_add_i32 s31, s34, s20
	s_waitcnt vmcnt(0)
	v_mov_b32_e32 v12, v2
	v_mov_b32_e32 v2, v3
	;; [unrolled: 1-line block ×3, first 2 shown]
	s_waitcnt lgkmcnt(0)
	v_mov_b32_e32 v35, v39
	v_mov_b32_e32 v15, v38
	v_pk_mul_f32 v[16:17], v[34:35], v[22:23]
	v_mov_b32_e32 v13, v4
	v_pk_fma_f32 v[18:19], v[14:15], v[10:11], v[16:17] neg_lo:[0,0,1] neg_hi:[0,0,1]
	v_pk_fma_f32 v[10:11], v[14:15], v[10:11], v[16:17]
	v_mov_b32_e32 v34, v61
	v_pk_mov_b32 v[10:11], v[18:19], v[10:11] op_sel:[1,0]
	v_mov_b32_e32 v35, v64
	v_pk_add_f32 v[8:9], v[8:9], v[10:11] neg_lo:[0,1] neg_hi:[0,1]
	v_mov_b32_e32 v10, s31
	ds_read2_b64 v[42:45], v10 offset1:1
	v_mov_b32_e32 v10, v39
	s_add_i32 s31, s34, s21
	s_waitcnt lgkmcnt(0)
	v_mov_b32_e32 v39, v45
	v_mov_b32_e32 v11, v44
	v_pk_mul_f32 v[2:3], v[38:39], v[2:3]
	s_nop 0
	v_pk_fma_f32 v[14:15], v[10:11], v[12:13], v[2:3] neg_lo:[0,0,1] neg_hi:[0,0,1]
	v_pk_fma_f32 v[2:3], v[10:11], v[12:13], v[2:3]
	v_mov_b32_e32 v10, s31
	v_pk_mov_b32 v[2:3], v[14:15], v[2:3] op_sel:[1,0]
	s_add_i32 s31, s34, s22
	v_pk_add_f32 v[8:9], v[8:9], v[2:3] neg_lo:[0,1] neg_hi:[0,1]
	v_mul_f32_e32 v2, v45, v4
	v_fmac_f32_e32 v2, v44, v5
	v_sub_f32_e32 v9, v9, v2
	scratch_load_dwordx4 v[2:5], off, off offset:96
	ds_read2_b64 v[44:47], v10 offset1:1
	s_waitcnt vmcnt(0) lgkmcnt(0)
	v_mul_f32_e32 v10, v47, v3
	v_fma_f32 v10, v46, v2, -v10
	v_mul_f32_e32 v3, v46, v3
	v_fmac_f32_e32 v3, v47, v2
	v_sub_f32_e32 v2, v8, v10
	v_mov_b32_e32 v8, s31
	ds_read2_b64 v[26:29], v8 offset1:1
	v_sub_f32_e32 v3, v9, v3
	s_add_i32 s31, s34, s23
	v_mov_b32_e32 v10, s31
	s_add_i32 s31, s34, s24
	s_waitcnt lgkmcnt(0)
	v_mul_f32_e32 v8, v29, v5
	v_mul_f32_e32 v5, v28, v5
	v_fma_f32 v8, v28, v4, -v8
	v_fmac_f32_e32 v5, v29, v4
	v_sub_f32_e32 v8, v2, v8
	v_sub_f32_e32 v9, v3, v5
	scratch_load_dwordx4 v[2:5], off, off offset:112
	ds_read2_b64 v[28:31], v10 offset1:1
	s_waitcnt vmcnt(0) lgkmcnt(0)
	v_mul_f32_e32 v10, v31, v3
	v_fma_f32 v10, v30, v2, -v10
	v_mul_f32_e32 v3, v30, v3
	v_fmac_f32_e32 v3, v31, v2
	v_sub_f32_e32 v2, v8, v10
	v_mov_b32_e32 v8, s31
	ds_read2_b64 v[20:23], v8 offset1:1
	v_sub_f32_e32 v3, v9, v3
	s_add_i32 s31, s34, s25
	v_mov_b32_e32 v10, s31
	s_add_i32 s31, s34, s26
	s_waitcnt lgkmcnt(0)
	v_mul_f32_e32 v8, v23, v5
	v_mul_f32_e32 v5, v22, v5
	v_fma_f32 v8, v22, v4, -v8
	v_fmac_f32_e32 v5, v23, v4
	v_sub_f32_e32 v8, v2, v8
	v_sub_f32_e32 v9, v3, v5
	scratch_load_dwordx4 v[2:5], off, off offset:128
	ds_read2_b64 v[22:25], v10 offset1:1
	s_waitcnt vmcnt(0) lgkmcnt(0)
	v_mul_f32_e32 v10, v25, v3
	v_fma_f32 v10, v24, v2, -v10
	v_mul_f32_e32 v3, v24, v3
	v_fmac_f32_e32 v3, v25, v2
	v_sub_f32_e32 v2, v8, v10
	v_mov_b32_e32 v8, s31
	v_sub_f32_e32 v3, v9, v3
	ds_read2_b64 v[8:11], v8 offset1:1
	s_add_i32 s31, s34, s27
	s_waitcnt lgkmcnt(0)
	v_mul_f32_e32 v12, v11, v5
	v_mul_f32_e32 v5, v10, v5
	v_fma_f32 v12, v10, v4, -v12
	v_fmac_f32_e32 v5, v11, v4
	v_mov_b32_e32 v4, s31
	v_sub_f32_e32 v2, v2, v12
	ds_read2_b64 v[10:13], v4 offset1:1
	v_sub_f32_e32 v3, v3, v5
	s_add_i32 s31, s34, s30
	s_waitcnt lgkmcnt(0)
	v_mul_f32_e32 v4, v13, v7
	v_mul_f32_e32 v5, v12, v7
	v_fma_f32 v4, v12, v6, -v4
	v_fmac_f32_e32 v5, v13, v6
	v_sub_f32_e32 v4, v2, v4
	v_sub_f32_e32 v5, v3, v5
	scratch_load_dwordx2 v[2:3], off, off offset:152
	v_mov_b32_e32 v6, s31
	ds_read2_b64 v[12:15], v6 offset1:1
	s_add_i32 s31, s10, 0xffffec00
	s_add_i32 s34, s34, s31
	s_waitcnt vmcnt(0) lgkmcnt(0)
	v_mul_f32_e32 v6, v15, v3
	v_fma_f32 v6, v14, v2, -v6
	v_mul_f32_e32 v3, v14, v3
	v_fmac_f32_e32 v3, v15, v2
	v_sub_f32_e32 v2, v4, v6
	v_mov_b32_e32 v4, s34
	ds_read2_b64 v[14:17], v4 offset1:1
	v_sub_f32_e32 v3, v5, v3
	s_add_i32 s34, s4, 0xffffea58
	s_waitcnt lgkmcnt(0)
	v_mul_f32_e32 v4, v17, v3
	v_mul_f32_e32 v7, v16, v3
	v_fma_f32 v6, v16, v2, -v4
	v_fmac_f32_e32 v7, v17, v2
	scratch_store_dwordx2 off, v[6:7], off offset:160
	scratch_load_dwordx4 v[16:19], off, off offset:152
	v_add_u32_e32 v2, s31, v1
	s_waitcnt vmcnt(0)
	ds_write_b64 v2, v[18:19]
	scratch_load_dwordx4 v[2:5], off, off offset:168
	scratch_load_dwordx4 v[76:79], off, off
	s_waitcnt vmcnt(0)
	v_mul_f32_e32 v18, v73, v77
	v_mul_f32_e32 v19, v72, v77
	v_fma_f32 v18, v72, v76, -v18
	v_fmac_f32_e32 v19, v73, v76
	scratch_load_dwordx4 v[70:73], off, off offset:16
	v_sub_f32_e32 v2, v2, v18
	v_mul_f32_e32 v18, v75, v79
	v_fma_f32 v18, v74, v78, -v18
	v_sub_f32_e32 v2, v2, v18
	v_sub_f32_e32 v3, v3, v19
	v_mul_f32_e32 v19, v74, v79
	v_fmac_f32_e32 v19, v75, v78
	scratch_load_dwordx4 v[74:77], off, off offset:48
	scratch_load_dwordx4 v[78:81], off, off offset:56
	s_waitcnt vmcnt(2)
	v_mul_f32_e32 v18, v69, v71
	v_mul_f32_e32 v25, v68, v71
	v_fma_f32 v18, v68, v70, -v18
	v_fmac_f32_e32 v25, v69, v70
	scratch_load_dwordx4 v[66:69], off, off offset:32
	v_pk_add_f32 v[2:3], v[2:3], v[18:19] neg_lo:[0,1] neg_hi:[0,1]
	v_mul_f32_e32 v18, v65, v73
	v_fma_f32 v24, v64, v72, -v18
	v_mov_b32_e32 v31, v72
	v_pk_add_f32 v[2:3], v[2:3], v[24:25] neg_lo:[0,1] neg_hi:[0,1]
	v_mov_b32_e32 v24, v60
	v_mov_b32_e32 v25, v65
	scratch_load_dwordx4 v[62:65], off, off offset:64
	s_waitcnt vmcnt(1)
	v_mov_b32_e32 v72, v67
	v_mov_b32_e32 v18, v68
	;; [unrolled: 1-line block ×4, first 2 shown]
	v_pk_mul_f32 v[34:35], v[34:35], v[72:73]
	v_mov_b32_e32 v66, v69
	v_pk_fma_f32 v[38:39], v[60:61], v[18:19], v[34:35] op_sel:[0,1,0] op_sel_hi:[1,0,1] neg_lo:[0,0,1] neg_hi:[0,0,1]
	v_pk_fma_f32 v[24:25], v[24:25], v[30:31], v[34:35]
	v_mov_b32_e32 v34, v57
	v_mov_b32_e32 v35, v60
	;; [unrolled: 1-line block ×4, first 2 shown]
	v_pk_mul_f32 v[34:35], v[34:35], v[66:67]
	scratch_load_dwordx4 v[58:61], off, off offset:72
	v_mov_b32_e32 v39, v25
	v_mov_b32_e32 v24, v68
	;; [unrolled: 1-line block ×3, first 2 shown]
	v_pk_fma_f32 v[18:19], v[30:31], v[18:19], v[34:35]
	v_mov_b32_e32 v30, v57
	v_mov_b32_e32 v31, v52
	v_pk_add_f32 v[2:3], v[2:3], v[38:39] neg_lo:[0,1] neg_hi:[0,1]
	v_pk_fma_f32 v[38:39], v[56:57], v[24:25], v[34:35] neg_lo:[0,0,1] neg_hi:[0,0,1]
	v_pk_mul_f32 v[24:25], v[30:31], v[24:25]
	v_mov_b32_e32 v31, v56
	scratch_load_dwordx4 v[54:57], off, off offset:80
	v_mov_b32_e32 v68, v75
	v_mov_b32_e32 v30, v53
	v_mov_b32_e32 v39, v19
	v_pk_fma_f32 v[34:35], v[30:31], v[68:69], v[24:25] op_sel:[0,0,1] op_sel_hi:[1,1,0] neg_lo:[1,0,0] neg_hi:[1,0,0]
	v_pk_fma_f32 v[24:25], v[30:31], v[68:69], v[24:25] op_sel:[0,0,1] op_sel_hi:[1,1,0]
	v_pk_add_f32 v[2:3], v[2:3], v[38:39] neg_lo:[0,1] neg_hi:[0,1]
	v_mov_b32_e32 v19, v76
	v_mov_b32_e32 v76, v75
	;; [unrolled: 1-line block ×4, first 2 shown]
	v_pk_add_f32 v[2:3], v[2:3], v[34:35] neg_lo:[0,1] neg_hi:[0,1]
	v_pk_mul_f32 v[34:35], v[52:53], v[76:77]
	scratch_load_dwordx4 v[50:53], off, off offset:88
	v_mov_b32_e32 v18, v74
	v_mov_b32_e32 v31, v48
	;; [unrolled: 1-line block ×4, first 2 shown]
	v_pk_fma_f32 v[38:39], v[30:31], v[18:19], v[34:35] neg_lo:[0,0,1] neg_hi:[0,0,1]
	v_pk_fma_f32 v[18:19], v[30:31], v[18:19], v[34:35]
	v_mov_b32_e32 v30, v49
	v_mov_b32_e32 v49, v41
	;; [unrolled: 1-line block ×3, first 2 shown]
	v_pk_mov_b32 v[18:19], v[38:39], v[18:19] op_sel:[1,0]
	v_mov_b32_e32 v31, v40
	v_pk_mul_f32 v[34:35], v[48:49], v[80:81]
	v_pk_add_f32 v[2:3], v[2:3], v[18:19] neg_lo:[0,1] neg_hi:[0,1]
	s_waitcnt vmcnt(3)
	v_mov_b32_e32 v19, v64
	v_mov_b32_e32 v64, v63
	v_pk_fma_f32 v[38:39], v[30:31], v[24:25], v[34:35] neg_lo:[0,0,1] neg_hi:[0,0,1]
	v_pk_fma_f32 v[24:25], v[30:31], v[24:25], v[34:35]
	v_mov_b32_e32 v30, v41
	v_mov_b32_e32 v41, v33
	;; [unrolled: 1-line block ×3, first 2 shown]
	v_pk_mov_b32 v[24:25], v[38:39], v[24:25] op_sel:[1,0]
	v_mov_b32_e32 v31, v32
	v_pk_mul_f32 v[34:35], v[40:41], v[64:65]
	v_pk_add_f32 v[2:3], v[2:3], v[24:25] neg_lo:[0,1] neg_hi:[0,1]
	v_pk_fma_f32 v[38:39], v[30:31], v[18:19], v[34:35] neg_lo:[0,0,1] neg_hi:[0,0,1]
	v_pk_fma_f32 v[18:19], v[30:31], v[18:19], v[34:35]
	v_mov_b32_e32 v30, v33
	v_mov_b32_e32 v33, v37
	v_pk_mov_b32 v[18:19], v[38:39], v[18:19] op_sel:[1,0]
	v_mov_b32_e32 v31, v36
	v_pk_add_f32 v[2:3], v[2:3], v[18:19] neg_lo:[0,1] neg_hi:[0,1]
	s_waitcnt vmcnt(2)
	v_mov_b32_e32 v25, v60
	v_mov_b32_e32 v60, v59
	;; [unrolled: 1-line block ×3, first 2 shown]
	v_pk_mul_f32 v[32:33], v[32:33], v[60:61]
	s_waitcnt vmcnt(1)
	v_mov_b32_e32 v19, v56
	v_mov_b32_e32 v56, v55
	v_pk_fma_f32 v[34:35], v[30:31], v[24:25], v[32:33] neg_lo:[0,0,1] neg_hi:[0,0,1]
	v_pk_fma_f32 v[24:25], v[30:31], v[24:25], v[32:33]
	v_mov_b32_e32 v30, v37
	v_mov_b32_e32 v37, v43
	;; [unrolled: 1-line block ×3, first 2 shown]
	v_pk_mov_b32 v[24:25], v[34:35], v[24:25] op_sel:[1,0]
	v_mov_b32_e32 v31, v42
	v_pk_mul_f32 v[34:35], v[36:37], v[56:57]
	v_pk_add_f32 v[2:3], v[2:3], v[24:25] neg_lo:[0,1] neg_hi:[0,1]
	v_pk_fma_f32 v[36:37], v[30:31], v[18:19], v[34:35] neg_lo:[0,0,1] neg_hi:[0,0,1]
	v_pk_fma_f32 v[18:19], v[30:31], v[18:19], v[34:35]
	s_waitcnt vmcnt(0)
	v_mov_b32_e32 v32, v51
	v_pk_mov_b32 v[18:19], v[36:37], v[18:19] op_sel:[1,0]
	v_mov_b32_e32 v33, v53
	v_pk_add_f32 v[2:3], v[2:3], v[18:19] neg_lo:[0,1] neg_hi:[0,1]
	v_mov_b32_e32 v18, v43
	v_mov_b32_e32 v43, v45
	;; [unrolled: 1-line block ×5, first 2 shown]
	v_pk_mul_f32 v[30:31], v[42:43], v[32:33]
	s_nop 0
	v_pk_fma_f32 v[32:33], v[18:19], v[24:25], v[30:31] neg_lo:[0,0,1] neg_hi:[0,0,1]
	v_pk_fma_f32 v[18:19], v[18:19], v[24:25], v[30:31]
	s_nop 0
	v_pk_mov_b32 v[18:19], v[32:33], v[18:19] op_sel:[1,0]
	scratch_load_dwordx4 v[30:33], off, off offset:104
	v_pk_add_f32 v[2:3], v[2:3], v[18:19] neg_lo:[0,1] neg_hi:[0,1]
	v_mul_f32_e32 v18, v45, v52
	v_fmac_f32_e32 v18, v44, v53
	v_sub_f32_e32 v18, v3, v18
	scratch_store_dwordx2 off, v[2:3], off offset:168
	s_waitcnt vmcnt(1)
	v_mul_f32_e32 v3, v27, v31
	v_mul_f32_e32 v19, v26, v31
	v_fma_f32 v3, v26, v30, -v3
	v_fmac_f32_e32 v19, v27, v30
	scratch_load_dwordx4 v[24:27], off, off offset:120
	v_sub_f32_e32 v2, v2, v3
	v_sub_f32_e32 v3, v18, v19
	v_mul_f32_e32 v18, v29, v33
	v_mul_f32_e32 v19, v28, v33
	v_fma_f32 v18, v28, v32, -v18
	v_fmac_f32_e32 v19, v29, v32
	v_sub_f32_e32 v2, v2, v18
	v_sub_f32_e32 v3, v3, v19
	s_waitcnt vmcnt(0)
	v_mul_f32_e32 v18, v21, v25
	v_mul_f32_e32 v19, v20, v25
	v_fma_f32 v18, v20, v24, -v18
	v_fmac_f32_e32 v19, v21, v24
	v_sub_f32_e32 v2, v2, v18
	v_sub_f32_e32 v3, v3, v19
	v_mul_f32_e32 v18, v23, v27
	v_mul_f32_e32 v19, v22, v27
	v_fma_f32 v18, v22, v26, -v18
	v_fmac_f32_e32 v19, v23, v26
	v_sub_f32_e32 v2, v2, v18
	v_sub_f32_e32 v3, v3, v19
	scratch_load_dwordx4 v[18:21], off, off offset:136
	s_waitcnt vmcnt(0)
	v_mul_f32_e32 v22, v9, v19
	v_fma_f32 v22, v8, v18, -v22
	v_mul_f32_e32 v8, v8, v19
	v_fmac_f32_e32 v8, v9, v18
	v_sub_f32_e32 v3, v3, v8
	v_mul_f32_e32 v8, v11, v21
	v_sub_f32_e32 v2, v2, v22
	v_fma_f32 v8, v10, v20, -v8
	v_mul_f32_e32 v9, v10, v21
	v_sub_f32_e32 v2, v2, v8
	v_mul_f32_e32 v8, v13, v17
	v_fmac_f32_e32 v9, v11, v20
	v_fma_f32 v8, v12, v16, -v8
	v_sub_f32_e32 v3, v3, v9
	v_mul_f32_e32 v9, v12, v17
	v_sub_f32_e32 v2, v2, v8
	v_mul_f32_e32 v8, v15, v7
	v_fmac_f32_e32 v9, v13, v16
	v_fma_f32 v8, v14, v6, -v8
	v_mul_f32_e32 v7, v14, v7
	v_sub_f32_e32 v3, v3, v9
	v_fmac_f32_e32 v7, v15, v6
	v_sub_f32_e32 v8, v2, v8
	v_mov_b32_e32 v2, s34
	v_sub_f32_e32 v7, v3, v7
	ds_read_b64 v[2:3], v2
	s_sub_i32 s34, s6, 23
	s_lshl_b32 s36, s34, 3
	s_add_i32 s35, s36, s10
	s_waitcnt lgkmcnt(0)
	v_mul_f32_e32 v6, v3, v7
	v_mul_f32_e32 v7, v2, v7
	v_fma_f32 v6, v2, v8, -v6
	v_fmac_f32_e32 v7, v3, v8
	scratch_store_dwordx2 off, v[6:7], off offset:168
	scratch_load_dwordx4 v[18:21], off, off offset:160
	v_add_u32_e32 v2, s33, v1
	scratch_load_dwordx4 v[6:9], off, off
	s_waitcnt vmcnt(1)
	ds_write_b64 v2, v[20:21]
	v_mov_b32_e32 v2, s35
	ds_read2_b64 v[14:17], v2 offset1:1
	s_add_i32 s35, s36, s11
	s_waitcnt vmcnt(0) lgkmcnt(0)
	v_mul_f32_e32 v2, v17, v7
	v_fma_f32 v2, v16, v6, -v2
	v_sub_f32_e32 v2, v4, v2
	v_mov_b32_e32 v4, s35
	ds_read2_b64 v[10:13], v4 offset1:1
	v_mul_f32_e32 v3, v16, v7
	v_fmac_f32_e32 v3, v17, v6
	v_sub_f32_e32 v3, v5, v3
	s_add_i32 s35, s36, s5
	s_waitcnt lgkmcnt(0)
	v_mul_f32_e32 v4, v13, v9
	v_mul_f32_e32 v5, v12, v9
	v_fma_f32 v4, v12, v8, -v4
	v_fmac_f32_e32 v5, v13, v8
	v_sub_f32_e32 v6, v2, v4
	v_sub_f32_e32 v7, v3, v5
	scratch_load_dwordx4 v[2:5], off, off offset:16
	v_mov_b32_e32 v8, s35
	ds_read2_b64 v[24:27], v8 offset1:1
	s_add_i32 s35, s36, s12
	s_waitcnt vmcnt(0) lgkmcnt(0)
	v_mul_f32_e32 v8, v27, v3
	v_mul_f32_e32 v9, v26, v3
	v_fma_f32 v8, v26, v2, -v8
	v_fmac_f32_e32 v9, v27, v2
	v_mov_b32_e32 v2, s35
	ds_read2_b64 v[20:23], v2 offset1:1
	v_sub_f32_e32 v6, v6, v8
	s_add_i32 s35, s36, s13
	s_waitcnt lgkmcnt(0)
	v_mul_f32_e32 v2, v23, v5
	v_mul_f32_e32 v13, v22, v5
	v_fma_f32 v8, v22, v4, -v2
	v_fmac_f32_e32 v13, v23, v4
	scratch_load_dwordx4 v[2:5], off, off offset:32
	scratch_load_dword v16, off, off offset:52
	v_pk_add_f32 v[6:7], v[6:7], v[8:9] neg_lo:[0,1] neg_hi:[0,1]
	v_mov_b32_e32 v8, s35
	ds_read2_b64 v[26:29], v8 offset1:1
	s_add_i32 s35, s36, s14
	s_waitcnt lgkmcnt(0)
	v_mov_b32_e32 v37, v28
	v_mov_b32_e32 v23, v29
	s_waitcnt vmcnt(1)
	v_mul_f32_e32 v8, v29, v3
	v_fma_f32 v12, v28, v2, -v8
	v_pk_add_f32 v[12:13], v[6:7], v[12:13] neg_lo:[0,1] neg_hi:[0,1]
	v_mov_b32_e32 v6, s35
	ds_read2_b64 v[6:9], v6 offset1:1
	scratch_load_dwordx4 v[30:33], off, off offset:56
	scratch_load_dwordx4 v[40:43], off, off offset:48
	;; [unrolled: 1-line block ×4, first 2 shown]
	v_mov_b32_e32 v35, v2
	s_waitcnt lgkmcnt(0)
	v_mov_b32_e32 v36, v9
	v_mov_b32_e32 v2, v5
	;; [unrolled: 1-line block ×4, first 2 shown]
	v_pk_mul_f32 v[2:3], v[36:37], v[2:3]
	s_waitcnt vmcnt(2)
	v_mov_b32_e32 v41, v4
	v_mov_b32_e32 v17, v5
	v_pk_fma_f32 v[4:5], v[8:9], v[4:5], v[2:3] neg_lo:[0,0,1] neg_hi:[0,0,1]
	v_pk_fma_f32 v[2:3], v[22:23], v[34:35], v[2:3]
	s_add_i32 s35, s36, s15
	v_mov_b32_e32 v5, v3
	v_mov_b32_e32 v2, s35
	v_pk_add_f32 v[12:13], v[12:13], v[4:5] neg_lo:[0,1] neg_hi:[0,1]
	ds_read2_b64 v[36:39], v2 offset1:1
	scratch_load_dwordx4 v[2:5], off, off offset:72
	v_mov_b32_e32 v43, v8
	v_mov_b32_e32 v29, v9
	v_mov_b32_e32 v35, v16
	s_waitcnt lgkmcnt(0)
	v_mov_b32_e32 v28, v38
	s_add_i32 s35, s36, s16
	v_mov_b32_e32 v34, v31
	v_mov_b32_e32 v23, v42
	;; [unrolled: 1-line block ×4, first 2 shown]
	v_pk_mul_f32 v[8:9], v[42:43], v[16:17]
	s_nop 0
	v_pk_fma_f32 v[16:17], v[38:39], v[22:23], v[8:9] neg_lo:[0,0,1] neg_hi:[0,0,1]
	v_pk_fma_f32 v[8:9], v[28:29], v[40:41], v[8:9]
	s_nop 0
	v_mov_b32_e32 v17, v9
	v_pk_add_f32 v[8:9], v[12:13], v[16:17] neg_lo:[0,1] neg_hi:[0,1]
	v_mov_b32_e32 v12, s35
	ds_read2_b64 v[44:47], v12 offset1:1
	v_mov_b32_e32 v16, v39
	v_mov_b32_e32 v12, v30
	;; [unrolled: 1-line block ×4, first 2 shown]
	s_waitcnt lgkmcnt(0)
	v_mov_b32_e32 v17, v46
	v_pk_mul_f32 v[16:17], v[16:17], v[22:23]
	v_mov_b32_e32 v22, v47
	v_mov_b32_e32 v23, v38
	v_pk_fma_f32 v[28:29], v[22:23], v[34:35], v[16:17] op_sel:[0,0,1] op_sel_hi:[1,1,0] neg_lo:[1,0,0] neg_hi:[1,0,0]
	v_pk_fma_f32 v[16:17], v[22:23], v[34:35], v[16:17] op_sel:[0,0,1] op_sel_hi:[1,1,0]
	s_add_i32 s35, s36, s17
	v_mov_b32_e32 v29, v17
	v_pk_add_f32 v[8:9], v[8:9], v[28:29] neg_lo:[0,1] neg_hi:[0,1]
	scratch_load_dwordx4 v[28:31], off, off offset:88
	v_mov_b32_e32 v16, s35
	ds_read2_b64 v[38:41], v16 offset1:1
	s_add_i32 s35, s36, s18
	s_waitcnt vmcnt(3)
	v_mov_b32_e32 v16, v48
	v_mov_b32_e32 v17, v50
	;; [unrolled: 1-line block ×3, first 2 shown]
	s_waitcnt lgkmcnt(0)
	v_mov_b32_e32 v47, v41
	v_mov_b32_e32 v23, v40
	v_pk_mul_f32 v[32:33], v[46:47], v[32:33]
	s_nop 0
	v_pk_fma_f32 v[34:35], v[22:23], v[12:13], v[32:33] neg_lo:[0,0,1] neg_hi:[0,0,1]
	v_pk_fma_f32 v[12:13], v[22:23], v[12:13], v[32:33]
	v_mov_b32_e32 v22, v41
	v_pk_mov_b32 v[12:13], v[34:35], v[12:13] op_sel:[1,0]
	scratch_load_dwordx4 v[32:35], off, off offset:96
	v_pk_add_f32 v[8:9], v[8:9], v[12:13] neg_lo:[0,1] neg_hi:[0,1]
	v_mov_b32_e32 v12, s35
	ds_read2_b64 v[46:49], v12 offset1:1
	s_waitcnt vmcnt(2)
	v_mov_b32_e32 v12, v2
	v_mov_b32_e32 v13, v4
	;; [unrolled: 1-line block ×3, first 2 shown]
	s_add_i32 s35, s36, s19
	s_waitcnt lgkmcnt(0)
	v_mov_b32_e32 v41, v49
	v_mov_b32_e32 v23, v48
	v_pk_mul_f32 v[2:3], v[40:41], v[50:51]
	s_nop 0
	v_pk_fma_f32 v[40:41], v[22:23], v[16:17], v[2:3] neg_lo:[0,0,1] neg_hi:[0,0,1]
	v_pk_fma_f32 v[2:3], v[22:23], v[16:17], v[2:3]
	v_mov_b32_e32 v16, v49
	v_pk_mov_b32 v[2:3], v[40:41], v[2:3] op_sel:[1,0]
	scratch_load_dwordx4 v[40:43], off, off offset:128
	v_pk_add_f32 v[2:3], v[8:9], v[2:3] neg_lo:[0,1] neg_hi:[0,1]
	v_mov_b32_e32 v8, s35
	ds_read2_b64 v[50:53], v8 offset1:1
	s_add_i32 s35, s36, s20
	v_mov_b32_e32 v8, v56
	v_mov_b32_e32 v9, v58
	;; [unrolled: 1-line block ×3, first 2 shown]
	s_waitcnt lgkmcnt(0)
	v_mov_b32_e32 v49, v53
	v_mov_b32_e32 v17, v52
	v_pk_mul_f32 v[4:5], v[48:49], v[4:5]
	s_nop 0
	v_pk_fma_f32 v[22:23], v[16:17], v[12:13], v[4:5] neg_lo:[0,0,1] neg_hi:[0,0,1]
	v_pk_fma_f32 v[4:5], v[16:17], v[12:13], v[4:5]
	v_mov_b32_e32 v12, v53
	v_pk_mov_b32 v[4:5], v[22:23], v[4:5] op_sel:[1,0]
	s_nop 0
	v_pk_add_f32 v[2:3], v[2:3], v[4:5] neg_lo:[0,1] neg_hi:[0,1]
	v_mov_b32_e32 v4, s35
	ds_read2_b64 v[54:57], v4 offset1:1
	s_add_i32 s35, s36, s21
	s_waitcnt lgkmcnt(0)
	v_mov_b32_e32 v53, v57
	v_mov_b32_e32 v13, v56
	v_pk_mul_f32 v[16:17], v[52:53], v[58:59]
	s_waitcnt vmcnt(2)
	v_mov_b32_e32 v5, v30
	v_pk_fma_f32 v[22:23], v[12:13], v[8:9], v[16:17] neg_lo:[0,0,1] neg_hi:[0,0,1]
	v_pk_fma_f32 v[8:9], v[12:13], v[8:9], v[16:17]
	v_mov_b32_e32 v30, v29
	v_pk_mov_b32 v[8:9], v[22:23], v[8:9] op_sel:[1,0]
	v_mov_b32_e32 v12, v57
	v_pk_add_f32 v[2:3], v[2:3], v[8:9] neg_lo:[0,1] neg_hi:[0,1]
	v_mov_b32_e32 v8, s35
	ds_read2_b64 v[58:61], v8 offset1:1
	v_mov_b32_e32 v4, v28
	s_add_i32 s35, s36, s22
	s_waitcnt lgkmcnt(0)
	v_mov_b32_e32 v57, v61
	v_mov_b32_e32 v13, v60
	v_pk_mul_f32 v[22:23], v[56:57], v[30:31]
	s_waitcnt vmcnt(1)
	v_mov_b32_e32 v16, v33
	v_pk_fma_f32 v[28:29], v[12:13], v[4:5], v[22:23] neg_lo:[0,0,1] neg_hi:[0,0,1]
	v_pk_fma_f32 v[4:5], v[12:13], v[4:5], v[22:23]
	v_mov_b32_e32 v17, v35
	v_pk_mov_b32 v[4:5], v[28:29], v[4:5] op_sel:[1,0]
	v_mov_b32_e32 v8, v32
	v_pk_add_f32 v[2:3], v[2:3], v[4:5] neg_lo:[0,1] neg_hi:[0,1]
	v_mov_b32_e32 v4, s35
	ds_read2_b64 v[62:65], v4 offset1:1
	v_mov_b32_e32 v4, v61
	v_mov_b32_e32 v9, v34
	s_add_i32 s35, s36, s23
	v_mov_b32_e32 v56, v37
	s_waitcnt lgkmcnt(0)
	v_mov_b32_e32 v61, v65
	v_mov_b32_e32 v5, v64
	v_pk_mul_f32 v[12:13], v[60:61], v[16:17]
	v_mov_b32_e32 v57, v6
	v_pk_fma_f32 v[16:17], v[4:5], v[8:9], v[12:13] neg_lo:[0,0,1] neg_hi:[0,0,1]
	v_pk_fma_f32 v[4:5], v[4:5], v[8:9], v[12:13]
	v_mov_b32_e32 v12, s35
	v_pk_mov_b32 v[4:5], v[16:17], v[4:5] op_sel:[1,0]
	ds_read2_b64 v[80:83], v12 offset1:1
	v_pk_add_f32 v[8:9], v[2:3], v[4:5] neg_lo:[0,1] neg_hi:[0,1]
	v_mul_f32_e32 v2, v65, v34
	v_fmac_f32_e32 v2, v64, v35
	v_sub_f32_e32 v9, v9, v2
	scratch_load_dwordx4 v[2:5], off, off offset:112
	scratch_load_dwordx4 v[32:35], off, off offset:144
	s_add_i32 s35, s36, s24
	s_waitcnt vmcnt(1) lgkmcnt(0)
	v_mul_f32_e32 v12, v83, v3
	v_fma_f32 v12, v82, v2, -v12
	v_mul_f32_e32 v3, v82, v3
	v_fmac_f32_e32 v3, v83, v2
	v_sub_f32_e32 v2, v8, v12
	v_mov_b32_e32 v8, s35
	ds_read2_b64 v[64:67], v8 offset1:1
	s_add_i32 s35, s36, s25
	v_sub_f32_e32 v3, v9, v3
	s_waitcnt lgkmcnt(0)
	v_mul_f32_e32 v8, v67, v5
	v_mul_f32_e32 v5, v66, v5
	v_fma_f32 v8, v66, v4, -v8
	v_fmac_f32_e32 v5, v67, v4
	v_mov_b32_e32 v4, s35
	ds_read2_b64 v[70:73], v4 offset1:1
	v_sub_f32_e32 v2, v2, v8
	s_add_i32 s35, s36, s26
	v_sub_f32_e32 v3, v3, v5
	s_waitcnt lgkmcnt(0)
	v_mul_f32_e32 v4, v73, v41
	v_fma_f32 v4, v72, v40, -v4
	v_mul_f32_e32 v5, v72, v41
	v_sub_f32_e32 v2, v2, v4
	v_mov_b32_e32 v4, s35
	v_fmac_f32_e32 v5, v73, v40
	ds_read2_b64 v[72:75], v4 offset1:1
	s_add_i32 s35, s36, s27
	v_sub_f32_e32 v3, v3, v5
	s_waitcnt lgkmcnt(0)
	v_mul_f32_e32 v4, v75, v43
	v_fma_f32 v4, v74, v42, -v4
	v_mul_f32_e32 v5, v74, v43
	v_sub_f32_e32 v2, v2, v4
	v_mov_b32_e32 v4, s35
	v_fmac_f32_e32 v5, v75, v42
	ds_read2_b64 v[74:77], v4 offset1:1
	s_add_i32 s35, s36, s30
	v_sub_f32_e32 v3, v3, v5
	s_waitcnt vmcnt(0) lgkmcnt(0)
	v_mul_f32_e32 v4, v77, v33
	v_fma_f32 v4, v76, v32, -v4
	v_mul_f32_e32 v5, v76, v33
	v_sub_f32_e32 v2, v2, v4
	v_mov_b32_e32 v4, s35
	v_fmac_f32_e32 v5, v77, v32
	ds_read2_b64 v[76:79], v4 offset1:1
	s_add_i32 s35, s36, s31
	v_sub_f32_e32 v3, v3, v5
	s_waitcnt lgkmcnt(0)
	v_mul_f32_e32 v4, v79, v35
	v_fma_f32 v4, v78, v34, -v4
	v_sub_f32_e32 v2, v2, v4
	v_mov_b32_e32 v4, s35
	ds_read2_b64 v[66:69], v4 offset1:1
	v_mul_f32_e32 v5, v78, v35
	v_fmac_f32_e32 v5, v79, v34
	v_sub_f32_e32 v3, v3, v5
	s_add_i32 s35, s36, s33
	s_waitcnt lgkmcnt(0)
	v_mul_f32_e32 v4, v69, v19
	v_mul_f32_e32 v5, v68, v19
	v_fma_f32 v4, v68, v18, -v4
	v_fmac_f32_e32 v5, v69, v18
	v_sub_f32_e32 v4, v2, v4
	v_sub_f32_e32 v5, v3, v5
	scratch_load_dwordx2 v[2:3], off, off offset:168
	v_mov_b32_e32 v8, s35
	ds_read2_b64 v[82:85], v8 offset1:1
	s_add_i32 s35, s10, 0xffffea00
	s_add_i32 s36, s36, s35
	scratch_load_dwordx4 v[16:19], off, off
	s_waitcnt vmcnt(1) lgkmcnt(0)
	v_mul_f32_e32 v8, v85, v3
	v_fma_f32 v8, v84, v2, -v8
	v_mul_f32_e32 v3, v84, v3
	v_fmac_f32_e32 v3, v85, v2
	v_sub_f32_e32 v2, v4, v8
	v_mov_b32_e32 v4, s36
	ds_read2_b64 v[84:87], v4 offset1:1
	v_sub_f32_e32 v3, v5, v3
	v_add_u32_e32 v8, s35, v1
	s_waitcnt vmcnt(0)
	v_mul_f32_e32 v9, v10, v19
	v_fmac_f32_e32 v9, v11, v18
	s_waitcnt lgkmcnt(0)
	v_mul_f32_e32 v4, v87, v3
	v_mul_f32_e32 v49, v86, v3
	v_fma_f32 v48, v86, v2, -v4
	v_fmac_f32_e32 v49, v87, v2
	scratch_store_dwordx2 off, v[48:49], off offset:176
	scratch_load_dwordx4 v[2:5], off, off offset:168
	s_add_i32 s36, s4, 0xffffe848
	s_waitcnt vmcnt(0)
	ds_write_b64 v8, v[4:5]
	scratch_load_dwordx2 v[4:5], off, off
	s_waitcnt vmcnt(0)
	v_mul_f32_e32 v8, v15, v5
	v_fma_f32 v8, v14, v4, -v8
	v_mul_f32_e32 v5, v14, v5
	v_fmac_f32_e32 v5, v15, v4
	v_sub_f32_e32 v4, v90, v8
	v_mul_f32_e32 v8, v11, v19
	v_fma_f32 v8, v10, v18, -v8
	scratch_load_dwordx4 v[10:13], off, off offset:8
	v_sub_f32_e32 v5, v91, v5
	v_sub_f32_e32 v4, v4, v8
	v_sub_f32_e32 v5, v5, v9
	s_waitcnt vmcnt(0)
	v_mul_f32_e32 v8, v25, v13
	v_mul_f32_e32 v9, v24, v13
	v_fma_f32 v8, v24, v12, -v8
	v_fmac_f32_e32 v9, v25, v12
	scratch_load_dwordx4 v[12:15], off, off offset:16
	v_sub_f32_e32 v4, v4, v8
	v_sub_f32_e32 v5, v5, v9
	s_waitcnt vmcnt(0)
	v_mul_f32_e32 v8, v21, v15
	v_mul_f32_e32 v9, v20, v15
	v_fma_f32 v8, v20, v14, -v8
	v_fmac_f32_e32 v9, v21, v14
	scratch_load_dwordx4 v[18:21], off, off offset:24
	v_sub_f32_e32 v4, v4, v8
	s_waitcnt vmcnt(0)
	v_mul_f32_e32 v8, v27, v21
	v_mul_f32_e32 v15, v26, v21
	v_fma_f32 v8, v26, v20, -v8
	v_fmac_f32_e32 v15, v27, v20
	scratch_load_dwordx4 v[28:31], off, off offset:32
	scratch_load_dwordx4 v[24:27], off, off offset:40
	;; [unrolled: 1-line block ×5, first 2 shown]
	v_pk_add_f32 v[4:5], v[4:5], v[8:9] neg_lo:[0,1] neg_hi:[0,1]
	scratch_load_dwordx4 v[98:101], off, off offset:88
	scratch_load_dwordx4 v[102:105], off, off offset:96
	s_waitcnt vmcnt(6)
	v_mul_f32_e32 v8, v7, v31
	v_fma_f32 v14, v6, v30, -v8
	v_mov_b32_e32 v53, v30
	s_waitcnt vmcnt(5)
	v_mov_b32_e32 v30, v27
	v_pk_add_f32 v[4:5], v[4:5], v[14:15] neg_lo:[0,1] neg_hi:[0,1]
	s_waitcnt vmcnt(4)
	v_mov_b32_e32 v8, v22
	v_mov_b32_e32 v9, v26
	;; [unrolled: 1-line block ×5, first 2 shown]
	v_pk_mul_f32 v[6:7], v[56:57], v[30:31]
	v_mov_b32_e32 v26, v23
	v_pk_fma_f32 v[30:31], v[36:37], v[8:9], v[6:7] op_sel:[0,1,0] op_sel_hi:[1,0,1] neg_lo:[0,0,1] neg_hi:[0,0,1]
	v_pk_fma_f32 v[6:7], v[14:15], v[52:53], v[6:7]
	v_mov_b32_e32 v56, v45
	v_mov_b32_e32 v31, v7
	v_pk_add_f32 v[14:15], v[4:5], v[30:31] neg_lo:[0,1] neg_hi:[0,1]
	scratch_load_dwordx4 v[4:7], off, off offset:80
	v_mov_b32_e32 v57, v36
	v_mov_b32_e32 v30, v22
	s_waitcnt vmcnt(4)
	v_mov_b32_e32 v31, v90
	v_mov_b32_e32 v52, v44
	;; [unrolled: 1-line block ×3, first 2 shown]
	v_pk_mul_f32 v[26:27], v[56:57], v[26:27]
	v_mov_b32_e32 v22, v91
	v_pk_fma_f32 v[36:37], v[44:45], v[30:31], v[26:27] neg_lo:[0,0,1] neg_hi:[0,0,1]
	v_pk_fma_f32 v[8:9], v[52:53], v[8:9], v[26:27]
	v_mov_b32_e32 v26, v45
	v_mov_b32_e32 v27, v38
	;; [unrolled: 1-line block ×3, first 2 shown]
	v_pk_mul_f32 v[26:27], v[26:27], v[30:31]
	v_mov_b32_e32 v30, v39
	v_mov_b32_e32 v31, v44
	v_pk_add_f32 v[8:9], v[14:15], v[36:37] neg_lo:[0,1] neg_hi:[0,1]
	v_mov_b32_e32 v15, v92
	v_mov_b32_e32 v92, v91
	v_pk_fma_f32 v[36:37], v[30:31], v[22:23], v[26:27] op_sel:[0,0,1] op_sel_hi:[1,1,0] neg_lo:[1,0,0] neg_hi:[1,0,0]
	v_pk_fma_f32 v[22:23], v[30:31], v[22:23], v[26:27] op_sel:[0,0,1] op_sel_hi:[1,1,0]
	v_mov_b32_e32 v26, v39
	v_mov_b32_e32 v39, v47
	v_mov_b32_e32 v14, v90
	v_mov_b32_e32 v37, v23
	v_mov_b32_e32 v27, v46
	v_pk_mul_f32 v[30:31], v[38:39], v[92:93]
	v_pk_add_f32 v[8:9], v[8:9], v[36:37] neg_lo:[0,1] neg_hi:[0,1]
	v_pk_fma_f32 v[36:37], v[26:27], v[14:15], v[30:31] neg_lo:[0,0,1] neg_hi:[0,0,1]
	v_pk_fma_f32 v[14:15], v[26:27], v[14:15], v[30:31]
	s_waitcnt vmcnt(3)
	v_mov_b32_e32 v23, v96
	v_pk_mov_b32 v[14:15], v[36:37], v[14:15] op_sel:[1,0]
	scratch_load_dwordx4 v[36:39], off, off offset:104
	v_mov_b32_e32 v96, v95
	v_mov_b32_e32 v26, v47
	;; [unrolled: 1-line block ×4, first 2 shown]
	v_pk_add_f32 v[8:9], v[8:9], v[14:15] neg_lo:[0,1] neg_hi:[0,1]
	v_mov_b32_e32 v27, v50
	s_waitcnt vmcnt(1)
	v_mov_b32_e32 v14, v4
	v_mov_b32_e32 v15, v6
	;; [unrolled: 1-line block ×3, first 2 shown]
	v_pk_mul_f32 v[4:5], v[46:47], v[96:97]
	s_nop 0
	v_pk_fma_f32 v[30:31], v[26:27], v[22:23], v[4:5] neg_lo:[0,0,1] neg_hi:[0,0,1]
	v_pk_fma_f32 v[4:5], v[26:27], v[22:23], v[4:5]
	v_mov_b32_e32 v22, v51
	v_mov_b32_e32 v51, v55
	v_pk_mov_b32 v[4:5], v[30:31], v[4:5] op_sel:[1,0]
	v_mov_b32_e32 v23, v54
	v_pk_mul_f32 v[6:7], v[50:51], v[6:7]
	v_pk_add_f32 v[4:5], v[8:9], v[4:5] neg_lo:[0,1] neg_hi:[0,1]
	v_mov_b32_e32 v9, v100
	v_mov_b32_e32 v100, v99
	v_pk_fma_f32 v[26:27], v[22:23], v[14:15], v[6:7] neg_lo:[0,0,1] neg_hi:[0,0,1]
	v_pk_fma_f32 v[6:7], v[22:23], v[14:15], v[6:7]
	v_mov_b32_e32 v14, v55
	v_mov_b32_e32 v55, v59
	;; [unrolled: 1-line block ×3, first 2 shown]
	v_pk_mov_b32 v[6:7], v[26:27], v[6:7] op_sel:[1,0]
	v_mov_b32_e32 v15, v58
	v_pk_mul_f32 v[22:23], v[54:55], v[100:101]
	v_pk_add_f32 v[4:5], v[4:5], v[6:7] neg_lo:[0,1] neg_hi:[0,1]
	v_mov_b32_e32 v7, v104
	v_mov_b32_e32 v104, v103
	v_pk_fma_f32 v[26:27], v[14:15], v[8:9], v[22:23] neg_lo:[0,0,1] neg_hi:[0,0,1]
	v_pk_fma_f32 v[8:9], v[14:15], v[8:9], v[22:23]
	v_mov_b32_e32 v14, v59
	v_mov_b32_e32 v59, v63
	;; [unrolled: 1-line block ×3, first 2 shown]
	v_pk_mov_b32 v[8:9], v[26:27], v[8:9] op_sel:[1,0]
	v_mov_b32_e32 v15, v62
	v_pk_mul_f32 v[26:27], v[58:59], v[104:105]
	v_pk_add_f32 v[4:5], v[4:5], v[8:9] neg_lo:[0,1] neg_hi:[0,1]
	v_pk_fma_f32 v[30:31], v[14:15], v[6:7], v[26:27] neg_lo:[0,0,1] neg_hi:[0,0,1]
	v_pk_fma_f32 v[6:7], v[14:15], v[6:7], v[26:27]
	s_waitcnt vmcnt(0)
	v_mov_b32_e32 v22, v37
	v_pk_mov_b32 v[6:7], v[30:31], v[6:7] op_sel:[1,0]
	v_mov_b32_e32 v23, v39
	v_pk_add_f32 v[4:5], v[4:5], v[6:7] neg_lo:[0,1] neg_hi:[0,1]
	v_mov_b32_e32 v6, v63
	v_mov_b32_e32 v63, v81
	;; [unrolled: 1-line block ×5, first 2 shown]
	v_pk_mul_f32 v[14:15], v[62:63], v[22:23]
	s_nop 0
	v_pk_fma_f32 v[22:23], v[6:7], v[8:9], v[14:15] neg_lo:[0,0,1] neg_hi:[0,0,1]
	v_pk_fma_f32 v[6:7], v[6:7], v[8:9], v[14:15]
	s_nop 0
	v_pk_mov_b32 v[6:7], v[22:23], v[6:7] op_sel:[1,0]
	s_nop 0
	v_pk_add_f32 v[8:9], v[4:5], v[6:7] neg_lo:[0,1] neg_hi:[0,1]
	v_mul_f32_e32 v4, v81, v38
	v_fmac_f32_e32 v4, v80, v39
	v_sub_f32_e32 v9, v9, v4
	scratch_load_dwordx4 v[4:7], off, off offset:120
	scratch_load_dwordx4 v[36:39], off, off offset:136
	s_waitcnt vmcnt(1)
	v_mul_f32_e32 v14, v65, v5
	v_fma_f32 v14, v64, v4, -v14
	v_mul_f32_e32 v5, v64, v5
	v_fmac_f32_e32 v5, v65, v4
	v_sub_f32_e32 v4, v8, v14
	v_mul_f32_e32 v8, v71, v7
	v_mul_f32_e32 v7, v70, v7
	v_sub_f32_e32 v5, v9, v5
	v_fmac_f32_e32 v7, v71, v6
	v_fma_f32 v8, v70, v6, -v8
	v_sub_f32_e32 v5, v5, v7
	v_mul_f32_e32 v6, v73, v43
	v_mul_f32_e32 v7, v72, v43
	v_sub_f32_e32 v4, v4, v8
	v_fma_f32 v6, v72, v42, -v6
	v_fmac_f32_e32 v7, v73, v42
	v_sub_f32_e32 v4, v4, v6
	v_sub_f32_e32 v5, v5, v7
	s_waitcnt vmcnt(0)
	v_mul_f32_e32 v6, v75, v39
	v_mul_f32_e32 v7, v74, v39
	v_fma_f32 v6, v74, v38, -v6
	v_fmac_f32_e32 v7, v75, v38
	v_sub_f32_e32 v4, v4, v6
	v_sub_f32_e32 v5, v5, v7
	v_mul_f32_e32 v6, v77, v35
	v_mul_f32_e32 v7, v76, v35
	v_fma_f32 v6, v76, v34, -v6
	v_fmac_f32_e32 v7, v77, v34
	v_sub_f32_e32 v8, v4, v6
	v_sub_f32_e32 v9, v5, v7
	scratch_load_dwordx4 v[4:7], off, off offset:152
	s_waitcnt vmcnt(0)
	v_mul_f32_e32 v14, v67, v7
	v_mul_f32_e32 v7, v66, v7
	v_fma_f32 v14, v66, v6, -v14
	v_fmac_f32_e32 v7, v67, v6
	v_sub_f32_e32 v14, v8, v14
	v_sub_f32_e32 v15, v9, v7
	scratch_load_dwordx4 v[6:9], off, off offset:160
	s_waitcnt vmcnt(0)
	v_mul_f32_e32 v22, v83, v9
	v_fma_f32 v22, v82, v8, -v22
	v_mul_f32_e32 v9, v82, v9
	v_fmac_f32_e32 v9, v83, v8
	v_sub_f32_e32 v8, v14, v22
	v_mul_f32_e32 v14, v85, v49
	v_sub_f32_e32 v9, v15, v9
	v_fma_f32 v14, v84, v48, -v14
	v_mul_f32_e32 v15, v84, v49
	v_fmac_f32_e32 v15, v85, v48
	v_sub_f32_e32 v14, v8, v14
	v_mov_b32_e32 v8, s36
	v_sub_f32_e32 v15, v9, v15
	ds_read_b64 v[8:9], v8
	s_lshl_b32 s36, s34, 8
	s_sub_i32 s34, s6, 25
	s_lshl_b32 s38, s34, 3
	s_add_i32 s37, s38, s10
	s_waitcnt lgkmcnt(0)
	v_mul_f32_e32 v22, v9, v15
	v_mul_f32_e32 v131, v8, v15
	v_fma_f32 v130, v8, v14, -v22
	v_fmac_f32_e32 v131, v9, v14
	v_add_u32_e32 v8, s36, v1
	ds_write_b64 v8, v[130:131]
	scratch_load_dwordx2 v[8:9], off, off
	v_mov_b32_e32 v14, s37
	ds_read2_b64 v[82:85], v14 offset1:1
	s_add_i32 s37, s38, s11
	v_mov_b32_e32 v22, s37
	ds_read2_b64 v[78:81], v22 offset1:1
	s_add_i32 s37, s38, s5
	s_waitcnt vmcnt(0) lgkmcnt(1)
	v_mul_f32_e32 v14, v85, v9
	v_mul_f32_e32 v9, v84, v9
	v_fmac_f32_e32 v9, v85, v8
	v_fma_f32 v14, v84, v8, -v14
	v_sub_f32_e32 v15, v89, v9
	scratch_load_dwordx2 v[8:9], off, off offset:8
	v_sub_f32_e32 v14, v88, v14
	s_waitcnt vmcnt(0) lgkmcnt(0)
	v_mul_f32_e32 v22, v81, v9
	v_mul_f32_e32 v9, v80, v9
	v_fmac_f32_e32 v9, v81, v8
	v_fma_f32 v22, v80, v8, -v22
	v_sub_f32_e32 v15, v15, v9
	scratch_load_dwordx2 v[8:9], off, off offset:16
	v_sub_f32_e32 v14, v14, v22
	v_mov_b32_e32 v22, s37
	ds_read2_b64 v[72:75], v22 offset1:1
	s_add_i32 s37, s38, s12
	s_waitcnt vmcnt(0) lgkmcnt(0)
	v_mul_f32_e32 v22, v75, v9
	v_mul_f32_e32 v9, v74, v9
	v_fmac_f32_e32 v9, v75, v8
	v_fma_f32 v22, v74, v8, -v22
	v_sub_f32_e32 v15, v15, v9
	scratch_load_dwordx2 v[8:9], off, off offset:24
	v_sub_f32_e32 v14, v14, v22
	v_mov_b32_e32 v22, s37
	ds_read2_b64 v[68:71], v22 offset1:1
	s_add_i32 s37, s38, s13
	s_waitcnt vmcnt(0) lgkmcnt(0)
	v_mul_f32_e32 v22, v71, v9
	v_mul_f32_e32 v9, v70, v9
	v_fma_f32 v22, v70, v8, -v22
	v_fmac_f32_e32 v9, v71, v8
	v_sub_f32_e32 v8, v14, v22
	v_sub_f32_e32 v9, v15, v9
	scratch_load_dwordx2 v[14:15], off, off offset:32
	v_mov_b32_e32 v22, s37
	ds_read2_b64 v[60:63], v22 offset1:1
	s_add_i32 s37, s38, s14
	s_waitcnt vmcnt(0) lgkmcnt(0)
	v_mul_f32_e32 v22, v63, v15
	v_fma_f32 v22, v62, v14, -v22
	v_sub_f32_e32 v8, v8, v22
	scratch_load_dwordx2 v[22:23], off, off offset:40
	v_mul_f32_e32 v15, v62, v15
	v_fmac_f32_e32 v15, v63, v14
	v_mov_b32_e32 v14, s37
	ds_read2_b64 v[54:57], v14 offset1:1
	scratch_load_dwordx2 v[26:27], off, off offset:48
	scratch_load_dwordx2 v[30:31], off, off offset:56
	scratch_load_dwordx4 v[42:45], off, off offset:56
	scratch_load_dwordx4 v[74:77], off, off offset:72
	;; [unrolled: 1-line block ×5, first 2 shown]
	s_add_i32 s37, s38, s15
	scratch_load_dwordx4 v[96:99], off, off offset:104
	scratch_load_dwordx4 v[100:103], off, off offset:112
	s_waitcnt vmcnt(9) lgkmcnt(0)
	v_mul_f32_e32 v14, v57, v23
	v_fma_f32 v14, v56, v22, -v14
	v_pk_add_f32 v[8:9], v[8:9], v[14:15] neg_lo:[0,1] neg_hi:[0,1]
	v_mov_b32_e32 v14, s37
	ds_read2_b64 v[62:65], v14 offset1:1
	v_mul_f32_e32 v23, v56, v23
	s_add_i32 s37, s38, s16
	v_fmac_f32_e32 v23, v57, v22
	s_waitcnt vmcnt(8)
	v_mov_b32_e32 v35, v26
	s_waitcnt lgkmcnt(0)
	v_mul_f32_e32 v14, v65, v27
	v_fma_f32 v22, v64, v26, -v14
	v_mov_b32_e32 v14, s37
	ds_read2_b64 v[46:49], v14 offset1:1
	v_mov_b32_e32 v51, v64
	s_waitcnt vmcnt(7)
	v_mov_b32_e32 v26, v31
	v_pk_add_f32 v[8:9], v[8:9], v[22:23] neg_lo:[0,1] neg_hi:[0,1]
	v_mov_b32_e32 v23, v65
	s_waitcnt lgkmcnt(0)
	v_mov_b32_e32 v50, v49
	v_mov_b32_e32 v22, v48
	;; [unrolled: 1-line block ×3, first 2 shown]
	v_pk_mul_f32 v[26:27], v[50:51], v[26:27]
	s_add_i32 s37, s38, s17
	v_pk_fma_f32 v[22:23], v[22:23], v[34:35], v[26:27]
	v_mov_b32_e32 v15, v30
	v_mov_b32_e32 v22, s37
	ds_read2_b64 v[50:53], v22 offset1:1
	v_mov_b32_e32 v39, v31
	v_pk_fma_f32 v[30:31], v[48:49], v[30:31], v[26:27] neg_lo:[0,0,1] neg_hi:[0,0,1]
	s_waitcnt vmcnt(6)
	v_mov_b32_e32 v38, v45
	v_mov_b32_e32 v31, v23
	v_pk_add_f32 v[8:9], v[8:9], v[30:31] neg_lo:[0,1] neg_hi:[0,1]
	s_waitcnt lgkmcnt(0)
	v_mov_b32_e32 v30, v53
	v_mov_b32_e32 v31, v48
	;; [unrolled: 1-line block ×5, first 2 shown]
	v_pk_mul_f32 v[30:31], v[30:31], v[38:39]
	s_add_i32 s37, s38, s18
	v_pk_fma_f32 v[14:15], v[26:27], v[14:15], v[30:31]
	v_mov_b32_e32 v22, v44
	v_mov_b32_e32 v14, s37
	ds_read2_b64 v[56:59], v14 offset1:1
	s_waitcnt vmcnt(5)
	v_mov_b32_e32 v23, v74
	v_mov_b32_e32 v26, v53
	;; [unrolled: 1-line block ×3, first 2 shown]
	v_pk_fma_f32 v[34:35], v[52:53], v[22:23], v[30:31] neg_lo:[0,0,1] neg_hi:[0,0,1]
	s_waitcnt lgkmcnt(0)
	v_mov_b32_e32 v27, v58
	v_pk_mul_f32 v[22:23], v[26:27], v[22:23]
	v_mov_b32_e32 v26, v59
	v_mov_b32_e32 v27, v52
	v_pk_fma_f32 v[30:31], v[26:27], v[44:45], v[22:23] op_sel:[0,0,1] op_sel_hi:[1,1,0] neg_lo:[1,0,0] neg_hi:[1,0,0]
	v_pk_fma_f32 v[22:23], v[26:27], v[44:45], v[22:23] op_sel:[0,0,1] op_sel_hi:[1,1,0]
	s_add_i32 s37, s38, s19
	v_mov_b32_e32 v22, s37
	ds_read2_b64 v[64:67], v22 offset1:1
	v_mov_b32_e32 v35, v15
	v_pk_add_f32 v[8:9], v[8:9], v[34:35] neg_lo:[0,1] neg_hi:[0,1]
	v_mov_b32_e32 v15, v76
	v_mov_b32_e32 v76, v75
	;; [unrolled: 1-line block ×3, first 2 shown]
	s_waitcnt lgkmcnt(0)
	v_mov_b32_e32 v59, v67
	v_mov_b32_e32 v14, v74
	v_pk_add_f32 v[8:9], v[8:9], v[30:31] neg_lo:[0,1] neg_hi:[0,1]
	v_mov_b32_e32 v27, v66
	v_pk_mul_f32 v[30:31], v[58:59], v[76:77]
	s_add_i32 s37, s38, s20
	v_pk_fma_f32 v[34:35], v[26:27], v[14:15], v[30:31] neg_lo:[0,0,1] neg_hi:[0,0,1]
	v_pk_fma_f32 v[14:15], v[26:27], v[14:15], v[30:31]
	s_waitcnt vmcnt(4)
	v_mov_b32_e32 v23, v86
	v_pk_mov_b32 v[14:15], v[34:35], v[14:15] op_sel:[1,0]
	v_mov_b32_e32 v86, v85
	v_pk_add_f32 v[8:9], v[8:9], v[14:15] neg_lo:[0,1] neg_hi:[0,1]
	v_mov_b32_e32 v14, s37
	ds_read2_b64 v[74:77], v14 offset1:1
	v_mov_b32_e32 v26, v67
	v_mov_b32_e32 v22, v84
	s_add_i32 s37, s38, s21
	s_waitcnt vmcnt(3)
	v_mov_b32_e32 v15, v90
	s_waitcnt lgkmcnt(0)
	v_mov_b32_e32 v67, v77
	v_mov_b32_e32 v27, v76
	v_pk_mul_f32 v[30:31], v[66:67], v[86:87]
	v_mov_b32_e32 v90, v89
	v_pk_fma_f32 v[34:35], v[26:27], v[22:23], v[30:31] neg_lo:[0,0,1] neg_hi:[0,0,1]
	v_pk_fma_f32 v[22:23], v[26:27], v[22:23], v[30:31]
	v_mov_b32_e32 v26, v77
	v_pk_mov_b32 v[22:23], v[34:35], v[22:23] op_sel:[1,0]
	v_mov_b32_e32 v14, v88
	v_pk_add_f32 v[8:9], v[8:9], v[22:23] neg_lo:[0,1] neg_hi:[0,1]
	v_mov_b32_e32 v22, s37
	ds_read2_b64 v[84:87], v22 offset1:1
	s_add_i32 s37, s38, s22
	s_waitcnt vmcnt(2)
	v_mov_b32_e32 v23, v94
	v_mov_b32_e32 v94, v93
	;; [unrolled: 1-line block ×3, first 2 shown]
	s_waitcnt lgkmcnt(0)
	v_mov_b32_e32 v77, v87
	v_mov_b32_e32 v27, v86
	v_pk_mul_f32 v[30:31], v[76:77], v[90:91]
	v_mov_b32_e32 v44, v51
	v_pk_fma_f32 v[34:35], v[26:27], v[14:15], v[30:31] neg_lo:[0,0,1] neg_hi:[0,0,1]
	v_pk_fma_f32 v[14:15], v[26:27], v[14:15], v[30:31]
	v_mov_b32_e32 v26, v87
	v_pk_mov_b32 v[14:15], v[34:35], v[14:15] op_sel:[1,0]
	v_mov_b32_e32 v45, v46
	v_pk_add_f32 v[8:9], v[8:9], v[14:15] neg_lo:[0,1] neg_hi:[0,1]
	v_mov_b32_e32 v14, s37
	ds_read2_b64 v[88:91], v14 offset1:1
	s_add_i32 s37, s38, s23
	s_waitcnt vmcnt(1)
	v_mov_b32_e32 v15, v98
	v_mov_b32_e32 v98, v97
	;; [unrolled: 1-line block ×3, first 2 shown]
	s_waitcnt lgkmcnt(0)
	v_mov_b32_e32 v87, v91
	v_mov_b32_e32 v27, v90
	v_pk_mul_f32 v[30:31], v[86:87], v[94:95]
	s_nop 0
	v_pk_fma_f32 v[34:35], v[26:27], v[22:23], v[30:31] neg_lo:[0,0,1] neg_hi:[0,0,1]
	v_pk_fma_f32 v[22:23], v[26:27], v[22:23], v[30:31]
	v_mov_b32_e32 v26, v91
	v_pk_mov_b32 v[22:23], v[34:35], v[22:23] op_sel:[1,0]
	s_waitcnt vmcnt(0)
	v_mov_b32_e32 v30, v101
	v_pk_add_f32 v[8:9], v[8:9], v[22:23] neg_lo:[0,1] neg_hi:[0,1]
	v_mov_b32_e32 v22, s37
	ds_read2_b64 v[92:95], v22 offset1:1
	s_add_i32 s37, s38, s24
	v_mov_b32_e32 v31, v103
	v_mov_b32_e32 v22, v100
	;; [unrolled: 1-line block ×3, first 2 shown]
	s_waitcnt lgkmcnt(0)
	v_mov_b32_e32 v91, v95
	v_mov_b32_e32 v27, v94
	v_pk_mul_f32 v[34:35], v[90:91], v[98:99]
	s_nop 0
	v_pk_fma_f32 v[38:39], v[26:27], v[14:15], v[34:35] neg_lo:[0,0,1] neg_hi:[0,0,1]
	v_pk_fma_f32 v[14:15], v[26:27], v[14:15], v[34:35]
	s_nop 0
	v_pk_mov_b32 v[14:15], v[38:39], v[14:15] op_sel:[1,0]
	s_nop 0
	v_pk_add_f32 v[8:9], v[8:9], v[14:15] neg_lo:[0,1] neg_hi:[0,1]
	v_mov_b32_e32 v14, s37
	ds_read2_b64 v[96:99], v14 offset1:1
	v_mov_b32_e32 v14, v95
	s_add_i32 s37, s38, s25
	s_waitcnt lgkmcnt(0)
	v_mov_b32_e32 v95, v99
	v_mov_b32_e32 v15, v98
	v_pk_mul_f32 v[26:27], v[94:95], v[30:31]
	s_nop 0
	v_pk_fma_f32 v[30:31], v[14:15], v[22:23], v[26:27] neg_lo:[0,0,1] neg_hi:[0,0,1]
	v_pk_fma_f32 v[14:15], v[14:15], v[22:23], v[26:27]
	s_nop 0
	v_pk_mov_b32 v[14:15], v[30:31], v[14:15] op_sel:[1,0]
	s_nop 0
	v_pk_add_f32 v[8:9], v[8:9], v[14:15] neg_lo:[0,1] neg_hi:[0,1]
	v_mul_f32_e32 v14, v99, v102
	v_fmac_f32_e32 v14, v98, v103
	v_sub_f32_e32 v9, v9, v14
	v_mov_b32_e32 v14, s37
	ds_read2_b64 v[98:101], v14 offset1:1
	s_add_i32 s37, s38, s26
	v_mov_b32_e32 v22, s37
	ds_read2_b64 v[120:123], v22 offset1:1
	s_add_i32 s37, s38, s27
	s_waitcnt lgkmcnt(1)
	v_mul_f32_e32 v14, v101, v41
	v_mul_f32_e32 v15, v100, v41
	v_fma_f32 v14, v100, v40, -v14
	v_fmac_f32_e32 v15, v101, v40
	v_sub_f32_e32 v14, v8, v14
	v_sub_f32_e32 v15, v9, v15
	scratch_load_dwordx2 v[8:9], off, off offset:136
	s_waitcnt vmcnt(0) lgkmcnt(0)
	v_mul_f32_e32 v22, v123, v9
	v_mul_f32_e32 v9, v122, v9
	v_fmac_f32_e32 v9, v123, v8
	v_fma_f32 v22, v122, v8, -v22
	v_sub_f32_e32 v15, v15, v9
	scratch_load_dwordx2 v[8:9], off, off offset:144
	v_sub_f32_e32 v14, v14, v22
	v_mov_b32_e32 v22, s37
	ds_read2_b64 v[114:117], v22 offset1:1
	s_add_i32 s37, s38, s30
	s_waitcnt vmcnt(0) lgkmcnt(0)
	v_mul_f32_e32 v22, v117, v9
	v_mul_f32_e32 v9, v116, v9
	v_fmac_f32_e32 v9, v117, v8
	v_fma_f32 v22, v116, v8, -v22
	v_sub_f32_e32 v15, v15, v9
	scratch_load_dwordx2 v[8:9], off, off offset:152
	v_sub_f32_e32 v14, v14, v22
	v_mov_b32_e32 v22, s37
	ds_read2_b64 v[116:119], v22 offset1:1
	s_add_i32 s37, s38, s31
	s_waitcnt vmcnt(0) lgkmcnt(0)
	v_mul_f32_e32 v22, v119, v9
	v_mul_f32_e32 v9, v118, v9
	v_fmac_f32_e32 v9, v119, v8
	v_fma_f32 v22, v118, v8, -v22
	v_sub_f32_e32 v15, v15, v9
	scratch_load_dwordx2 v[8:9], off, off offset:160
	v_sub_f32_e32 v14, v14, v22
	v_mov_b32_e32 v22, s37
	ds_read2_b64 v[110:113], v22 offset1:1
	s_add_i32 s37, s38, s33
	s_waitcnt vmcnt(0) lgkmcnt(0)
	v_mul_f32_e32 v22, v113, v9
	v_mul_f32_e32 v9, v112, v9
	v_fmac_f32_e32 v9, v113, v8
	v_fma_f32 v22, v112, v8, -v22
	v_sub_f32_e32 v15, v15, v9
	scratch_load_dwordx2 v[8:9], off, off offset:168
	v_sub_f32_e32 v14, v14, v22
	v_mov_b32_e32 v22, s37
	ds_read2_b64 v[106:109], v22 offset1:1
	s_add_i32 s37, s38, s35
	s_waitcnt vmcnt(0) lgkmcnt(0)
	v_mul_f32_e32 v22, v109, v9
	v_mul_f32_e32 v9, v108, v9
	v_fmac_f32_e32 v9, v109, v8
	v_fma_f32 v22, v108, v8, -v22
	v_sub_f32_e32 v15, v15, v9
	scratch_load_dwordx2 v[8:9], off, off offset:176
	v_sub_f32_e32 v14, v14, v22
	v_mov_b32_e32 v22, s37
	ds_read2_b64 v[38:41], v22 offset1:1
	s_add_i32 s37, s38, s36
	s_waitcnt vmcnt(0) lgkmcnt(0)
	v_mul_f32_e32 v22, v41, v9
	v_fma_f32 v22, v40, v8, -v22
	v_mul_f32_e32 v9, v40, v9
	v_fmac_f32_e32 v9, v41, v8
	v_sub_f32_e32 v8, v14, v22
	v_mov_b32_e32 v14, s37
	ds_read2_b64 v[100:103], v14 offset1:1
	s_add_i32 s37, s10, 0xffffe800
	s_add_i32 s38, s38, s37
	v_sub_f32_e32 v9, v15, v9
	s_waitcnt lgkmcnt(0)
	v_mul_f32_e32 v14, v103, v131
	v_fma_f32 v14, v102, v130, -v14
	v_mul_f32_e32 v15, v102, v131
	v_sub_f32_e32 v8, v8, v14
	v_mov_b32_e32 v14, s38
	v_fmac_f32_e32 v15, v103, v130
	ds_read2_b64 v[102:105], v14 offset1:1
	v_sub_f32_e32 v9, v9, v15
	s_add_i32 s38, s4, 0xffffe638
	s_addk_i32 s4, 0xe428
	s_waitcnt lgkmcnt(0)
	v_mul_f32_e32 v14, v105, v9
	v_mul_f32_e32 v119, v104, v9
	v_fma_f32 v118, v104, v8, -v14
	v_fmac_f32_e32 v119, v105, v8
	v_add_u32_e32 v8, s37, v1
	ds_write_b64 v8, v[118:119]
	scratch_load_dwordx2 v[8:9], off, off
	s_waitcnt vmcnt(0)
	v_mul_f32_e32 v14, v83, v9
	v_mul_f32_e32 v9, v82, v9
	v_fmac_f32_e32 v9, v83, v8
	v_fma_f32 v14, v82, v8, -v14
	v_sub_f32_e32 v15, v129, v9
	scratch_load_dwordx2 v[8:9], off, off offset:8
	v_sub_f32_e32 v14, v128, v14
	s_waitcnt vmcnt(0)
	v_mul_f32_e32 v22, v79, v9
	v_mul_f32_e32 v9, v78, v9
	v_fmac_f32_e32 v9, v79, v8
	v_fma_f32 v22, v78, v8, -v22
	v_sub_f32_e32 v15, v15, v9
	scratch_load_dwordx2 v[8:9], off, off offset:16
	v_sub_f32_e32 v14, v14, v22
	;; [unrolled: 8-line block ×4, first 2 shown]
	s_waitcnt vmcnt(0)
	v_mul_f32_e32 v22, v61, v9
	v_mul_f32_e32 v9, v60, v9
	v_fma_f32 v22, v60, v8, -v22
	v_fmac_f32_e32 v9, v61, v8
	v_sub_f32_e32 v8, v14, v22
	v_sub_f32_e32 v9, v15, v9
	scratch_load_dwordx2 v[14:15], off, off offset:40
	s_waitcnt vmcnt(0)
	v_mul_f32_e32 v22, v55, v15
	v_fma_f32 v22, v54, v14, -v22
	v_sub_f32_e32 v8, v8, v22
	scratch_load_dwordx2 v[22:23], off, off offset:48
	scratch_load_dwordx2 v[26:27], off, off offset:56
	;; [unrolled: 1-line block ×3, first 2 shown]
	scratch_load_dwordx4 v[76:79], off, off offset:64
	v_mul_f32_e32 v15, v54, v15
	v_fmac_f32_e32 v15, v55, v14
	scratch_load_dwordx4 v[52:55], off, off offset:80
	scratch_load_dwordx4 v[58:61], off, off offset:88
	;; [unrolled: 1-line block ×3, first 2 shown]
	s_waitcnt vmcnt(5)
	v_mov_b32_e32 v35, v26
	v_mul_f32_e32 v14, v63, v23
	v_fma_f32 v14, v62, v22, -v14
	v_mul_f32_e32 v23, v62, v23
	v_pk_add_f32 v[8:9], v[8:9], v[14:15] neg_lo:[0,1] neg_hi:[0,1]
	v_mul_f32_e32 v14, v47, v27
	v_fmac_f32_e32 v23, v63, v22
	v_fma_f32 v22, v46, v26, -v14
	s_waitcnt vmcnt(4)
	v_mov_b32_e32 v26, v31
	v_pk_add_f32 v[8:9], v[8:9], v[22:23] neg_lo:[0,1] neg_hi:[0,1]
	v_mov_b32_e32 v22, v50
	v_mov_b32_e32 v23, v47
	;; [unrolled: 1-line block ×3, first 2 shown]
	v_pk_mul_f32 v[26:27], v[44:45], v[26:27]
	v_mov_b32_e32 v15, v30
	v_mov_b32_e32 v41, v31
	v_pk_fma_f32 v[30:31], v[50:51], v[30:31], v[26:27] neg_lo:[0,0,1] neg_hi:[0,0,1]
	v_pk_fma_f32 v[22:23], v[22:23], v[34:35], v[26:27]
	scratch_load_dwordx4 v[44:47], off, off offset:96
	v_mov_b32_e32 v31, v23
	s_waitcnt vmcnt(4)
	v_mov_b32_e32 v40, v79
	v_pk_add_f32 v[8:9], v[8:9], v[30:31] neg_lo:[0,1] neg_hi:[0,1]
	v_mov_b32_e32 v27, v51
	v_mov_b32_e32 v30, v57
	;; [unrolled: 1-line block ×3, first 2 shown]
	scratch_load_dwordx4 v[48:51], off, off offset:104
	v_mov_b32_e32 v14, v78
	v_mov_b32_e32 v26, v56
	v_pk_mul_f32 v[30:31], v[30:31], v[40:41]
	v_mov_b32_e32 v22, v78
	s_waitcnt vmcnt(4)
	v_mov_b32_e32 v23, v52
	v_pk_fma_f32 v[14:15], v[26:27], v[14:15], v[30:31]
	v_mov_b32_e32 v26, v57
	v_mov_b32_e32 v27, v64
	;; [unrolled: 1-line block ×3, first 2 shown]
	v_pk_fma_f32 v[34:35], v[56:57], v[22:23], v[30:31] neg_lo:[0,0,1] neg_hi:[0,0,1]
	v_pk_mul_f32 v[22:23], v[26:27], v[22:23]
	v_mov_b32_e32 v26, v65
	v_mov_b32_e32 v27, v56
	;; [unrolled: 1-line block ×3, first 2 shown]
	v_pk_fma_f32 v[30:31], v[26:27], v[78:79], v[22:23] op_sel:[0,0,1] op_sel_hi:[1,1,0] neg_lo:[1,0,0] neg_hi:[1,0,0]
	v_pk_fma_f32 v[22:23], v[26:27], v[78:79], v[22:23] op_sel:[0,0,1] op_sel_hi:[1,1,0]
	v_pk_add_f32 v[8:9], v[8:9], v[34:35] neg_lo:[0,1] neg_hi:[0,1]
	v_mov_b32_e32 v15, v54
	v_mov_b32_e32 v54, v53
	;; [unrolled: 1-line block ×5, first 2 shown]
	v_pk_add_f32 v[8:9], v[8:9], v[30:31] neg_lo:[0,1] neg_hi:[0,1]
	v_pk_mul_f32 v[30:31], v[64:65], v[54:55]
	scratch_load_dwordx4 v[52:55], off, off offset:120
	v_mov_b32_e32 v27, v74
	s_waitcnt vmcnt(4)
	v_mov_b32_e32 v23, v60
	v_mov_b32_e32 v60, v59
	v_pk_fma_f32 v[34:35], v[26:27], v[14:15], v[30:31] neg_lo:[0,0,1] neg_hi:[0,0,1]
	v_pk_fma_f32 v[14:15], v[26:27], v[14:15], v[30:31]
	v_mov_b32_e32 v26, v75
	v_mov_b32_e32 v75, v85
	;; [unrolled: 1-line block ×3, first 2 shown]
	v_pk_mov_b32 v[14:15], v[34:35], v[14:15] op_sel:[1,0]
	v_mov_b32_e32 v27, v84
	v_pk_mul_f32 v[30:31], v[74:75], v[60:61]
	v_pk_add_f32 v[8:9], v[8:9], v[14:15] neg_lo:[0,1] neg_hi:[0,1]
	v_pk_fma_f32 v[34:35], v[26:27], v[22:23], v[30:31] neg_lo:[0,0,1] neg_hi:[0,0,1]
	v_pk_fma_f32 v[22:23], v[26:27], v[22:23], v[30:31]
	v_mov_b32_e32 v26, v85
	v_mov_b32_e32 v85, v89
	v_pk_mov_b32 v[22:23], v[34:35], v[22:23] op_sel:[1,0]
	v_mov_b32_e32 v27, v88
	v_pk_add_f32 v[8:9], v[8:9], v[22:23] neg_lo:[0,1] neg_hi:[0,1]
	s_waitcnt vmcnt(2)
	v_mov_b32_e32 v15, v46
	v_mov_b32_e32 v46, v45
	v_mov_b32_e32 v14, v44
	v_pk_mul_f32 v[30:31], v[84:85], v[46:47]
	s_waitcnt vmcnt(1)
	v_mov_b32_e32 v23, v50
	v_mov_b32_e32 v50, v49
	v_pk_fma_f32 v[34:35], v[26:27], v[14:15], v[30:31] neg_lo:[0,0,1] neg_hi:[0,0,1]
	v_pk_fma_f32 v[14:15], v[26:27], v[14:15], v[30:31]
	v_mov_b32_e32 v26, v89
	v_mov_b32_e32 v89, v93
	v_mov_b32_e32 v22, v48
	v_pk_mov_b32 v[14:15], v[34:35], v[14:15] op_sel:[1,0]
	v_mov_b32_e32 v27, v92
	v_pk_mul_f32 v[30:31], v[88:89], v[50:51]
	v_pk_add_f32 v[8:9], v[8:9], v[14:15] neg_lo:[0,1] neg_hi:[0,1]
	v_mov_b32_e32 v15, v68
	v_mov_b32_e32 v68, v67
	v_pk_fma_f32 v[34:35], v[26:27], v[22:23], v[30:31] neg_lo:[0,0,1] neg_hi:[0,0,1]
	v_pk_fma_f32 v[22:23], v[26:27], v[22:23], v[30:31]
	v_mov_b32_e32 v26, v93
	v_mov_b32_e32 v93, v97
	;; [unrolled: 1-line block ×3, first 2 shown]
	v_pk_mov_b32 v[22:23], v[34:35], v[22:23] op_sel:[1,0]
	v_mov_b32_e32 v27, v96
	v_pk_mul_f32 v[34:35], v[92:93], v[68:69]
	v_pk_add_f32 v[8:9], v[8:9], v[22:23] neg_lo:[0,1] neg_hi:[0,1]
	v_pk_fma_f32 v[40:41], v[26:27], v[14:15], v[34:35] neg_lo:[0,0,1] neg_hi:[0,0,1]
	v_pk_fma_f32 v[14:15], v[26:27], v[14:15], v[34:35]
	s_waitcnt vmcnt(0)
	v_mov_b32_e32 v30, v53
	v_pk_mov_b32 v[14:15], v[40:41], v[14:15] op_sel:[1,0]
	v_mov_b32_e32 v31, v55
	v_pk_add_f32 v[8:9], v[8:9], v[14:15] neg_lo:[0,1] neg_hi:[0,1]
	v_mov_b32_e32 v14, v97
	v_mov_b32_e32 v97, v99
	;; [unrolled: 1-line block ×5, first 2 shown]
	v_pk_mul_f32 v[26:27], v[96:97], v[30:31]
	s_nop 0
	v_pk_fma_f32 v[30:31], v[14:15], v[22:23], v[26:27] neg_lo:[0,0,1] neg_hi:[0,0,1]
	v_pk_fma_f32 v[14:15], v[14:15], v[22:23], v[26:27]
	s_nop 0
	v_pk_mov_b32 v[14:15], v[30:31], v[14:15] op_sel:[1,0]
	s_nop 0
	v_pk_add_f32 v[8:9], v[8:9], v[14:15] neg_lo:[0,1] neg_hi:[0,1]
	v_mul_f32_e32 v14, v99, v54
	v_fmac_f32_e32 v14, v98, v55
	v_sub_f32_e32 v9, v9, v14
	v_mul_f32_e32 v14, v121, v37
	v_mul_f32_e32 v15, v120, v37
	v_fma_f32 v14, v120, v36, -v14
	v_fmac_f32_e32 v15, v121, v36
	v_sub_f32_e32 v14, v8, v14
	v_sub_f32_e32 v15, v9, v15
	scratch_load_dwordx2 v[8:9], off, off offset:144
	s_waitcnt vmcnt(0)
	v_mul_f32_e32 v22, v115, v9
	v_mul_f32_e32 v9, v114, v9
	v_fmac_f32_e32 v9, v115, v8
	v_fma_f32 v22, v114, v8, -v22
	v_sub_f32_e32 v15, v15, v9
	scratch_load_dwordx2 v[8:9], off, off offset:152
	v_sub_f32_e32 v14, v14, v22
	s_waitcnt vmcnt(0)
	v_mul_f32_e32 v22, v117, v9
	v_mul_f32_e32 v9, v116, v9
	v_fmac_f32_e32 v9, v117, v8
	v_fma_f32 v22, v116, v8, -v22
	v_sub_f32_e32 v15, v15, v9
	scratch_load_dwordx2 v[8:9], off, off offset:160
	v_sub_f32_e32 v14, v14, v22
	s_waitcnt vmcnt(0)
	v_mul_f32_e32 v22, v111, v9
	v_mul_f32_e32 v9, v110, v9
	v_fmac_f32_e32 v9, v111, v8
	v_fma_f32 v22, v110, v8, -v22
	v_sub_f32_e32 v15, v15, v9
	scratch_load_dwordx2 v[8:9], off, off offset:168
	v_sub_f32_e32 v14, v14, v22
	s_waitcnt vmcnt(0)
	v_mul_f32_e32 v22, v107, v9
	v_mul_f32_e32 v9, v106, v9
	v_fmac_f32_e32 v9, v107, v8
	v_fma_f32 v22, v106, v8, -v22
	v_sub_f32_e32 v15, v15, v9
	scratch_load_dwordx2 v[8:9], off, off offset:176
	v_sub_f32_e32 v14, v14, v22
	s_waitcnt vmcnt(0)
	v_mul_f32_e32 v22, v39, v9
	v_fma_f32 v22, v38, v8, -v22
	v_mul_f32_e32 v9, v38, v9
	v_fmac_f32_e32 v9, v39, v8
	v_sub_f32_e32 v8, v14, v22
	v_mul_f32_e32 v14, v101, v131
	v_sub_f32_e32 v9, v15, v9
	v_fma_f32 v14, v100, v130, -v14
	v_mul_f32_e32 v15, v100, v131
	v_fmac_f32_e32 v15, v101, v130
	v_sub_f32_e32 v8, v8, v14
	v_mul_f32_e32 v14, v103, v119
	v_sub_f32_e32 v9, v9, v15
	v_fma_f32 v14, v102, v118, -v14
	v_mul_f32_e32 v15, v102, v119
	v_fmac_f32_e32 v15, v103, v118
	v_sub_f32_e32 v14, v8, v14
	v_mov_b32_e32 v8, s38
	v_sub_f32_e32 v15, v9, v15
	ds_read_b64 v[8:9], v8
	s_lshl_b32 s38, s34, 8
	s_sub_i32 s34, s6, 27
	s_lshl_b32 s39, s34, 3
	s_add_i32 s40, s39, s10
	s_waitcnt lgkmcnt(0)
	v_mul_f32_e32 v22, v9, v15
	v_mul_f32_e32 v115, v8, v15
	v_fma_f32 v114, v8, v14, -v22
	v_fmac_f32_e32 v115, v9, v14
	v_add_u32_e32 v8, s38, v1
	ds_write_b64 v8, v[114:115]
	scratch_load_dwordx2 v[8:9], off, off
	v_mov_b32_e32 v14, s40
	ds_read2_b64 v[78:81], v14 offset1:1
	s_add_i32 s11, s39, s11
	v_mov_b32_e32 v22, s11
	s_add_i32 s5, s39, s5
	s_addk_i32 s10, 0xe600
	s_sub_i32 s6, s6, 28
	s_waitcnt vmcnt(0) lgkmcnt(0)
	v_mul_f32_e32 v14, v81, v9
	v_mul_f32_e32 v9, v80, v9
	v_fmac_f32_e32 v9, v81, v8
	v_fma_f32 v14, v80, v8, -v14
	v_sub_f32_e32 v15, v127, v9
	scratch_load_dwordx2 v[8:9], off, off offset:8
	ds_read2_b64 v[80:83], v22 offset1:1
	v_sub_f32_e32 v14, v126, v14
	s_waitcnt vmcnt(0) lgkmcnt(0)
	v_mul_f32_e32 v22, v83, v9
	v_mul_f32_e32 v9, v82, v9
	v_fmac_f32_e32 v9, v83, v8
	v_fma_f32 v22, v82, v8, -v22
	v_sub_f32_e32 v15, v15, v9
	scratch_load_dwordx2 v[8:9], off, off offset:16
	v_sub_f32_e32 v14, v14, v22
	v_mov_b32_e32 v22, s5
	ds_read2_b64 v[82:85], v22 offset1:1
	s_add_i32 s5, s39, s12
	s_waitcnt vmcnt(0) lgkmcnt(0)
	v_mul_f32_e32 v22, v85, v9
	v_mul_f32_e32 v9, v84, v9
	v_fmac_f32_e32 v9, v85, v8
	v_fma_f32 v22, v84, v8, -v22
	v_sub_f32_e32 v15, v15, v9
	scratch_load_dwordx2 v[8:9], off, off offset:24
	v_sub_f32_e32 v14, v14, v22
	v_mov_b32_e32 v22, s5
	ds_read2_b64 v[84:87], v22 offset1:1
	s_add_i32 s5, s39, s13
	;; [unrolled: 11-line block ×4, first 2 shown]
	s_waitcnt vmcnt(0) lgkmcnt(0)
	v_mul_f32_e32 v22, v99, v9
	v_mul_f32_e32 v9, v98, v9
	v_fma_f32 v22, v98, v8, -v22
	v_fmac_f32_e32 v9, v99, v8
	v_sub_f32_e32 v8, v14, v22
	v_sub_f32_e32 v9, v15, v9
	scratch_load_dwordx2 v[14:15], off, off offset:48
	v_mov_b32_e32 v22, s5
	ds_read2_b64 v[102:105], v22 offset1:1
	s_add_i32 s5, s39, s16
	s_waitcnt vmcnt(0) lgkmcnt(0)
	v_mul_f32_e32 v22, v105, v15
	v_fma_f32 v22, v104, v14, -v22
	v_sub_f32_e32 v8, v8, v22
	scratch_load_dwordx2 v[22:23], off, off offset:56
	v_mul_f32_e32 v15, v104, v15
	v_fmac_f32_e32 v15, v105, v14
	v_mov_b32_e32 v14, s5
	ds_read2_b64 v[108:111], v14 offset1:1
	scratch_load_dwordx2 v[26:27], off, off offset:64
	scratch_load_dwordx2 v[30:31], off, off offset:72
	scratch_load_dwordx4 v[86:89], off, off offset:72
	scratch_load_dwordx4 v[34:37], off, off offset:88
	;; [unrolled: 1-line block ×3, first 2 shown]
	s_add_i32 s5, s39, s17
	scratch_load_dwordx4 v[50:53], off, off offset:104
	scratch_load_dwordx4 v[54:57], off, off offset:112
	scratch_load_dwordx4 v[58:61], off, off offset:120
	s_waitcnt vmcnt(8) lgkmcnt(0)
	v_mul_f32_e32 v14, v111, v23
	v_fma_f32 v14, v110, v22, -v14
	v_mul_f32_e32 v23, v110, v23
	v_pk_add_f32 v[8:9], v[8:9], v[14:15] neg_lo:[0,1] neg_hi:[0,1]
	v_mov_b32_e32 v14, s5
	v_fmac_f32_e32 v23, v111, v22
	ds_read2_b64 v[110:113], v14 offset1:1
	s_add_i32 s5, s39, s18
	s_waitcnt vmcnt(7)
	v_mov_b32_e32 v45, v26
	s_waitcnt vmcnt(6)
	v_mov_b32_e32 v44, v30
	v_mov_b32_e32 v15, v30
	s_waitcnt lgkmcnt(0)
	v_mul_f32_e32 v14, v113, v27
	v_fma_f32 v22, v112, v26, -v14
	v_mov_b32_e32 v14, s5
	ds_read2_b64 v[92:95], v14 offset1:1
	v_mov_b32_e32 v49, v112
	v_mov_b32_e32 v26, v31
	v_pk_add_f32 v[8:9], v[8:9], v[22:23] neg_lo:[0,1] neg_hi:[0,1]
	v_mov_b32_e32 v23, v113
	s_waitcnt lgkmcnt(0)
	v_mov_b32_e32 v48, v95
	v_mov_b32_e32 v22, v94
	v_pk_mul_f32 v[26:27], v[48:49], v[26:27]
	s_add_i32 s5, s39, s19
	v_pk_fma_f32 v[22:23], v[22:23], v[44:45], v[26:27]
	v_mov_b32_e32 v47, v31
	v_mov_b32_e32 v22, s5
	ds_read2_b64 v[98:101], v22 offset1:1
	v_pk_fma_f32 v[30:31], v[94:95], v[30:31], v[26:27] neg_lo:[0,0,1] neg_hi:[0,0,1]
	s_waitcnt vmcnt(5)
	v_mov_b32_e32 v46, v89
	v_mov_b32_e32 v31, v23
	v_pk_add_f32 v[8:9], v[8:9], v[30:31] neg_lo:[0,1] neg_hi:[0,1]
	s_waitcnt lgkmcnt(0)
	v_mov_b32_e32 v30, v101
	v_mov_b32_e32 v31, v94
	;; [unrolled: 1-line block ×5, first 2 shown]
	v_pk_mul_f32 v[30:31], v[30:31], v[46:47]
	s_add_i32 s5, s39, s20
	v_pk_fma_f32 v[14:15], v[26:27], v[14:15], v[30:31]
	s_waitcnt vmcnt(4)
	v_mov_b32_e32 v23, v34
	v_mov_b32_e32 v14, s5
	ds_read2_b64 v[104:107], v14 offset1:1
	v_mov_b32_e32 v22, v88
	v_mov_b32_e32 v26, v101
	;; [unrolled: 1-line block ×3, first 2 shown]
	v_pk_fma_f32 v[44:45], v[100:101], v[22:23], v[30:31] neg_lo:[0,0,1] neg_hi:[0,0,1]
	s_waitcnt lgkmcnt(0)
	v_mov_b32_e32 v27, v106
	v_pk_mul_f32 v[22:23], v[26:27], v[22:23]
	v_mov_b32_e32 v26, v107
	v_mov_b32_e32 v27, v100
	v_pk_fma_f32 v[30:31], v[26:27], v[88:89], v[22:23] op_sel:[0,0,1] op_sel_hi:[1,1,0] neg_lo:[1,0,0] neg_hi:[1,0,0]
	v_pk_fma_f32 v[22:23], v[26:27], v[88:89], v[22:23] op_sel:[0,0,1] op_sel_hi:[1,1,0]
	s_add_i32 s5, s39, s21
	v_mov_b32_e32 v22, s5
	ds_read2_b64 v[72:75], v22 offset1:1
	v_mov_b32_e32 v45, v15
	v_pk_add_f32 v[8:9], v[8:9], v[44:45] neg_lo:[0,1] neg_hi:[0,1]
	v_mov_b32_e32 v15, v36
	v_mov_b32_e32 v36, v35
	;; [unrolled: 1-line block ×3, first 2 shown]
	s_waitcnt lgkmcnt(0)
	v_mov_b32_e32 v107, v75
	v_mov_b32_e32 v14, v34
	v_pk_add_f32 v[8:9], v[8:9], v[30:31] neg_lo:[0,1] neg_hi:[0,1]
	v_mov_b32_e32 v27, v74
	v_pk_mul_f32 v[30:31], v[106:107], v[36:37]
	s_add_i32 s5, s39, s22
	v_pk_fma_f32 v[34:35], v[26:27], v[14:15], v[30:31] neg_lo:[0,0,1] neg_hi:[0,0,1]
	v_pk_fma_f32 v[14:15], v[26:27], v[14:15], v[30:31]
	s_waitcnt vmcnt(3)
	v_mov_b32_e32 v23, v40
	v_pk_mov_b32 v[14:15], v[34:35], v[14:15] op_sel:[1,0]
	scratch_load_dwordx4 v[34:37], off, off offset:128
	v_pk_add_f32 v[8:9], v[8:9], v[14:15] neg_lo:[0,1] neg_hi:[0,1]
	v_mov_b32_e32 v14, s5
	ds_read2_b64 v[44:47], v14 offset1:1
	v_mov_b32_e32 v40, v39
	v_mov_b32_e32 v26, v75
	;; [unrolled: 1-line block ×3, first 2 shown]
	s_add_i32 s5, s39, s23
	s_waitcnt lgkmcnt(0)
	v_mov_b32_e32 v75, v47
	v_mov_b32_e32 v27, v46
	v_pk_mul_f32 v[30:31], v[74:75], v[40:41]
	s_waitcnt vmcnt(3)
	v_mov_b32_e32 v14, v50
	v_pk_fma_f32 v[38:39], v[26:27], v[22:23], v[30:31] neg_lo:[0,0,1] neg_hi:[0,0,1]
	v_pk_fma_f32 v[22:23], v[26:27], v[22:23], v[30:31]
	v_mov_b32_e32 v15, v52
	v_pk_mov_b32 v[22:23], v[38:39], v[22:23] op_sel:[1,0]
	v_mov_b32_e32 v52, v51
	v_pk_add_f32 v[8:9], v[8:9], v[22:23] neg_lo:[0,1] neg_hi:[0,1]
	v_mov_b32_e32 v22, s5
	ds_read2_b64 v[48:51], v22 offset1:1
	v_mov_b32_e32 v26, v47
	s_add_i32 s5, s39, s24
	s_waitcnt vmcnt(2)
	v_mov_b32_e32 v22, v54
	v_mov_b32_e32 v23, v56
	s_waitcnt lgkmcnt(0)
	v_mov_b32_e32 v47, v51
	v_mov_b32_e32 v27, v50
	v_pk_mul_f32 v[30:31], v[46:47], v[52:53]
	v_mov_b32_e32 v56, v55
	v_pk_fma_f32 v[38:39], v[26:27], v[14:15], v[30:31] neg_lo:[0,0,1] neg_hi:[0,0,1]
	v_pk_fma_f32 v[14:15], v[26:27], v[14:15], v[30:31]
	v_mov_b32_e32 v26, v51
	v_pk_mov_b32 v[14:15], v[38:39], v[14:15] op_sel:[1,0]
	s_nop 0
	v_pk_add_f32 v[8:9], v[8:9], v[14:15] neg_lo:[0,1] neg_hi:[0,1]
	v_mov_b32_e32 v14, s5
	ds_read2_b64 v[52:55], v14 offset1:1
	s_add_i32 s5, s39, s25
	s_waitcnt vmcnt(1)
	v_mov_b32_e32 v14, v58
	v_mov_b32_e32 v15, v60
	;; [unrolled: 1-line block ×3, first 2 shown]
	s_waitcnt lgkmcnt(0)
	v_mov_b32_e32 v51, v55
	v_mov_b32_e32 v27, v54
	v_pk_mul_f32 v[30:31], v[50:51], v[56:57]
	s_nop 0
	v_pk_fma_f32 v[38:39], v[26:27], v[22:23], v[30:31] neg_lo:[0,0,1] neg_hi:[0,0,1]
	v_pk_fma_f32 v[22:23], v[26:27], v[22:23], v[30:31]
	v_mov_b32_e32 v26, v55
	v_pk_mov_b32 v[22:23], v[38:39], v[22:23] op_sel:[1,0]
	s_waitcnt vmcnt(0)
	v_mov_b32_e32 v30, v35
	v_pk_add_f32 v[8:9], v[8:9], v[22:23] neg_lo:[0,1] neg_hi:[0,1]
	v_mov_b32_e32 v22, s5
	ds_read2_b64 v[56:59], v22 offset1:1
	v_mov_b32_e32 v22, v34
	s_add_i32 s5, s39, s26
	v_mov_b32_e32 v31, v37
	v_mov_b32_e32 v23, v36
	s_waitcnt lgkmcnt(0)
	v_mov_b32_e32 v55, v59
	v_mov_b32_e32 v27, v58
	v_pk_mul_f32 v[34:35], v[54:55], v[60:61]
	s_nop 0
	v_pk_fma_f32 v[38:39], v[26:27], v[14:15], v[34:35] neg_lo:[0,0,1] neg_hi:[0,0,1]
	v_pk_fma_f32 v[14:15], v[26:27], v[14:15], v[34:35]
	s_nop 0
	v_pk_mov_b32 v[14:15], v[38:39], v[14:15] op_sel:[1,0]
	s_nop 0
	v_pk_add_f32 v[8:9], v[8:9], v[14:15] neg_lo:[0,1] neg_hi:[0,1]
	v_mov_b32_e32 v14, s5
	ds_read2_b64 v[60:63], v14 offset1:1
	v_mov_b32_e32 v14, v59
	s_add_i32 s5, s39, s27
	s_waitcnt lgkmcnt(0)
	v_mov_b32_e32 v59, v63
	v_mov_b32_e32 v15, v62
	v_pk_mul_f32 v[26:27], v[58:59], v[30:31]
	s_nop 0
	v_pk_fma_f32 v[30:31], v[14:15], v[22:23], v[26:27] neg_lo:[0,0,1] neg_hi:[0,0,1]
	v_pk_fma_f32 v[14:15], v[14:15], v[22:23], v[26:27]
	s_nop 0
	v_pk_mov_b32 v[14:15], v[30:31], v[14:15] op_sel:[1,0]
	s_nop 0
	v_pk_add_f32 v[8:9], v[8:9], v[14:15] neg_lo:[0,1] neg_hi:[0,1]
	v_mul_f32_e32 v14, v63, v36
	v_fmac_f32_e32 v14, v62, v37
	v_sub_f32_e32 v9, v9, v14
	v_mov_b32_e32 v14, s5
	ds_read2_b64 v[62:65], v14 offset1:1
	s_add_i32 s5, s39, s30
	v_mov_b32_e32 v22, s5
	s_add_i32 s5, s39, s31
	s_waitcnt lgkmcnt(0)
	v_mul_f32_e32 v14, v65, v33
	v_mul_f32_e32 v15, v64, v33
	v_fma_f32 v14, v64, v32, -v14
	v_fmac_f32_e32 v15, v65, v32
	v_sub_f32_e32 v14, v8, v14
	v_sub_f32_e32 v15, v9, v15
	scratch_load_dwordx2 v[8:9], off, off offset:152
	ds_read2_b64 v[64:67], v22 offset1:1
	s_waitcnt vmcnt(0) lgkmcnt(0)
	v_mul_f32_e32 v22, v67, v9
	v_mul_f32_e32 v9, v66, v9
	v_fmac_f32_e32 v9, v67, v8
	v_fma_f32 v22, v66, v8, -v22
	v_sub_f32_e32 v15, v15, v9
	scratch_load_dwordx2 v[8:9], off, off offset:160
	v_sub_f32_e32 v14, v14, v22
	v_mov_b32_e32 v22, s5
	ds_read2_b64 v[66:69], v22 offset1:1
	s_add_i32 s5, s39, s33
	s_waitcnt vmcnt(0) lgkmcnt(0)
	v_mul_f32_e32 v22, v69, v9
	v_mul_f32_e32 v9, v68, v9
	v_fmac_f32_e32 v9, v69, v8
	v_fma_f32 v22, v68, v8, -v22
	v_sub_f32_e32 v15, v15, v9
	scratch_load_dwordx2 v[8:9], off, off offset:168
	v_sub_f32_e32 v14, v14, v22
	v_mov_b32_e32 v22, s5
	ds_read2_b64 v[68:71], v22 offset1:1
	s_add_i32 s5, s39, s35
	;; [unrolled: 11-line block ×3, first 2 shown]
	s_waitcnt vmcnt(0) lgkmcnt(0)
	v_mul_f32_e32 v22, v33, v9
	v_fma_f32 v22, v32, v8, -v22
	v_mul_f32_e32 v9, v32, v9
	v_fmac_f32_e32 v9, v33, v8
	v_sub_f32_e32 v8, v14, v22
	v_mov_b32_e32 v14, s5
	ds_read2_b64 v[32:35], v14 offset1:1
	s_add_i32 s5, s39, s37
	v_sub_f32_e32 v9, v15, v9
	s_waitcnt lgkmcnt(0)
	v_mul_f32_e32 v14, v35, v131
	v_fma_f32 v14, v34, v130, -v14
	v_mul_f32_e32 v15, v34, v131
	v_sub_f32_e32 v8, v8, v14
	v_mov_b32_e32 v14, s5
	v_fmac_f32_e32 v15, v35, v130
	ds_read2_b64 v[34:37], v14 offset1:1
	s_add_i32 s5, s39, s38
	v_sub_f32_e32 v9, v9, v15
	s_waitcnt lgkmcnt(0)
	v_mul_f32_e32 v14, v37, v119
	v_fma_f32 v14, v36, v118, -v14
	v_mul_f32_e32 v15, v36, v119
	v_sub_f32_e32 v8, v8, v14
	v_mov_b32_e32 v14, s5
	v_fmac_f32_e32 v15, v37, v118
	ds_read2_b64 v[36:39], v14 offset1:1
	s_add_i32 s5, s39, s10
	v_sub_f32_e32 v9, v9, v15
	s_waitcnt lgkmcnt(0)
	v_mul_f32_e32 v14, v39, v115
	v_fma_f32 v14, v38, v114, -v14
	v_mul_f32_e32 v15, v38, v115
	v_sub_f32_e32 v8, v8, v14
	v_mov_b32_e32 v14, s5
	v_fmac_f32_e32 v15, v39, v114
	ds_read2_b64 v[38:41], v14 offset1:1
	v_sub_f32_e32 v9, v9, v15
	v_mov_b32_e32 v15, v93
	s_waitcnt lgkmcnt(0)
	v_mul_f32_e32 v14, v41, v9
	v_mul_f32_e32 v47, v40, v9
	v_fma_f32 v46, v40, v8, -v14
	v_fmac_f32_e32 v47, v41, v8
	v_add_u32_e32 v8, s10, v1
	v_mul_f32_e32 v9, v78, v17
	ds_write_b64 v8, v[46:47]
	v_mul_f32_e32 v8, v79, v17
	v_fmac_f32_e32 v9, v79, v16
	v_mul_f32_e32 v14, v81, v11
	v_mul_f32_e32 v11, v80, v11
	v_fma_f32 v8, v78, v16, -v8
	v_sub_f32_e32 v9, v125, v9
	v_fmac_f32_e32 v11, v81, v10
	v_sub_f32_e32 v8, v124, v8
	v_fma_f32 v14, v80, v10, -v14
	v_sub_f32_e32 v9, v9, v11
	v_mul_f32_e32 v10, v83, v13
	v_mul_f32_e32 v11, v82, v13
	v_sub_f32_e32 v8, v8, v14
	v_fma_f32 v10, v82, v12, -v10
	v_fmac_f32_e32 v11, v83, v12
	v_sub_f32_e32 v8, v8, v10
	v_sub_f32_e32 v9, v9, v11
	v_mul_f32_e32 v10, v85, v19
	v_mul_f32_e32 v11, v84, v19
	v_fma_f32 v10, v84, v18, -v10
	v_fmac_f32_e32 v11, v85, v18
	v_sub_f32_e32 v8, v8, v10
	v_sub_f32_e32 v9, v9, v11
	v_mul_f32_e32 v10, v91, v29
	v_mul_f32_e32 v11, v90, v29
	;; [unrolled: 6-line block ×3, first 2 shown]
	v_fma_f32 v10, v96, v24, -v10
	v_fmac_f32_e32 v11, v97, v24
	scratch_load_dwordx4 v[24:27], off, off offset:80
	v_sub_f32_e32 v8, v8, v10
	v_sub_f32_e32 v9, v9, v11
	v_mul_f32_e32 v10, v103, v21
	v_mul_f32_e32 v11, v102, v21
	v_fma_f32 v10, v102, v20, -v10
	v_fmac_f32_e32 v11, v103, v20
	scratch_load_dwordx4 v[20:23], off, off offset:96
	v_sub_f32_e32 v8, v8, v10
	v_mul_f32_e32 v10, v109, v43
	v_fma_f32 v10, v108, v42, -v10
	v_sub_f32_e32 v9, v9, v11
	v_mul_f32_e32 v11, v108, v43
	v_sub_f32_e32 v8, v8, v10
	v_mul_f32_e32 v10, v111, v77
	v_fmac_f32_e32 v11, v109, v42
	v_fma_f32 v10, v110, v76, -v10
	v_mul_f32_e32 v13, v110, v77
	v_pk_add_f32 v[8:9], v[8:9], v[10:11] neg_lo:[0,1] neg_hi:[0,1]
	v_mul_f32_e32 v10, v93, v87
	v_fmac_f32_e32 v13, v111, v76
	v_fma_f32 v12, v92, v86, -v10
	v_pk_add_f32 v[12:13], v[8:9], v[12:13] neg_lo:[0,1] neg_hi:[0,1]
	scratch_load_dwordx4 v[8:11], off, off offset:104
	v_mov_b32_e32 v19, v86
	v_mov_b32_e32 v40, v99
	;; [unrolled: 1-line block ×6, first 2 shown]
	s_waitcnt vmcnt(2)
	v_mov_b32_e32 v86, v25
	v_mov_b32_e32 v18, v24
	v_pk_mul_f32 v[40:41], v[40:41], v[86:87]
	v_mov_b32_e32 v17, v24
	v_mov_b32_e32 v29, v25
	v_pk_fma_f32 v[24:25], v[98:99], v[24:25], v[40:41] neg_lo:[0,0,1] neg_hi:[0,0,1]
	v_pk_fma_f32 v[14:15], v[14:15], v[18:19], v[40:41]
	v_mov_b32_e32 v28, v27
	v_mov_b32_e32 v25, v15
	;; [unrolled: 1-line block ×3, first 2 shown]
	v_pk_add_f32 v[18:19], v[12:13], v[24:25] neg_lo:[0,1] neg_hi:[0,1]
	v_mov_b32_e32 v24, v26
	s_waitcnt vmcnt(1)
	v_mov_b32_e32 v25, v20
	v_mov_b32_e32 v40, v104
	;; [unrolled: 1-line block ×3, first 2 shown]
	v_pk_mul_f32 v[28:29], v[42:43], v[28:29]
	scratch_load_dwordx4 v[12:15], off, off offset:112
	v_pk_fma_f32 v[42:43], v[104:105], v[24:25], v[28:29] neg_lo:[0,0,1] neg_hi:[0,0,1]
	v_pk_fma_f32 v[16:17], v[40:41], v[16:17], v[28:29]
	v_mov_b32_e32 v26, v21
	v_mov_b32_e32 v43, v17
	;; [unrolled: 1-line block ×6, first 2 shown]
	v_pk_mul_f32 v[24:25], v[16:17], v[24:25]
	v_mov_b32_e32 v22, v21
	v_mov_b32_e32 v20, v73
	;; [unrolled: 1-line block ×3, first 2 shown]
	v_pk_add_f32 v[40:41], v[18:19], v[42:43] neg_lo:[0,1] neg_hi:[0,1]
	scratch_load_dwordx4 v[16:19], off, off offset:120
	v_pk_fma_f32 v[42:43], v[20:21], v[26:27], v[24:25] op_sel:[0,0,1] op_sel_hi:[1,1,0] neg_lo:[1,0,0] neg_hi:[1,0,0]
	v_pk_fma_f32 v[20:21], v[20:21], v[26:27], v[24:25] op_sel:[0,0,1] op_sel_hi:[1,1,0]
	scratch_load_dwordx4 v[24:27], off, off offset:128
	v_mov_b32_e32 v43, v21
	v_pk_add_f32 v[40:41], v[40:41], v[42:43] neg_lo:[0,1] neg_hi:[0,1]
	v_mov_b32_e32 v42, v73
	v_mov_b32_e32 v73, v45
	s_waitcnt vmcnt(3)
	v_mov_b32_e32 v20, v8
	v_mov_b32_e32 v21, v10
	;; [unrolled: 1-line block ×4, first 2 shown]
	v_pk_mul_f32 v[8:9], v[72:73], v[22:23]
	s_nop 0
	v_pk_fma_f32 v[22:23], v[42:43], v[28:29], v[8:9] neg_lo:[0,0,1] neg_hi:[0,0,1]
	v_pk_fma_f32 v[8:9], v[42:43], v[28:29], v[8:9]
	v_mov_b32_e32 v28, v45
	v_pk_mov_b32 v[8:9], v[22:23], v[8:9] op_sel:[1,0]
	v_mov_b32_e32 v45, v49
	v_pk_add_f32 v[22:23], v[40:41], v[8:9] neg_lo:[0,1] neg_hi:[0,1]
	scratch_load_dwordx4 v[40:43], off, off offset:136
	v_mov_b32_e32 v29, v48
	v_pk_mul_f32 v[10:11], v[44:45], v[10:11]
	s_waitcnt vmcnt(3)
	v_mov_b32_e32 v8, v12
	v_mov_b32_e32 v9, v14
	;; [unrolled: 1-line block ×3, first 2 shown]
	v_pk_fma_f32 v[12:13], v[28:29], v[20:21], v[10:11] neg_lo:[0,0,1] neg_hi:[0,0,1]
	v_pk_fma_f32 v[10:11], v[28:29], v[20:21], v[10:11]
	v_mov_b32_e32 v20, v49
	v_mov_b32_e32 v49, v53
	;; [unrolled: 1-line block ×3, first 2 shown]
	v_pk_mul_f32 v[14:15], v[48:49], v[14:15]
	v_pk_mov_b32 v[10:11], v[12:13], v[10:11] op_sel:[1,0]
	s_waitcnt vmcnt(2)
	v_mov_b32_e32 v12, v16
	v_mov_b32_e32 v13, v18
	;; [unrolled: 1-line block ×3, first 2 shown]
	v_pk_fma_f32 v[16:17], v[20:21], v[8:9], v[14:15] neg_lo:[0,0,1] neg_hi:[0,0,1]
	v_pk_fma_f32 v[8:9], v[20:21], v[8:9], v[14:15]
	v_mov_b32_e32 v14, v53
	v_mov_b32_e32 v53, v57
	v_pk_add_f32 v[10:11], v[22:23], v[10:11] neg_lo:[0,1] neg_hi:[0,1]
	v_pk_mov_b32 v[8:9], v[16:17], v[8:9] op_sel:[1,0]
	v_mov_b32_e32 v15, v56
	v_pk_mul_f32 v[16:17], v[52:53], v[18:19]
	v_pk_add_f32 v[8:9], v[10:11], v[8:9] neg_lo:[0,1] neg_hi:[0,1]
	s_waitcnt vmcnt(1)
	v_mov_b32_e32 v11, v26
	v_mov_b32_e32 v26, v25
	v_pk_fma_f32 v[18:19], v[14:15], v[12:13], v[16:17] neg_lo:[0,0,1] neg_hi:[0,0,1]
	v_pk_fma_f32 v[12:13], v[14:15], v[12:13], v[16:17]
	v_mov_b32_e32 v14, v57
	v_mov_b32_e32 v57, v61
	;; [unrolled: 1-line block ×3, first 2 shown]
	v_pk_mov_b32 v[12:13], v[18:19], v[12:13] op_sel:[1,0]
	v_mov_b32_e32 v15, v60
	v_pk_mul_f32 v[18:19], v[56:57], v[26:27]
	v_pk_add_f32 v[8:9], v[8:9], v[12:13] neg_lo:[0,1] neg_hi:[0,1]
	v_pk_fma_f32 v[20:21], v[14:15], v[10:11], v[18:19] neg_lo:[0,0,1] neg_hi:[0,0,1]
	v_pk_fma_f32 v[10:11], v[14:15], v[10:11], v[18:19]
	s_waitcnt vmcnt(0)
	v_mov_b32_e32 v16, v41
	v_pk_mov_b32 v[10:11], v[20:21], v[10:11] op_sel:[1,0]
	v_mov_b32_e32 v17, v43
	v_pk_add_f32 v[8:9], v[8:9], v[10:11] neg_lo:[0,1] neg_hi:[0,1]
	v_mov_b32_e32 v10, v61
	v_mov_b32_e32 v61, v63
	;; [unrolled: 1-line block ×5, first 2 shown]
	v_pk_mul_f32 v[14:15], v[60:61], v[16:17]
	s_nop 0
	v_pk_fma_f32 v[16:17], v[10:11], v[12:13], v[14:15] neg_lo:[0,0,1] neg_hi:[0,0,1]
	v_pk_fma_f32 v[10:11], v[10:11], v[12:13], v[14:15]
	v_mov_b32_e32 v12, v43
	v_pk_mov_b32 v[10:11], v[16:17], v[10:11] op_sel:[1,0]
	v_mov_b32_e32 v13, v5
	v_pk_add_f32 v[8:9], v[8:9], v[10:11] neg_lo:[0,1] neg_hi:[0,1]
	v_mov_b32_e32 v10, v62
	v_mov_b32_e32 v11, v64
	v_pk_mul_f32 v[10:11], v[10:11], v[12:13]
	v_mov_b32_e32 v12, v63
	v_mov_b32_e32 v13, v65
	;; [unrolled: 1-line block ×3, first 2 shown]
	v_mul_f32_e32 v5, v65, v5
	v_pk_fma_f32 v[10:11], v[12:13], v[42:43], v[10:11]
	v_fma_f32 v4, v64, v4, -v5
	v_sub_f32_e32 v4, v8, v4
	v_sub_f32_e32 v5, v9, v10
	v_mul_f32_e32 v8, v67, v7
	v_mul_f32_e32 v7, v66, v7
	v_sub_f32_e32 v5, v5, v11
	v_fma_f32 v8, v66, v6, -v8
	v_fmac_f32_e32 v7, v67, v6
	v_mul_f32_e32 v6, v69, v3
	v_mul_f32_e32 v3, v68, v3
	v_sub_f32_e32 v5, v5, v7
	v_fmac_f32_e32 v3, v69, v2
	v_fma_f32 v6, v68, v2, -v6
	v_sub_f32_e32 v5, v5, v3
	scratch_load_dwordx2 v[2:3], off, off offset:176
	v_sub_f32_e32 v4, v4, v8
	v_sub_f32_e32 v4, v4, v6
	s_waitcnt vmcnt(0)
	v_mul_f32_e32 v6, v31, v3
	v_mul_f32_e32 v3, v30, v3
	v_fma_f32 v6, v30, v2, -v6
	v_fmac_f32_e32 v3, v31, v2
	v_sub_f32_e32 v2, v4, v6
	v_sub_f32_e32 v3, v5, v3
	v_mul_f32_e32 v4, v33, v131
	v_mul_f32_e32 v5, v32, v131
	v_fma_f32 v4, v32, v130, -v4
	v_fmac_f32_e32 v5, v33, v130
	v_sub_f32_e32 v2, v2, v4
	v_sub_f32_e32 v3, v3, v5
	;; [unrolled: 6-line block ×5, first 2 shown]
	v_mov_b32_e32 v3, s4
	ds_read_b64 v[6:7], v3
	s_waitcnt lgkmcnt(0)
	v_pk_mul_f32 v[4:5], v[6:7], v[4:5] op_sel:[1,0] op_sel_hi:[0,0]
	v_pk_fma_f32 v[8:9], v[6:7], v[2:3], v[4:5] neg_lo:[0,0,1] neg_hi:[0,0,1]
	v_pk_fma_f32 v[2:3], v[6:7], v[2:3], v[4:5] op_sel_hi:[1,0,1]
	s_nop 0
	v_mov_b32_e32 v9, v3
	v_lshl_add_u32 v2, s34, 8, v1
	ds_write_b64 v2, v[8:9]
.LBB168_55:
	s_cmp_lt_i32 s6, 0
	s_cbranch_scc1 .LBB168_73
; %bb.56:
	s_bitcmp1_b32 s6, 0
	s_cselect_b64 s[4:5], -1, 0
	s_and_b64 vcc, exec, s[4:5]
	s_mov_b32 s4, s6
	s_cbranch_vccnz .LBB168_62
; %bb.57:
	s_lshl_b32 s4, s6, 8
	v_add_u32_e32 v4, s4, v1
	ds_read_b64 v[2:3], v4
	s_cmp_le_i32 s7, s6
	s_waitcnt lgkmcnt(0)
	scratch_store_dwordx2 off, v[2:3], off
	s_cbranch_scc1 .LBB168_61
; %bb.58:
	s_lshl_b32 s5, s28, 8
	s_lshl_b32 s4, s6, 3
	s_add_i32 s4, s5, s4
	v_lshl_or_b32 v5, v0, 3, s5
	s_addk_i32 s4, 0xff00
	v_add_u32_e32 v5, 0x1f00, v5
	s_mov_b32 s5, s7
.LBB168_59:                             ; =>This Inner Loop Header: Depth=1
	v_mov_b32_e32 v8, s4
	ds_read_b64 v[6:7], v5
	ds_read_b64 v[8:9], v8
	s_add_i32 s5, s5, -1
	s_addk_i32 s4, 0xff00
	v_add_u32_e32 v5, 0xffffff00, v5
	s_cmp_gt_i32 s5, s6
	s_waitcnt lgkmcnt(0)
	v_pk_mul_f32 v[10:11], v[8:9], v[6:7] op_sel:[1,1] op_sel_hi:[0,1]
	v_pk_fma_f32 v[12:13], v[8:9], v[6:7], v[10:11] neg_lo:[0,0,1] neg_hi:[0,0,1]
	v_pk_fma_f32 v[6:7], v[8:9], v[6:7], v[10:11] op_sel_hi:[1,0,1]
	s_nop 0
	v_mov_b32_e32 v13, v7
	v_pk_add_f32 v[2:3], v[2:3], v[12:13] neg_lo:[0,1] neg_hi:[0,1]
	s_cbranch_scc1 .LBB168_59
; %bb.60:
	scratch_store_dwordx2 off, v[2:3], off
.LBB168_61:
	s_mul_i32 s4, s6, 0x108
	v_mov_b32_e32 v5, s4
	ds_read_b64 v[6:7], v5
	v_mov_b32_e32 v8, v3
	s_add_i32 s4, s6, -1
	s_waitcnt lgkmcnt(0)
	v_pk_mul_f32 v[8:9], v[6:7], v[8:9] op_sel:[1,0] op_sel_hi:[0,0]
	v_pk_fma_f32 v[10:11], v[6:7], v[2:3], v[8:9] op_sel_hi:[1,0,1] neg_lo:[0,0,1] neg_hi:[0,0,1]
	v_pk_fma_f32 v[2:3], v[6:7], v[2:3], v[8:9] op_sel_hi:[1,0,1]
	s_nop 0
	v_mov_b32_e32 v11, v3
	scratch_store_dwordx2 off, v[10:11], off
	ds_write_b64 v4, v[10:11]
.LBB168_62:
	s_cmp_eq_u32 s6, 0
	s_cbranch_scc1 .LBB168_73
; %bb.63:
	s_lshl_b32 s6, s28, 8
	s_lshl_b32 s5, s4, 3
	s_add_i32 s10, s6, s5
	v_lshl_or_b32 v2, v0, 3, s6
	s_add_i32 s5, s10, 0xffffff00
	v_add_u32_e32 v7, 0x1f00, v2
	s_add_i32 s6, s10, 0xfffffef8
	s_branch .LBB168_65
.LBB168_64:                             ;   in Loop: Header=BB168_65 Depth=1
	s_addk_i32 s10, 0xfef8
	v_mov_b32_e32 v4, v3
	v_mov_b32_e32 v3, s10
	ds_read_b64 v[8:9], v3
	s_add_i32 s10, s4, -2
	s_add_i32 s5, s5, -16
	;; [unrolled: 1-line block ×3, first 2 shown]
	s_cmp_lt_i32 s4, 2
	s_waitcnt lgkmcnt(0)
	v_pk_mul_f32 v[10:11], v[8:9], v[4:5] op_sel:[1,0] op_sel_hi:[0,0]
	v_pk_fma_f32 v[12:13], v[8:9], v[2:3], v[10:11] op_sel_hi:[1,0,1] neg_lo:[0,0,1] neg_hi:[0,0,1]
	v_pk_fma_f32 v[2:3], v[8:9], v[2:3], v[10:11] op_sel_hi:[1,0,1]
	s_mov_b32 s4, s10
	v_mov_b32_e32 v13, v3
	scratch_store_dwordx2 off, v[12:13], off
	ds_write_b64 v5, v[12:13]
	s_cbranch_scc1 .LBB168_73
.LBB168_65:                             ; =>This Loop Header: Depth=1
                                        ;     Child Loop BB168_67 Depth 2
                                        ;     Child Loop BB168_71 Depth 2
	s_lshl_b32 s11, s4, 8
	v_add_u32_e32 v8, s11, v1
	ds_read_b64 v[4:5], v8
	s_cmp_le_i32 s7, s4
	s_waitcnt lgkmcnt(0)
	scratch_store_dwordx2 off, v[4:5], off
	s_cbranch_scc1 .LBB168_69
; %bb.66:                               ;   in Loop: Header=BB168_65 Depth=1
	v_mov_b32_e32 v2, v7
	s_mov_b32 s10, s5
	s_mov_b32 s12, s7
.LBB168_67:                             ;   Parent Loop BB168_65 Depth=1
                                        ; =>  This Inner Loop Header: Depth=2
	v_mov_b32_e32 v3, s10
	ds_read_b64 v[10:11], v2
	ds_read_b64 v[12:13], v3
	s_add_i32 s12, s12, -1
	s_addk_i32 s10, 0xff00
	v_add_u32_e32 v2, 0xffffff00, v2
	s_cmp_gt_i32 s12, s4
	s_waitcnt lgkmcnt(0)
	v_pk_mul_f32 v[14:15], v[12:13], v[10:11] op_sel:[1,1] op_sel_hi:[0,1]
	v_pk_fma_f32 v[16:17], v[12:13], v[10:11], v[14:15] neg_lo:[0,0,1] neg_hi:[0,0,1]
	v_pk_fma_f32 v[10:11], v[12:13], v[10:11], v[14:15] op_sel_hi:[1,0,1]
	s_nop 0
	v_mov_b32_e32 v17, v11
	v_pk_add_f32 v[4:5], v[4:5], v[16:17] neg_lo:[0,1] neg_hi:[0,1]
	s_cbranch_scc1 .LBB168_67
; %bb.68:                               ;   in Loop: Header=BB168_65 Depth=1
	scratch_store_dwordx2 off, v[4:5], off
.LBB168_69:                             ;   in Loop: Header=BB168_65 Depth=1
	s_mul_i32 s10, s4, 0x108
	v_mov_b32_e32 v2, s10
	ds_read_b64 v[10:11], v2
	s_addk_i32 s11, 0xff00
	v_mov_b32_e32 v6, v5
	v_add_u32_e32 v5, s11, v1
	ds_read_b64 v[2:3], v5
	s_waitcnt lgkmcnt(1)
	v_pk_mul_f32 v[12:13], v[10:11], v[6:7] op_sel:[1,0] op_sel_hi:[0,0]
	v_pk_fma_f32 v[14:15], v[10:11], v[4:5], v[12:13] op_sel_hi:[1,0,1] neg_lo:[0,0,1] neg_hi:[0,0,1]
	v_pk_fma_f32 v[10:11], v[10:11], v[4:5], v[12:13] op_sel_hi:[1,0,1]
	s_cmp_le_i32 s28, s4
	v_mov_b32_e32 v15, v11
	ds_write_b64 v8, v[14:15]
	s_waitcnt lgkmcnt(1)
	scratch_store_dwordx2 off, v[2:3], off
	s_cbranch_scc1 .LBB168_64
; %bb.70:                               ;   in Loop: Header=BB168_65 Depth=1
	v_mov_b32_e32 v4, v7
	s_mov_b32 s11, s6
	s_mov_b32 s12, s28
.LBB168_71:                             ;   Parent Loop BB168_65 Depth=1
                                        ; =>  This Inner Loop Header: Depth=2
	v_mov_b32_e32 v6, s11
	ds_read_b64 v[8:9], v4
	ds_read_b64 v[10:11], v6
	s_add_i32 s12, s12, -1
	s_addk_i32 s11, 0xff00
	v_add_u32_e32 v4, 0xffffff00, v4
	s_cmp_gt_i32 s12, s4
	s_waitcnt lgkmcnt(0)
	v_pk_mul_f32 v[12:13], v[10:11], v[8:9] op_sel:[1,1] op_sel_hi:[0,1]
	v_pk_fma_f32 v[14:15], v[10:11], v[8:9], v[12:13] neg_lo:[0,0,1] neg_hi:[0,0,1]
	v_pk_fma_f32 v[8:9], v[10:11], v[8:9], v[12:13] op_sel_hi:[1,0,1]
	s_nop 0
	v_mov_b32_e32 v15, v9
	v_pk_add_f32 v[2:3], v[2:3], v[14:15] neg_lo:[0,1] neg_hi:[0,1]
	s_cbranch_scc1 .LBB168_71
; %bb.72:                               ;   in Loop: Header=BB168_65 Depth=1
	scratch_store_dwordx2 off, v[2:3], off
	s_branch .LBB168_64
.LBB168_73:
	s_waitcnt lgkmcnt(0)
	; wave barrier
	s_and_saveexec_b64 s[4:5], s[0:1]
	s_cbranch_execz .LBB168_77
; %bb.74:
	s_andn2_b64 vcc, exec, s[8:9]
	s_cbranch_vccnz .LBB168_77
; %bb.75:
	v_mad_i64_i32 v[2:3], s[0:1], s29, v0, 0
	v_mov_b32_e32 v1, 0x2000
	v_lshl_add_u64 v[2:3], v[2:3], 3, s[2:3]
	v_lshl_or_b32 v0, v0, 3, v1
.LBB168_76:                             ; =>This Inner Loop Header: Depth=1
	ds_read_b64 v[4:5], v0
	s_add_i32 s28, s28, -1
	v_add_u32_e32 v0, 0x100, v0
	s_cmp_lg_u32 s28, 0
	s_waitcnt lgkmcnt(0)
	flat_store_dwordx2 v[2:3], v[4:5]
	v_lshl_add_u64 v[2:3], v[2:3], 0, 8
	s_cbranch_scc1 .LBB168_76
.LBB168_77:
	s_endpgm
	.section	.rodata,"a",@progbits
	.p2align	6, 0x0
	.amdhsa_kernel _ZL38rocblas_trsm_small_left_device_sharedBILi32ELi32ELb0E19rocblas_complex_numIfES1_PKPKS1_PKPS1_Ev13rocblas_fill_18rocblas_operation_17rocblas_diagonal_iiT3_T4_lilT5_lili
		.amdhsa_group_segment_fixed_size 16384
		.amdhsa_private_segment_fixed_size 192
		.amdhsa_kernarg_size 360
		.amdhsa_user_sgpr_count 2
		.amdhsa_user_sgpr_dispatch_ptr 0
		.amdhsa_user_sgpr_queue_ptr 0
		.amdhsa_user_sgpr_kernarg_segment_ptr 1
		.amdhsa_user_sgpr_dispatch_id 0
		.amdhsa_user_sgpr_kernarg_preload_length 0
		.amdhsa_user_sgpr_kernarg_preload_offset 0
		.amdhsa_user_sgpr_private_segment_size 0
		.amdhsa_uses_dynamic_stack 0
		.amdhsa_enable_private_segment 1
		.amdhsa_system_sgpr_workgroup_id_x 1
		.amdhsa_system_sgpr_workgroup_id_y 0
		.amdhsa_system_sgpr_workgroup_id_z 1
		.amdhsa_system_sgpr_workgroup_info 0
		.amdhsa_system_vgpr_workitem_id 0
		.amdhsa_next_free_vgpr 178
		.amdhsa_next_free_sgpr 96
		.amdhsa_accum_offset 180
		.amdhsa_reserve_vcc 1
		.amdhsa_float_round_mode_32 0
		.amdhsa_float_round_mode_16_64 0
		.amdhsa_float_denorm_mode_32 3
		.amdhsa_float_denorm_mode_16_64 3
		.amdhsa_dx10_clamp 1
		.amdhsa_ieee_mode 1
		.amdhsa_fp16_overflow 0
		.amdhsa_tg_split 0
		.amdhsa_exception_fp_ieee_invalid_op 0
		.amdhsa_exception_fp_denorm_src 0
		.amdhsa_exception_fp_ieee_div_zero 0
		.amdhsa_exception_fp_ieee_overflow 0
		.amdhsa_exception_fp_ieee_underflow 0
		.amdhsa_exception_fp_ieee_inexact 0
		.amdhsa_exception_int_div_zero 0
	.end_amdhsa_kernel
	.section	.text._ZL38rocblas_trsm_small_left_device_sharedBILi32ELi32ELb0E19rocblas_complex_numIfES1_PKPKS1_PKPS1_Ev13rocblas_fill_18rocblas_operation_17rocblas_diagonal_iiT3_T4_lilT5_lili,"axG",@progbits,_ZL38rocblas_trsm_small_left_device_sharedBILi32ELi32ELb0E19rocblas_complex_numIfES1_PKPKS1_PKPS1_Ev13rocblas_fill_18rocblas_operation_17rocblas_diagonal_iiT3_T4_lilT5_lili,comdat
.Lfunc_end168:
	.size	_ZL38rocblas_trsm_small_left_device_sharedBILi32ELi32ELb0E19rocblas_complex_numIfES1_PKPKS1_PKPS1_Ev13rocblas_fill_18rocblas_operation_17rocblas_diagonal_iiT3_T4_lilT5_lili, .Lfunc_end168-_ZL38rocblas_trsm_small_left_device_sharedBILi32ELi32ELb0E19rocblas_complex_numIfES1_PKPKS1_PKPS1_Ev13rocblas_fill_18rocblas_operation_17rocblas_diagonal_iiT3_T4_lilT5_lili
                                        ; -- End function
	.set _ZL38rocblas_trsm_small_left_device_sharedBILi32ELi32ELb0E19rocblas_complex_numIfES1_PKPKS1_PKPS1_Ev13rocblas_fill_18rocblas_operation_17rocblas_diagonal_iiT3_T4_lilT5_lili.num_vgpr, 178
	.set _ZL38rocblas_trsm_small_left_device_sharedBILi32ELi32ELb0E19rocblas_complex_numIfES1_PKPKS1_PKPS1_Ev13rocblas_fill_18rocblas_operation_17rocblas_diagonal_iiT3_T4_lilT5_lili.num_agpr, 0
	.set _ZL38rocblas_trsm_small_left_device_sharedBILi32ELi32ELb0E19rocblas_complex_numIfES1_PKPKS1_PKPS1_Ev13rocblas_fill_18rocblas_operation_17rocblas_diagonal_iiT3_T4_lilT5_lili.numbered_sgpr, 41
	.set _ZL38rocblas_trsm_small_left_device_sharedBILi32ELi32ELb0E19rocblas_complex_numIfES1_PKPKS1_PKPS1_Ev13rocblas_fill_18rocblas_operation_17rocblas_diagonal_iiT3_T4_lilT5_lili.num_named_barrier, 0
	.set _ZL38rocblas_trsm_small_left_device_sharedBILi32ELi32ELb0E19rocblas_complex_numIfES1_PKPKS1_PKPS1_Ev13rocblas_fill_18rocblas_operation_17rocblas_diagonal_iiT3_T4_lilT5_lili.private_seg_size, 192
	.set _ZL38rocblas_trsm_small_left_device_sharedBILi32ELi32ELb0E19rocblas_complex_numIfES1_PKPKS1_PKPS1_Ev13rocblas_fill_18rocblas_operation_17rocblas_diagonal_iiT3_T4_lilT5_lili.uses_vcc, 1
	.set _ZL38rocblas_trsm_small_left_device_sharedBILi32ELi32ELb0E19rocblas_complex_numIfES1_PKPKS1_PKPS1_Ev13rocblas_fill_18rocblas_operation_17rocblas_diagonal_iiT3_T4_lilT5_lili.uses_flat_scratch, 0
	.set _ZL38rocblas_trsm_small_left_device_sharedBILi32ELi32ELb0E19rocblas_complex_numIfES1_PKPKS1_PKPS1_Ev13rocblas_fill_18rocblas_operation_17rocblas_diagonal_iiT3_T4_lilT5_lili.has_dyn_sized_stack, 0
	.set _ZL38rocblas_trsm_small_left_device_sharedBILi32ELi32ELb0E19rocblas_complex_numIfES1_PKPKS1_PKPS1_Ev13rocblas_fill_18rocblas_operation_17rocblas_diagonal_iiT3_T4_lilT5_lili.has_recursion, 0
	.set _ZL38rocblas_trsm_small_left_device_sharedBILi32ELi32ELb0E19rocblas_complex_numIfES1_PKPKS1_PKPS1_Ev13rocblas_fill_18rocblas_operation_17rocblas_diagonal_iiT3_T4_lilT5_lili.has_indirect_call, 0
	.section	.AMDGPU.csdata,"",@progbits
; Kernel info:
; codeLenInByte = 111340
; TotalNumSgprs: 47
; NumVgprs: 178
; NumAgprs: 0
; TotalNumVgprs: 178
; ScratchSize: 192
; MemoryBound: 0
; FloatMode: 240
; IeeeMode: 1
; LDSByteSize: 16384 bytes/workgroup (compile time only)
; SGPRBlocks: 12
; VGPRBlocks: 22
; NumSGPRsForWavesPerEU: 102
; NumVGPRsForWavesPerEU: 178
; AccumOffset: 180
; Occupancy: 2
; WaveLimiterHint : 1
; COMPUTE_PGM_RSRC2:SCRATCH_EN: 1
; COMPUTE_PGM_RSRC2:USER_SGPR: 2
; COMPUTE_PGM_RSRC2:TRAP_HANDLER: 0
; COMPUTE_PGM_RSRC2:TGID_X_EN: 1
; COMPUTE_PGM_RSRC2:TGID_Y_EN: 0
; COMPUTE_PGM_RSRC2:TGID_Z_EN: 1
; COMPUTE_PGM_RSRC2:TIDIG_COMP_CNT: 0
; COMPUTE_PGM_RSRC3_GFX90A:ACCUM_OFFSET: 44
; COMPUTE_PGM_RSRC3_GFX90A:TG_SPLIT: 0
	.section	.text._ZL30rocblas_trsm_small_left_deviceILi32ELi32ELb0E19rocblas_complex_numIfES1_PKPKS1_PKPS1_Ev13rocblas_fill_18rocblas_operation_17rocblas_diagonal_iiT3_T4_lilT5_lili,"axG",@progbits,_ZL30rocblas_trsm_small_left_deviceILi32ELi32ELb0E19rocblas_complex_numIfES1_PKPKS1_PKPS1_Ev13rocblas_fill_18rocblas_operation_17rocblas_diagonal_iiT3_T4_lilT5_lili,comdat
	.globl	_ZL30rocblas_trsm_small_left_deviceILi32ELi32ELb0E19rocblas_complex_numIfES1_PKPKS1_PKPS1_Ev13rocblas_fill_18rocblas_operation_17rocblas_diagonal_iiT3_T4_lilT5_lili ; -- Begin function _ZL30rocblas_trsm_small_left_deviceILi32ELi32ELb0E19rocblas_complex_numIfES1_PKPKS1_PKPS1_Ev13rocblas_fill_18rocblas_operation_17rocblas_diagonal_iiT3_T4_lilT5_lili
	.p2align	8
	.type	_ZL30rocblas_trsm_small_left_deviceILi32ELi32ELb0E19rocblas_complex_numIfES1_PKPKS1_PKPS1_Ev13rocblas_fill_18rocblas_operation_17rocblas_diagonal_iiT3_T4_lilT5_lili,@function
_ZL30rocblas_trsm_small_left_deviceILi32ELi32ELb0E19rocblas_complex_numIfES1_PKPKS1_PKPS1_Ev13rocblas_fill_18rocblas_operation_17rocblas_diagonal_iiT3_T4_lilT5_lili: ; @_ZL30rocblas_trsm_small_left_deviceILi32ELi32ELb0E19rocblas_complex_numIfES1_PKPKS1_PKPS1_Ev13rocblas_fill_18rocblas_operation_17rocblas_diagonal_iiT3_T4_lilT5_lili
; %bb.0:
	s_load_dwordx4 s[8:11], s[0:1], 0x40
	s_load_dwordx4 s[4:7], s[0:1], 0x4
	s_load_dwordx2 s[12:13], s[0:1], 0x14
	s_mov_b32 s14, s3
	s_mov_b32 s15, 0
	s_lshl_b64 s[18:19], s[14:15], 3
	s_waitcnt lgkmcnt(0)
	s_add_u32 s8, s8, s18
	s_addc_u32 s9, s9, s19
	s_load_dword s3, s[0:1], 0x68
	s_min_i32 s26, s6, 32
	s_load_dwordx2 s[8:9], s[8:9], 0x0
	v_cmp_gt_i32_e32 vcc, s26, v0
	s_and_saveexec_b64 s[14:15], vcc
	s_cbranch_execz .LBB169_15
; %bb.1:
	s_load_dword s24, s[0:1], 0x30
	s_load_dwordx4 s[20:23], s[0:1], 0x20
	v_lshlrev_b32_e32 v2, 3, v0
	v_mov_b32_e32 v3, 0
	v_mov_b32_e32 v1, v2
	s_waitcnt lgkmcnt(0)
	s_ashr_i32 s25, s24, 31
	s_cmpk_lg_i32 s4, 0x71
	s_cselect_b64 s[16:17], -1, 0
	s_add_u32 s18, s20, s18
	s_addc_u32 s19, s21, s19
	s_load_dwordx2 s[18:19], s[18:19], 0x0
	s_lshl_b64 s[20:21], s[22:23], 3
	s_mov_b32 s6, s26
	s_waitcnt lgkmcnt(0)
	s_add_u32 s20, s18, s20
	s_addc_u32 s21, s19, s21
	s_lshl_b64 s[18:19], s[24:25], 3
	v_lshl_add_u64 v[4:5], s[20:21], 0, v[2:3]
	s_branch .LBB169_3
.LBB169_2:                              ;   in Loop: Header=BB169_3 Depth=1
	flat_load_dword v6, v[4:5]
	s_add_i32 s6, s6, -1
	v_lshl_add_u64 v[4:5], v[4:5], 0, s[18:19]
	s_cmp_eq_u32 s6, 0
	s_waitcnt vmcnt(0) lgkmcnt(0)
	ds_write_b64 v1, v[6:7]
	v_add_u32_e32 v1, 0x100, v1
	s_cbranch_scc1 .LBB169_7
.LBB169_3:                              ; =>This Inner Loop Header: Depth=1
	s_mov_b64 s[20:21], -1
	s_and_b64 vcc, exec, s[16:17]
                                        ; implicit-def: $vgpr7
	s_cbranch_vccz .LBB169_5
; %bb.4:                                ;   in Loop: Header=BB169_3 Depth=1
	flat_load_dword v7, v[4:5] offset:4
	s_mov_b64 s[20:21], 0
.LBB169_5:                              ;   in Loop: Header=BB169_3 Depth=1
	s_andn2_b64 vcc, exec, s[20:21]
	s_cbranch_vccnz .LBB169_2
; %bb.6:                                ;   in Loop: Header=BB169_3 Depth=1
	flat_load_dword v3, v[4:5] offset:4
	s_waitcnt vmcnt(0) lgkmcnt(0)
	v_xor_b32_e32 v7, 0x80000000, v3
	s_branch .LBB169_2
.LBB169_7:
	s_cmpk_lg_i32 s5, 0x84
	v_lshlrev_b32_e32 v1, 8, v0
	s_mov_b64 s[16:17], -1
	s_cbranch_scc0 .LBB169_13
; %bb.8:
	v_add_u32_e32 v3, v2, v1
	ds_read_b64 v[4:5], v3
                                        ; implicit-def: $vgpr6_vgpr7
	s_waitcnt lgkmcnt(0)
	v_cmp_ngt_f32_e64 s[16:17], |v4|, |v5|
	s_and_saveexec_b64 s[18:19], s[16:17]
	s_xor_b64 s[16:17], exec, s[18:19]
	s_cbranch_execz .LBB169_10
; %bb.9:
	v_div_scale_f32 v6, s[18:19], v5, v5, v4
	v_rcp_f32_e32 v7, v6
	v_div_scale_f32 v8, vcc, v4, v5, v4
	v_fma_f32 v9, -v6, v7, 1.0
	v_fmac_f32_e32 v7, v9, v7
	v_mul_f32_e32 v9, v8, v7
	v_fma_f32 v10, -v6, v9, v8
	v_fmac_f32_e32 v9, v10, v7
	v_fma_f32 v6, -v6, v9, v8
	v_div_fmas_f32 v6, v6, v7, v9
	v_div_fixup_f32 v6, v6, v5, v4
	v_fmac_f32_e32 v5, v4, v6
	v_div_scale_f32 v4, s[18:19], v5, v5, 1.0
	v_rcp_f32_e32 v7, v4
	s_mov_b32 s18, 0
	s_mov_b32 s19, -1.0
	v_fma_f32 v8, -v4, v7, 1.0
	v_fmac_f32_e32 v7, v8, v7
	v_div_scale_f32 v8, vcc, 1.0, v5, 1.0
	v_mul_f32_e32 v9, v8, v7
	v_fma_f32 v10, -v4, v9, v8
	v_fmac_f32_e32 v9, v10, v7
	v_fma_f32 v4, -v4, v9, v8
	v_div_fmas_f32 v4, v4, v7, v9
	v_mul_f32_e32 v7, 0, v6
	v_div_fixup_f32 v4, v4, v5, 1.0
	v_pk_add_f32 v[6:7], v[6:7], s[18:19]
	s_nop 0
	v_pk_mul_f32 v[6:7], v[6:7], v[4:5] op_sel_hi:[1,0]
                                        ; implicit-def: $vgpr4_vgpr5
.LBB169_10:
	s_andn2_saveexec_b64 s[16:17], s[16:17]
	s_cbranch_execz .LBB169_12
; %bb.11:
	v_div_scale_f32 v6, s[18:19], v4, v4, v5
	v_rcp_f32_e32 v7, v6
	v_div_scale_f32 v8, vcc, v5, v4, v5
	v_fma_f32 v9, -v6, v7, 1.0
	v_fmac_f32_e32 v7, v9, v7
	v_mul_f32_e32 v9, v8, v7
	v_fma_f32 v10, -v6, v9, v8
	v_fmac_f32_e32 v9, v10, v7
	v_fma_f32 v6, -v6, v9, v8
	v_div_fmas_f32 v6, v6, v7, v9
	v_div_fixup_f32 v7, v6, v4, v5
	v_fmac_f32_e32 v4, v5, v7
	v_div_scale_f32 v5, s[18:19], v4, v4, 1.0
	v_rcp_f32_e32 v6, v5
	s_nop 0
	v_fma_f32 v8, -v5, v6, 1.0
	v_fmac_f32_e32 v6, v8, v6
	v_div_scale_f32 v8, vcc, 1.0, v4, 1.0
	v_mul_f32_e32 v9, v8, v6
	v_fma_f32 v10, -v5, v9, v8
	v_fmac_f32_e32 v9, v10, v6
	v_fma_f32 v5, -v5, v9, v8
	v_div_fmas_f32 v5, v5, v6, v9
	v_div_fixup_f32 v4, v5, v4, 1.0
	v_mul_f32_e32 v5, 0, v7
	v_add_f32_e32 v6, 1.0, v5
	v_sub_f32_e32 v7, 0, v7
	v_pk_mul_f32 v[6:7], v[6:7], v[4:5] op_sel_hi:[1,0]
.LBB169_12:
	s_or_b64 exec, exec, s[16:17]
	s_mov_b64 s[16:17], 0
	ds_write_b64 v3, v[6:7]
.LBB169_13:
	s_and_b64 vcc, exec, s[16:17]
	s_cbranch_vccz .LBB169_15
; %bb.14:
	v_add_u32_e32 v1, v2, v1
	v_mov_b32_e32 v2, 1.0
	v_mov_b32_e32 v3, 0
	ds_write_b64 v1, v[2:3]
.LBB169_15:
	s_or_b64 exec, exec, s[14:15]
	s_lshl_b32 s5, s2, 5
	s_waitcnt lgkmcnt(0)
	s_add_i32 s3, s3, -1
	s_sub_i32 s6, s7, s5
	s_cmp_ge_u32 s2, s3
	s_cselect_b32 s2, s6, 32
	v_cmp_gt_i32_e32 vcc, s2, v0
	; wave barrier
	s_and_saveexec_b64 s[2:3], vcc
	s_cbranch_execz .LBB169_83
; %bb.16:
	s_load_dword s6, s[0:1], 0x50
	s_lshl_b64 s[2:3], s[10:11], 3
	s_add_u32 s0, s8, s2
	v_add_u32_e32 v0, s5, v0
	s_addc_u32 s1, s9, s3
	s_waitcnt lgkmcnt(0)
	v_mad_i64_i32 v[2:3], s[6:7], s6, v0, 0
	v_lshl_add_u64 v[0:1], v[2:3], 3, s[0:1]
	s_cmpk_eq_i32 s4, 0x6f
	s_mov_b64 s[0:1], -1
	s_cbranch_scc1 .LBB169_50
; %bb.17:
	s_add_u32 s0, s8, s2
	s_addc_u32 s1, s9, s3
	s_mov_b32 s15, 0
	s_mov_b32 s4, s12
	;; [unrolled: 1-line block ×7, first 2 shown]
	v_lshl_add_u64 v[4:5], v[2:3], 3, s[0:1]
	s_mov_b32 s16, s15
	s_mov_b32 s27, s15
	s_branch .LBB169_19
.LBB169_18:                             ;   in Loop: Header=BB169_19 Depth=1
	s_cmp_ge_i32 s27, s26
	s_cselect_b64 s[0:1], -1, 0
	s_add_i32 s16, s16, 1
	s_cmp_eq_u32 s16, 3
	s_cselect_b64 s[18:19], -1, 0
	s_or_b64 s[0:1], s[0:1], s[18:19]
	s_andn2_b64 vcc, exec, s[0:1]
	s_cbranch_vccz .LBB169_49
.LBB169_19:                             ; =>This Loop Header: Depth=1
                                        ;     Child Loop BB169_22 Depth 2
                                        ;       Child Loop BB169_24 Depth 3
                                        ;       Child Loop BB169_28 Depth 3
	;; [unrolled: 1-line block ×3, first 2 shown]
                                        ;         Child Loop BB169_34 Depth 4
                                        ;         Child Loop BB169_40 Depth 4
                                        ;       Child Loop BB169_43 Depth 3
                                        ;         Child Loop BB169_45 Depth 4
	s_mov_b32 s17, s15
	s_lshl_b64 s[0:1], s[16:17], 2
	s_getpc_b64 s[18:19]
	s_add_u32 s18, s18, __const._ZL30rocblas_trsm_small_left_deviceILi32ELi32ELb0E19rocblas_complex_numIfES1_PKPKS1_PKPS1_Ev13rocblas_fill_18rocblas_operation_17rocblas_diagonal_iiT3_T4_lilT5_lili.step_sizes@rel32@lo+4
	s_addc_u32 s19, s19, __const._ZL30rocblas_trsm_small_left_deviceILi32ELi32ELb0E19rocblas_complex_numIfES1_PKPKS1_PKPS1_Ev13rocblas_fill_18rocblas_operation_17rocblas_diagonal_iiT3_T4_lilT5_lili.step_sizes@rel32@hi+12
	s_add_u32 s0, s18, s0
	s_addc_u32 s1, s19, s1
	s_load_dword s17, s[0:1], 0x0
	s_waitcnt lgkmcnt(0)
	s_add_i32 s28, s17, -1
	s_add_i32 s0, s28, s27
	s_cmp_ge_i32 s0, s26
	s_cbranch_scc1 .LBB169_18
; %bb.20:                               ;   in Loop: Header=BB169_19 Depth=1
	s_max_i32 s29, s17, 1
	s_cmp_lg_u32 s16, 2
	s_cselect_b64 s[18:19], -1, 0
	s_and_b32 s30, s29, 0x7ffffffe
	s_cmp_lg_u32 s29, s30
	v_cndmask_b32_e64 v6, 0, 1, s[18:19]
	s_cselect_b64 s[20:21], -1, 0
	s_ashr_i32 s31, s27, 31
	s_ashr_i32 s33, s17, 31
	s_mul_i32 s34, s27, 0x108
	s_mul_i32 s35, s17, 0x108
	v_cmp_ne_u32_e64 s[0:1], 1, v6
	s_branch .LBB169_22
.LBB169_21:                             ;   in Loop: Header=BB169_22 Depth=2
	s_add_u32 s27, s27, s17
	s_addc_u32 s31, s31, s33
	s_add_i32 s14, s28, s27
	s_add_i32 s34, s34, s35
	s_cmp_ge_i32 s14, s26
	s_cbranch_scc1 .LBB169_18
.LBB169_22:                             ;   Parent Loop BB169_19 Depth=1
                                        ; =>  This Loop Header: Depth=2
                                        ;       Child Loop BB169_24 Depth 3
                                        ;       Child Loop BB169_28 Depth 3
                                        ;       Child Loop BB169_32 Depth 3
                                        ;         Child Loop BB169_34 Depth 4
                                        ;         Child Loop BB169_40 Depth 4
                                        ;       Child Loop BB169_43 Depth 3
                                        ;         Child Loop BB169_45 Depth 4
	s_and_b64 vcc, exec, s[0:1]
	s_cbranch_vccnz .LBB169_26
; %bb.23:                               ;   in Loop: Header=BB169_22 Depth=2
	s_mov_b32 s14, 0
	s_mov_b32 s24, s27
	;; [unrolled: 1-line block ×6, first 2 shown]
.LBB169_24:                             ;   Parent Loop BB169_19 Depth=1
                                        ;     Parent Loop BB169_22 Depth=2
                                        ; =>    This Inner Loop Header: Depth=3
	s_add_i32 s22, s37, s24
	s_add_i32 s40, s36, s25
	s_ashr_i32 s23, s22, 31
	s_ashr_i32 s41, s40, 31
	v_lshl_add_u64 v[6:7], s[22:23], 3, v[0:1]
	v_lshl_add_u64 v[8:9], s[40:41], 3, v[0:1]
	flat_load_dwordx2 v[12:13], v[6:7]
	flat_load_dwordx2 v[10:11], v[8:9]
	s_add_i32 s37, s37, 2
	s_add_i32 s36, s36, 2
	s_add_i32 s38, s38, -2
	s_mov_b32 s39, s30
	s_mov_b64 s[22:23], s[20:21]
	s_waitcnt vmcnt(0) lgkmcnt(0)
	v_mov_b32_e32 v6, v12
	v_mov_b32_e32 v7, v10
	;; [unrolled: 1-line block ×3, first 2 shown]
	v_pk_mul_f32 v[8:9], v[10:11], s[6:7]
	v_pk_mul_f32 v[10:11], v[10:11], s[4:5]
	v_pk_fma_f32 v[12:13], v[6:7], s[4:5], v[8:9] neg_lo:[0,0,1] neg_hi:[0,0,1]
	v_pk_fma_f32 v[8:9], v[6:7], s[6:7], v[10:11]
	v_mov_b32_e32 v6, v12
	v_mov_b32_e32 v7, v8
	;; [unrolled: 1-line block ×3, first 2 shown]
	scratch_store_dwordx4 off, v[6:9], s14
	s_add_i32 s14, s14, 16
	s_cmp_lg_u32 s38, 0
	s_cbranch_scc1 .LBB169_24
; %bb.25:                               ;   in Loop: Header=BB169_22 Depth=2
	s_and_b64 vcc, exec, s[22:23]
	s_cbranch_vccnz .LBB169_27
	s_branch .LBB169_29
.LBB169_26:                             ;   in Loop: Header=BB169_22 Depth=2
	s_mov_b32 s39, 0
	s_cbranch_execz .LBB169_29
.LBB169_27:                             ;   in Loop: Header=BB169_22 Depth=2
	s_sub_i32 s14, s29, s39
	s_add_u32 s22, s27, s39
	s_addc_u32 s23, s31, 0
	v_lshl_add_u64 v[6:7], s[22:23], 3, v[4:5]
	s_lshl_b32 s22, s39, 3
.LBB169_28:                             ;   Parent Loop BB169_19 Depth=1
                                        ;     Parent Loop BB169_22 Depth=2
                                        ; =>    This Inner Loop Header: Depth=3
	flat_load_dwordx2 v[8:9], v[6:7]
	s_add_i32 s14, s14, -1
	v_lshl_add_u64 v[6:7], v[6:7], 0, 8
	s_waitcnt vmcnt(0) lgkmcnt(0)
	v_pk_mul_f32 v[10:11], v[8:9], s[10:11] op_sel:[1,0]
	s_nop 0
	v_pk_fma_f32 v[12:13], v[8:9], s[12:13], v[10:11] neg_lo:[0,0,1] neg_hi:[0,0,1]
	v_pk_fma_f32 v[8:9], v[8:9], s[12:13], v[10:11] op_sel_hi:[0,1,1]
	v_mov_b32_e32 v13, v9
	scratch_store_dwordx2 off, v[12:13], s22
	s_add_i32 s22, s22, 8
	s_cmp_eq_u32 s14, 0
	s_cbranch_scc0 .LBB169_28
.LBB169_29:                             ;   in Loop: Header=BB169_22 Depth=2
	s_cmp_lt_i32 s27, 1
	s_cbranch_scc1 .LBB169_41
; %bb.30:                               ;   in Loop: Header=BB169_22 Depth=2
	s_mov_b32 s38, 0
	s_mov_b32 s36, s27
	;; [unrolled: 1-line block ×4, first 2 shown]
	s_branch .LBB169_32
.LBB169_31:                             ;   in Loop: Header=BB169_32 Depth=3
	s_add_i32 s14, s14, 1
	s_add_i32 s38, s38, 8
	s_cmp_eq_u32 s14, s27
	s_cbranch_scc1 .LBB169_41
.LBB169_32:                             ;   Parent Loop BB169_19 Depth=1
                                        ;     Parent Loop BB169_22 Depth=2
                                        ; =>    This Loop Header: Depth=3
                                        ;         Child Loop BB169_34 Depth 4
                                        ;         Child Loop BB169_40 Depth 4
	v_lshl_add_u64 v[6:7], s[14:15], 3, v[0:1]
	flat_load_dwordx2 v[6:7], v[6:7]
	s_and_b64 vcc, exec, s[18:19]
	s_cbranch_vccz .LBB169_36
; %bb.33:                               ;   in Loop: Header=BB169_32 Depth=3
	s_lshl_b32 s22, s14, 3
	s_waitcnt vmcnt(0) lgkmcnt(0)
	v_mov_b32_e32 v10, v6
	v_mov_b32_e32 v11, v6
	;; [unrolled: 1-line block ×3, first 2 shown]
	s_mov_b32 s23, 0
	v_mov_b32_e32 v12, v7
	v_mov_b32_e32 v13, v7
	s_mov_b32 s24, 1
	s_mov_b32 s25, 0
	;; [unrolled: 1-line block ×3, first 2 shown]
.LBB169_34:                             ;   Parent Loop BB169_19 Depth=1
                                        ;     Parent Loop BB169_22 Depth=2
                                        ;       Parent Loop BB169_32 Depth=3
                                        ; =>      This Inner Loop Header: Depth=4
	scratch_load_dwordx4 v[14:17], off, s23
	s_add_i32 s40, s25, s36
	s_add_i32 s41, s24, s37
	s_lshl_b32 s41, s41, 8
	s_lshl_b32 s40, s40, 8
	s_add_i32 s40, s22, s40
	s_add_i32 s41, s22, s41
	v_mov_b32_e32 v9, s40
	v_mov_b32_e32 v18, s41
	ds_read_b64 v[22:23], v9
	ds_read_b64 v[18:19], v18
	s_add_i32 s25, s25, 2
	s_add_i32 s24, s24, 2
	s_add_i32 s39, s39, -2
	s_waitcnt lgkmcnt(1)
	v_mov_b32_e32 v20, v22
	s_waitcnt lgkmcnt(0)
	v_mov_b32_e32 v21, v18
	v_mov_b32_e32 v18, v23
	v_pk_mul_f32 v[22:23], v[18:19], v[12:13]
	v_pk_mul_f32 v[18:19], v[18:19], v[10:11]
	v_pk_fma_f32 v[22:23], v[20:21], v[10:11], v[22:23] neg_lo:[0,0,1] neg_hi:[0,0,1]
	v_pk_fma_f32 v[18:19], v[20:21], v[12:13], v[18:19]
	s_waitcnt vmcnt(0)
	v_mov_b32_e32 v20, v14
	v_mov_b32_e32 v21, v16
	;; [unrolled: 1-line block ×3, first 2 shown]
	v_pk_add_f32 v[20:21], v[20:21], v[22:23] neg_lo:[0,1] neg_hi:[0,1]
	v_pk_add_f32 v[16:17], v[16:17], v[18:19] neg_lo:[0,1] neg_hi:[0,1]
	v_mov_b32_e32 v14, v20
	v_mov_b32_e32 v15, v16
	;; [unrolled: 1-line block ×3, first 2 shown]
	scratch_store_dwordx4 off, v[14:17], s23
	s_add_i32 s23, s23, 16
	s_cmp_lg_u32 s39, 0
	s_cbranch_scc1 .LBB169_34
; %bb.35:                               ;   in Loop: Header=BB169_32 Depth=3
	s_mov_b64 s[22:23], s[20:21]
	s_mov_b32 s24, s30
	s_branch .LBB169_38
.LBB169_36:                             ;   in Loop: Header=BB169_32 Depth=3
	s_waitcnt vmcnt(0) lgkmcnt(0)
	v_mov_b32_e32 v8, v7
	s_mov_b64 s[22:23], 0
	s_mov_b32 s24, s30
	s_cbranch_execz .LBB169_38
; %bb.37:                               ;   in Loop: Header=BB169_32 Depth=3
	s_mov_b64 s[22:23], -1
	s_mov_b32 s24, 0
.LBB169_38:                             ;   in Loop: Header=BB169_32 Depth=3
	s_andn2_b64 vcc, exec, s[22:23]
	s_cbranch_vccnz .LBB169_31
; %bb.39:                               ;   in Loop: Header=BB169_32 Depth=3
	s_add_i32 s23, s27, s24
	s_lshl_b32 s23, s23, 8
	v_mov_b32_e32 v9, v7
	v_mov_b32_e32 v7, v6
	s_sub_i32 s22, s29, s24
	s_add_i32 s23, s38, s23
	s_lshl_b32 s24, s24, 3
.LBB169_40:                             ;   Parent Loop BB169_19 Depth=1
                                        ;     Parent Loop BB169_22 Depth=2
                                        ;       Parent Loop BB169_32 Depth=3
                                        ; =>      This Inner Loop Header: Depth=4
	scratch_load_dwordx2 v[10:11], off, s24
	v_mov_b32_e32 v12, s23
	ds_read_b64 v[12:13], v12
	s_add_i32 s22, s22, -1
	s_addk_i32 s23, 0x100
	s_waitcnt lgkmcnt(0)
	v_pk_mul_f32 v[14:15], v[12:13], v[8:9] op_sel:[1,0] op_sel_hi:[0,1]
	v_pk_fma_f32 v[16:17], v[12:13], v[6:7], v[14:15] neg_lo:[0,0,1] neg_hi:[0,0,1]
	v_pk_fma_f32 v[12:13], v[12:13], v[6:7], v[14:15]
	s_nop 0
	v_mov_b32_e32 v17, v13
	s_waitcnt vmcnt(0)
	v_pk_add_f32 v[10:11], v[10:11], v[16:17] neg_lo:[0,1] neg_hi:[0,1]
	scratch_store_dwordx2 off, v[10:11], s24
	s_add_i32 s24, s24, 8
	s_cmp_eq_u32 s22, 0
	s_cbranch_scc0 .LBB169_40
	s_branch .LBB169_31
.LBB169_41:                             ;   in Loop: Header=BB169_22 Depth=2
	s_mov_b32 s14, 0
	s_mov_b32 s36, s34
	s_branch .LBB169_43
.LBB169_42:                             ;   in Loop: Header=BB169_43 Depth=3
	s_mul_i32 s23, s22, 0x108
	v_mov_b32_e32 v7, s23
	ds_read_b64 v[10:11], v7
	s_lshl_b32 s24, s14, 3
	s_ashr_i32 s23, s22, 31
	s_add_i32 s14, s14, 1
	s_addk_i32 s36, 0x100
	s_waitcnt lgkmcnt(0)
	v_pk_mul_f32 v[8:9], v[10:11], v[8:9] op_sel:[1,0] op_sel_hi:[0,0]
	v_pk_fma_f32 v[12:13], v[10:11], v[6:7], v[8:9] neg_lo:[0,0,1] neg_hi:[0,0,1]
	v_pk_fma_f32 v[6:7], v[10:11], v[6:7], v[8:9] op_sel_hi:[1,0,1]
	s_cmp_eq_u32 s14, s29
	v_mov_b32_e32 v13, v7
	v_lshl_add_u64 v[6:7], s[22:23], 3, v[0:1]
	scratch_store_dwordx2 off, v[12:13], s24
	flat_store_dwordx2 v[6:7], v[12:13]
	s_cbranch_scc1 .LBB169_21
.LBB169_43:                             ;   Parent Loop BB169_19 Depth=1
                                        ;     Parent Loop BB169_22 Depth=2
                                        ; =>    This Loop Header: Depth=3
                                        ;         Child Loop BB169_45 Depth 4
	s_cmp_lg_u32 s14, 0
	s_cbranch_scc0 .LBB169_47
; %bb.44:                               ;   in Loop: Header=BB169_43 Depth=3
	s_lshl_b32 s22, s14, 3
	scratch_load_dwordx2 v[6:7], off, s22
	s_mov_b32 s23, 0
	s_mov_b32 s24, s36
	;; [unrolled: 1-line block ×3, first 2 shown]
.LBB169_45:                             ;   Parent Loop BB169_19 Depth=1
                                        ;     Parent Loop BB169_22 Depth=2
                                        ;       Parent Loop BB169_43 Depth=3
                                        ; =>      This Inner Loop Header: Depth=4
	scratch_load_dwordx2 v[8:9], off, s23
	v_mov_b32_e32 v10, s24
	ds_read_b64 v[10:11], v10
	s_add_i32 s25, s25, -1
	s_add_i32 s23, s23, 8
	s_add_i32 s24, s24, 8
	s_cmp_eq_u32 s25, 0
	s_waitcnt vmcnt(0) lgkmcnt(0)
	v_pk_mul_f32 v[12:13], v[10:11], v[8:9] op_sel:[1,1] op_sel_hi:[0,1]
	v_pk_fma_f32 v[14:15], v[10:11], v[8:9], v[12:13] neg_lo:[0,0,1] neg_hi:[0,0,1]
	v_pk_fma_f32 v[8:9], v[10:11], v[8:9], v[12:13] op_sel_hi:[1,0,1]
	s_nop 0
	v_mov_b32_e32 v15, v9
	v_pk_add_f32 v[6:7], v[6:7], v[14:15] neg_lo:[0,1] neg_hi:[0,1]
	scratch_store_dwordx2 off, v[6:7], s22
	s_cbranch_scc0 .LBB169_45
; %bb.46:                               ;   in Loop: Header=BB169_43 Depth=3
	s_add_i32 s22, s14, s27
	v_mov_b32_e32 v8, v7
	s_branch .LBB169_42
.LBB169_47:                             ;   in Loop: Header=BB169_43 Depth=3
                                        ; implicit-def: $vgpr6
                                        ; implicit-def: $vgpr8
                                        ; implicit-def: $sgpr22
	s_cbranch_execz .LBB169_42
; %bb.48:                               ;   in Loop: Header=BB169_43 Depth=3
	scratch_load_dwordx2 v[6:7], off, off
	s_mov_b32 s22, s27
	s_waitcnt vmcnt(0)
	v_mov_b32_e32 v8, v7
	s_branch .LBB169_42
.LBB169_49:
	s_mov_b64 s[0:1], 0
.LBB169_50:
	s_and_b64 vcc, exec, s[0:1]
	s_cbranch_vccz .LBB169_83
; %bb.51:
	s_add_i32 s27, s26, -1
	s_add_u32 s0, s8, s2
	s_addc_u32 s1, s9, s3
	s_lshl_b32 s26, s26, 8
	s_mov_b32 s3, 0
	s_mov_b32 s4, s12
	;; [unrolled: 1-line block ×7, first 2 shown]
	v_lshl_add_u64 v[2:3], v[2:3], 3, s[0:1]
	s_addk_i32 s26, 0xff00
	s_mov_b32 s8, s27
	s_mov_b32 s14, s3
	s_branch .LBB169_53
.LBB169_52:                             ;   in Loop: Header=BB169_53 Depth=1
	s_cmp_lt_i32 s8, 0
	s_cselect_b64 s[0:1], -1, 0
	s_add_i32 s14, s14, 1
	s_cmp_eq_u32 s14, 3
	s_cselect_b64 s[16:17], -1, 0
	s_or_b64 s[0:1], s[0:1], s[16:17]
	s_and_b64 vcc, exec, s[0:1]
	s_cbranch_vccnz .LBB169_83
.LBB169_53:                             ; =>This Loop Header: Depth=1
                                        ;     Child Loop BB169_56 Depth 2
                                        ;       Child Loop BB169_58 Depth 3
                                        ;       Child Loop BB169_62 Depth 3
                                        ;       Child Loop BB169_66 Depth 3
                                        ;         Child Loop BB169_68 Depth 4
                                        ;         Child Loop BB169_74 Depth 4
                                        ;       Child Loop BB169_77 Depth 3
                                        ;         Child Loop BB169_79 Depth 4
	s_mov_b32 s15, s3
	s_lshl_b64 s[0:1], s[14:15], 2
	s_getpc_b64 s[16:17]
	s_add_u32 s16, s16, __const._ZL30rocblas_trsm_small_left_deviceILi32ELi32ELb0E19rocblas_complex_numIfES1_PKPKS1_PKPS1_Ev13rocblas_fill_18rocblas_operation_17rocblas_diagonal_iiT3_T4_lilT5_lili.step_sizes@rel32@lo+4
	s_addc_u32 s17, s17, __const._ZL30rocblas_trsm_small_left_deviceILi32ELi32ELb0E19rocblas_complex_numIfES1_PKPKS1_PKPS1_Ev13rocblas_fill_18rocblas_operation_17rocblas_diagonal_iiT3_T4_lilT5_lili.step_sizes@rel32@hi+12
	s_add_u32 s0, s16, s0
	s_addc_u32 s1, s17, s1
	s_load_dword s15, s[0:1], 0x0
	s_waitcnt lgkmcnt(0)
	s_add_i32 s28, s15, -1
	s_cmp_lt_i32 s8, s28
	s_cbranch_scc1 .LBB169_52
; %bb.54:                               ;   in Loop: Header=BB169_53 Depth=1
	s_max_i32 s29, s15, 1
	s_cmp_lg_u32 s14, 2
	s_cselect_b64 s[16:17], -1, 0
	s_and_b32 s30, s29, 0x7ffffffe
	s_cmp_lg_u32 s29, s30
	s_cselect_b64 s[18:19], -1, 0
	s_lshl_b32 s0, s8, 3
	s_add_i32 s31, s26, s0
	s_lshl_b32 s0, s15, 3
	v_cndmask_b32_e64 v4, 0, 1, s[16:17]
	s_sub_i32 s33, 0, s0
	s_mul_i32 s34, s8, 0x108
	s_mul_i32 s35, s15, 0xfffffef8
	v_cmp_ne_u32_e64 s[0:1], 1, v4
	s_branch .LBB169_56
.LBB169_55:                             ;   in Loop: Header=BB169_56 Depth=2
	s_sub_i32 s8, s8, s15
	s_add_i32 s31, s31, s33
	s_add_i32 s34, s34, s35
	s_cmp_lt_i32 s8, s28
	s_cbranch_scc1 .LBB169_52
.LBB169_56:                             ;   Parent Loop BB169_53 Depth=1
                                        ; =>  This Loop Header: Depth=2
                                        ;       Child Loop BB169_58 Depth 3
                                        ;       Child Loop BB169_62 Depth 3
	;; [unrolled: 1-line block ×3, first 2 shown]
                                        ;         Child Loop BB169_68 Depth 4
                                        ;         Child Loop BB169_74 Depth 4
                                        ;       Child Loop BB169_77 Depth 3
                                        ;         Child Loop BB169_79 Depth 4
	s_and_b64 vcc, exec, s[0:1]
	s_cbranch_vccnz .LBB169_60
; %bb.57:                               ;   in Loop: Header=BB169_56 Depth=2
	s_mov_b32 s9, 0
	s_mov_b32 s22, s8
	;; [unrolled: 1-line block ×5, first 2 shown]
.LBB169_58:                             ;   Parent Loop BB169_53 Depth=1
                                        ;     Parent Loop BB169_56 Depth=2
                                        ; =>    This Inner Loop Header: Depth=3
	s_sub_i32 s20, s8, s24
	s_sub_i32 s36, s22, s23
	s_ashr_i32 s21, s20, 31
	s_ashr_i32 s37, s36, 31
	v_lshl_add_u64 v[4:5], s[20:21], 3, v[0:1]
	v_lshl_add_u64 v[6:7], s[36:37], 3, v[0:1]
	flat_load_dwordx2 v[10:11], v[4:5]
	flat_load_dwordx2 v[8:9], v[6:7]
	s_add_i32 s24, s24, 2
	s_add_i32 s23, s23, 2
	s_add_i32 s25, s25, -2
	s_mov_b32 s2, s30
	s_mov_b64 s[20:21], s[18:19]
	s_waitcnt vmcnt(0) lgkmcnt(0)
	v_mov_b32_e32 v4, v10
	v_mov_b32_e32 v5, v8
	;; [unrolled: 1-line block ×3, first 2 shown]
	v_pk_mul_f32 v[6:7], v[8:9], s[6:7]
	v_pk_mul_f32 v[8:9], v[8:9], s[4:5]
	v_pk_fma_f32 v[10:11], v[4:5], s[4:5], v[6:7] neg_lo:[0,0,1] neg_hi:[0,0,1]
	v_pk_fma_f32 v[6:7], v[4:5], s[6:7], v[8:9]
	v_mov_b32_e32 v4, v10
	v_mov_b32_e32 v5, v6
	;; [unrolled: 1-line block ×3, first 2 shown]
	scratch_store_dwordx4 off, v[4:7], s9
	s_add_i32 s9, s9, 16
	s_cmp_lg_u32 s25, 0
	s_cbranch_scc1 .LBB169_58
; %bb.59:                               ;   in Loop: Header=BB169_56 Depth=2
	s_ashr_i32 s9, s8, 31
	s_and_b64 vcc, exec, s[20:21]
	s_cbranch_vccnz .LBB169_61
	s_branch .LBB169_63
.LBB169_60:                             ;   in Loop: Header=BB169_56 Depth=2
	s_mov_b32 s2, 0
	s_ashr_i32 s9, s8, 31
	s_cbranch_execz .LBB169_63
.LBB169_61:                             ;   in Loop: Header=BB169_56 Depth=2
	s_lshl_b64 s[22:23], s[8:9], 3
	s_sub_i32 s20, s29, s2
	s_lshl_b64 s[24:25], s[2:3], 3
	s_sub_u32 s22, s22, s24
	s_subb_u32 s23, s23, s25
	v_lshl_add_u64 v[4:5], v[2:3], 0, s[22:23]
	s_lshl_b32 s2, s2, 3
.LBB169_62:                             ;   Parent Loop BB169_53 Depth=1
                                        ;     Parent Loop BB169_56 Depth=2
                                        ; =>    This Inner Loop Header: Depth=3
	flat_load_dwordx2 v[6:7], v[4:5]
	s_add_i32 s20, s20, -1
	v_lshl_add_u64 v[4:5], v[4:5], 0, -8
	s_waitcnt vmcnt(0) lgkmcnt(0)
	v_pk_mul_f32 v[8:9], v[6:7], s[10:11] op_sel:[1,0]
	s_nop 0
	v_pk_fma_f32 v[10:11], v[6:7], s[12:13], v[8:9] neg_lo:[0,0,1] neg_hi:[0,0,1]
	v_pk_fma_f32 v[6:7], v[6:7], s[12:13], v[8:9] op_sel_hi:[0,1,1]
	v_mov_b32_e32 v11, v7
	scratch_store_dwordx2 off, v[10:11], s2
	s_add_i32 s2, s2, 8
	s_cmp_eq_u32 s20, 0
	s_cbranch_scc0 .LBB169_62
.LBB169_63:                             ;   in Loop: Header=BB169_56 Depth=2
	s_cmp_le_i32 s27, s8
	s_cbranch_scc1 .LBB169_75
; %bb.64:                               ;   in Loop: Header=BB169_56 Depth=2
	s_mov_b32 s2, s8
	s_mov_b32 s36, s8
	;; [unrolled: 1-line block ×4, first 2 shown]
	s_branch .LBB169_66
.LBB169_65:                             ;   in Loop: Header=BB169_66 Depth=3
	s_add_i32 s20, s20, -1
	s_addk_i32 s37, 0xff00
	s_cmp_le_i32 s20, s8
	s_cbranch_scc1 .LBB169_75
.LBB169_66:                             ;   Parent Loop BB169_53 Depth=1
                                        ;     Parent Loop BB169_56 Depth=2
                                        ; =>    This Loop Header: Depth=3
                                        ;         Child Loop BB169_68 Depth 4
                                        ;         Child Loop BB169_74 Depth 4
	s_ashr_i32 s21, s20, 31
	v_lshl_add_u64 v[4:5], s[20:21], 3, v[0:1]
	flat_load_dwordx2 v[4:5], v[4:5]
	s_and_b64 vcc, exec, s[16:17]
	s_cbranch_vccz .LBB169_70
; %bb.67:                               ;   in Loop: Header=BB169_66 Depth=3
	s_lshl_b32 s21, s20, 8
	s_waitcnt vmcnt(0) lgkmcnt(0)
	v_mov_b32_e32 v8, v4
	v_mov_b32_e32 v9, v4
	;; [unrolled: 1-line block ×3, first 2 shown]
	s_mov_b32 s22, 0
	v_mov_b32_e32 v10, v5
	v_mov_b32_e32 v11, v5
	s_mov_b32 s23, 1
	s_mov_b32 s24, 0
	;; [unrolled: 1-line block ×3, first 2 shown]
.LBB169_68:                             ;   Parent Loop BB169_53 Depth=1
                                        ;     Parent Loop BB169_56 Depth=2
                                        ;       Parent Loop BB169_66 Depth=3
                                        ; =>      This Inner Loop Header: Depth=4
	scratch_load_dwordx4 v[12:15], off, s22
	s_sub_i32 s38, s36, s23
	s_sub_i32 s39, s2, s24
	s_lshl_b32 s39, s39, 3
	s_lshl_b32 s38, s38, 3
	s_add_i32 s39, s21, s39
	s_add_i32 s38, s21, s38
	v_mov_b32_e32 v7, s39
	v_mov_b32_e32 v16, s38
	ds_read_b64 v[20:21], v7
	ds_read_b64 v[16:17], v16
	s_add_i32 s24, s24, 2
	s_add_i32 s23, s23, 2
	s_add_i32 s25, s25, -2
	s_waitcnt lgkmcnt(1)
	v_mov_b32_e32 v18, v20
	s_waitcnt lgkmcnt(0)
	v_mov_b32_e32 v19, v16
	v_mov_b32_e32 v16, v21
	v_pk_mul_f32 v[20:21], v[16:17], v[10:11]
	v_pk_mul_f32 v[16:17], v[16:17], v[8:9]
	v_pk_fma_f32 v[20:21], v[18:19], v[8:9], v[20:21] neg_lo:[0,0,1] neg_hi:[0,0,1]
	v_pk_fma_f32 v[16:17], v[18:19], v[10:11], v[16:17]
	s_waitcnt vmcnt(0)
	v_mov_b32_e32 v18, v12
	v_mov_b32_e32 v19, v14
	;; [unrolled: 1-line block ×3, first 2 shown]
	v_pk_add_f32 v[18:19], v[18:19], v[20:21] neg_lo:[0,1] neg_hi:[0,1]
	v_pk_add_f32 v[14:15], v[14:15], v[16:17] neg_lo:[0,1] neg_hi:[0,1]
	v_mov_b32_e32 v12, v18
	v_mov_b32_e32 v13, v14
	;; [unrolled: 1-line block ×3, first 2 shown]
	scratch_store_dwordx4 off, v[12:15], s22
	s_add_i32 s22, s22, 16
	s_cmp_lg_u32 s25, 0
	s_cbranch_scc1 .LBB169_68
; %bb.69:                               ;   in Loop: Header=BB169_66 Depth=3
	s_mov_b64 s[22:23], s[18:19]
	s_mov_b32 s24, s30
	s_branch .LBB169_72
.LBB169_70:                             ;   in Loop: Header=BB169_66 Depth=3
	s_waitcnt vmcnt(0) lgkmcnt(0)
	v_mov_b32_e32 v6, v5
	s_mov_b64 s[22:23], 0
	s_mov_b32 s24, s30
	s_cbranch_execz .LBB169_72
; %bb.71:                               ;   in Loop: Header=BB169_66 Depth=3
	s_mov_b64 s[22:23], -1
	s_mov_b32 s24, 0
.LBB169_72:                             ;   in Loop: Header=BB169_66 Depth=3
	s_andn2_b64 vcc, exec, s[22:23]
	s_cbranch_vccnz .LBB169_65
; %bb.73:                               ;   in Loop: Header=BB169_66 Depth=3
	s_lshl_b32 s23, s24, 3
	v_mov_b32_e32 v7, v5
	v_mov_b32_e32 v5, v4
	s_sub_i32 s21, s29, s24
	s_sub_i32 s22, s37, s23
.LBB169_74:                             ;   Parent Loop BB169_53 Depth=1
                                        ;     Parent Loop BB169_56 Depth=2
                                        ;       Parent Loop BB169_66 Depth=3
                                        ; =>      This Inner Loop Header: Depth=4
	scratch_load_dwordx2 v[8:9], off, s23
	v_mov_b32_e32 v10, s22
	ds_read_b64 v[10:11], v10
	s_add_i32 s21, s21, -1
	s_add_i32 s22, s22, -8
	s_waitcnt lgkmcnt(0)
	v_pk_mul_f32 v[12:13], v[10:11], v[6:7] op_sel:[1,0] op_sel_hi:[0,1]
	v_pk_fma_f32 v[14:15], v[10:11], v[4:5], v[12:13] neg_lo:[0,0,1] neg_hi:[0,0,1]
	v_pk_fma_f32 v[10:11], v[10:11], v[4:5], v[12:13]
	s_nop 0
	v_mov_b32_e32 v15, v11
	s_waitcnt vmcnt(0)
	v_pk_add_f32 v[8:9], v[8:9], v[14:15] neg_lo:[0,1] neg_hi:[0,1]
	scratch_store_dwordx2 off, v[8:9], s23
	s_add_i32 s23, s23, 8
	s_cmp_eq_u32 s21, 0
	s_cbranch_scc0 .LBB169_74
	s_branch .LBB169_65
.LBB169_75:                             ;   in Loop: Header=BB169_56 Depth=2
	s_mov_b32 s2, 0
	s_mov_b32 s36, s34
	s_branch .LBB169_77
.LBB169_76:                             ;   in Loop: Header=BB169_77 Depth=3
	s_mulk_i32 s22, 0x108
	v_mov_b32_e32 v5, s22
	ds_read_b64 v[8:9], v5
	s_lshl_b32 s22, s2, 3
	s_add_i32 s2, s2, 1
	s_add_i32 s36, s36, -8
	v_lshl_add_u64 v[10:11], s[20:21], 3, v[0:1]
	s_waitcnt lgkmcnt(0)
	v_pk_mul_f32 v[6:7], v[8:9], v[6:7] op_sel:[1,0] op_sel_hi:[0,0]
	v_pk_fma_f32 v[12:13], v[8:9], v[4:5], v[6:7] neg_lo:[0,0,1] neg_hi:[0,0,1]
	v_pk_fma_f32 v[4:5], v[8:9], v[4:5], v[6:7] op_sel_hi:[1,0,1]
	s_cmp_eq_u32 s2, s29
	v_mov_b32_e32 v13, v5
	scratch_store_dwordx2 off, v[12:13], s22
	flat_store_dwordx2 v[10:11], v[12:13]
	s_cbranch_scc1 .LBB169_55
.LBB169_77:                             ;   Parent Loop BB169_53 Depth=1
                                        ;     Parent Loop BB169_56 Depth=2
                                        ; =>    This Loop Header: Depth=3
                                        ;         Child Loop BB169_79 Depth 4
	s_cmp_lg_u32 s2, 0
	s_cbranch_scc0 .LBB169_81
; %bb.78:                               ;   in Loop: Header=BB169_77 Depth=3
	s_lshl_b32 s20, s2, 3
	scratch_load_dwordx2 v[4:5], off, s20
	s_mov_b32 s21, 0
	s_mov_b32 s22, s36
	;; [unrolled: 1-line block ×3, first 2 shown]
.LBB169_79:                             ;   Parent Loop BB169_53 Depth=1
                                        ;     Parent Loop BB169_56 Depth=2
                                        ;       Parent Loop BB169_77 Depth=3
                                        ; =>      This Inner Loop Header: Depth=4
	scratch_load_dwordx2 v[6:7], off, s21
	v_mov_b32_e32 v8, s22
	ds_read_b64 v[8:9], v8
	s_add_i32 s23, s23, -1
	s_addk_i32 s22, 0xff00
	s_add_i32 s21, s21, 8
	s_cmp_eq_u32 s23, 0
	s_waitcnt vmcnt(0) lgkmcnt(0)
	v_pk_mul_f32 v[10:11], v[8:9], v[6:7] op_sel:[1,1] op_sel_hi:[0,1]
	v_pk_fma_f32 v[12:13], v[8:9], v[6:7], v[10:11] neg_lo:[0,0,1] neg_hi:[0,0,1]
	v_pk_fma_f32 v[6:7], v[8:9], v[6:7], v[10:11] op_sel_hi:[1,0,1]
	s_nop 0
	v_mov_b32_e32 v13, v7
	v_pk_add_f32 v[4:5], v[4:5], v[12:13] neg_lo:[0,1] neg_hi:[0,1]
	scratch_store_dwordx2 off, v[4:5], s20
	s_cbranch_scc0 .LBB169_79
; %bb.80:                               ;   in Loop: Header=BB169_77 Depth=3
	s_sub_i32 s22, s8, s2
	s_ashr_i32 s23, s22, 31
	v_mov_b32_e32 v6, v5
	s_mov_b64 s[20:21], s[22:23]
	s_branch .LBB169_76
.LBB169_81:                             ;   in Loop: Header=BB169_77 Depth=3
                                        ; implicit-def: $vgpr4
                                        ; implicit-def: $vgpr6
                                        ; implicit-def: $sgpr22
                                        ; implicit-def: $sgpr20_sgpr21
	s_cbranch_execz .LBB169_76
; %bb.82:                               ;   in Loop: Header=BB169_77 Depth=3
	scratch_load_dwordx2 v[4:5], off, off
	s_mov_b64 s[20:21], s[8:9]
	s_mov_b32 s22, s8
	s_waitcnt vmcnt(0)
	v_mov_b32_e32 v6, v5
	s_branch .LBB169_76
.LBB169_83:
	s_endpgm
	.section	.rodata,"a",@progbits
	.p2align	6, 0x0
	.amdhsa_kernel _ZL30rocblas_trsm_small_left_deviceILi32ELi32ELb0E19rocblas_complex_numIfES1_PKPKS1_PKPS1_Ev13rocblas_fill_18rocblas_operation_17rocblas_diagonal_iiT3_T4_lilT5_lili
		.amdhsa_group_segment_fixed_size 8192
		.amdhsa_private_segment_fixed_size 272
		.amdhsa_kernarg_size 360
		.amdhsa_user_sgpr_count 2
		.amdhsa_user_sgpr_dispatch_ptr 0
		.amdhsa_user_sgpr_queue_ptr 0
		.amdhsa_user_sgpr_kernarg_segment_ptr 1
		.amdhsa_user_sgpr_dispatch_id 0
		.amdhsa_user_sgpr_kernarg_preload_length 0
		.amdhsa_user_sgpr_kernarg_preload_offset 0
		.amdhsa_user_sgpr_private_segment_size 0
		.amdhsa_uses_dynamic_stack 0
		.amdhsa_enable_private_segment 1
		.amdhsa_system_sgpr_workgroup_id_x 1
		.amdhsa_system_sgpr_workgroup_id_y 0
		.amdhsa_system_sgpr_workgroup_id_z 1
		.amdhsa_system_sgpr_workgroup_info 0
		.amdhsa_system_vgpr_workitem_id 0
		.amdhsa_next_free_vgpr 81
		.amdhsa_next_free_sgpr 96
		.amdhsa_accum_offset 24
		.amdhsa_reserve_vcc 1
		.amdhsa_float_round_mode_32 0
		.amdhsa_float_round_mode_16_64 0
		.amdhsa_float_denorm_mode_32 3
		.amdhsa_float_denorm_mode_16_64 3
		.amdhsa_dx10_clamp 1
		.amdhsa_ieee_mode 1
		.amdhsa_fp16_overflow 0
		.amdhsa_tg_split 0
		.amdhsa_exception_fp_ieee_invalid_op 0
		.amdhsa_exception_fp_denorm_src 0
		.amdhsa_exception_fp_ieee_div_zero 0
		.amdhsa_exception_fp_ieee_overflow 0
		.amdhsa_exception_fp_ieee_underflow 0
		.amdhsa_exception_fp_ieee_inexact 0
		.amdhsa_exception_int_div_zero 0
	.end_amdhsa_kernel
	.section	.text._ZL30rocblas_trsm_small_left_deviceILi32ELi32ELb0E19rocblas_complex_numIfES1_PKPKS1_PKPS1_Ev13rocblas_fill_18rocblas_operation_17rocblas_diagonal_iiT3_T4_lilT5_lili,"axG",@progbits,_ZL30rocblas_trsm_small_left_deviceILi32ELi32ELb0E19rocblas_complex_numIfES1_PKPKS1_PKPS1_Ev13rocblas_fill_18rocblas_operation_17rocblas_diagonal_iiT3_T4_lilT5_lili,comdat
.Lfunc_end169:
	.size	_ZL30rocblas_trsm_small_left_deviceILi32ELi32ELb0E19rocblas_complex_numIfES1_PKPKS1_PKPS1_Ev13rocblas_fill_18rocblas_operation_17rocblas_diagonal_iiT3_T4_lilT5_lili, .Lfunc_end169-_ZL30rocblas_trsm_small_left_deviceILi32ELi32ELb0E19rocblas_complex_numIfES1_PKPKS1_PKPS1_Ev13rocblas_fill_18rocblas_operation_17rocblas_diagonal_iiT3_T4_lilT5_lili
                                        ; -- End function
	.set _ZL30rocblas_trsm_small_left_deviceILi32ELi32ELb0E19rocblas_complex_numIfES1_PKPKS1_PKPS1_Ev13rocblas_fill_18rocblas_operation_17rocblas_diagonal_iiT3_T4_lilT5_lili.num_vgpr, 24
	.set _ZL30rocblas_trsm_small_left_deviceILi32ELi32ELb0E19rocblas_complex_numIfES1_PKPKS1_PKPS1_Ev13rocblas_fill_18rocblas_operation_17rocblas_diagonal_iiT3_T4_lilT5_lili.num_agpr, 0
	.set _ZL30rocblas_trsm_small_left_deviceILi32ELi32ELb0E19rocblas_complex_numIfES1_PKPKS1_PKPS1_Ev13rocblas_fill_18rocblas_operation_17rocblas_diagonal_iiT3_T4_lilT5_lili.numbered_sgpr, 42
	.set _ZL30rocblas_trsm_small_left_deviceILi32ELi32ELb0E19rocblas_complex_numIfES1_PKPKS1_PKPS1_Ev13rocblas_fill_18rocblas_operation_17rocblas_diagonal_iiT3_T4_lilT5_lili.num_named_barrier, 0
	.set _ZL30rocblas_trsm_small_left_deviceILi32ELi32ELb0E19rocblas_complex_numIfES1_PKPKS1_PKPS1_Ev13rocblas_fill_18rocblas_operation_17rocblas_diagonal_iiT3_T4_lilT5_lili.private_seg_size, 272
	.set _ZL30rocblas_trsm_small_left_deviceILi32ELi32ELb0E19rocblas_complex_numIfES1_PKPKS1_PKPS1_Ev13rocblas_fill_18rocblas_operation_17rocblas_diagonal_iiT3_T4_lilT5_lili.uses_vcc, 1
	.set _ZL30rocblas_trsm_small_left_deviceILi32ELi32ELb0E19rocblas_complex_numIfES1_PKPKS1_PKPS1_Ev13rocblas_fill_18rocblas_operation_17rocblas_diagonal_iiT3_T4_lilT5_lili.uses_flat_scratch, 0
	.set _ZL30rocblas_trsm_small_left_deviceILi32ELi32ELb0E19rocblas_complex_numIfES1_PKPKS1_PKPS1_Ev13rocblas_fill_18rocblas_operation_17rocblas_diagonal_iiT3_T4_lilT5_lili.has_dyn_sized_stack, 0
	.set _ZL30rocblas_trsm_small_left_deviceILi32ELi32ELb0E19rocblas_complex_numIfES1_PKPKS1_PKPS1_Ev13rocblas_fill_18rocblas_operation_17rocblas_diagonal_iiT3_T4_lilT5_lili.has_recursion, 0
	.set _ZL30rocblas_trsm_small_left_deviceILi32ELi32ELb0E19rocblas_complex_numIfES1_PKPKS1_PKPS1_Ev13rocblas_fill_18rocblas_operation_17rocblas_diagonal_iiT3_T4_lilT5_lili.has_indirect_call, 0
	.section	.AMDGPU.csdata,"",@progbits
; Kernel info:
; codeLenInByte = 3464
; TotalNumSgprs: 48
; NumVgprs: 24
; NumAgprs: 0
; TotalNumVgprs: 24
; ScratchSize: 272
; MemoryBound: 0
; FloatMode: 240
; IeeeMode: 1
; LDSByteSize: 8192 bytes/workgroup (compile time only)
; SGPRBlocks: 12
; VGPRBlocks: 10
; NumSGPRsForWavesPerEU: 102
; NumVGPRsForWavesPerEU: 81
; AccumOffset: 24
; Occupancy: 5
; WaveLimiterHint : 1
; COMPUTE_PGM_RSRC2:SCRATCH_EN: 1
; COMPUTE_PGM_RSRC2:USER_SGPR: 2
; COMPUTE_PGM_RSRC2:TRAP_HANDLER: 0
; COMPUTE_PGM_RSRC2:TGID_X_EN: 1
; COMPUTE_PGM_RSRC2:TGID_Y_EN: 0
; COMPUTE_PGM_RSRC2:TGID_Z_EN: 1
; COMPUTE_PGM_RSRC2:TIDIG_COMP_CNT: 0
; COMPUTE_PGM_RSRC3_GFX90A:ACCUM_OFFSET: 5
; COMPUTE_PGM_RSRC3_GFX90A:TG_SPLIT: 0
	.section	.text._ZL38rocblas_trsm_small_left_device_sharedBILi32ELi32ELb1E19rocblas_complex_numIfES1_PKPKS1_PKPS1_Ev13rocblas_fill_18rocblas_operation_17rocblas_diagonal_iiT3_T4_lilT5_lili,"axG",@progbits,_ZL38rocblas_trsm_small_left_device_sharedBILi32ELi32ELb1E19rocblas_complex_numIfES1_PKPKS1_PKPS1_Ev13rocblas_fill_18rocblas_operation_17rocblas_diagonal_iiT3_T4_lilT5_lili,comdat
	.globl	_ZL38rocblas_trsm_small_left_device_sharedBILi32ELi32ELb1E19rocblas_complex_numIfES1_PKPKS1_PKPS1_Ev13rocblas_fill_18rocblas_operation_17rocblas_diagonal_iiT3_T4_lilT5_lili ; -- Begin function _ZL38rocblas_trsm_small_left_device_sharedBILi32ELi32ELb1E19rocblas_complex_numIfES1_PKPKS1_PKPS1_Ev13rocblas_fill_18rocblas_operation_17rocblas_diagonal_iiT3_T4_lilT5_lili
	.p2align	8
	.type	_ZL38rocblas_trsm_small_left_device_sharedBILi32ELi32ELb1E19rocblas_complex_numIfES1_PKPKS1_PKPS1_Ev13rocblas_fill_18rocblas_operation_17rocblas_diagonal_iiT3_T4_lilT5_lili,@function
_ZL38rocblas_trsm_small_left_device_sharedBILi32ELi32ELb1E19rocblas_complex_numIfES1_PKPKS1_PKPS1_Ev13rocblas_fill_18rocblas_operation_17rocblas_diagonal_iiT3_T4_lilT5_lili: ; @_ZL38rocblas_trsm_small_left_device_sharedBILi32ELi32ELb1E19rocblas_complex_numIfES1_PKPKS1_PKPS1_Ev13rocblas_fill_18rocblas_operation_17rocblas_diagonal_iiT3_T4_lilT5_lili
; %bb.0:
	s_load_dwordx4 s[8:11], s[0:1], 0x40
	s_load_dwordx4 s[4:7], s[0:1], 0x4
	s_load_dwordx2 s[12:13], s[0:1], 0x14
	s_mov_b32 s14, s3
	s_mov_b32 s15, 0
	s_lshl_b64 s[18:19], s[14:15], 3
	s_waitcnt lgkmcnt(0)
	s_add_u32 s8, s8, s18
	s_addc_u32 s9, s9, s19
	s_load_dword s3, s[0:1], 0x68
	s_load_dwordx2 s[14:15], s[8:9], 0x0
	s_min_i32 s28, s6, 32
	v_cmp_gt_i32_e32 vcc, s28, v0
	s_and_saveexec_b64 s[8:9], vcc
	s_cbranch_execz .LBB170_15
; %bb.1:
	s_load_dword s24, s[0:1], 0x30
	s_load_dwordx4 s[20:23], s[0:1], 0x20
	v_lshlrev_b32_e32 v2, 3, v0
	v_mov_b32_e32 v3, 0
	v_mov_b32_e32 v1, v2
	s_waitcnt lgkmcnt(0)
	s_ashr_i32 s25, s24, 31
	s_cmpk_lg_i32 s4, 0x71
	s_cselect_b64 s[16:17], -1, 0
	s_add_u32 s18, s20, s18
	s_addc_u32 s19, s21, s19
	s_load_dwordx2 s[18:19], s[18:19], 0x0
	s_lshl_b64 s[20:21], s[22:23], 3
	s_mov_b32 s22, s28
	s_waitcnt lgkmcnt(0)
	s_add_u32 s20, s18, s20
	s_addc_u32 s21, s19, s21
	s_lshl_b64 s[18:19], s[24:25], 3
	v_lshl_add_u64 v[4:5], s[20:21], 0, v[2:3]
	s_branch .LBB170_3
.LBB170_2:                              ;   in Loop: Header=BB170_3 Depth=1
	flat_load_dword v6, v[4:5]
	s_add_i32 s22, s22, -1
	v_lshl_add_u64 v[4:5], v[4:5], 0, s[18:19]
	s_cmp_eq_u32 s22, 0
	s_waitcnt vmcnt(0) lgkmcnt(0)
	ds_write_b64 v1, v[6:7]
	v_add_u32_e32 v1, 0x100, v1
	s_cbranch_scc1 .LBB170_7
.LBB170_3:                              ; =>This Inner Loop Header: Depth=1
	s_mov_b64 s[20:21], -1
	s_and_b64 vcc, exec, s[16:17]
                                        ; implicit-def: $vgpr7
	s_cbranch_vccz .LBB170_5
; %bb.4:                                ;   in Loop: Header=BB170_3 Depth=1
	flat_load_dword v7, v[4:5] offset:4
	s_mov_b64 s[20:21], 0
.LBB170_5:                              ;   in Loop: Header=BB170_3 Depth=1
	s_andn2_b64 vcc, exec, s[20:21]
	s_cbranch_vccnz .LBB170_2
; %bb.6:                                ;   in Loop: Header=BB170_3 Depth=1
	flat_load_dword v3, v[4:5] offset:4
	s_waitcnt vmcnt(0) lgkmcnt(0)
	v_xor_b32_e32 v7, 0x80000000, v3
	s_branch .LBB170_2
.LBB170_7:
	v_lshlrev_b32_e32 v1, 8, v0
	s_cmpk_lg_i32 s5, 0x84
	s_mov_b64 s[16:17], -1
	v_add_u32_e32 v1, v2, v1
	s_cbranch_scc0 .LBB170_13
; %bb.8:
	ds_read_b64 v[2:3], v1
                                        ; implicit-def: $vgpr4_vgpr5
	s_waitcnt lgkmcnt(0)
	v_cmp_ngt_f32_e64 s[16:17], |v2|, |v3|
	s_and_saveexec_b64 s[18:19], s[16:17]
	s_xor_b64 s[16:17], exec, s[18:19]
	s_cbranch_execz .LBB170_10
; %bb.9:
	v_div_scale_f32 v4, s[18:19], v3, v3, v2
	v_rcp_f32_e32 v5, v4
	v_div_scale_f32 v6, vcc, v2, v3, v2
	v_fma_f32 v7, -v4, v5, 1.0
	v_fmac_f32_e32 v5, v7, v5
	v_mul_f32_e32 v7, v6, v5
	v_fma_f32 v8, -v4, v7, v6
	v_fmac_f32_e32 v7, v8, v5
	v_fma_f32 v4, -v4, v7, v6
	v_div_fmas_f32 v4, v4, v5, v7
	v_div_fixup_f32 v4, v4, v3, v2
	v_fmac_f32_e32 v3, v2, v4
	v_div_scale_f32 v2, s[18:19], v3, v3, 1.0
	v_rcp_f32_e32 v5, v2
	s_mov_b32 s18, 0
	s_mov_b32 s19, -1.0
	v_fma_f32 v6, -v2, v5, 1.0
	v_fmac_f32_e32 v5, v6, v5
	v_div_scale_f32 v6, vcc, 1.0, v3, 1.0
	v_mul_f32_e32 v7, v6, v5
	v_fma_f32 v8, -v2, v7, v6
	v_fmac_f32_e32 v7, v8, v5
	v_fma_f32 v2, -v2, v7, v6
	v_div_fmas_f32 v2, v2, v5, v7
	v_mul_f32_e32 v5, 0, v4
	v_div_fixup_f32 v2, v2, v3, 1.0
	v_pk_add_f32 v[4:5], v[4:5], s[18:19]
	s_nop 0
	v_pk_mul_f32 v[4:5], v[4:5], v[2:3] op_sel_hi:[1,0]
                                        ; implicit-def: $vgpr2_vgpr3
.LBB170_10:
	s_andn2_saveexec_b64 s[16:17], s[16:17]
	s_cbranch_execz .LBB170_12
; %bb.11:
	v_div_scale_f32 v4, s[18:19], v2, v2, v3
	v_rcp_f32_e32 v5, v4
	v_div_scale_f32 v6, vcc, v3, v2, v3
	v_fma_f32 v7, -v4, v5, 1.0
	v_fmac_f32_e32 v5, v7, v5
	v_mul_f32_e32 v7, v6, v5
	v_fma_f32 v8, -v4, v7, v6
	v_fmac_f32_e32 v7, v8, v5
	v_fma_f32 v4, -v4, v7, v6
	v_div_fmas_f32 v4, v4, v5, v7
	v_div_fixup_f32 v5, v4, v2, v3
	v_fmac_f32_e32 v2, v3, v5
	v_div_scale_f32 v3, s[18:19], v2, v2, 1.0
	v_rcp_f32_e32 v4, v3
	s_nop 0
	v_fma_f32 v6, -v3, v4, 1.0
	v_fmac_f32_e32 v4, v6, v4
	v_div_scale_f32 v6, vcc, 1.0, v2, 1.0
	v_mul_f32_e32 v7, v6, v4
	v_fma_f32 v8, -v3, v7, v6
	v_fmac_f32_e32 v7, v8, v4
	v_fma_f32 v3, -v3, v7, v6
	v_div_fmas_f32 v3, v3, v4, v7
	v_div_fixup_f32 v2, v3, v2, 1.0
	v_mul_f32_e32 v3, 0, v5
	v_add_f32_e32 v4, 1.0, v3
	v_sub_f32_e32 v5, 0, v5
	v_pk_mul_f32 v[4:5], v[4:5], v[2:3] op_sel_hi:[1,0]
.LBB170_12:
	s_or_b64 exec, exec, s[16:17]
	s_mov_b64 s[16:17], 0
	ds_write_b64 v1, v[4:5]
.LBB170_13:
	s_and_b64 vcc, exec, s[16:17]
	s_cbranch_vccz .LBB170_15
; %bb.14:
	v_mov_b32_e32 v2, 1.0
	v_mov_b32_e32 v3, 0
	ds_write_b64 v1, v[2:3]
.LBB170_15:
	s_or_b64 exec, exec, s[8:9]
	s_load_dword s29, s[0:1], 0x50
	s_lshl_b64 s[16:17], s[10:11], 3
	s_waitcnt lgkmcnt(0)
	s_ashr_i32 s5, s29, 31
	s_add_u32 s8, s14, s16
	s_addc_u32 s9, s15, s17
	s_lshl_b32 s18, s2, 5
	s_add_i32 s3, s3, -1
	s_sub_i32 s0, s7, s18
	s_cmp_ge_u32 s2, s3
	s_mul_hi_i32 s1, s29, s18
	s_cselect_b32 s7, s0, 32
	s_mul_i32 s0, s29, s18
	s_lshl_b64 s[0:1], s[0:1], 3
	s_add_u32 s2, s8, s0
	s_addc_u32 s3, s9, s1
	s_cmp_gt_i32 s6, 0
	v_cmp_gt_i32_e64 s[0:1], s7, v0
	s_cselect_b64 s[8:9], -1, 0
	s_mov_b32 s7, 0
	s_and_b64 s[20:21], s[0:1], s[8:9]
	s_and_saveexec_b64 s[10:11], s[20:21]
	s_cbranch_execz .LBB170_23
; %bb.16:
	s_cmp_lt_i32 s6, 2
	s_mov_b64 s[20:21], -1
	s_cbranch_scc1 .LBB170_20
; %bb.17:
	v_mad_i64_i32 v[2:3], s[20:21], s29, v0, 0
	v_mov_b32_e32 v1, 0x2000
	s_and_b32 s7, s28, 62
	s_mov_b32 s27, 0
	v_lshl_add_u64 v[2:3], v[2:3], 3, s[2:3]
	v_lshl_or_b32 v1, v0, 3, v1
	s_mov_b32 s20, s12
	s_mov_b32 s21, s12
	;; [unrolled: 1-line block ×7, first 2 shown]
.LBB170_18:                             ; =>This Inner Loop Header: Depth=1
	v_lshl_add_u64 v[4:5], s[26:27], 3, v[2:3]
	s_mov_b32 s25, s27
	v_lshl_add_u64 v[6:7], s[24:25], 3, v[2:3]
	flat_load_dwordx2 v[12:13], v[4:5]
	flat_load_dwordx2 v[8:9], v[6:7]
	v_lshl_add_u32 v10, s26, 8, v1
	v_lshl_add_u32 v11, s24, 8, v1
	s_add_i32 s26, s26, 2
	s_add_i32 s19, s19, -2
	s_add_i32 s24, s24, 2
	s_cmp_lg_u32 s19, 0
	s_waitcnt vmcnt(0) lgkmcnt(0)
	v_mov_b32_e32 v4, v12
	v_mov_b32_e32 v5, v8
	;; [unrolled: 1-line block ×3, first 2 shown]
	v_pk_mul_f32 v[6:7], s[22:23], v[8:9]
	v_pk_mul_f32 v[8:9], s[20:21], v[8:9]
	v_pk_fma_f32 v[6:7], s[20:21], v[4:5], v[6:7] neg_lo:[0,0,1] neg_hi:[0,0,1]
	v_pk_fma_f32 v[4:5], s[22:23], v[4:5], v[8:9]
	ds_write_b32 v10, v6
	ds_write_b32 v11, v7
	ds_write_b32 v10, v4 offset:4
	ds_write_b32 v11, v5 offset:4
	s_cbranch_scc1 .LBB170_18
; %bb.19:
	s_cmp_lg_u32 s28, s7
	s_cselect_b64 s[20:21], -1, 0
.LBB170_20:
	s_and_b64 vcc, exec, s[20:21]
	s_cbranch_vccz .LBB170_23
; %bb.21:
	s_ashr_i32 s19, s18, 31
	v_lshlrev_b32_e32 v4, 3, v0
	v_mov_b32_e32 v5, 0
	s_sub_i32 s22, s28, s7
	v_lshl_add_u64 v[6:7], s[18:19], 3, v[4:5]
	s_lshl_b32 s18, s7, 3
	s_add_u32 s14, s14, s18
	s_addc_u32 s15, s15, 0
	s_add_u32 s14, s14, s16
	s_addc_u32 s15, s15, s17
	v_mov_b64_e32 v[2:3], s[14:15]
	v_mad_u64_u32 v[2:3], s[14:15], v6, s29, v[2:3]
	v_mul_lo_u32 v1, v6, s5
	v_mul_lo_u32 v5, v7, s29
	v_add3_u32 v3, v5, v3, v1
	v_lshl_or_b32 v1, s7, 8, v4
	s_mov_b32 s20, s13
	s_mov_b32 s21, s12
	v_add_u32_e32 v1, 0x2000, v1
.LBB170_22:                             ; =>This Inner Loop Header: Depth=1
	flat_load_dwordx2 v[4:5], v[2:3]
	s_add_i32 s22, s22, -1
	v_lshl_add_u64 v[2:3], v[2:3], 0, 8
	s_cmp_lg_u32 s22, 0
	s_waitcnt vmcnt(0) lgkmcnt(0)
	v_pk_mul_f32 v[6:7], s[20:21], v[4:5] op_sel:[0,1]
	s_nop 0
	v_pk_fma_f32 v[8:9], s[12:13], v[4:5], v[6:7] neg_lo:[0,0,1] neg_hi:[0,0,1]
	v_pk_fma_f32 v[4:5], s[12:13], v[4:5], v[6:7] op_sel_hi:[1,0,1]
	s_nop 0
	v_mov_b32_e32 v9, v5
	ds_write_b64 v1, v[8:9]
	v_add_u32_e32 v1, 0x100, v1
	s_cbranch_scc1 .LBB170_22
.LBB170_23:
	s_or_b64 exec, exec, s[10:11]
	v_mov_b32_e32 v1, 0x2000
	s_cmpk_eq_i32 s4, 0x6f
	v_lshl_or_b32 v1, v0, 3, v1
	s_mov_b64 s[4:5], -1
	s_waitcnt lgkmcnt(0)
	; wave barrier
	s_cbranch_scc1 .LBB170_54
; %bb.24:
	s_add_i32 s7, s28, -1
	s_cmp_gt_i32 s6, 31
	s_mov_b32 s10, s7
	s_cbranch_scc0 .LBB170_26
; %bb.25:
	v_add_u32_e32 v85, 0x1800, v1
	ds_read2_b64 v[4:7], v85 offset0:192 offset1:224
	ds_read2_b64 v[8:11], v85 offset0:128 offset1:160
	;; [unrolled: 1-line block ×3, first 2 shown]
	v_add_u32_e32 v102, 0x1000, v1
	s_movk_i32 s4, 0x1f8
	s_waitcnt lgkmcnt(2)
	v_mov_b32_e32 v2, v6
	v_mov_b32_e32 v3, v7
	scratch_store_dwordx4 off, v[2:5], off
	scratch_load_dwordx4 v[2:5], off, off
	s_waitcnt lgkmcnt(1)
	v_mov_b32_e32 v6, v10
	v_mov_b32_e32 v7, v11
	scratch_store_dwordx4 off, v[6:9], off offset:16
	scratch_load_dwordx4 v[10:13], off, off offset:16
	ds_read2_b64 v[46:49], v85 offset1:32
	ds_read2_b64 v[50:53], v102 offset0:192 offset1:224
	s_waitcnt lgkmcnt(2)
	v_mov_b32_e32 v6, v18
	v_mov_b32_e32 v7, v19
	;; [unrolled: 1-line block ×4, first 2 shown]
	scratch_store_dwordx4 off, v[6:9], off offset:32
	scratch_load_dwordx4 v[18:21], off, off offset:32
	v_mov_b32_e32 v100, 0
	v_mov_b32_e32 v14, 0x1de8
	;; [unrolled: 1-line block ×3, first 2 shown]
	v_add_u32_e64 v6, s4, 0
	ds_read_b128 v[22:25], v100 offset:7920
	ds_read2_b64 v[26:29], v14 offset1:1
	ds_read_b128 v[30:33], v100 offset:7392
	ds_read_b128 v[34:37], v100 offset:7408
	ds_read2_b64 v[38:41], v15 offset1:1
	ds_read2st64_b64 v[42:45], v6 offset0:14 offset1:15
	ds_read2st64_b64 v[14:17], v6 offset0:12 offset1:13
	s_waitcnt lgkmcnt(8)
	v_mov_b32_e32 v6, v48
	v_mov_b32_e32 v7, v49
	v_mov_b32_e32 v8, v46
	v_mov_b32_e32 v9, v47
	s_waitcnt lgkmcnt(7)
	v_mov_b32_e32 v46, v52
	v_mov_b32_e32 v47, v53
	;; [unrolled: 1-line block ×4, first 2 shown]
	scratch_store_dwordx4 off, v[6:9], off offset:48
	scratch_store_dwordx4 off, v[46:49], off offset:64
	scratch_load_dwordx4 v[6:9], off, off offset:48
	v_add_u32_e32 v103, 0x800, v1
	s_movk_i32 s4, 0x1000
	s_mov_b32 s10, -1
	s_waitcnt vmcnt(7) lgkmcnt(1)
	v_mul_f32_e32 v87, v44, v3
	v_mul_f32_e32 v46, v45, v3
	v_fmac_f32_e32 v87, v45, v2
	v_fma_f32 v86, v44, v2, -v46
	v_mul_f32_e32 v3, v24, v87
	v_mul_f32_e32 v2, v25, v87
	v_fmac_f32_e32 v3, v25, v86
	v_mul_f32_e32 v44, v43, v87
	v_mul_f32_e32 v46, v37, v87
	v_fma_f32 v2, v24, v86, -v2
	v_sub_f32_e32 v3, v5, v3
	v_fma_f32 v24, v42, v86, -v44
	v_fma_f32 v25, v36, v86, -v46
	v_sub_f32_e32 v2, v4, v2
	v_mul_f32_e32 v89, v22, v3
	v_mul_f32_e32 v45, v42, v87
	s_waitcnt vmcnt(5)
	v_sub_f32_e32 v4, v10, v24
	v_sub_f32_e32 v10, v12, v25
	v_mul_f32_e32 v12, v23, v3
	v_fmac_f32_e32 v89, v23, v2
	v_fmac_f32_e32 v45, v43, v86
	v_fma_f32 v88, v22, v2, -v12
	v_mul_f32_e32 v3, v28, v89
	v_sub_f32_e32 v5, v11, v45
	v_mul_f32_e32 v2, v29, v89
	v_fmac_f32_e32 v3, v29, v88
	v_mul_f32_e32 v47, v36, v87
	v_mul_f32_e32 v12, v35, v89
	v_fma_f32 v2, v28, v88, -v2
	v_sub_f32_e32 v3, v5, v3
	v_fmac_f32_e32 v47, v37, v86
	v_fma_f32 v12, v34, v88, -v12
	v_sub_f32_e32 v2, v4, v2
	v_mul_f32_e32 v91, v26, v3
	v_sub_f32_e32 v11, v13, v47
	v_mul_f32_e32 v13, v34, v89
	v_sub_f32_e32 v4, v10, v12
	v_mul_f32_e32 v10, v27, v3
	v_fmac_f32_e32 v91, v27, v2
	v_fmac_f32_e32 v13, v35, v88
	v_fma_f32 v90, v26, v2, -v10
	v_mul_f32_e32 v3, v32, v91
	v_sub_f32_e32 v5, v11, v13
	v_mul_f32_e32 v2, v33, v91
	v_fmac_f32_e32 v3, v33, v90
	v_fma_f32 v2, v32, v90, -v2
	v_sub_f32_e32 v3, v5, v3
	v_sub_f32_e32 v2, v4, v2
	v_mul_f32_e32 v4, v31, v3
	v_mul_f32_e32 v93, v30, v3
	v_fma_f32 v92, v30, v2, -v4
	v_fmac_f32_e32 v93, v31, v2
	s_waitcnt lgkmcnt(0)
	v_mul_f32_e32 v2, v16, v87
	v_fmac_f32_e32 v2, v17, v86
	v_mul_f32_e32 v5, v40, v89
	v_mul_f32_e32 v48, v17, v87
	s_waitcnt vmcnt(3)
	v_sub_f32_e32 v2, v19, v2
	v_fmac_f32_e32 v5, v41, v88
	v_fma_f32 v36, v16, v86, -v48
	v_mul_f32_e32 v4, v41, v89
	v_sub_f32_e32 v11, v2, v5
	v_mul_f32_e32 v2, v39, v91
	v_sub_f32_e32 v3, v18, v36
	v_fma_f32 v4, v40, v88, -v4
	v_fma_f32 v12, v38, v90, -v2
	v_mov_b32_e32 v2, 0x1bd8
	v_sub_f32_e32 v10, v3, v4
	ds_read2_b64 v[2:5], v2 offset1:1
	v_mul_f32_e32 v13, v38, v91
	v_sub_f32_e32 v10, v10, v12
	v_fmac_f32_e32 v13, v39, v90
	v_sub_f32_e32 v11, v11, v13
	s_waitcnt lgkmcnt(0)
	v_mul_f32_e32 v12, v5, v93
	v_fma_f32 v12, v4, v92, -v12
	v_mul_f32_e32 v4, v4, v93
	v_fmac_f32_e32 v4, v5, v92
	v_sub_f32_e32 v4, v11, v4
	v_sub_f32_e32 v5, v10, v12
	v_mul_f32_e32 v10, v3, v4
	v_fma_f32 v94, v2, v5, -v10
	ds_read_b128 v[10:13], v100 offset:6896
	v_mul_f32_e32 v95, v2, v4
	v_fmac_f32_e32 v95, v3, v5
	scratch_store_dwordx2 off, v[86:87], off
	scratch_store_dwordx2 off, v[88:89], off offset:8
	scratch_store_dwordx2 off, v[90:91], off offset:16
	;; [unrolled: 1-line block ×4, first 2 shown]
	ds_read_b128 v[2:5], v100 offset:6864
	ds_read_b128 v[16:19], v100 offset:6880
	s_waitcnt lgkmcnt(2)
	v_mul_f32_e32 v22, v13, v87
	v_fma_f32 v22, v12, v86, -v22
	v_mul_f32_e32 v12, v12, v87
	v_fmac_f32_e32 v12, v13, v86
	v_sub_f32_e32 v13, v20, v22
	v_mul_f32_e32 v20, v11, v89
	v_fma_f32 v20, v10, v88, -v20
	v_mul_f32_e32 v10, v10, v89
	v_sub_f32_e32 v12, v21, v12
	v_fmac_f32_e32 v10, v11, v88
	v_sub_f32_e32 v10, v12, v10
	s_waitcnt lgkmcnt(0)
	v_mul_f32_e32 v12, v19, v91
	v_sub_f32_e32 v11, v13, v20
	v_fma_f32 v12, v18, v90, -v12
	v_mul_f32_e32 v13, v18, v91
	v_sub_f32_e32 v11, v11, v12
	v_mul_f32_e32 v12, v17, v93
	v_fmac_f32_e32 v13, v19, v90
	v_fma_f32 v12, v16, v92, -v12
	v_sub_f32_e32 v10, v10, v13
	v_mul_f32_e32 v13, v16, v93
	v_sub_f32_e32 v11, v11, v12
	v_mul_f32_e32 v12, v5, v95
	v_fmac_f32_e32 v13, v17, v92
	v_fma_f32 v12, v4, v94, -v12
	v_mul_f32_e32 v4, v4, v95
	v_sub_f32_e32 v10, v10, v13
	v_fmac_f32_e32 v4, v5, v94
	v_sub_f32_e32 v4, v10, v4
	v_sub_f32_e32 v5, v11, v12
	v_mul_f32_e32 v10, v3, v4
	v_fma_f32 v96, v2, v5, -v10
	v_mul_f32_e32 v97, v2, v4
	v_mul_f32_e32 v2, v15, v87
	v_fma_f32 v10, v14, v86, -v2
	v_mov_b32_e32 v2, 0x19e8
	v_fmac_f32_e32 v97, v3, v5
	ds_read2_b64 v[2:5], v2 offset1:1
	v_mul_f32_e32 v11, v14, v87
	s_waitcnt vmcnt(5)
	v_sub_f32_e32 v6, v6, v10
	v_fmac_f32_e32 v11, v15, v86
	v_sub_f32_e32 v7, v7, v11
	s_waitcnt lgkmcnt(0)
	v_mul_f32_e32 v10, v5, v89
	v_fma_f32 v10, v4, v88, -v10
	v_mul_f32_e32 v4, v4, v89
	v_fmac_f32_e32 v4, v5, v88
	v_sub_f32_e32 v11, v7, v4
	v_mul_f32_e32 v4, v3, v91
	v_fma_f32 v12, v2, v90, -v4
	v_mov_b32_e32 v4, 0x19d8
	v_sub_f32_e32 v10, v6, v10
	ds_read2_b64 v[4:7], v4 offset1:1
	v_mul_f32_e32 v2, v2, v91
	v_fmac_f32_e32 v2, v3, v90
	v_sub_f32_e32 v3, v10, v12
	v_sub_f32_e32 v2, v11, v2
	s_waitcnt lgkmcnt(0)
	v_mul_f32_e32 v10, v7, v93
	v_fma_f32 v10, v6, v92, -v10
	v_mul_f32_e32 v6, v6, v93
	v_fmac_f32_e32 v6, v7, v92
	v_mov_b32_e32 v7, 0x19c8
	v_sub_f32_e32 v3, v3, v10
	ds_read2_b64 v[10:13], v7 offset1:1
	v_sub_f32_e32 v2, v2, v6
	v_mul_f32_e32 v6, v5, v95
	v_fma_f32 v6, v4, v94, -v6
	v_mul_f32_e32 v4, v4, v95
	ds_read_b128 v[18:21], v100 offset:6384
	v_fmac_f32_e32 v4, v5, v94
	s_waitcnt lgkmcnt(1)
	v_mul_f32_e32 v5, v12, v97
	v_sub_f32_e32 v2, v2, v4
	v_mul_f32_e32 v4, v13, v97
	v_fmac_f32_e32 v5, v13, v96
	v_sub_f32_e32 v3, v3, v6
	v_fma_f32 v4, v12, v96, -v4
	v_sub_f32_e32 v2, v2, v5
	v_sub_f32_e32 v3, v3, v4
	v_mul_f32_e32 v4, v11, v2
	v_mul_f32_e32 v99, v10, v2
	v_fma_f32 v98, v10, v3, -v4
	v_fmac_f32_e32 v99, v11, v3
	s_waitcnt lgkmcnt(0)
	v_mul_f32_e32 v6, v21, v87
	v_mul_f32_e32 v7, v20, v87
	scratch_store_dwordx2 off, v[96:97], off offset:40
	scratch_store_dwordx2 off, v[98:99], off offset:48
	v_fma_f32 v6, v20, v86, -v6
	v_fmac_f32_e32 v7, v21, v86
	ds_read_b128 v[2:5], v100 offset:6336
	ds_read_b128 v[14:17], v100 offset:6352
	;; [unrolled: 1-line block ×3, first 2 shown]
	v_sub_f32_e32 v6, v8, v6
	v_sub_f32_e32 v7, v9, v7
	scratch_load_dwordx4 v[10:13], off, off
	scratch_load_dwordx4 v[44:47], off, off offset:16
	v_mul_f32_e32 v8, v19, v89
	v_mul_f32_e32 v9, v18, v89
	v_fma_f32 v8, v18, v88, -v8
	v_fmac_f32_e32 v9, v19, v88
	v_sub_f32_e32 v18, v6, v8
	v_sub_f32_e32 v19, v7, v9
	scratch_load_dwordx4 v[6:9], off, off offset:64
	s_waitcnt lgkmcnt(0)
	v_mul_f32_e32 v20, v25, v91
	v_mul_f32_e32 v21, v24, v91
	v_fma_f32 v20, v24, v90, -v20
	v_fmac_f32_e32 v21, v25, v90
	v_sub_f32_e32 v24, v18, v20
	v_sub_f32_e32 v25, v19, v21
	scratch_load_dwordx4 v[18:21], off, off offset:16
	v_mul_f32_e32 v26, v23, v93
	v_fma_f32 v26, v22, v92, -v26
	v_mul_f32_e32 v22, v22, v93
	v_fmac_f32_e32 v22, v23, v92
	v_sub_f32_e32 v23, v24, v26
	v_mul_f32_e32 v24, v17, v95
	v_fma_f32 v24, v16, v94, -v24
	v_mul_f32_e32 v16, v16, v95
	v_sub_f32_e32 v22, v25, v22
	v_fmac_f32_e32 v16, v17, v94
	v_sub_f32_e32 v16, v22, v16
	v_mul_f32_e32 v22, v15, v97
	scratch_load_dwordx4 v[32:35], off, off offset:32
	v_fma_f32 v22, v14, v96, -v22
	v_mul_f32_e32 v14, v14, v97
	v_fmac_f32_e32 v14, v15, v96
	v_sub_f32_e32 v14, v16, v14
	v_mul_f32_e32 v16, v5, v99
	v_fma_f32 v16, v4, v98, -v16
	v_mul_f32_e32 v4, v4, v99
	v_sub_f32_e32 v17, v23, v24
	v_fmac_f32_e32 v4, v5, v98
	v_sub_f32_e32 v15, v17, v22
	v_sub_f32_e32 v4, v14, v4
	;; [unrolled: 1-line block ×3, first 2 shown]
	v_mul_f32_e32 v14, v3, v4
	v_mul_f32_e32 v27, v2, v4
	v_fma_f32 v26, v2, v5, -v14
	v_fmac_f32_e32 v27, v3, v5
	scratch_store_dwordx2 off, v[26:27], off offset:56
	scratch_load_dwordx4 v[2:5], off, off offset:48
	ds_read2_b64 v[22:25], v102 offset0:128 offset1:160
	ds_read2_b64 v[28:31], v102 offset0:64 offset1:96
	ds_read2_b64 v[36:39], v102 offset1:32
	ds_read2_b64 v[40:43], v103 offset0:192 offset1:224
	s_waitcnt lgkmcnt(3)
	v_mov_b32_e32 v14, v24
	v_mov_b32_e32 v15, v25
	;; [unrolled: 1-line block ×4, first 2 shown]
	scratch_load_dwordx4 v[22:25], off, off
	s_nop 0
	scratch_store_dwordx4 off, v[14:17], off offset:80
	s_waitcnt lgkmcnt(2)
	s_nop 0
	v_mov_b32_e32 v14, v30
	v_mov_b32_e32 v15, v31
	;; [unrolled: 1-line block ×4, first 2 shown]
	scratch_store_dwordx4 off, v[14:17], off offset:96
	s_waitcnt lgkmcnt(0)
	v_mov_b32_e32 v28, v42
	v_mov_b32_e32 v29, v43
	;; [unrolled: 1-line block ×6, first 2 shown]
	scratch_store_dwordx4 off, v[14:17], off offset:112
	v_mov_b32_e32 v30, v40
	v_mov_b32_e32 v31, v41
	v_add_u32_e64 v14, s4, 0
	ds_read2_b64 v[14:17], v14 offset0:189 offset1:255
	scratch_store_dwordx4 off, v[28:31], off offset:128
	ds_read2_b64 v[40:43], v103 offset0:128 offset1:160
	s_movk_i32 s4, 0xfc
	v_mov_b32_e32 v29, 0x17e8
	ds_read2_b64 v[36:39], v29 offset1:1
	s_waitcnt vmcnt(11) lgkmcnt(2)
	v_mul_f32_e32 v28, v17, v11
	v_fma_f32 v28, v16, v10, -v28
	v_mul_f32_e32 v11, v16, v11
	v_fmac_f32_e32 v11, v17, v10
	s_waitcnt lgkmcnt(0)
	v_mul_f32_e32 v10, v39, v13
	v_fma_f32 v10, v38, v12, -v10
	s_waitcnt vmcnt(9)
	v_sub_f32_e32 v6, v6, v28
	scratch_load_dwordx4 v[28:31], off, off offset:32
	v_sub_f32_e32 v7, v7, v11
	v_mul_f32_e32 v11, v38, v13
	v_fmac_f32_e32 v11, v39, v12
	v_sub_f32_e32 v7, v7, v11
	v_mov_b32_e32 v11, 0x17d8
	ds_read2_b64 v[48:51], v11 offset1:1
	v_sub_f32_e32 v6, v6, v10
	s_waitcnt vmcnt(9)
	v_mul_f32_e32 v10, v37, v19
	v_mul_f32_e32 v11, v36, v19
	v_fma_f32 v10, v36, v18, -v10
	v_fmac_f32_e32 v11, v37, v18
	v_sub_f32_e32 v6, v6, v10
	v_sub_f32_e32 v7, v7, v11
	s_waitcnt lgkmcnt(0)
	v_mul_f32_e32 v10, v51, v21
	v_mul_f32_e32 v11, v50, v21
	v_fma_f32 v10, v50, v20, -v10
	v_fmac_f32_e32 v11, v51, v20
	v_sub_f32_e32 v6, v6, v10
	v_sub_f32_e32 v7, v7, v11
	scratch_load_dwordx4 v[10:13], off, off offset:48
	s_waitcnt vmcnt(9)
	v_mul_f32_e32 v16, v49, v33
	v_fma_f32 v20, v48, v32, -v16
	v_mov_b32_e32 v16, 0x17c8
	ds_read2_b64 v[16:19], v16 offset1:1
	v_mul_f32_e32 v21, v48, v33
	v_sub_f32_e32 v6, v6, v20
	v_fmac_f32_e32 v21, v49, v32
	v_sub_f32_e32 v7, v7, v21
	s_waitcnt lgkmcnt(0)
	v_mul_f32_e32 v20, v19, v35
	v_fma_f32 v20, v18, v34, -v20
	v_mul_f32_e32 v18, v18, v35
	v_fmac_f32_e32 v18, v19, v34
	v_sub_f32_e32 v7, v7, v18
	v_sub_f32_e32 v6, v6, v20
	v_add_u32_e64 v101, s4, 0
	s_waitcnt vmcnt(7)
	v_mul_f32_e32 v18, v17, v3
	v_fma_f32 v32, v16, v2, -v18
	v_mov_b32_e32 v18, 0x17b8
	ds_read2_b64 v[18:21], v18 offset1:1
	v_mul_f32_e32 v3, v16, v3
	v_fmac_f32_e32 v3, v17, v2
	v_sub_f32_e32 v2, v6, v32
	ds_read_b128 v[32:35], v100 offset:5872
	v_sub_f32_e32 v3, v7, v3
	s_waitcnt lgkmcnt(1)
	v_mul_f32_e32 v7, v20, v27
	v_mul_f32_e32 v6, v21, v27
	v_fmac_f32_e32 v7, v21, v26
	v_fma_f32 v6, v20, v26, -v6
	v_sub_f32_e32 v3, v3, v7
	v_sub_f32_e32 v6, v2, v6
	v_mul_f32_e32 v2, v19, v3
	v_mul_f32_e32 v3, v18, v3
	v_fma_f32 v2, v18, v6, -v2
	v_fmac_f32_e32 v3, v19, v6
	s_waitcnt vmcnt(6) lgkmcnt(0)
	v_mul_f32_e32 v6, v35, v23
	v_mul_f32_e32 v7, v34, v23
	v_fma_f32 v6, v34, v22, -v6
	v_fmac_f32_e32 v7, v35, v22
	scratch_load_dwordx4 v[20:23], off, off
	v_sub_f32_e32 v6, v8, v6
	v_sub_f32_e32 v7, v9, v7
	v_mul_f32_e32 v8, v33, v25
	v_mul_f32_e32 v9, v32, v25
	scratch_load_dwordx4 v[16:19], off, off offset:80
	v_fma_f32 v8, v32, v24, -v8
	v_fmac_f32_e32 v9, v33, v24
	ds_read_b128 v[32:35], v100 offset:5856
	scratch_store_dwordx2 off, v[2:3], off offset:64
	scratch_store_dword off, v6, off offset:72
	v_sub_f32_e32 v24, v6, v8
	v_sub_f32_e32 v52, v7, v9
	ds_read_b128 v[6:9], v100 offset:5808
	ds_read_b128 v[36:39], v100 offset:5824
	;; [unrolled: 1-line block ×3, first 2 shown]
	s_waitcnt lgkmcnt(3)
	v_mul_f32_e32 v25, v35, v45
	v_fma_f32 v25, v34, v44, -v25
	v_mul_f32_e32 v34, v34, v45
	v_fmac_f32_e32 v34, v35, v44
	v_mul_f32_e32 v44, v33, v47
	v_sub_f32_e32 v35, v24, v25
	scratch_load_dwordx4 v[24:27], off, off offset:16
	v_fma_f32 v44, v32, v46, -v44
	v_mul_f32_e32 v32, v32, v47
	v_sub_f32_e32 v34, v52, v34
	v_fmac_f32_e32 v32, v33, v46
	v_sub_f32_e32 v32, v34, v32
	s_waitcnt vmcnt(6) lgkmcnt(0)
	v_mul_f32_e32 v34, v51, v29
	v_mul_f32_e32 v29, v50, v29
	v_sub_f32_e32 v33, v35, v44
	v_fma_f32 v34, v50, v28, -v34
	v_fmac_f32_e32 v29, v51, v28
	v_sub_f32_e32 v28, v33, v34
	v_sub_f32_e32 v29, v32, v29
	scratch_load_dwordx4 v[32:35], off, off offset:32
	v_mul_f32_e32 v44, v49, v31
	v_mul_f32_e32 v31, v48, v31
	v_fma_f32 v44, v48, v30, -v44
	v_fmac_f32_e32 v31, v49, v30
	v_sub_f32_e32 v28, v28, v44
	scratch_load_dwordx4 v[44:47], off, off offset:48
	s_waitcnt vmcnt(7)
	v_mul_f32_e32 v30, v39, v11
	v_fma_f32 v30, v38, v10, -v30
	v_mul_f32_e32 v11, v38, v11
	v_fmac_f32_e32 v11, v39, v10
	v_sub_f32_e32 v10, v28, v30
	v_mul_f32_e32 v28, v37, v13
	v_mul_f32_e32 v13, v36, v13
	v_sub_f32_e32 v29, v29, v31
	v_fma_f32 v28, v36, v12, -v28
	v_fmac_f32_e32 v13, v37, v12
	v_mul_f32_e32 v12, v9, v3
	v_sub_f32_e32 v11, v29, v11
	v_fma_f32 v12, v8, v2, -v12
	v_mul_f32_e32 v8, v8, v3
	v_sub_f32_e32 v11, v11, v13
	v_fmac_f32_e32 v8, v9, v2
	v_sub_f32_e32 v10, v10, v28
	v_sub_f32_e32 v8, v11, v8
	v_sub_f32_e32 v9, v10, v12
	v_mul_f32_e32 v10, v7, v8
	v_mul_f32_e32 v29, v6, v8
	v_fma_f32 v28, v6, v9, -v10
	v_fmac_f32_e32 v29, v7, v9
	scratch_store_dwordx2 off, v[28:29], off offset:72
	scratch_load_dwordx4 v[10:13], off, off offset:64
	ds_read_b128 v[36:39], v100 offset:5616
	v_mov_b32_e32 v7, v43
	v_mov_b32_e32 v8, v40
	;; [unrolled: 1-line block ×4, first 2 shown]
	s_waitcnt lgkmcnt(0)
	v_mov_b32_e32 v30, v37
	v_mov_b32_e32 v31, v38
	ds_read2_b64 v[48:51], v103 offset0:64 offset1:96
	scratch_store_dwordx4 off, v[6:9], off offset:144
	scratch_load_dwordx4 v[52:55], off, off offset:8
	ds_read_b96 v[56:58], v100 offset:5344
	s_waitcnt lgkmcnt(1)
	v_mov_b32_e32 v6, v50
	v_mov_b32_e32 v7, v51
	;; [unrolled: 1-line block ×3, first 2 shown]
	s_waitcnt vmcnt(10)
	v_mov_b32_e32 v40, v20
	v_mov_b32_e32 v43, v21
	v_pk_mul_f32 v[20:21], v[38:39], v[20:21]
	v_mov_b32_e32 v41, v22
	v_sub_f32_e32 v20, v20, v21
	s_waitcnt vmcnt(9)
	v_sub_f32_e32 v16, v16, v20
	v_mov_b32_e32 v20, v39
	v_mov_b32_e32 v21, v36
	;; [unrolled: 1-line block ×3, first 2 shown]
	v_pk_mul_f32 v[20:21], v[20:21], v[40:41]
	v_mov_b32_e32 v9, v49
	v_pk_fma_f32 v[38:39], v[30:31], v[42:43], v[20:21] op_sel:[0,0,1] op_sel_hi:[1,1,0] neg_lo:[1,0,0] neg_hi:[1,0,0]
	v_pk_fma_f32 v[20:21], v[30:31], v[42:43], v[20:21] op_sel:[0,0,1] op_sel_hi:[1,1,0]
	scratch_load_dwordx4 v[48:51], off, off
	v_mov_b32_e32 v39, v21
	v_mul_f32_e32 v20, v37, v22
	v_fmac_f32_e32 v20, v36, v23
	v_pk_add_f32 v[16:17], v[16:17], v[38:39] neg_lo:[0,1] neg_hi:[0,1]
	scratch_store_dwordx2 off, v[16:17], off offset:80
	v_sub_f32_e32 v30, v17, v20
	v_mov_b32_e32 v20, 0x15d8
	ds_read2_b64 v[20:23], v20 offset1:1
	s_waitcnt vmcnt(8)
	v_mul_f32_e32 v17, v15, v25
	v_fma_f32 v17, v14, v24, -v17
	v_mul_f32_e32 v14, v14, v25
	v_fmac_f32_e32 v14, v15, v24
	v_sub_f32_e32 v15, v16, v17
	s_waitcnt lgkmcnt(0)
	v_mul_f32_e32 v17, v22, v27
	v_sub_f32_e32 v14, v30, v14
	v_fmac_f32_e32 v17, v23, v26
	v_mul_f32_e32 v16, v23, v27
	v_sub_f32_e32 v23, v14, v17
	v_fma_f32 v16, v22, v26, -v16
	s_waitcnt vmcnt(7)
	v_mul_f32_e32 v14, v21, v33
	v_fma_f32 v24, v20, v32, -v14
	v_mov_b32_e32 v14, 0x15c8
	v_sub_f32_e32 v22, v15, v16
	ds_read2_b64 v[14:17], v14 offset1:1
	v_mul_f32_e32 v20, v20, v33
	v_fmac_f32_e32 v20, v21, v32
	v_sub_f32_e32 v21, v22, v24
	v_sub_f32_e32 v20, v23, v20
	s_waitcnt lgkmcnt(0)
	v_mul_f32_e32 v22, v17, v35
	v_fma_f32 v22, v16, v34, -v22
	v_mul_f32_e32 v16, v16, v35
	v_fmac_f32_e32 v16, v17, v34
	v_sub_f32_e32 v16, v20, v16
	s_waitcnt vmcnt(6)
	v_mul_f32_e32 v20, v15, v45
	v_fma_f32 v24, v14, v44, -v20
	v_mov_b32_e32 v20, 0x15b8
	v_sub_f32_e32 v17, v21, v22
	ds_read2_b64 v[20:23], v20 offset1:1
	v_mul_f32_e32 v14, v14, v45
	scratch_load_dwordx4 v[40:43], off, off offset:24
	v_fmac_f32_e32 v14, v15, v44
	v_sub_f32_e32 v15, v17, v24
	s_waitcnt lgkmcnt(0)
	v_mul_f32_e32 v17, v22, v47
	v_sub_f32_e32 v14, v16, v14
	v_fmac_f32_e32 v17, v23, v46
	v_mul_f32_e32 v16, v23, v47
	v_sub_f32_e32 v23, v14, v17
	v_fma_f32 v16, v22, v46, -v16
	v_sub_f32_e32 v22, v15, v16
	scratch_load_dwordx4 v[44:47], off, off offset:40
	s_waitcnt vmcnt(6)
	v_mul_f32_e32 v14, v21, v11
	v_fma_f32 v24, v20, v10, -v14
	v_mov_b32_e32 v14, 0x15a8
	ds_read2_b64 v[14:17], v14 offset1:1
	v_mul_f32_e32 v11, v20, v11
	v_fmac_f32_e32 v11, v21, v10
	v_sub_f32_e32 v10, v22, v24
	v_sub_f32_e32 v11, v23, v11
	s_waitcnt lgkmcnt(0)
	v_mul_f32_e32 v20, v17, v29
	v_fma_f32 v24, v16, v28, -v20
	v_mul_f32_e32 v16, v16, v29
	v_fmac_f32_e32 v16, v17, v28
	scratch_load_dwordx4 v[20:23], off, off offset:56
	v_sub_f32_e32 v11, v11, v16
	v_sub_f32_e32 v10, v10, v24
	v_mul_f32_e32 v16, v15, v11
	v_mul_f32_e32 v37, v14, v11
	v_fma_f32 v36, v14, v10, -v16
	v_fmac_f32_e32 v37, v15, v10
	scratch_store_dwordx2 off, v[36:37], off offset:80
	scratch_load_dwordx4 v[14:17], off, off offset:72
	v_mov_b32_e32 v26, 0x14f8
	ds_read2_b32 v[26:27], v26 offset1:1
	ds_read2st64_b32 v[10:11], v101 offset0:19 offset1:20
	v_mov_b32_e32 v24, 0x14f4
	ds_read2_b32 v[24:25], v24 offset1:1
	s_waitcnt vmcnt(7)
	v_mov_b32_e32 v38, v52
	v_mov_b32_e32 v39, v54
	;; [unrolled: 1-line block ×3, first 2 shown]
	s_waitcnt vmcnt(6) lgkmcnt(2)
	v_pk_mul_f32 v[26:27], v[26:27], v[48:49]
	v_mov_b32_e32 v28, v48
	v_sub_f32_e32 v32, v26, v27
	v_mov_b32_e32 v26, 0x14ec
	ds_read2_b32 v[26:27], v26 offset1:1
	v_mov_b32_e32 v29, v50
	v_sub_f32_e32 v18, v18, v32
	s_waitcnt lgkmcnt(2)
	v_mov_b32_e32 v32, v11
	v_mov_b32_e32 v30, v51
	s_waitcnt lgkmcnt(0)
	v_mov_b32_e32 v33, v27
	v_mov_b32_e32 v31, v49
	v_pk_mul_f32 v[28:29], v[32:33], v[28:29]
	v_mul_f32_e32 v11, v26, v54
	v_pk_fma_f32 v[32:33], v[24:25], v[30:31], v[28:29] op_sel:[0,0,1] op_sel_hi:[1,1,0] neg_lo:[1,0,0] neg_hi:[1,0,0]
	v_pk_fma_f32 v[28:29], v[24:25], v[30:31], v[28:29] op_sel:[0,0,1] op_sel_hi:[1,1,0]
	v_mov_b32_e32 v25, v58
	v_mov_b32_e32 v33, v29
	v_pk_add_f32 v[18:19], v[18:19], v[32:33] neg_lo:[0,1] neg_hi:[0,1]
	scratch_load_dwordx4 v[32:35], off, off
	v_pk_mul_f32 v[24:25], v[24:25], v[38:39]
	v_fmac_f32_e32 v11, v58, v55
	v_pk_fma_f32 v[28:29], v[26:27], v[52:53], v[24:25] op_sel:[0,0,1] op_sel_hi:[1,1,0] neg_lo:[1,0,0] neg_hi:[1,0,0]
	v_pk_fma_f32 v[24:25], v[26:27], v[52:53], v[24:25] op_sel:[0,0,1] op_sel_hi:[1,1,0]
	ds_read_b128 v[48:51], v100 offset:5328
	v_mov_b32_e32 v29, v25
	scratch_load_dwordx4 v[24:27], off, off offset:96
	v_pk_add_f32 v[18:19], v[18:19], v[28:29] neg_lo:[0,1] neg_hi:[0,1]
	scratch_store_dwordx2 off, v[18:19], off offset:88
	v_sub_f32_e32 v11, v19, v11
	scratch_load_dwordx4 v[28:31], off, off offset:8
	s_waitcnt vmcnt(8)
	v_mul_f32_e32 v19, v57, v41
	v_mul_f32_e32 v52, v56, v41
	v_fma_f32 v19, v56, v40, -v19
	v_fmac_f32_e32 v52, v57, v40
	scratch_load_dwordx4 v[38:41], off, off offset:16
	v_sub_f32_e32 v11, v11, v52
	scratch_store_dwordx4 off, v[6:9], off offset:160
	ds_read2_b64 v[6:9], v103 offset1:32
	ds_read_b128 v[52:55], v100 offset:5280
	ds_read_b128 v[56:59], v100 offset:5296
	;; [unrolled: 1-line block ×3, first 2 shown]
	v_sub_f32_e32 v18, v18, v19
	s_waitcnt lgkmcnt(4)
	v_mul_f32_e32 v19, v51, v43
	v_fma_f32 v19, v50, v42, -v19
	v_mul_f32_e32 v43, v50, v43
	v_fmac_f32_e32 v43, v51, v42
	v_sub_f32_e32 v18, v18, v19
	s_waitcnt vmcnt(9)
	v_mul_f32_e32 v19, v49, v45
	v_mul_f32_e32 v42, v48, v45
	v_sub_f32_e32 v11, v11, v43
	v_fma_f32 v19, v48, v44, -v19
	v_fmac_f32_e32 v42, v49, v44
	v_sub_f32_e32 v18, v18, v19
	v_sub_f32_e32 v11, v11, v42
	s_waitcnt lgkmcnt(0)
	v_mul_f32_e32 v19, v63, v47
	v_mul_f32_e32 v42, v62, v47
	v_fma_f32 v19, v62, v46, -v19
	v_fmac_f32_e32 v42, v63, v46
	scratch_load_dwordx4 v[46:49], off, off offset:32
	v_sub_f32_e32 v18, v18, v19
	s_waitcnt vmcnt(9)
	v_mul_f32_e32 v19, v61, v21
	v_fma_f32 v19, v60, v20, -v19
	v_sub_f32_e32 v18, v18, v19
	v_mul_f32_e32 v19, v59, v23
	v_mul_f32_e32 v21, v60, v21
	v_fma_f32 v19, v58, v22, -v19
	v_sub_f32_e32 v11, v11, v42
	v_fmac_f32_e32 v21, v61, v20
	v_mul_f32_e32 v20, v58, v23
	v_sub_f32_e32 v18, v18, v19
	s_waitcnt vmcnt(7)
	v_mul_f32_e32 v19, v57, v15
	v_sub_f32_e32 v11, v11, v21
	v_fmac_f32_e32 v20, v59, v22
	v_fma_f32 v19, v56, v14, -v19
	scratch_load_dwordx4 v[42:45], off, off offset:48
	v_mul_f32_e32 v15, v56, v15
	v_sub_f32_e32 v11, v11, v20
	v_fmac_f32_e32 v15, v57, v14
	v_sub_f32_e32 v14, v18, v19
	v_mul_f32_e32 v18, v54, v37
	v_sub_f32_e32 v11, v11, v15
	v_mul_f32_e32 v15, v55, v37
	v_fmac_f32_e32 v18, v55, v36
	v_fma_f32 v15, v54, v36, -v15
	v_sub_f32_e32 v11, v11, v18
	v_sub_f32_e32 v19, v14, v15
	v_mul_f32_e32 v14, v53, v11
	v_mul_f32_e32 v15, v52, v11
	v_fma_f32 v14, v52, v19, -v14
	v_fmac_f32_e32 v15, v53, v19
	scratch_load_dwordx4 v[50:53], off, off offset:64
	v_mov_b32_e32 v11, 0x13f4
	scratch_store_dwordx2 off, v[14:15], off offset:88
	scratch_load_dwordx4 v[18:21], off, off offset:80
	ds_read_b96 v[54:56], v100 offset:5088
	ds_read2_b32 v[36:37], v11 offset1:1
	v_mov_b32_e32 v11, 0x13f8
	ds_read2_b32 v[60:61], v11 offset1:1
	v_mov_b32_e32 v11, 0x13ec
	ds_read2_b32 v[62:63], v11 offset1:1
	s_waitcnt vmcnt(10)
	v_mov_b32_e32 v58, v32
	v_mov_b32_e32 v59, v34
	;; [unrolled: 1-line block ×4, first 2 shown]
	s_waitcnt lgkmcnt(1)
	v_pk_mul_f32 v[32:33], v[60:61], v[32:33]
	v_mov_b32_e32 v22, v55
	v_sub_f32_e32 v11, v32, v33
	s_waitcnt vmcnt(9)
	v_sub_f32_e32 v24, v24, v11
	s_waitcnt lgkmcnt(0)
	v_mov_b32_e32 v11, v63
	v_pk_mul_f32 v[10:11], v[10:11], v[58:59]
	s_waitcnt vmcnt(7)
	v_mov_b32_e32 v32, v31
	v_pk_fma_f32 v[58:59], v[36:37], v[34:35], v[10:11] op_sel:[0,0,1] op_sel_hi:[1,1,0] neg_lo:[1,0,0] neg_hi:[1,0,0]
	v_pk_fma_f32 v[10:11], v[36:37], v[34:35], v[10:11] op_sel:[0,0,1] op_sel_hi:[1,1,0]
	v_mov_b32_e32 v33, v29
	v_mov_b32_e32 v59, v11
	v_pk_add_f32 v[10:11], v[24:25], v[58:59] neg_lo:[0,1] neg_hi:[0,1]
	s_waitcnt vmcnt(6)
	v_mov_b32_e32 v24, v38
	v_mov_b32_e32 v25, v40
	v_mov_b32_e32 v34, v56
	v_mov_b32_e32 v35, v36
	v_mov_b32_e32 v31, v28
	v_pk_mul_f32 v[28:29], v[62:63], v[32:33]
	v_mov_b32_e32 v63, v54
	v_mov_b32_e32 v23, v56
	;; [unrolled: 1-line block ×3, first 2 shown]
	v_pk_fma_f32 v[32:33], v[34:35], v[30:31], v[28:29] neg_lo:[0,0,1] neg_hi:[0,0,1]
	v_pk_fma_f32 v[28:29], v[34:35], v[30:31], v[28:29]
	v_pk_mul_f32 v[24:25], v[62:63], v[24:25]
	v_mov_b32_e32 v33, v29
	v_pk_fma_f32 v[28:29], v[22:23], v[38:39], v[24:25] op_sel:[0,0,1] op_sel_hi:[1,1,0] neg_lo:[1,0,0] neg_hi:[1,0,0]
	v_pk_fma_f32 v[22:23], v[22:23], v[38:39], v[24:25] op_sel:[0,0,1] op_sel_hi:[1,1,0]
	scratch_load_dwordx4 v[36:39], off, off
	v_pk_add_f32 v[10:11], v[10:11], v[32:33] neg_lo:[0,1] neg_hi:[0,1]
	v_mov_b32_e32 v29, v23
	v_mul_f32_e32 v22, v55, v40
	ds_read_b64 v[30:31], v100 offset:5080
	v_fmac_f32_e32 v22, v54, v41
	v_pk_add_f32 v[10:11], v[10:11], v[28:29] neg_lo:[0,1] neg_hi:[0,1]
	scratch_store_dwordx2 off, v[10:11], off offset:96
	v_sub_f32_e32 v28, v11, v22
	v_mov_b32_e32 v22, 0x13c8
	ds_read2_b64 v[22:25], v22 offset1:1
	s_waitcnt vmcnt(6) lgkmcnt(1)
	v_mul_f32_e32 v11, v31, v47
	v_mul_f32_e32 v29, v30, v47
	scratch_load_dwordx4 v[32:35], off, off offset:8
	v_fma_f32 v11, v30, v46, -v11
	v_fmac_f32_e32 v29, v31, v46
	v_sub_f32_e32 v10, v10, v11
	v_sub_f32_e32 v11, v28, v29
	s_waitcnt lgkmcnt(0)
	v_mul_f32_e32 v28, v25, v49
	v_fma_f32 v28, v24, v48, -v28
	v_mul_f32_e32 v24, v24, v49
	v_fmac_f32_e32 v24, v25, v48
	v_mov_b32_e32 v25, 0x13b8
	ds_read2_b64 v[46:49], v25 offset1:1
	v_sub_f32_e32 v11, v11, v24
	s_waitcnt vmcnt(6)
	v_mul_f32_e32 v24, v23, v43
	v_fma_f32 v24, v22, v42, -v24
	v_mul_f32_e32 v22, v22, v43
	v_fmac_f32_e32 v22, v23, v42
	v_sub_f32_e32 v10, v10, v28
	v_sub_f32_e32 v11, v11, v22
	s_waitcnt lgkmcnt(0)
	v_mul_f32_e32 v22, v49, v45
	v_sub_f32_e32 v10, v10, v24
	v_fma_f32 v22, v48, v44, -v22
	v_mul_f32_e32 v23, v48, v45
	v_sub_f32_e32 v10, v10, v22
	scratch_load_dwordx4 v[28:31], off, off offset:16
	v_fmac_f32_e32 v23, v49, v44
	v_sub_f32_e32 v11, v11, v23
	s_waitcnt vmcnt(6)
	v_mul_f32_e32 v22, v47, v51
	v_fma_f32 v44, v46, v50, -v22
	v_mov_b32_e32 v22, 0x13a8
	ds_read2_b64 v[22:25], v22 offset1:1
	scratch_load_dwordx4 v[40:43], off, off offset:24
	v_sub_f32_e32 v10, v10, v44
	v_mul_f32_e32 v45, v46, v51
	v_fmac_f32_e32 v45, v47, v50
	s_waitcnt lgkmcnt(0)
	v_mul_f32_e32 v44, v25, v53
	v_fma_f32 v44, v24, v52, -v44
	v_mul_f32_e32 v24, v24, v53
	v_fmac_f32_e32 v24, v25, v52
	scratch_load_dwordx4 v[52:55], off, off offset:40
	v_mov_b32_e32 v25, 0x1398
	v_sub_f32_e32 v11, v11, v45
	v_sub_f32_e32 v10, v10, v44
	ds_read2_b64 v[44:47], v25 offset1:1
	scratch_load_dwordx4 v[56:59], off, off offset:56
	v_sub_f32_e32 v11, v11, v24
	s_waitcnt vmcnt(7)
	v_mul_f32_e32 v24, v23, v19
	v_mul_f32_e32 v19, v22, v19
	v_fma_f32 v24, v22, v18, -v24
	v_fmac_f32_e32 v19, v23, v18
	s_waitcnt lgkmcnt(0)
	v_mul_f32_e32 v18, v47, v15
	v_mul_f32_e32 v15, v46, v15
	v_sub_f32_e32 v11, v11, v19
	v_fmac_f32_e32 v15, v47, v14
	v_sub_f32_e32 v10, v10, v24
	v_fma_f32 v18, v46, v14, -v18
	v_sub_f32_e32 v11, v11, v15
	scratch_load_dwordx4 v[60:63], off, off offset:72
	v_sub_f32_e32 v14, v10, v18
	v_mul_f32_e32 v10, v45, v11
	v_mul_f32_e32 v11, v44, v11
	v_fma_f32 v10, v44, v14, -v10
	v_fmac_f32_e32 v11, v45, v14
	scratch_store_dwordx2 off, v[10:11], off offset:96
	scratch_load_dwordx4 v[22:25], off, off offset:88
	scratch_load_dwordx4 v[68:71], off, off
	v_mov_b32_e32 v18, 0x12f8
	ds_read2_b32 v[18:19], v18 offset1:1
	s_waitcnt vmcnt(10)
	v_mov_b32_e32 v48, v36
	ds_read2st64_b32 v[66:67], v101 offset0:17 offset1:18
	v_mov_b32_e32 v49, v38
	v_mov_b32_e32 v38, v39
	s_waitcnt lgkmcnt(1)
	v_pk_mul_f32 v[18:19], v[18:19], v[36:37]
	v_mov_b32_e32 v36, 0x12ec
	v_mov_b32_e32 v39, v37
	ds_read2_b32 v[36:37], v36 offset1:1
	v_mov_b32_e32 v14, 0x12f4
	v_sub_f32_e32 v18, v18, v19
	ds_read2_b32 v[14:15], v14 offset1:1
	v_sub_f32_e32 v26, v26, v18
	s_waitcnt lgkmcnt(2)
	v_mov_b32_e32 v18, v67
	s_waitcnt lgkmcnt(1)
	v_mov_b32_e32 v19, v37
	v_pk_mul_f32 v[18:19], v[18:19], v[48:49]
	s_waitcnt vmcnt(8)
	v_mov_b32_e32 v49, v33
	v_mov_b32_e32 v33, 0x12e4
	ds_read2_b32 v[50:51], v33 offset1:1
	s_waitcnt lgkmcnt(1)
	v_pk_fma_f32 v[64:65], v[14:15], v[38:39], v[18:19] op_sel:[0,0,1] op_sel_hi:[1,1,0] neg_lo:[1,0,0] neg_hi:[1,0,0]
	v_pk_fma_f32 v[18:19], v[14:15], v[38:39], v[18:19] op_sel:[0,0,1] op_sel_hi:[1,1,0]
	v_mov_b32_e32 v48, v35
	v_mov_b32_e32 v65, v19
	v_pk_add_f32 v[18:19], v[26:27], v[64:65] neg_lo:[0,1] neg_hi:[0,1]
	s_waitcnt lgkmcnt(0)
	v_mov_b32_e32 v26, v51
	v_mov_b32_e32 v27, v14
	;; [unrolled: 1-line block ×3, first 2 shown]
	v_pk_mul_f32 v[32:33], v[36:37], v[48:49]
	ds_read_b96 v[44:46], v100 offset:4816
	v_pk_fma_f32 v[38:39], v[26:27], v[34:35], v[32:33] neg_lo:[0,0,1] neg_hi:[0,0,1]
	v_pk_fma_f32 v[26:27], v[26:27], v[34:35], v[32:33]
	v_mov_b32_e32 v35, v36
	v_mov_b32_e32 v26, 0x12dc
	ds_read2_b32 v[32:33], v26 offset1:1
	v_mov_b32_e32 v39, v27
	v_pk_add_f32 v[18:19], v[18:19], v[38:39] neg_lo:[0,1] neg_hi:[0,1]
	s_waitcnt vmcnt(7)
	v_mov_b32_e32 v14, v31
	v_mov_b32_e32 v15, v29
	s_waitcnt lgkmcnt(0)
	v_mov_b32_e32 v34, v33
	v_mov_b32_e32 v31, v28
	v_pk_mul_f32 v[14:15], v[50:51], v[14:15]
	v_mov_b32_e32 v51, v46
	v_pk_fma_f32 v[28:29], v[34:35], v[30:31], v[14:15] neg_lo:[0,0,1] neg_hi:[0,0,1]
	v_pk_fma_f32 v[14:15], v[34:35], v[30:31], v[14:15]
	s_waitcnt vmcnt(6)
	v_mov_b32_e32 v26, v40
	v_mov_b32_e32 v27, v42
	;; [unrolled: 1-line block ×4, first 2 shown]
	v_pk_add_f32 v[14:15], v[18:19], v[28:29] neg_lo:[0,1] neg_hi:[0,1]
	v_pk_mul_f32 v[18:19], v[50:51], v[26:27]
	s_waitcnt vmcnt(0)
	v_mov_b32_e32 v64, v71
	v_pk_fma_f32 v[26:27], v[32:33], v[40:41], v[18:19] op_sel:[0,0,1] op_sel_hi:[1,1,0] neg_lo:[1,0,0] neg_hi:[1,0,0]
	v_pk_fma_f32 v[18:19], v[32:33], v[40:41], v[18:19] op_sel:[0,0,1] op_sel_hi:[1,1,0]
	v_mov_b32_e32 v65, v69
	v_mov_b32_e32 v27, v19
	v_mul_f32_e32 v18, v32, v42
	v_fmac_f32_e32 v18, v46, v43
	v_pk_add_f32 v[14:15], v[14:15], v[26:27] neg_lo:[0,1] neg_hi:[0,1]
	scratch_store_dwordx2 off, v[14:15], off offset:104
	v_sub_f32_e32 v18, v15, v18
	v_mul_f32_e32 v15, v45, v53
	v_mul_f32_e32 v19, v44, v53
	ds_read_b128 v[30:33], v100 offset:4800
	scratch_load_dwordx4 v[26:29], off, off offset:112
	v_fma_f32 v15, v44, v52, -v15
	scratch_load_dwordx4 v[46:49], off, off offset:8
	v_fmac_f32_e32 v19, v45, v52
	ds_read_b128 v[42:45], v100 offset:4752
	ds_read_b128 v[38:41], v100 offset:4768
	;; [unrolled: 1-line block ×3, first 2 shown]
	scratch_load_dwordx4 v[50:53], off, off offset:16
	scratch_load_dwordx4 v[34:37], off, off offset:32
	v_sub_f32_e32 v14, v14, v15
	v_sub_f32_e32 v15, v18, v19
	s_waitcnt lgkmcnt(3)
	v_mul_f32_e32 v18, v33, v55
	v_mul_f32_e32 v19, v32, v55
	v_fma_f32 v18, v32, v54, -v18
	v_fmac_f32_e32 v19, v33, v54
	v_sub_f32_e32 v14, v14, v18
	v_sub_f32_e32 v15, v15, v19
	v_mul_f32_e32 v18, v31, v57
	v_mul_f32_e32 v19, v30, v57
	v_fma_f32 v18, v30, v56, -v18
	v_fmac_f32_e32 v19, v31, v56
	scratch_load_dwordx4 v[54:57], off, off offset:24
	v_sub_f32_e32 v14, v14, v18
	v_sub_f32_e32 v15, v15, v19
	s_waitcnt lgkmcnt(0)
	v_mul_f32_e32 v18, v75, v59
	v_mul_f32_e32 v19, v74, v59
	v_fma_f32 v18, v74, v58, -v18
	v_fmac_f32_e32 v19, v75, v58
	v_sub_f32_e32 v14, v14, v18
	v_sub_f32_e32 v15, v15, v19
	v_mul_f32_e32 v18, v73, v61
	v_mul_f32_e32 v19, v72, v61
	v_fma_f32 v18, v72, v60, -v18
	v_fmac_f32_e32 v19, v73, v60
	v_sub_f32_e32 v14, v14, v18
	v_sub_f32_e32 v15, v15, v19
	;; [unrolled: 6-line block ×3, first 2 shown]
	v_mul_f32_e32 v18, v39, v23
	v_mul_f32_e32 v19, v38, v23
	v_fma_f32 v18, v38, v22, -v18
	v_fmac_f32_e32 v19, v39, v22
	scratch_load_dwordx4 v[38:41], off, off offset:48
	v_sub_f32_e32 v14, v14, v18
	v_mul_f32_e32 v18, v45, v11
	v_mul_f32_e32 v11, v44, v11
	v_sub_f32_e32 v15, v15, v19
	v_fmac_f32_e32 v11, v45, v10
	v_fma_f32 v18, v44, v10, -v18
	v_sub_f32_e32 v11, v15, v11
	v_sub_f32_e32 v14, v14, v18
	v_mul_f32_e32 v10, v43, v11
	v_mul_f32_e32 v11, v42, v11
	v_fma_f32 v10, v42, v14, -v10
	v_fmac_f32_e32 v11, v43, v14
	scratch_load_dwordx4 v[42:45], off, off offset:64
	v_mov_b32_e32 v61, 0x11f8
	ds_read_b96 v[58:60], v100 offset:4560
	ds_read2_b32 v[72:73], v61 offset1:1
	v_mov_b32_e32 v22, v68
	v_mov_b32_e32 v23, v70
	scratch_store_dwordx2 off, v[10:11], off offset:104
	scratch_load_dwordx4 v[30:33], off, off offset:96
	s_waitcnt lgkmcnt(0)
	v_pk_mul_f32 v[68:69], v[72:73], v[68:69]
	scratch_load_dwordx4 v[70:73], off, off offset:80
	v_mov_b32_e32 v61, 0x11ec
	ds_read2_b32 v[62:63], v61 offset1:1
	v_mov_b32_e32 v18, 0x11f4
	ds_read2_b32 v[18:19], v18 offset1:1
	v_sub_f32_e32 v61, v68, v69
	v_mov_b32_e32 v14, v59
	s_waitcnt lgkmcnt(1)
	v_mov_b32_e32 v67, v63
	v_pk_mul_f32 v[68:69], v[66:67], v[22:23]
	v_mov_b32_e32 v22, 0x11e4
	ds_read2_b32 v[22:23], v22 offset1:1
	s_waitcnt lgkmcnt(1)
	v_pk_fma_f32 v[74:75], v[18:19], v[64:65], v[68:69] op_sel:[0,0,1] op_sel_hi:[1,1,0] neg_lo:[1,0,0] neg_hi:[1,0,0]
	v_pk_fma_f32 v[64:65], v[18:19], v[64:65], v[68:69] op_sel:[0,0,1] op_sel_hi:[1,1,0]
	v_mov_b32_e32 v15, v60
	v_mov_b32_e32 v75, v65
	s_waitcnt lgkmcnt(0)
	v_mov_b32_e32 v64, v23
	s_waitcnt vmcnt(8)
	v_mov_b32_e32 v66, v49
	v_mov_b32_e32 v67, v47
	;; [unrolled: 1-line block ×3, first 2 shown]
	s_waitcnt vmcnt(7)
	v_mov_b32_e32 v19, v51
	v_mov_b32_e32 v51, 0x11dc
	v_pk_mul_f32 v[46:47], v[62:63], v[66:67]
	ds_read2_b32 v[66:67], v51 offset1:1
	v_mov_b32_e32 v65, v18
	v_mov_b32_e32 v18, v53
	v_pk_fma_f32 v[68:69], v[64:65], v[48:49], v[46:47] neg_lo:[0,0,1] neg_hi:[0,0,1]
	v_pk_fma_f32 v[46:47], v[64:65], v[48:49], v[46:47]
	v_sub_f32_e32 v26, v26, v61
	v_mov_b32_e32 v69, v47
	s_waitcnt lgkmcnt(0)
	v_mov_b32_e32 v46, v67
	v_mov_b32_e32 v47, v62
	;; [unrolled: 1-line block ×3, first 2 shown]
	v_pk_mul_f32 v[18:19], v[22:23], v[18:19]
	v_pk_add_f32 v[26:27], v[26:27], v[74:75] neg_lo:[0,1] neg_hi:[0,1]
	s_waitcnt vmcnt(5)
	v_mov_b32_e32 v48, v57
	v_mov_b32_e32 v49, v55
	v_pk_fma_f32 v[50:51], v[46:47], v[52:53], v[18:19] neg_lo:[0,0,1] neg_hi:[0,0,1]
	v_pk_fma_f32 v[18:19], v[46:47], v[52:53], v[18:19]
	v_pk_add_f32 v[26:27], v[26:27], v[68:69] neg_lo:[0,1] neg_hi:[0,1]
	v_mov_b32_e32 v51, v19
	v_mov_b32_e32 v46, v60
	;; [unrolled: 1-line block ×4, first 2 shown]
	v_pk_mul_f32 v[22:23], v[66:67], v[48:49]
	v_pk_add_f32 v[18:19], v[26:27], v[50:51] neg_lo:[0,1] neg_hi:[0,1]
	v_mov_b32_e32 v26, v34
	v_mov_b32_e32 v27, v36
	v_pk_fma_f32 v[48:49], v[46:47], v[56:57], v[22:23] neg_lo:[0,0,1] neg_hi:[0,0,1]
	v_pk_fma_f32 v[22:23], v[46:47], v[56:57], v[22:23]
	v_mov_b32_e32 v67, v58
	v_mov_b32_e32 v34, v37
	;; [unrolled: 1-line block ×3, first 2 shown]
	v_pk_mul_f32 v[22:23], v[66:67], v[26:27]
	scratch_load_dwordx4 v[60:63], off, off
	v_pk_fma_f32 v[26:27], v[14:15], v[34:35], v[22:23] op_sel:[0,0,1] op_sel_hi:[1,1,0] neg_lo:[1,0,0] neg_hi:[1,0,0]
	v_pk_fma_f32 v[14:15], v[14:15], v[34:35], v[22:23] op_sel:[0,0,1] op_sel_hi:[1,1,0]
	v_mul_f32_e32 v22, v59, v36
	v_mov_b32_e32 v27, v15
	ds_read_b64 v[14:15], v100 offset:4552
	v_mov_b32_e32 v23, 0x11b8
	v_fmac_f32_e32 v22, v58, v37
	ds_read2_b64 v[34:37], v23 offset1:1
	v_pk_add_f32 v[18:19], v[18:19], v[48:49] neg_lo:[0,1] neg_hi:[0,1]
	scratch_load_dwordx4 v[74:77], off, off offset:8
	v_pk_add_f32 v[18:19], v[18:19], v[26:27] neg_lo:[0,1] neg_hi:[0,1]
	scratch_store_dwordx2 off, v[18:19], off offset:112
	v_sub_f32_e32 v22, v19, v22
	s_waitcnt vmcnt(7) lgkmcnt(1)
	v_mul_f32_e32 v19, v15, v39
	v_fma_f32 v19, v14, v38, -v19
	v_mul_f32_e32 v14, v14, v39
	v_fmac_f32_e32 v14, v15, v38
	v_sub_f32_e32 v15, v18, v19
	s_waitcnt lgkmcnt(0)
	v_mul_f32_e32 v19, v36, v41
	v_sub_f32_e32 v14, v22, v14
	v_fmac_f32_e32 v19, v37, v40
	v_mul_f32_e32 v18, v37, v41
	v_sub_f32_e32 v14, v14, v19
	v_mov_b32_e32 v19, 0x11a8
	v_fma_f32 v18, v36, v40, -v18
	ds_read2_b64 v[36:39], v19 offset1:1
	s_waitcnt vmcnt(6)
	v_mul_f32_e32 v19, v34, v43
	scratch_load_dwordx4 v[50:53], off, off offset:16
	v_fmac_f32_e32 v19, v35, v42
	v_sub_f32_e32 v15, v15, v18
	v_mul_f32_e32 v18, v35, v43
	v_sub_f32_e32 v14, v14, v19
	s_waitcnt lgkmcnt(0)
	v_mul_f32_e32 v19, v38, v45
	v_fma_f32 v18, v34, v42, -v18
	v_fmac_f32_e32 v19, v39, v44
	v_sub_f32_e32 v15, v15, v18
	v_mul_f32_e32 v18, v39, v45
	v_sub_f32_e32 v14, v14, v19
	v_mov_b32_e32 v19, 0x1198
	v_fma_f32 v18, v38, v44, -v18
	scratch_load_dwordx4 v[38:41], off, off offset:24
	ds_read2_b64 v[42:45], v19 offset1:1
	v_sub_f32_e32 v15, v15, v18
	s_waitcnt vmcnt(5)
	v_mul_f32_e32 v18, v37, v71
	v_mul_f32_e32 v19, v36, v71
	v_fma_f32 v18, v36, v70, -v18
	v_fmac_f32_e32 v19, v37, v70
	v_sub_f32_e32 v15, v15, v18
	v_sub_f32_e32 v14, v14, v19
	s_waitcnt lgkmcnt(0)
	v_mul_f32_e32 v18, v45, v73
	v_mul_f32_e32 v19, v44, v73
	v_fma_f32 v18, v44, v72, -v18
	v_fmac_f32_e32 v19, v45, v72
	scratch_load_dwordx4 v[46:49], off, off offset:32
	v_sub_f32_e32 v15, v15, v18
	v_sub_f32_e32 v14, v14, v19
	v_mul_f32_e32 v18, v43, v31
	v_mul_f32_e32 v19, v42, v31
	v_fma_f32 v18, v42, v30, -v18
	v_fmac_f32_e32 v19, v43, v30
	scratch_load_dwordx4 v[42:45], off, off offset:40
	v_mov_b32_e32 v22, 0x1188
	ds_read2_b64 v[34:37], v22 offset1:1
	v_sub_f32_e32 v15, v15, v18
	v_sub_f32_e32 v14, v14, v19
	v_mov_b32_e32 v22, 0x10f8
	s_waitcnt lgkmcnt(0)
	v_mul_f32_e32 v18, v37, v11
	v_mul_f32_e32 v11, v36, v11
	v_fmac_f32_e32 v11, v37, v10
	v_fma_f32 v18, v36, v10, -v18
	v_sub_f32_e32 v11, v14, v11
	v_sub_f32_e32 v15, v15, v18
	v_mul_f32_e32 v10, v35, v11
	v_mul_f32_e32 v11, v34, v11
	v_fma_f32 v10, v34, v15, -v10
	v_fmac_f32_e32 v11, v35, v15
	scratch_store_dwordx2 off, v[10:11], off offset:112
	scratch_load_dwordx4 v[34:37], off, off offset:104
	ds_read_b96 v[66:68], v100 offset:4288
	ds_read2st64_b32 v[10:11], v101 offset0:15 offset1:16
	scratch_load_dwordx4 v[54:57], off, off offset:56
	scratch_load_dwordx2 v[82:83], off, off offset:112
	ds_read2_b32 v[30:31], v22 offset1:1
	v_mov_b32_e32 v22, 0x10ec
	ds_read2_b32 v[22:23], v22 offset1:1
	v_mov_b32_e32 v14, 0x10f4
	ds_read2_b32 v[14:15], v14 offset1:1
	s_waitcnt vmcnt(10) lgkmcnt(2)
	v_pk_mul_f32 v[30:31], v[30:31], v[60:61]
	v_mov_b32_e32 v18, v60
	v_sub_f32_e32 v30, v30, v31
	v_mov_b32_e32 v19, v62
	v_sub_f32_e32 v28, v28, v30
	v_mov_b32_e32 v30, v11
	s_waitcnt lgkmcnt(1)
	v_mov_b32_e32 v31, v23
	v_mov_b32_e32 v11, 0x10e4
	v_pk_mul_f32 v[30:31], v[30:31], v[18:19]
	ds_read2_b32 v[18:19], v11 offset1:1
	v_mov_b32_e32 v26, v63
	scratch_load_dwordx4 v[62:65], off, off offset:72
	v_mov_b32_e32 v27, v61
	s_waitcnt vmcnt(10)
	v_mov_b32_e32 v58, v77
	v_mov_b32_e32 v59, v75
	s_waitcnt lgkmcnt(1)
	v_pk_fma_f32 v[60:61], v[14:15], v[26:27], v[30:31] op_sel:[0,0,1] op_sel_hi:[1,1,0] neg_lo:[1,0,0] neg_hi:[1,0,0]
	v_pk_fma_f32 v[26:27], v[14:15], v[26:27], v[30:31] op_sel:[0,0,1] op_sel_hi:[1,1,0]
	s_waitcnt lgkmcnt(0)
	v_mov_b32_e32 v30, v19
	v_mov_b32_e32 v61, v27
	;; [unrolled: 1-line block ×4, first 2 shown]
	v_pk_mul_f32 v[58:59], v[22:23], v[58:59]
	v_pk_add_f32 v[28:29], v[28:29], v[60:61] neg_lo:[0,1] neg_hi:[0,1]
	v_mov_b32_e32 v11, 0x10dc
	v_pk_fma_f32 v[60:61], v[30:31], v[76:77], v[58:59] neg_lo:[0,0,1] neg_hi:[0,0,1]
	v_pk_fma_f32 v[30:31], v[30:31], v[76:77], v[58:59]
	scratch_load_dwordx4 v[74:77], off, off offset:88
	ds_read2_b32 v[14:15], v11 offset1:1
	v_mov_b32_e32 v11, 0x10d4
	s_waitcnt vmcnt(9)
	v_mov_b32_e32 v26, v53
	v_mov_b32_e32 v27, v51
	;; [unrolled: 1-line block ×3, first 2 shown]
	ds_read2_b32 v[50:51], v11 offset1:1
	v_mov_b32_e32 v61, v31
	s_waitcnt lgkmcnt(1)
	v_mov_b32_e32 v30, v15
	v_mov_b32_e32 v31, v22
	v_pk_mul_f32 v[26:27], v[18:19], v[26:27]
	v_pk_add_f32 v[28:29], v[28:29], v[60:61] neg_lo:[0,1] neg_hi:[0,1]
	v_pk_fma_f32 v[58:59], v[30:31], v[52:53], v[26:27] neg_lo:[0,0,1] neg_hi:[0,0,1]
	v_pk_fma_f32 v[26:27], v[30:31], v[52:53], v[26:27]
	s_waitcnt vmcnt(8)
	v_mov_b32_e32 v22, v41
	v_mov_b32_e32 v23, v39
	;; [unrolled: 1-line block ×3, first 2 shown]
	v_pk_add_f32 v[26:27], v[28:29], v[58:59] neg_lo:[0,1] neg_hi:[0,1]
	s_waitcnt lgkmcnt(0)
	v_mov_b32_e32 v28, v51
	v_mov_b32_e32 v29, v18
	;; [unrolled: 1-line block ×3, first 2 shown]
	v_pk_mul_f32 v[22:23], v[14:15], v[22:23]
	v_mov_b32_e32 v11, 0x10cc
	v_pk_fma_f32 v[30:31], v[28:29], v[40:41], v[22:23] neg_lo:[0,0,1] neg_hi:[0,0,1]
	v_pk_fma_f32 v[22:23], v[28:29], v[40:41], v[22:23]
	ds_read2_b32 v[28:29], v11 offset1:1
	s_waitcnt vmcnt(7)
	v_mov_b32_e32 v18, v49
	v_mov_b32_e32 v19, v47
	;; [unrolled: 1-line block ×3, first 2 shown]
	v_pk_add_f32 v[22:23], v[26:27], v[30:31] neg_lo:[0,1] neg_hi:[0,1]
	s_waitcnt lgkmcnt(0)
	v_mov_b32_e32 v30, v29
	v_mov_b32_e32 v31, v14
	;; [unrolled: 1-line block ×3, first 2 shown]
	v_pk_mul_f32 v[14:15], v[50:51], v[18:19]
	s_waitcnt vmcnt(6)
	v_mov_b32_e32 v26, v42
	v_mov_b32_e32 v27, v44
	v_pk_fma_f32 v[18:19], v[30:31], v[48:49], v[14:15] neg_lo:[0,0,1] neg_hi:[0,0,1]
	v_pk_fma_f32 v[14:15], v[30:31], v[48:49], v[14:15]
	v_mov_b32_e32 v51, v68
	v_mov_b32_e32 v42, v45
	;; [unrolled: 1-line block ×3, first 2 shown]
	v_pk_mul_f32 v[14:15], v[50:51], v[26:27]
	v_pk_add_f32 v[18:19], v[22:23], v[18:19] neg_lo:[0,1] neg_hi:[0,1]
	v_pk_fma_f32 v[22:23], v[28:29], v[42:43], v[14:15] op_sel:[0,0,1] op_sel_hi:[1,1,0] neg_lo:[1,0,0] neg_hi:[1,0,0]
	v_pk_fma_f32 v[14:15], v[28:29], v[42:43], v[14:15] op_sel:[0,0,1] op_sel_hi:[1,1,0]
	scratch_load_dwordx4 v[70:73], off, off
	scratch_load_dwordx4 v[58:61], off, off offset:8
	v_mov_b32_e32 v23, v15
	scratch_load_dword v15, off, off offset:4
	v_mul_f32_e32 v11, v28, v44
	scratch_load_dwordx4 v[26:29], off, off offset:128
	v_fmac_f32_e32 v11, v68, v45
	v_pk_add_f32 v[18:19], v[18:19], v[22:23] neg_lo:[0,1] neg_hi:[0,1]
	scratch_store_dwordx2 off, v[18:19], off offset:120
	v_sub_f32_e32 v11, v19, v11
	s_waitcnt vmcnt(8)
	v_mul_f32_e32 v14, v67, v55
	v_mul_f32_e32 v19, v66, v55
	v_fma_f32 v14, v66, v54, -v14
	v_fmac_f32_e32 v19, v67, v54
	ds_read_b128 v[42:45], v100 offset:4272
	ds_read_b128 v[38:41], v100 offset:4224
	;; [unrolled: 1-line block ×4, first 2 shown]
	scratch_load_dwordx4 v[46:49], off, off offset:16
	scratch_load_dwordx4 v[50:53], off, off offset:24
	v_sub_f32_e32 v14, v18, v14
	v_sub_f32_e32 v11, v11, v19
	s_waitcnt lgkmcnt(3)
	v_mul_f32_e32 v18, v45, v57
	v_mul_f32_e32 v19, v44, v57
	v_fma_f32 v18, v44, v56, -v18
	v_fmac_f32_e32 v19, v45, v56
	v_sub_f32_e32 v14, v14, v18
	v_sub_f32_e32 v11, v11, v19
	s_waitcnt vmcnt(8)
	v_mul_f32_e32 v18, v43, v63
	v_mul_f32_e32 v19, v42, v63
	v_fma_f32 v18, v42, v62, -v18
	v_fmac_f32_e32 v19, v43, v62
	v_sub_f32_e32 v14, v14, v18
	v_sub_f32_e32 v11, v11, v19
	s_waitcnt lgkmcnt(0)
	v_mul_f32_e32 v18, v81, v65
	v_mul_f32_e32 v19, v80, v65
	v_fma_f32 v18, v80, v64, -v18
	v_fmac_f32_e32 v19, v81, v64
	v_sub_f32_e32 v14, v14, v18
	v_sub_f32_e32 v11, v11, v19
	s_waitcnt vmcnt(7)
	v_mul_f32_e32 v18, v79, v75
	v_mul_f32_e32 v19, v78, v75
	v_fma_f32 v18, v78, v74, -v18
	v_fmac_f32_e32 v19, v79, v74
	v_sub_f32_e32 v14, v14, v18
	v_sub_f32_e32 v11, v11, v19
	v_mul_f32_e32 v18, v69, v77
	v_mul_f32_e32 v19, v68, v77
	scratch_load_dwordx4 v[42:45], off, off offset:32
	v_fma_f32 v18, v68, v76, -v18
	v_fmac_f32_e32 v19, v69, v76
	v_sub_f32_e32 v14, v14, v18
	v_sub_f32_e32 v11, v11, v19
	v_mul_f32_e32 v18, v67, v35
	v_mul_f32_e32 v19, v66, v35
	scratch_load_dwordx4 v[54:57], off, off offset:40
	v_fma_f32 v18, v66, v34, -v18
	v_fmac_f32_e32 v19, v67, v34
	scratch_load_dwordx4 v[66:69], off, off offset:48
	v_sub_f32_e32 v11, v11, v19
	v_mul_f32_e32 v19, v40, v83
	v_sub_f32_e32 v14, v14, v18
	v_mul_f32_e32 v18, v41, v83
	v_fmac_f32_e32 v19, v41, v82
	v_fma_f32 v18, v40, v82, -v18
	v_sub_f32_e32 v11, v11, v19
	v_sub_f32_e32 v14, v14, v18
	v_mul_f32_e32 v18, v39, v11
	v_mul_f32_e32 v19, v38, v11
	v_mov_b32_e32 v11, 0xff4
	scratch_load_dwordx4 v[74:77], off, off offset:64
	ds_read2_b32 v[22:23], v11 offset1:1
	v_mov_b32_e32 v11, 0xff8
	ds_read2_b32 v[30:31], v11 offset1:1
	v_mov_b32_e32 v11, 0xfec
	ds_read2_b32 v[62:63], v11 offset1:1
	scratch_load_dwordx4 v[78:81], off, off offset:80
	v_fma_f32 v18, v38, v14, -v18
	v_fmac_f32_e32 v19, v39, v14
	scratch_store_dwordx2 off, v[18:19], off offset:120
	scratch_load_dwordx4 v[38:41], off, off offset:112
	ds_read_b96 v[82:84], v100 offset:4032
	s_waitcnt vmcnt(13)
	v_mov_b32_e32 v34, v70
	v_mov_b32_e32 v71, v72
	s_waitcnt vmcnt(12)
	v_mov_b32_e32 v14, v59
	s_waitcnt vmcnt(11)
	v_mov_b32_e32 v35, v15
	s_waitcnt lgkmcnt(2)
	v_pk_mul_f32 v[30:31], v[30:31], v[34:35]
	v_mov_b32_e32 v34, 0xfe4
	v_sub_f32_e32 v11, v30, v31
	ds_read2_b32 v[34:35], v34 offset1:1
	s_waitcnt vmcnt(10)
	v_sub_f32_e32 v26, v26, v11
	s_waitcnt lgkmcnt(2)
	v_mov_b32_e32 v11, v63
	v_pk_mul_f32 v[10:11], v[10:11], v[70:71]
	v_mov_b32_e32 v30, v59
	v_mov_b32_e32 v31, v61
	v_pk_fma_f32 v[64:65], v[22:23], v[30:31], v[10:11] op_sel:[0,0,1] op_sel_hi:[1,1,0] neg_lo:[1,0,0] neg_hi:[1,0,0]
	v_pk_fma_f32 v[10:11], v[22:23], v[14:15], v[10:11] op_sel:[0,0,1] op_sel_hi:[1,1,0]
	s_waitcnt lgkmcnt(0)
	v_mov_b32_e32 v14, v35
	v_mov_b32_e32 v65, v11
	v_pk_add_f32 v[10:11], v[26:27], v[64:65] neg_lo:[0,1] neg_hi:[0,1]
	v_mov_b32_e32 v15, v22
	v_mov_b32_e32 v61, v58
	v_pk_mul_f32 v[26:27], v[62:63], v[30:31] op_sel:[0,1] op_sel_hi:[1,0]
	v_mov_b32_e32 v30, 0xfdc
	v_pk_fma_f32 v[58:59], v[14:15], v[60:61], v[26:27] neg_lo:[0,0,1] neg_hi:[0,0,1]
	v_pk_fma_f32 v[14:15], v[14:15], v[60:61], v[26:27]
	s_waitcnt vmcnt(8)
	v_mov_b32_e32 v22, v49
	v_mov_b32_e32 v59, v15
	v_pk_add_f32 v[10:11], v[10:11], v[58:59] neg_lo:[0,1] neg_hi:[0,1]
	scratch_load_dwordx4 v[58:61], off, off offset:96
	v_mov_b32_e32 v23, v47
	ds_read2_b32 v[30:31], v30 offset1:1
	v_pk_mul_f32 v[22:23], v[34:35], v[22:23]
	v_mov_b32_e32 v35, 0xfd4
	v_mov_b32_e32 v49, v46
	ds_read2_b32 v[46:47], v35 offset1:1
	s_waitcnt lgkmcnt(1)
	v_mov_b32_e32 v14, v31
	v_mov_b32_e32 v15, v62
	s_waitcnt vmcnt(8)
	v_mov_b32_e32 v26, v53
	v_mov_b32_e32 v27, v51
	v_pk_fma_f32 v[62:63], v[14:15], v[48:49], v[22:23] neg_lo:[0,0,1] neg_hi:[0,0,1]
	v_pk_fma_f32 v[14:15], v[14:15], v[48:49], v[22:23]
	v_mov_b32_e32 v53, v50
	v_mov_b32_e32 v63, v15
	s_waitcnt lgkmcnt(0)
	v_mov_b32_e32 v14, v47
	v_mov_b32_e32 v15, v34
	v_pk_mul_f32 v[26:27], v[30:31], v[26:27]
	v_mov_b32_e32 v31, 0xfcc
	v_pk_fma_f32 v[48:49], v[14:15], v[52:53], v[26:27] neg_lo:[0,0,1] neg_hi:[0,0,1]
	v_pk_fma_f32 v[14:15], v[14:15], v[52:53], v[26:27]
	ds_read2_b32 v[34:35], v31 offset1:1
	v_mov_b32_e32 v49, v15
	v_mov_b32_e32 v15, v30
	scratch_load_dwordx2 v[30:31], off, off offset:120
	scratch_load_dwordx4 v[70:73], off, off
	v_pk_add_f32 v[10:11], v[10:11], v[62:63] neg_lo:[0,1] neg_hi:[0,1]
	scratch_load_dwordx4 v[62:65], off, off offset:16
	s_waitcnt vmcnt(10)
	v_mov_b32_e32 v22, v45
	v_mov_b32_e32 v23, v43
	s_waitcnt lgkmcnt(0)
	v_mov_b32_e32 v14, v35
	v_mov_b32_e32 v45, v42
	v_pk_mul_f32 v[22:23], v[46:47], v[22:23]
	s_waitcnt vmcnt(9)
	v_mov_b32_e32 v26, v57
	v_mov_b32_e32 v27, v55
	v_pk_fma_f32 v[42:43], v[14:15], v[44:45], v[22:23] neg_lo:[0,0,1] neg_hi:[0,0,1]
	v_pk_fma_f32 v[14:15], v[14:15], v[44:45], v[22:23]
	v_pk_add_f32 v[10:11], v[10:11], v[48:49] neg_lo:[0,1] neg_hi:[0,1]
	v_mov_b32_e32 v43, v15
	s_waitcnt vmcnt(8)
	v_mov_b32_e32 v14, v66
	v_mov_b32_e32 v15, v68
	;; [unrolled: 1-line block ×5, first 2 shown]
	v_pk_mul_f32 v[26:27], v[34:35], v[26:27]
	v_mov_b32_e32 v35, v82
	v_mov_b32_e32 v18, v83
	;; [unrolled: 1-line block ×3, first 2 shown]
	v_pk_add_f32 v[10:11], v[10:11], v[42:43] neg_lo:[0,1] neg_hi:[0,1]
	v_mov_b32_e32 v66, v69
	v_pk_fma_f32 v[42:43], v[22:23], v[56:57], v[26:27] neg_lo:[0,0,1] neg_hi:[0,0,1]
	v_pk_fma_f32 v[22:23], v[22:23], v[56:57], v[26:27]
	v_pk_mul_f32 v[14:15], v[34:35], v[14:15]
	v_mov_b32_e32 v43, v23
	v_pk_fma_f32 v[22:23], v[18:19], v[66:67], v[14:15] op_sel:[0,0,1] op_sel_hi:[1,1,0] neg_lo:[1,0,0] neg_hi:[1,0,0]
	v_pk_fma_f32 v[14:15], v[18:19], v[66:67], v[14:15] op_sel:[0,0,1] op_sel_hi:[1,1,0]
	v_mov_b32_e32 v19, 0xfa8
	v_mov_b32_e32 v23, v15
	ds_read_b64 v[14:15], v100 offset:4024
	v_pk_add_f32 v[10:11], v[10:11], v[42:43] neg_lo:[0,1] neg_hi:[0,1]
	ds_read2_b64 v[42:45], v19 offset1:1
	v_mul_f32_e32 v18, v83, v68
	v_fmac_f32_e32 v18, v82, v69
	v_pk_add_f32 v[10:11], v[10:11], v[22:23] neg_lo:[0,1] neg_hi:[0,1]
	scratch_load_dwordx4 v[54:57], off, off offset:32
	v_sub_f32_e32 v11, v11, v18
	s_waitcnt vmcnt(8) lgkmcnt(1)
	v_mul_f32_e32 v18, v15, v75
	v_fma_f32 v18, v14, v74, -v18
	v_mul_f32_e32 v14, v14, v75
	v_fmac_f32_e32 v14, v15, v74
	s_waitcnt lgkmcnt(0)
	v_mul_f32_e32 v15, v44, v77
	v_sub_f32_e32 v11, v11, v14
	v_fmac_f32_e32 v15, v45, v76
	v_mul_f32_e32 v14, v45, v77
	v_sub_f32_e32 v11, v11, v15
	v_mov_b32_e32 v15, 0xf98
	v_fma_f32 v14, v44, v76, -v14
	ds_read2_b64 v[44:47], v15 offset1:1
	s_waitcnt vmcnt(7)
	v_mul_f32_e32 v15, v42, v79
	v_fmac_f32_e32 v15, v43, v78
	v_sub_f32_e32 v11, v11, v15
	v_sub_f32_e32 v10, v10, v18
	s_waitcnt lgkmcnt(0)
	v_mul_f32_e32 v15, v46, v81
	v_fmac_f32_e32 v15, v47, v80
	v_sub_f32_e32 v11, v11, v15
	v_mov_b32_e32 v15, 0xf88
	ds_read2_b64 v[50:53], v15 offset1:1
	v_sub_f32_e32 v10, v10, v14
	v_mul_f32_e32 v14, v43, v79
	s_waitcnt vmcnt(4)
	v_mul_f32_e32 v15, v44, v59
	v_fma_f32 v14, v42, v78, -v14
	v_fmac_f32_e32 v15, v45, v58
	v_sub_f32_e32 v10, v10, v14
	v_mul_f32_e32 v14, v47, v81
	v_sub_f32_e32 v11, v11, v15
	s_waitcnt lgkmcnt(0)
	v_mul_f32_e32 v15, v52, v61
	v_fma_f32 v14, v46, v80, -v14
	v_fmac_f32_e32 v15, v53, v60
	v_sub_f32_e32 v10, v10, v14
	v_mul_f32_e32 v14, v45, v59
	scratch_load_dwordx4 v[46:49], off, off offset:24
	v_sub_f32_e32 v11, v11, v15
	v_mov_b32_e32 v15, 0xf78
	v_fma_f32 v14, v44, v58, -v14
	ds_read2_b64 v[42:45], v15 offset1:1
	v_sub_f32_e32 v10, v10, v14
	v_mul_f32_e32 v14, v53, v61
	v_fma_f32 v14, v52, v60, -v14
	v_mul_f32_e32 v15, v50, v39
	v_sub_f32_e32 v10, v10, v14
	v_mul_f32_e32 v14, v51, v39
	v_fmac_f32_e32 v15, v51, v38
	v_fma_f32 v14, v50, v38, -v14
	v_sub_f32_e32 v11, v11, v15
	s_waitcnt vmcnt(4) lgkmcnt(0)
	v_mul_f32_e32 v15, v44, v31
	v_sub_f32_e32 v10, v10, v14
	v_mul_f32_e32 v14, v45, v31
	v_fmac_f32_e32 v15, v45, v30
	v_fma_f32 v14, v44, v30, -v14
	v_sub_f32_e32 v11, v11, v15
	scratch_load_dwordx4 v[50:53], off, off offset:40
	v_sub_f32_e32 v14, v10, v14
	v_mul_f32_e32 v10, v43, v11
	v_mul_f32_e32 v11, v42, v11
	v_fma_f32 v10, v42, v14, -v10
	v_fmac_f32_e32 v11, v43, v14
	scratch_store_dwordx2 off, v[10:11], off offset:128
	v_mov_b32_e32 v14, 0xef4
	scratch_load_dwordx4 v[42:45], off, off offset:120
	ds_read2st64_b32 v[10:11], v101 offset0:13 offset1:14
	ds_read_b96 v[74:76], v100 offset:3760
	ds_read2_b32 v[18:19], v14 offset1:1
	v_mov_b32_e32 v14, 0xef8
	ds_read2_b32 v[34:35], v14 offset1:1
	scratch_load_dwordx4 v[58:61], off, off offset:48
	scratch_load_dwordx4 v[66:69], off, off offset:56
	s_waitcnt vmcnt(8)
	v_mov_b32_e32 v30, v73
	v_mov_b32_e32 v31, v71
	s_waitcnt lgkmcnt(0)
	v_pk_mul_f32 v[34:35], v[34:35], v[70:71]
	v_mov_b32_e32 v22, v72
	v_sub_f32_e32 v34, v34, v35
	v_mov_b32_e32 v35, v11
	v_mov_b32_e32 v11, 0xee4
	;; [unrolled: 1-line block ×6, first 2 shown]
	ds_read2_b32 v[82:83], v11 offset1:1
	v_pk_mul_f32 v[30:31], v[18:19], v[30:31]
	v_mov_b32_e32 v19, v72
	scratch_load_dwordx4 v[70:73], off, off offset:72
	ds_read2_b32 v[14:15], v14 offset1:1
	v_sub_f32_e32 v28, v28, v34
	v_mov_b32_e32 v11, 0xedc
	s_waitcnt vmcnt(8)
	v_mov_b32_e32 v23, v62
	scratch_load_dwordx4 v[78:81], off, off offset:88
	s_waitcnt lgkmcnt(0)
	v_mov_b32_e32 v34, v15
	v_pk_fma_f32 v[26:27], v[34:35], v[26:27], v[30:31]
	ds_read2_b32 v[34:35], v11 offset1:1
	v_mov_b32_e32 v38, v63
	v_pk_fma_f32 v[22:23], v[14:15], v[22:23], v[30:31] op_sel:[1,0,0] op_sel_hi:[0,1,1] neg_lo:[0,0,1] neg_hi:[0,0,1]
	v_mov_b32_e32 v23, v27
	v_mov_b32_e32 v26, v83
	;; [unrolled: 1-line block ×4, first 2 shown]
	v_pk_mul_f32 v[30:31], v[14:15], v[38:39]
	v_pk_add_f32 v[22:23], v[28:29], v[22:23] neg_lo:[0,1] neg_hi:[0,1]
	v_pk_fma_f32 v[38:39], v[26:27], v[18:19], v[30:31] neg_lo:[0,0,1] neg_hi:[0,0,1]
	v_pk_fma_f32 v[18:19], v[26:27], v[18:19], v[30:31]
	v_mov_b32_e32 v28, v65
	v_mov_b32_e32 v29, v63
	v_mov_b32_e32 v39, v19
	v_pk_add_f32 v[18:19], v[22:23], v[38:39] neg_lo:[0,1] neg_hi:[0,1]
	s_waitcnt lgkmcnt(0)
	v_mov_b32_e32 v22, v35
	v_mov_b32_e32 v23, v14
	;; [unrolled: 1-line block ×3, first 2 shown]
	v_pk_mul_f32 v[26:27], v[82:83], v[28:29]
	v_mov_b32_e32 v11, 0xed4
	v_pk_fma_f32 v[30:31], v[22:23], v[64:65], v[26:27] neg_lo:[0,0,1] neg_hi:[0,0,1]
	v_pk_fma_f32 v[22:23], v[22:23], v[64:65], v[26:27]
	scratch_load_dwordx4 v[62:65], off, off offset:104
	ds_read2_b32 v[28:29], v11 offset1:1
	s_waitcnt vmcnt(8)
	v_mov_b32_e32 v14, v49
	v_mov_b32_e32 v15, v47
	;; [unrolled: 1-line block ×4, first 2 shown]
	s_waitcnt lgkmcnt(0)
	v_mov_b32_e32 v22, v29
	v_mov_b32_e32 v49, v46
	v_pk_mul_f32 v[14:15], v[34:35], v[14:15]
	v_mov_b32_e32 v11, 0xecc
	v_pk_add_f32 v[18:19], v[18:19], v[30:31] neg_lo:[0,1] neg_hi:[0,1]
	v_pk_fma_f32 v[30:31], v[22:23], v[48:49], v[14:15] neg_lo:[0,0,1] neg_hi:[0,0,1]
	ds_read2_b32 v[38:39], v11 offset1:1
	v_pk_fma_f32 v[14:15], v[22:23], v[48:49], v[14:15]
	v_mov_b32_e32 v11, 0xec4
	v_mov_b32_e32 v31, v15
	v_pk_add_f32 v[14:15], v[18:19], v[30:31] neg_lo:[0,1] neg_hi:[0,1]
	ds_read2_b32 v[30:31], v11 offset1:1
	v_mov_b32_e32 v26, v57
	v_mov_b32_e32 v27, v55
	s_waitcnt lgkmcnt(1)
	v_mov_b32_e32 v18, v39
	v_mov_b32_e32 v19, v34
	;; [unrolled: 1-line block ×3, first 2 shown]
	v_pk_mul_f32 v[26:27], v[28:29], v[26:27]
	s_waitcnt vmcnt(7)
	v_mov_b32_e32 v22, v53
	v_mov_b32_e32 v23, v51
	v_pk_fma_f32 v[34:35], v[18:19], v[56:57], v[26:27] neg_lo:[0,0,1] neg_hi:[0,0,1]
	v_pk_fma_f32 v[18:19], v[18:19], v[56:57], v[26:27]
	v_mov_b32_e32 v53, v50
	v_mov_b32_e32 v35, v19
	s_waitcnt lgkmcnt(0)
	v_mov_b32_e32 v18, v31
	v_mov_b32_e32 v19, v28
	v_pk_mul_f32 v[22:23], v[38:39], v[22:23]
	v_mov_b32_e32 v11, 0xebc
	v_pk_fma_f32 v[28:29], v[18:19], v[52:53], v[22:23] neg_lo:[0,0,1] neg_hi:[0,0,1]
	v_pk_fma_f32 v[18:19], v[18:19], v[52:53], v[22:23]
	ds_read2_b32 v[22:23], v11 offset1:1
	v_pk_add_f32 v[14:15], v[14:15], v[34:35] neg_lo:[0,1] neg_hi:[0,1]
	s_waitcnt vmcnt(4)
	v_mov_b32_e32 v26, v61
	v_mov_b32_e32 v27, v59
	v_mov_b32_e32 v29, v19
	v_pk_add_f32 v[14:15], v[14:15], v[28:29] neg_lo:[0,1] neg_hi:[0,1]
	s_waitcnt vmcnt(3)
	v_mov_b32_e32 v18, v66
	v_mov_b32_e32 v19, v68
	s_waitcnt lgkmcnt(0)
	v_mov_b32_e32 v28, v23
	v_mov_b32_e32 v29, v38
	v_mov_b32_e32 v61, v58
	v_pk_mul_f32 v[26:27], v[30:31], v[26:27]
	v_mov_b32_e32 v31, v76
	v_mov_b32_e32 v66, v69
	v_pk_fma_f32 v[38:39], v[28:29], v[60:61], v[26:27] neg_lo:[0,0,1] neg_hi:[0,0,1]
	v_pk_fma_f32 v[26:27], v[28:29], v[60:61], v[26:27]
	v_pk_mul_f32 v[18:19], v[30:31], v[18:19]
	scratch_load_dwordx2 v[34:35], off, off offset:128
	scratch_load_dwordx4 v[54:57], off, off
	v_mov_b32_e32 v39, v27
	v_pk_fma_f32 v[30:31], v[22:23], v[66:67], v[18:19] op_sel:[0,0,1] op_sel_hi:[1,1,0] neg_lo:[1,0,0] neg_hi:[1,0,0]
	scratch_load_dwordx4 v[26:29], off, off offset:144
	scratch_load_dwordx4 v[58:61], off, off offset:16
	v_pk_fma_f32 v[18:19], v[22:23], v[66:67], v[18:19] op_sel:[0,0,1] op_sel_hi:[1,1,0]
	ds_read_b128 v[46:49], v100 offset:3744
	v_pk_add_f32 v[14:15], v[14:15], v[38:39] neg_lo:[0,1] neg_hi:[0,1]
	v_mov_b32_e32 v31, v19
	v_mul_f32_e32 v11, v22, v68
	v_fmac_f32_e32 v11, v76, v69
	v_pk_add_f32 v[14:15], v[14:15], v[30:31] neg_lo:[0,1] neg_hi:[0,1]
	s_waitcnt vmcnt(6)
	v_mul_f32_e32 v18, v74, v71
	v_sub_f32_e32 v11, v15, v11
	v_mul_f32_e32 v15, v75, v71
	v_fma_f32 v15, v74, v70, -v15
	v_fmac_f32_e32 v18, v75, v70
	v_sub_f32_e32 v14, v14, v15
	s_waitcnt lgkmcnt(0)
	v_mul_f32_e32 v15, v49, v73
	v_sub_f32_e32 v11, v11, v18
	v_fma_f32 v15, v48, v72, -v15
	v_mul_f32_e32 v18, v48, v73
	v_fmac_f32_e32 v18, v49, v72
	v_sub_f32_e32 v15, v14, v15
	scratch_load_dwordx4 v[66:69], off, off offset:24
	scratch_load_dword v14, off, off offset:20
	ds_read_b128 v[48:51], v100 offset:3728
	v_sub_f32_e32 v11, v11, v18
	s_waitcnt vmcnt(7)
	v_mul_f32_e32 v18, v47, v79
	v_mul_f32_e32 v19, v46, v79
	v_fma_f32 v18, v46, v78, -v18
	v_fmac_f32_e32 v19, v47, v78
	v_sub_f32_e32 v15, v15, v18
	v_sub_f32_e32 v11, v11, v19
	s_waitcnt lgkmcnt(0)
	v_mul_f32_e32 v18, v51, v81
	v_mul_f32_e32 v19, v50, v81
	v_fma_f32 v18, v50, v80, -v18
	v_fmac_f32_e32 v19, v51, v80
	ds_read_b128 v[50:53], v100 offset:3712
	v_sub_f32_e32 v15, v15, v18
	v_sub_f32_e32 v11, v11, v19
	s_waitcnt vmcnt(6)
	v_mul_f32_e32 v18, v49, v63
	v_mul_f32_e32 v19, v48, v63
	v_fma_f32 v18, v48, v62, -v18
	v_fmac_f32_e32 v19, v49, v62
	v_sub_f32_e32 v15, v15, v18
	v_sub_f32_e32 v11, v11, v19
	s_waitcnt lgkmcnt(0)
	v_mul_f32_e32 v18, v53, v65
	v_mul_f32_e32 v19, v52, v65
	v_fma_f32 v18, v52, v64, -v18
	v_fmac_f32_e32 v19, v53, v64
	scratch_load_dwordx4 v[62:65], off, off offset:32
	scratch_load_dwordx4 v[70:73], off, off offset:40
	;; [unrolled: 1-line block ×6, first 2 shown]
	ds_read_b128 v[46:49], v100 offset:3696
	v_sub_f32_e32 v11, v11, v19
	v_mul_f32_e32 v19, v50, v43
	v_sub_f32_e32 v15, v15, v18
	v_mul_f32_e32 v18, v51, v43
	v_fmac_f32_e32 v19, v51, v42
	v_fma_f32 v18, v50, v42, -v18
	v_sub_f32_e32 v11, v11, v19
	v_sub_f32_e32 v15, v15, v18
	v_mov_b32_e32 v43, 0xde4
	scratch_load_dwordx4 v[112:115], off, off offset:96
	ds_read2_b32 v[82:83], v43 offset1:1
	v_mov_b32_e32 v39, v10
	ds_read_b96 v[50:52], v100 offset:3504
	s_waitcnt lgkmcnt(0)
	v_mov_b32_e32 v22, v51
	v_mov_b32_e32 v23, v52
	s_waitcnt vmcnt(12)
	v_mul_f32_e32 v19, v48, v35
	v_mul_f32_e32 v18, v49, v35
	v_fmac_f32_e32 v19, v49, v34
	v_fma_f32 v18, v48, v34, -v18
	v_sub_f32_e32 v11, v11, v19
	v_sub_f32_e32 v15, v15, v18
	v_mul_f32_e32 v18, v47, v11
	v_mul_f32_e32 v19, v46, v11
	v_fma_f32 v18, v46, v15, -v18
	v_fmac_f32_e32 v19, v47, v15
	v_mov_b32_e32 v11, 0xdf4
	scratch_store_dwordx2 off, v[18:19], off offset:136
	ds_read2_b32 v[18:19], v11 offset1:1
	v_mov_b32_e32 v15, 0xdec
	ds_read2_b32 v[30:31], v15 offset1:1
	s_waitcnt vmcnt(12)
	v_mul_f32_e32 v11, v10, v55
	v_mov_b32_e32 v15, v57
	s_waitcnt lgkmcnt(1)
	v_fma_f32 v11, v19, v54, -v11
	s_waitcnt vmcnt(11)
	v_sub_f32_e32 v26, v26, v11
	v_mov_b32_e32 v11, v54
	s_waitcnt lgkmcnt(0)
	v_mul_f32_e32 v42, v31, v56
	v_mov_b32_e32 v54, v57
	v_mov_b32_e32 v35, v56
	;; [unrolled: 1-line block ×4, first 2 shown]
	v_pk_mul_f32 v[56:57], v[18:19], v[54:55]
	v_pk_fma_f32 v[42:43], v[18:19], v[54:55], v[42:43] op_sel_hi:[1,1,0] neg_lo:[1,0,0] neg_hi:[1,0,0]
	s_waitcnt vmcnt(8)
	v_mov_b32_e32 v19, v14
	v_pk_mul_f32 v[14:15], v[30:31], v[14:15]
	v_mov_b32_e32 v31, 0xddc
	v_pk_fma_f32 v[10:11], v[38:39], v[10:11], v[56:57]
	ds_read2_b32 v[38:39], v31 offset1:1
	v_mov_b32_e32 v43, v11
	v_mov_b32_e32 v59, v60
	;; [unrolled: 1-line block ×3, first 2 shown]
	v_pk_add_f32 v[10:11], v[26:27], v[42:43] neg_lo:[0,1] neg_hi:[0,1]
	v_mov_b32_e32 v26, v83
	v_mov_b32_e32 v27, v18
	;; [unrolled: 1-line block ×3, first 2 shown]
	v_pk_fma_f32 v[42:43], v[26:27], v[58:59], v[14:15] neg_lo:[0,0,1] neg_hi:[0,0,1]
	v_pk_fma_f32 v[14:15], v[26:27], v[34:35], v[14:15]
	v_mov_b32_e32 v61, v58
	v_mov_b32_e32 v43, v15
	s_waitcnt lgkmcnt(0)
	v_mov_b32_e32 v14, v39
	v_mov_b32_e32 v15, v30
	v_pk_mul_f32 v[18:19], v[82:83], v[18:19]
	scratch_load_dwordx4 v[46:49], off, off offset:128
	v_pk_fma_f32 v[34:35], v[14:15], v[60:61], v[18:19] neg_lo:[0,0,1] neg_hi:[0,0,1]
	v_pk_fma_f32 v[14:15], v[14:15], v[60:61], v[18:19]
	v_mov_b32_e32 v30, 0xdd4
	s_waitcnt vmcnt(8)
	v_mov_b32_e32 v18, v65
	v_mov_b32_e32 v19, v63
	;; [unrolled: 1-line block ×3, first 2 shown]
	scratch_load_dwordx4 v[60:63], off, off offset:112
	ds_read2_b32 v[30:31], v30 offset1:1
	v_pk_add_f32 v[10:11], v[10:11], v[42:43] neg_lo:[0,1] neg_hi:[0,1]
	v_mov_b32_e32 v35, v15
	v_mov_b32_e32 v26, v69
	v_mov_b32_e32 v27, v67
	v_pk_add_f32 v[10:11], v[10:11], v[34:35] neg_lo:[0,1] neg_hi:[0,1]
	v_mov_b32_e32 v34, 0xdcc
	s_waitcnt lgkmcnt(0)
	v_mov_b32_e32 v14, v31
	v_mov_b32_e32 v15, v82
	;; [unrolled: 1-line block ×3, first 2 shown]
	v_pk_mul_f32 v[26:27], v[38:39], v[26:27]
	ds_read2_b32 v[34:35], v34 offset1:1
	v_pk_fma_f32 v[42:43], v[14:15], v[68:69], v[26:27] neg_lo:[0,0,1] neg_hi:[0,0,1]
	v_pk_fma_f32 v[14:15], v[14:15], v[68:69], v[26:27]
	v_pk_mul_f32 v[18:19], v[30:31], v[18:19]
	v_mov_b32_e32 v31, 0xdc4
	v_mov_b32_e32 v43, v15
	;; [unrolled: 1-line block ×3, first 2 shown]
	ds_read2_b32 v[38:39], v31 offset1:1
	s_waitcnt lgkmcnt(1)
	v_mov_b32_e32 v14, v35
	v_pk_add_f32 v[10:11], v[10:11], v[42:43] neg_lo:[0,1] neg_hi:[0,1]
	s_waitcnt vmcnt(8)
	v_mov_b32_e32 v26, v73
	v_mov_b32_e32 v27, v71
	v_pk_fma_f32 v[42:43], v[14:15], v[64:65], v[18:19] neg_lo:[0,0,1] neg_hi:[0,0,1]
	v_pk_fma_f32 v[14:15], v[14:15], v[64:65], v[18:19]
	v_mov_b32_e32 v73, v70
	v_mov_b32_e32 v43, v15
	s_waitcnt lgkmcnt(0)
	v_mov_b32_e32 v14, v39
	v_mov_b32_e32 v15, v30
	v_pk_mul_f32 v[26:27], v[34:35], v[26:27]
	v_pk_add_f32 v[10:11], v[10:11], v[42:43] neg_lo:[0,1] neg_hi:[0,1]
	v_pk_fma_f32 v[42:43], v[14:15], v[72:73], v[26:27] neg_lo:[0,0,1] neg_hi:[0,0,1]
	v_pk_fma_f32 v[14:15], v[14:15], v[72:73], v[26:27]
	scratch_load_dwordx4 v[64:67], off, off
	v_mov_b32_e32 v43, v15
	v_mov_b32_e32 v15, v34
	scratch_load_dwordx2 v[34:35], off, off offset:136
	v_mov_b32_e32 v30, 0xdbc
	ds_read2_b32 v[30:31], v30 offset1:1
	s_waitcnt vmcnt(9)
	v_mov_b32_e32 v18, v77
	v_mov_b32_e32 v19, v75
	;; [unrolled: 1-line block ×3, first 2 shown]
	v_pk_mul_f32 v[18:19], v[38:39], v[18:19]
	s_waitcnt lgkmcnt(0)
	v_mov_b32_e32 v14, v31
	v_pk_add_f32 v[10:11], v[10:11], v[42:43] neg_lo:[0,1] neg_hi:[0,1]
	s_waitcnt vmcnt(8)
	v_mov_b32_e32 v26, v81
	v_mov_b32_e32 v27, v79
	v_pk_fma_f32 v[42:43], v[14:15], v[76:77], v[18:19] neg_lo:[0,0,1] neg_hi:[0,0,1]
	v_pk_fma_f32 v[14:15], v[14:15], v[76:77], v[18:19]
	v_mov_b32_e32 v18, v52
	v_mov_b32_e32 v43, v15
	s_waitcnt vmcnt(7)
	v_mov_b32_e32 v14, v104
	v_mov_b32_e32 v15, v106
	;; [unrolled: 1-line block ×4, first 2 shown]
	v_pk_mul_f32 v[26:27], v[30:31], v[26:27]
	v_mov_b32_e32 v31, v50
	v_mov_b32_e32 v104, v107
	v_pk_fma_f32 v[38:39], v[18:19], v[80:81], v[26:27] neg_lo:[0,0,1] neg_hi:[0,0,1]
	v_pk_fma_f32 v[18:19], v[18:19], v[80:81], v[26:27]
	v_pk_mul_f32 v[14:15], v[30:31], v[14:15]
	v_mov_b32_e32 v39, v19
	v_pk_fma_f32 v[18:19], v[22:23], v[104:105], v[14:15] op_sel:[0,0,1] op_sel_hi:[1,1,0] neg_lo:[1,0,0] neg_hi:[1,0,0]
	v_pk_fma_f32 v[14:15], v[22:23], v[104:105], v[14:15] op_sel:[0,0,1] op_sel_hi:[1,1,0]
	v_pk_add_f32 v[10:11], v[10:11], v[42:43] neg_lo:[0,1] neg_hi:[0,1]
	v_mov_b32_e32 v19, v15
	ds_read_b64 v[14:15], v100 offset:3496
	scratch_load_dwordx4 v[68:71], off, off offset:16
	scratch_load_dwordx4 v[56:59], off, off offset:32
	v_pk_add_f32 v[10:11], v[10:11], v[38:39] neg_lo:[0,1] neg_hi:[0,1]
	v_mul_f32_e32 v22, v51, v106
	v_pk_add_f32 v[10:11], v[10:11], v[18:19] neg_lo:[0,1] neg_hi:[0,1]
	v_mov_b32_e32 v19, 0xd98
	v_fmac_f32_e32 v22, v50, v107
	ds_read2_b64 v[50:53], v19 offset1:1
	s_waitcnt vmcnt(8) lgkmcnt(1)
	v_mul_f32_e32 v18, v15, v109
	v_fma_f32 v18, v14, v108, -v18
	v_mul_f32_e32 v14, v14, v109
	v_sub_f32_e32 v11, v11, v22
	v_fmac_f32_e32 v14, v15, v108
	s_waitcnt lgkmcnt(0)
	v_mul_f32_e32 v15, v52, v111
	v_sub_f32_e32 v11, v11, v14
	v_fmac_f32_e32 v15, v53, v110
	v_mul_f32_e32 v14, v53, v111
	v_sub_f32_e32 v11, v11, v15
	v_mov_b32_e32 v15, 0xd88
	v_fma_f32 v14, v52, v110, -v14
	ds_read2_b64 v[52:55], v15 offset1:1
	s_waitcnt vmcnt(7)
	v_mul_f32_e32 v15, v50, v113
	v_fmac_f32_e32 v15, v51, v112
	v_sub_f32_e32 v11, v11, v15
	v_sub_f32_e32 v10, v10, v18
	s_waitcnt lgkmcnt(0)
	v_mul_f32_e32 v15, v54, v115
	v_fmac_f32_e32 v15, v55, v114
	v_sub_f32_e32 v11, v11, v15
	v_mov_b32_e32 v15, 0xd78
	v_sub_f32_e32 v10, v10, v14
	ds_read2_b64 v[72:75], v15 offset1:1
	v_mul_f32_e32 v14, v51, v113
	v_fma_f32 v14, v50, v112, -v14
	v_sub_f32_e32 v10, v10, v14
	v_mul_f32_e32 v14, v55, v115
	v_fma_f32 v14, v54, v114, -v14
	v_sub_f32_e32 v10, v10, v14
	s_waitcnt vmcnt(4)
	v_mul_f32_e32 v14, v53, v61
	v_mul_f32_e32 v15, v52, v61
	v_fma_f32 v14, v52, v60, -v14
	v_fmac_f32_e32 v15, v53, v60
	v_sub_f32_e32 v10, v10, v14
	v_sub_f32_e32 v11, v11, v15
	s_waitcnt lgkmcnt(0)
	v_mul_f32_e32 v14, v75, v63
	v_mul_f32_e32 v15, v74, v63
	v_fma_f32 v14, v74, v62, -v14
	v_fmac_f32_e32 v15, v75, v62
	v_sub_f32_e32 v10, v10, v14
	v_sub_f32_e32 v11, v11, v15
	v_mul_f32_e32 v14, v73, v47
	v_mul_f32_e32 v15, v72, v47
	v_fma_f32 v14, v72, v46, -v14
	v_fmac_f32_e32 v15, v73, v46
	scratch_load_dwordx4 v[72:75], off, off offset:40
	scratch_load_dwordx4 v[76:79], off, off offset:48
	;; [unrolled: 1-line block ×3, first 2 shown]
	v_mov_b32_e32 v18, 0xd68
	ds_read2_b64 v[50:53], v18 offset1:1
	v_sub_f32_e32 v10, v10, v14
	v_sub_f32_e32 v11, v11, v15
	v_mov_b32_e32 v18, 0xcf4
	ds_read2_b32 v[18:19], v18 offset1:1
	s_waitcnt vmcnt(5) lgkmcnt(1)
	v_mul_f32_e32 v14, v53, v35
	v_mul_f32_e32 v15, v52, v35
	v_fma_f32 v14, v52, v34, -v14
	v_fmac_f32_e32 v15, v53, v34
	v_sub_f32_e32 v22, v10, v14
	v_sub_f32_e32 v10, v11, v15
	v_mul_f32_e32 v11, v51, v10
	v_fma_f32 v14, v50, v22, -v11
	v_mul_f32_e32 v15, v50, v10
	ds_read2st64_b32 v[10:11], v101 offset0:11 offset1:12
	v_fmac_f32_e32 v15, v51, v22
	scratch_store_dwordx2 off, v[14:15], off offset:144
	s_waitcnt lgkmcnt(1)
	v_mul_f32_e32 v15, v19, v65
	v_mov_b32_e32 v43, v18
	s_waitcnt lgkmcnt(0)
	v_mul_f32_e32 v14, v11, v65
	v_fmac_f32_e32 v15, v11, v64
	v_mov_b32_e32 v11, 0xcec
	ds_read2_b32 v[22:23], v11 offset1:1
	v_fma_f32 v14, v19, v64, -v14
	v_mul_f32_e32 v11, v18, v67
	v_sub_f32_e32 v28, v28, v14
	v_mov_b32_e32 v19, v66
	s_waitcnt lgkmcnt(0)
	v_fma_f32 v14, v23, v66, -v11
	v_mov_b32_e32 v11, 0xce4
	ds_read2_b32 v[30:31], v11 offset1:1
	v_pk_add_f32 v[14:15], v[28:29], v[14:15] neg_lo:[0,1] neg_hi:[0,1]
	scratch_load_dwordx4 v[26:29], off, off offset:64
	v_mov_b32_e32 v11, 0xcdc
	s_waitcnt vmcnt(6)
	v_mov_b32_e32 v66, v69
	ds_read2_b32 v[104:105], v11 offset1:1
	s_waitcnt lgkmcnt(1)
	v_mul_f32_e32 v46, v31, v68
	v_pk_mul_f32 v[50:51], v[22:23], v[66:67]
	v_pk_fma_f32 v[46:47], v[22:23], v[66:67], v[46:47] op_sel_hi:[1,1,0] neg_lo:[1,0,0] neg_hi:[1,0,0]
	scratch_load_dwordx4 v[64:67], off, off offset:72
	v_mov_b32_e32 v42, v31
	v_mov_b32_e32 v18, v68
	v_pk_fma_f32 v[18:19], v[42:43], v[18:19], v[50:51]
	v_mov_b32_e32 v11, 0xcd4
	v_mov_b32_e32 v47, v19
	;; [unrolled: 1-line block ×4, first 2 shown]
	v_pk_add_f32 v[14:15], v[14:15], v[46:47] neg_lo:[0,1] neg_hi:[0,1]
	ds_read2_b32 v[46:47], v11 offset1:1
	v_mov_b32_e32 v34, v70
	v_mov_b32_e32 v38, v70
	;; [unrolled: 1-line block ×3, first 2 shown]
	v_pk_mul_f32 v[42:43], v[30:31], v[68:69]
	v_mov_b32_e32 v31, v70
	scratch_load_dwordx4 v[68:71], off, off offset:88
	s_waitcnt vmcnt(7)
	v_mov_b32_e32 v35, v56
	s_waitcnt lgkmcnt(1)
	v_mov_b32_e32 v18, v105
	v_mov_b32_e32 v19, v22
	;; [unrolled: 1-line block ×3, first 2 shown]
	v_pk_fma_f32 v[34:35], v[18:19], v[34:35], v[42:43] neg_lo:[0,0,1] neg_hi:[0,0,1]
	v_pk_fma_f32 v[18:19], v[18:19], v[38:39], v[42:43]
	v_mov_b32_e32 v11, 0xccc
	v_mov_b32_e32 v35, v19
	s_waitcnt lgkmcnt(0)
	v_mov_b32_e32 v18, v47
	v_mov_b32_e32 v19, v30
	;; [unrolled: 1-line block ×3, first 2 shown]
	v_pk_mul_f32 v[22:23], v[104:105], v[22:23]
	ds_read2_b32 v[38:39], v11 offset1:1
	v_pk_fma_f32 v[42:43], v[18:19], v[30:31], v[22:23] neg_lo:[0,0,1] neg_hi:[0,0,1]
	v_pk_fma_f32 v[18:19], v[18:19], v[30:31], v[22:23]
	v_pk_add_f32 v[14:15], v[14:15], v[34:35] neg_lo:[0,1] neg_hi:[0,1]
	v_mov_b32_e32 v43, v19
	v_mov_b32_e32 v19, v104
	scratch_load_dwordx4 v[104:107], off, off offset:104
	v_mov_b32_e32 v34, v59
	v_mov_b32_e32 v35, v57
	s_waitcnt lgkmcnt(0)
	v_mov_b32_e32 v18, v39
	v_mov_b32_e32 v59, v56
	v_pk_mul_f32 v[30:31], v[46:47], v[34:35]
	v_pk_add_f32 v[14:15], v[14:15], v[42:43] neg_lo:[0,1] neg_hi:[0,1]
	v_pk_fma_f32 v[42:43], v[18:19], v[58:59], v[30:31] neg_lo:[0,0,1] neg_hi:[0,0,1]
	v_pk_fma_f32 v[18:19], v[18:19], v[58:59], v[30:31]
	scratch_load_dwordx4 v[56:59], off, off offset:120
	v_mov_b32_e32 v11, 0xcc4
	ds_read2_b32 v[34:35], v11 offset1:1
	v_mov_b32_e32 v43, v19
	v_mov_b32_e32 v11, 0xcbc
	v_pk_add_f32 v[14:15], v[14:15], v[42:43] neg_lo:[0,1] neg_hi:[0,1]
	ds_read2_b32 v[42:43], v11 offset1:1
	s_waitcnt vmcnt(8)
	v_mov_b32_e32 v22, v75
	v_mov_b32_e32 v23, v73
	s_waitcnt lgkmcnt(1)
	v_mov_b32_e32 v18, v35
	v_mov_b32_e32 v19, v46
	;; [unrolled: 1-line block ×3, first 2 shown]
	v_pk_mul_f32 v[22:23], v[38:39], v[22:23]
	s_waitcnt vmcnt(7)
	v_mov_b32_e32 v30, v79
	v_mov_b32_e32 v31, v77
	v_pk_fma_f32 v[46:47], v[18:19], v[74:75], v[22:23] neg_lo:[0,0,1] neg_hi:[0,0,1]
	v_pk_fma_f32 v[18:19], v[18:19], v[74:75], v[22:23]
	scratch_load_dwordx4 v[52:55], off, off offset:136
	v_mov_b32_e32 v47, v19
	s_waitcnt lgkmcnt(0)
	v_mov_b32_e32 v18, v43
	v_mov_b32_e32 v19, v38
	;; [unrolled: 1-line block ×3, first 2 shown]
	v_pk_mul_f32 v[30:31], v[34:35], v[30:31]
	v_pk_add_f32 v[14:15], v[14:15], v[46:47] neg_lo:[0,1] neg_hi:[0,1]
	v_pk_fma_f32 v[46:47], v[18:19], v[78:79], v[30:31] neg_lo:[0,0,1] neg_hi:[0,0,1]
	v_pk_fma_f32 v[18:19], v[18:19], v[78:79], v[30:31]
	scratch_load_dwordx4 v[72:75], off, off
	v_mov_b32_e32 v47, v19
	v_mov_b32_e32 v19, v34
	scratch_load_dwordx2 v[34:35], off, off offset:144
	v_mov_b32_e32 v11, 0xcb4
	ds_read2_b32 v[38:39], v11 offset1:1
	s_waitcnt vmcnt(9)
	v_mov_b32_e32 v22, v83
	v_mov_b32_e32 v23, v81
	;; [unrolled: 1-line block ×3, first 2 shown]
	v_pk_mul_f32 v[22:23], v[42:43], v[22:23]
	s_waitcnt lgkmcnt(0)
	v_mov_b32_e32 v18, v39
	v_mov_b32_e32 v11, 0xcac
	v_pk_add_f32 v[14:15], v[14:15], v[46:47] neg_lo:[0,1] neg_hi:[0,1]
	v_pk_fma_f32 v[46:47], v[18:19], v[82:83], v[22:23] neg_lo:[0,0,1] neg_hi:[0,0,1]
	v_pk_fma_f32 v[18:19], v[18:19], v[82:83], v[22:23]
	ds_read2_b32 v[22:23], v11 offset1:1
	ds_read_b96 v[60:62], v100 offset:3232
	s_waitcnt vmcnt(7)
	v_mov_b32_e32 v30, v29
	v_mov_b32_e32 v31, v27
	;; [unrolled: 1-line block ×3, first 2 shown]
	v_pk_add_f32 v[14:15], v[14:15], v[46:47] neg_lo:[0,1] neg_hi:[0,1]
	s_waitcnt lgkmcnt(1)
	v_mov_b32_e32 v46, v23
	v_mov_b32_e32 v47, v42
	;; [unrolled: 1-line block ×3, first 2 shown]
	v_pk_mul_f32 v[26:27], v[38:39], v[30:31]
	s_waitcnt vmcnt(6)
	v_mov_b32_e32 v18, v64
	v_mov_b32_e32 v19, v66
	v_pk_fma_f32 v[30:31], v[46:47], v[28:29], v[26:27] neg_lo:[0,0,1] neg_hi:[0,0,1]
	v_pk_fma_f32 v[26:27], v[46:47], v[28:29], v[26:27]
	s_waitcnt lgkmcnt(0)
	v_mov_b32_e32 v39, v62
	v_mov_b32_e32 v64, v67
	;; [unrolled: 1-line block ×3, first 2 shown]
	v_pk_mul_f32 v[18:19], v[38:39], v[18:19]
	v_pk_add_f32 v[14:15], v[14:15], v[30:31] neg_lo:[0,1] neg_hi:[0,1]
	v_pk_fma_f32 v[30:31], v[22:23], v[64:65], v[18:19] op_sel:[0,0,1] op_sel_hi:[1,1,0] neg_lo:[1,0,0] neg_hi:[1,0,0]
	v_pk_fma_f32 v[18:19], v[22:23], v[64:65], v[18:19] op_sel:[0,0,1] op_sel_hi:[1,1,0]
	ds_read_b128 v[76:79], v100 offset:3216
	v_mov_b32_e32 v31, v19
	v_mul_f32_e32 v11, v22, v66
	v_fmac_f32_e32 v11, v62, v67
	v_pk_add_f32 v[14:15], v[14:15], v[30:31] neg_lo:[0,1] neg_hi:[0,1]
	s_waitcnt vmcnt(5)
	v_mul_f32_e32 v18, v60, v69
	v_sub_f32_e32 v11, v15, v11
	v_mul_f32_e32 v15, v61, v69
	v_fma_f32 v15, v60, v68, -v15
	v_fmac_f32_e32 v18, v61, v68
	scratch_load_dwordx4 v[26:29], off, off offset:160
	scratch_load_dwordx4 v[62:65], off, off offset:16
	v_sub_f32_e32 v14, v14, v15
	v_sub_f32_e32 v11, v11, v18
	s_waitcnt lgkmcnt(0)
	v_mul_f32_e32 v15, v79, v71
	v_mul_f32_e32 v18, v78, v71
	v_fma_f32 v15, v78, v70, -v15
	v_fmac_f32_e32 v18, v79, v70
	ds_read_b128 v[78:81], v100 offset:3200
	v_sub_f32_e32 v14, v14, v15
	s_waitcnt vmcnt(6)
	v_mul_f32_e32 v15, v77, v105
	v_sub_f32_e32 v11, v11, v18
	v_fma_f32 v15, v76, v104, -v15
	v_mul_f32_e32 v18, v76, v105
	v_fmac_f32_e32 v18, v77, v104
	v_sub_f32_e32 v14, v14, v15
	s_waitcnt lgkmcnt(0)
	v_mul_f32_e32 v15, v81, v107
	v_sub_f32_e32 v11, v11, v18
	v_fma_f32 v15, v80, v106, -v15
	v_mul_f32_e32 v18, v80, v107
	v_fmac_f32_e32 v18, v81, v106
	v_sub_f32_e32 v15, v14, v15
	s_waitcnt vmcnt(5)
	v_mul_f32_e32 v14, v79, v57
	scratch_load_dwordx4 v[66:69], off, off offset:32
	v_sub_f32_e32 v11, v11, v18
	v_fma_f32 v18, v78, v56, -v14
	scratch_load_dwordx4 v[80:83], off, off offset:40
	scratch_load_dword v14, off, off offset:36
	ds_read_b128 v[104:107], v100 offset:3184
	v_mul_f32_e32 v19, v78, v57
	v_fmac_f32_e32 v19, v79, v56
	v_sub_f32_e32 v15, v15, v18
	v_sub_f32_e32 v11, v11, v19
	s_waitcnt lgkmcnt(0)
	v_mul_f32_e32 v18, v107, v59
	v_mul_f32_e32 v19, v106, v59
	v_fma_f32 v18, v106, v58, -v18
	v_fmac_f32_e32 v19, v107, v58
	ds_read_b128 v[56:59], v100 offset:3168
	scratch_load_dwordx4 v[76:79], off, off offset:48
	v_sub_f32_e32 v11, v11, v19
	s_waitcnt vmcnt(8)
	v_mul_f32_e32 v19, v104, v53
	v_sub_f32_e32 v15, v15, v18
	v_mul_f32_e32 v18, v105, v53
	v_fmac_f32_e32 v19, v105, v52
	v_fma_f32 v18, v104, v52, -v18
	v_sub_f32_e32 v11, v11, v19
	s_waitcnt vmcnt(6) lgkmcnt(0)
	v_mul_f32_e32 v19, v58, v35
	v_sub_f32_e32 v15, v15, v18
	v_mul_f32_e32 v18, v59, v35
	v_fmac_f32_e32 v19, v59, v34
	v_fma_f32 v18, v58, v34, -v18
	v_sub_f32_e32 v11, v11, v19
	scratch_load_dwordx4 v[104:107], off, off offset:56
	v_sub_f32_e32 v15, v15, v18
	v_mul_f32_e32 v18, v57, v11
	v_mul_f32_e32 v19, v56, v11
	v_mov_b32_e32 v11, 0xbf4
	ds_read2_b32 v[22:23], v11 offset1:1
	v_mul_f32_e32 v11, v10, v73
	v_fma_f32 v18, v56, v15, -v18
	v_fmac_f32_e32 v19, v57, v15
	scratch_store_dwordx2 off, v[18:19], off offset:152
	s_waitcnt lgkmcnt(0)
	v_fma_f32 v15, v23, v72, -v11
	v_mov_b32_e32 v11, 0xbec
	ds_read2_b32 v[18:19], v11 offset1:1
	v_mul_f32_e32 v11, v23, v73
	v_fmac_f32_e32 v11, v10, v72
	scratch_load_dwordx4 v[70:73], off, off offset:64
	v_mul_f32_e32 v10, v22, v75
	s_waitcnt lgkmcnt(0)
	v_fma_f32 v10, v19, v74, -v10
	v_mul_f32_e32 v23, v19, v75
	v_mov_b32_e32 v19, 0xbe4
	ds_read2_b32 v[30:31], v19 offset1:1
	scratch_load_dwordx4 v[108:111], off, off offset:72
	scratch_load_dwordx4 v[112:115], off, off offset:80
	v_fmac_f32_e32 v23, v22, v74
	v_mov_b32_e32 v43, 0xbd4
	v_mov_b32_e32 v39, v18
	ds_read2_b32 v[56:57], v43 offset1:1
	scratch_load_dwordx4 v[58:61], off, off offset:144
	ds_read_b96 v[50:52], v100 offset:2976
	s_waitcnt vmcnt(11)
	v_sub_f32_e32 v26, v26, v15
	s_waitcnt vmcnt(10)
	v_mul_f32_e32 v15, v18, v63
	s_waitcnt lgkmcnt(2)
	v_fma_f32 v22, v31, v62, -v15
	v_mov_b32_e32 v15, 0xbdc
	v_pk_add_f32 v[10:11], v[26:27], v[10:11] neg_lo:[0,1] neg_hi:[0,1]
	ds_read2_b32 v[26:27], v15 offset1:1
	v_mov_b32_e32 v19, v62
	v_mov_b32_e32 v62, v65
	v_pk_add_f32 v[10:11], v[10:11], v[22:23] neg_lo:[0,1] neg_hi:[0,1]
	v_mov_b32_e32 v23, v64
	s_waitcnt lgkmcnt(0)
	v_mul_f32_e32 v42, v27, v64
	v_mov_b32_e32 v18, v64
	v_mov_b32_e32 v15, v65
	v_pk_mul_f32 v[46:47], v[30:31], v[62:63]
	v_pk_fma_f32 v[42:43], v[30:31], v[62:63], v[42:43] op_sel_hi:[1,1,0] neg_lo:[1,0,0] neg_hi:[1,0,0]
	scratch_load_dwordx4 v[62:65], off, off offset:96
	v_mov_b32_e32 v38, v27
	v_pk_fma_f32 v[18:19], v[38:39], v[18:19], v[46:47]
	v_mov_b32_e32 v34, v51
	v_mov_b32_e32 v43, v19
	;; [unrolled: 1-line block ×4, first 2 shown]
	v_pk_add_f32 v[10:11], v[10:11], v[42:43] neg_lo:[0,1] neg_hi:[0,1]
	s_waitcnt vmcnt(10)
	v_mov_b32_e32 v67, v68
	v_mov_b32_e32 v22, v66
	s_waitcnt vmcnt(9)
	v_mov_b32_e32 v30, v81
	s_waitcnt vmcnt(8)
	v_mov_b32_e32 v31, v14
	v_pk_mul_f32 v[14:15], v[26:27], v[14:15]
	v_mov_b32_e32 v27, 0xbcc
	ds_read2_b32 v[38:39], v27 offset1:1
	v_pk_fma_f32 v[42:43], v[18:19], v[66:67], v[14:15] neg_lo:[0,0,1] neg_hi:[0,0,1]
	v_pk_fma_f32 v[14:15], v[18:19], v[22:23], v[14:15]
	v_mov_b32_e32 v69, v66
	v_mov_b32_e32 v43, v15
	s_waitcnt lgkmcnt(0)
	v_mov_b32_e32 v14, v39
	v_mov_b32_e32 v15, v26
	v_pk_mul_f32 v[22:23], v[56:57], v[30:31]
	v_mov_b32_e32 v26, 0xbc4
	v_pk_fma_f32 v[30:31], v[14:15], v[68:69], v[22:23] neg_lo:[0,0,1] neg_hi:[0,0,1]
	v_pk_fma_f32 v[14:15], v[14:15], v[68:69], v[22:23]
	scratch_load_dwordx4 v[66:69], off, off offset:112
	ds_read2_b32 v[26:27], v26 offset1:1
	v_pk_add_f32 v[10:11], v[10:11], v[42:43] neg_lo:[0,1] neg_hi:[0,1]
	v_mov_b32_e32 v18, v83
	v_mov_b32_e32 v19, v81
	;; [unrolled: 1-line block ×3, first 2 shown]
	v_pk_add_f32 v[10:11], v[10:11], v[30:31] neg_lo:[0,1] neg_hi:[0,1]
	s_waitcnt lgkmcnt(0)
	v_mov_b32_e32 v14, v27
	v_mov_b32_e32 v15, v56
	;; [unrolled: 1-line block ×3, first 2 shown]
	s_waitcnt vmcnt(8)
	v_mov_b32_e32 v22, v79
	v_mov_b32_e32 v23, v77
	v_pk_mul_f32 v[18:19], v[38:39], v[18:19]
	v_mov_b32_e32 v30, 0xbbc
	v_mov_b32_e32 v79, v76
	scratch_load_dwordx4 v[74:77], off, off offset:128
	ds_read2_b32 v[30:31], v30 offset1:1
	v_pk_fma_f32 v[42:43], v[14:15], v[82:83], v[18:19] neg_lo:[0,0,1] neg_hi:[0,0,1]
	v_pk_fma_f32 v[14:15], v[14:15], v[82:83], v[18:19]
	v_pk_mul_f32 v[22:23], v[26:27], v[22:23]
	v_mov_b32_e32 v43, v15
	v_mov_b32_e32 v27, 0xbb4
	v_pk_add_f32 v[10:11], v[10:11], v[42:43] neg_lo:[0,1] neg_hi:[0,1]
	ds_read2_b32 v[42:43], v27 offset1:1
	s_waitcnt lgkmcnt(1)
	v_mov_b32_e32 v14, v31
	v_mov_b32_e32 v15, v38
	s_waitcnt vmcnt(8)
	v_mov_b32_e32 v18, v107
	v_mov_b32_e32 v19, v105
	v_pk_fma_f32 v[38:39], v[14:15], v[78:79], v[22:23] neg_lo:[0,0,1] neg_hi:[0,0,1]
	v_pk_fma_f32 v[14:15], v[14:15], v[78:79], v[22:23]
	v_mov_b32_e32 v107, v104
	v_mov_b32_e32 v39, v15
	s_waitcnt lgkmcnt(0)
	v_mov_b32_e32 v14, v43
	v_mov_b32_e32 v15, v26
	v_pk_mul_f32 v[18:19], v[30:31], v[18:19]
	v_pk_add_f32 v[10:11], v[10:11], v[38:39] neg_lo:[0,1] neg_hi:[0,1]
	v_pk_fma_f32 v[38:39], v[14:15], v[106:107], v[18:19] neg_lo:[0,0,1] neg_hi:[0,0,1]
	v_pk_fma_f32 v[14:15], v[14:15], v[106:107], v[18:19]
	v_mov_b32_e32 v26, 0xbac
	v_mov_b32_e32 v39, v15
	;; [unrolled: 1-line block ×3, first 2 shown]
	scratch_load_dwordx2 v[30:31], off, off offset:152
	ds_read2_b32 v[26:27], v26 offset1:1
	s_waitcnt vmcnt(7)
	v_mov_b32_e32 v22, v73
	v_mov_b32_e32 v23, v71
	;; [unrolled: 1-line block ×3, first 2 shown]
	v_pk_mul_f32 v[22:23], v[42:43], v[22:23]
	s_waitcnt lgkmcnt(0)
	v_mov_b32_e32 v14, v27
	v_pk_add_f32 v[10:11], v[10:11], v[38:39] neg_lo:[0,1] neg_hi:[0,1]
	v_pk_fma_f32 v[38:39], v[14:15], v[72:73], v[22:23] neg_lo:[0,0,1] neg_hi:[0,0,1]
	v_pk_fma_f32 v[14:15], v[14:15], v[72:73], v[22:23]
	scratch_load_dwordx4 v[70:73], off, off
	s_waitcnt vmcnt(7)
	v_mov_b32_e32 v18, v111
	v_mov_b32_e32 v19, v109
	;; [unrolled: 1-line block ×3, first 2 shown]
	s_waitcnt vmcnt(6)
	v_mov_b32_e32 v14, v112
	v_mov_b32_e32 v15, v114
	;; [unrolled: 1-line block ×5, first 2 shown]
	v_pk_mul_f32 v[18:19], v[26:27], v[18:19]
	v_mov_b32_e32 v27, v50
	v_mov_b32_e32 v35, v52
	v_pk_add_f32 v[10:11], v[10:11], v[38:39] neg_lo:[0,1] neg_hi:[0,1]
	v_mov_b32_e32 v112, v115
	v_pk_fma_f32 v[38:39], v[22:23], v[110:111], v[18:19] neg_lo:[0,0,1] neg_hi:[0,0,1]
	v_pk_fma_f32 v[18:19], v[22:23], v[110:111], v[18:19]
	v_pk_mul_f32 v[14:15], v[26:27], v[14:15]
	v_mov_b32_e32 v39, v19
	v_pk_fma_f32 v[18:19], v[34:35], v[112:113], v[14:15] op_sel:[0,0,1] op_sel_hi:[1,1,0] neg_lo:[1,0,0] neg_hi:[1,0,0]
	v_pk_fma_f32 v[14:15], v[34:35], v[112:113], v[14:15] op_sel:[0,0,1] op_sel_hi:[1,1,0]
	v_pk_add_f32 v[10:11], v[10:11], v[38:39] neg_lo:[0,1] neg_hi:[0,1]
	v_mov_b32_e32 v19, v15
	ds_read_b64 v[14:15], v100 offset:2968
	v_pk_add_f32 v[10:11], v[10:11], v[18:19] neg_lo:[0,1] neg_hi:[0,1]
	v_mov_b32_e32 v19, 0xb88
	ds_read2_b64 v[78:81], v19 offset1:1
	v_mul_f32_e32 v22, v51, v114
	s_waitcnt vmcnt(4) lgkmcnt(1)
	v_mul_f32_e32 v18, v15, v63
	v_fmac_f32_e32 v22, v50, v115
	v_fma_f32 v18, v14, v62, -v18
	v_mul_f32_e32 v14, v14, v63
	v_sub_f32_e32 v11, v11, v22
	v_fmac_f32_e32 v14, v15, v62
	s_waitcnt lgkmcnt(0)
	v_mul_f32_e32 v15, v80, v65
	v_sub_f32_e32 v11, v11, v14
	v_fmac_f32_e32 v15, v81, v64
	scratch_load_dwordx4 v[104:107], off, off offset:16
	v_mul_f32_e32 v14, v81, v65
	v_sub_f32_e32 v11, v11, v15
	v_mov_b32_e32 v15, 0xb78
	v_fma_f32 v14, v80, v64, -v14
	ds_read2_b64 v[62:65], v15 offset1:1
	s_waitcnt vmcnt(4)
	v_mul_f32_e32 v15, v78, v67
	v_sub_f32_e32 v10, v10, v18
	v_fmac_f32_e32 v15, v79, v66
	v_sub_f32_e32 v10, v10, v14
	v_mul_f32_e32 v14, v79, v67
	v_sub_f32_e32 v11, v11, v15
	s_waitcnt lgkmcnt(0)
	v_mul_f32_e32 v15, v64, v69
	v_fma_f32 v14, v78, v66, -v14
	v_fmac_f32_e32 v15, v65, v68
	v_sub_f32_e32 v10, v10, v14
	v_mul_f32_e32 v14, v65, v69
	v_sub_f32_e32 v11, v11, v15
	v_mov_b32_e32 v15, 0xb68
	scratch_load_dwordx4 v[80:83], off, off offset:32
	scratch_load_dwordx4 v[50:53], off, off offset:48
	v_fma_f32 v14, v64, v68, -v14
	ds_read2_b64 v[64:67], v15 offset1:1
	s_waitcnt vmcnt(5)
	v_mul_f32_e32 v15, v62, v75
	v_fmac_f32_e32 v15, v63, v74
	v_sub_f32_e32 v10, v10, v14
	v_mul_f32_e32 v14, v63, v75
	v_sub_f32_e32 v11, v11, v15
	s_waitcnt lgkmcnt(0)
	v_mul_f32_e32 v15, v66, v77
	v_fma_f32 v14, v62, v74, -v14
	v_fmac_f32_e32 v15, v67, v76
	v_sub_f32_e32 v10, v10, v14
	v_mul_f32_e32 v14, v67, v77
	v_sub_f32_e32 v11, v11, v15
	v_mov_b32_e32 v15, 0xb58
	v_fma_f32 v14, v66, v76, -v14
	ds_read2_b64 v[66:69], v15 offset1:1
	v_mul_f32_e32 v15, v64, v59
	v_sub_f32_e32 v10, v10, v14
	v_mul_f32_e32 v14, v65, v59
	v_fmac_f32_e32 v15, v65, v58
	v_fma_f32 v14, v64, v58, -v14
	v_sub_f32_e32 v11, v11, v15
	s_waitcnt vmcnt(4) lgkmcnt(0)
	v_mul_f32_e32 v15, v68, v31
	v_sub_f32_e32 v10, v10, v14
	v_mul_f32_e32 v14, v69, v31
	v_fmac_f32_e32 v15, v69, v30
	v_fma_f32 v14, v68, v30, -v14
	v_sub_f32_e32 v11, v11, v15
	v_sub_f32_e32 v10, v10, v14
	v_mul_f32_e32 v14, v67, v11
	v_mul_f32_e32 v15, v66, v11
	v_mov_b32_e32 v18, 0xaf4
	v_fma_f32 v14, v66, v10, -v14
	v_fmac_f32_e32 v15, v67, v10
	ds_read2st64_b32 v[10:11], v101 offset0:9 offset1:10
	ds_read2_b32 v[18:19], v18 offset1:1
	scratch_store_dwordx2 off, v[14:15], off offset:160
	scratch_load_dwordx4 v[56:59], off, off offset:56
	scratch_load_dwordx4 v[64:67], off, off offset:152
	;; [unrolled: 1-line block ×3, first 2 shown]
	s_waitcnt vmcnt(7) lgkmcnt(1)
	v_mul_f32_e32 v14, v11, v71
	s_waitcnt lgkmcnt(0)
	v_fma_f32 v22, v19, v70, -v14
	v_mul_f32_e32 v19, v19, v71
	v_fmac_f32_e32 v19, v11, v70
	scratch_load_dwordx4 v[68:71], off, off offset:64
	v_mov_b32_e32 v14, 0xaec
	ds_read2_b32 v[14:15], v14 offset1:1
	v_sub_f32_e32 v11, v28, v22
	v_mul_f32_e32 v22, v18, v73
	v_sub_f32_e32 v19, v29, v19
	s_waitcnt lgkmcnt(0)
	v_fma_f32 v26, v15, v72, -v22
	v_mov_b32_e32 v22, 0xae4
	ds_read2_b32 v[22:23], v22 offset1:1
	v_mul_f32_e32 v31, v15, v73
	v_fmac_f32_e32 v31, v18, v72
	v_sub_f32_e32 v18, v11, v26
	scratch_load_dwordx4 v[72:75], off, off offset:72
	s_waitcnt lgkmcnt(0)
	v_mov_b32_e32 v43, v22
	ds_read_b96 v[26:28], v100 offset:2704
	s_waitcnt vmcnt(8)
	v_mul_f32_e32 v11, v14, v105
	v_fma_f32 v30, v23, v104, -v11
	v_mov_b32_e32 v11, 0xadc
	ds_read2_b32 v[34:35], v11 offset1:1
	v_mul_f32_e32 v15, v23, v105
	v_mul_f32_e32 v11, v22, v107
	v_fmac_f32_e32 v15, v14, v104
	v_pk_add_f32 v[18:19], v[18:19], v[30:31] neg_lo:[0,1] neg_hi:[0,1]
	s_waitcnt lgkmcnt(0)
	v_fma_f32 v14, v35, v106, -v11
	v_mov_b32_e32 v11, 0xad4
	v_pk_add_f32 v[14:15], v[18:19], v[14:15] neg_lo:[0,1] neg_hi:[0,1]
	ds_read2_b32 v[18:19], v11 offset1:1
	v_mov_b32_e32 v23, v106
	v_mov_b32_e32 v11, 0xacc
	ds_read2_b32 v[108:109], v11 offset1:1
	v_mov_b32_e32 v11, 0xac4
	s_waitcnt lgkmcnt(1)
	v_mov_b32_e32 v42, v19
	s_waitcnt vmcnt(7)
	v_mov_b32_e32 v106, v81
	v_mov_b32_e32 v22, v80
	v_mul_f32_e32 v46, v19, v80
	v_pk_mul_f32 v[62:63], v[34:35], v[106:107]
	v_pk_fma_f32 v[46:47], v[34:35], v[106:107], v[46:47] op_sel_hi:[1,1,0] neg_lo:[1,0,0] neg_hi:[1,0,0]
	scratch_load_dwordx4 v[104:107], off, off offset:88
	v_pk_fma_f32 v[22:23], v[42:43], v[22:23], v[62:63]
	v_mov_b32_e32 v39, v80
	v_mov_b32_e32 v47, v23
	v_pk_add_f32 v[14:15], v[14:15], v[46:47] neg_lo:[0,1] neg_hi:[0,1]
	ds_read2_b32 v[46:47], v11 offset1:1
	v_mov_b32_e32 v80, v83
	v_mov_b32_e32 v30, v82
	s_waitcnt vmcnt(7)
	v_mov_b32_e32 v31, v50
	v_mov_b32_e32 v38, v82
	s_waitcnt lgkmcnt(1)
	v_mov_b32_e32 v22, v109
	v_mov_b32_e32 v23, v34
	;; [unrolled: 1-line block ×3, first 2 shown]
	v_pk_mul_f32 v[42:43], v[18:19], v[80:81]
	v_mov_b32_e32 v19, v82
	scratch_load_dwordx4 v[80:83], off, off offset:104
	v_mov_b32_e32 v11, 0xabc
	v_mov_b32_e32 v34, v51
	v_pk_fma_f32 v[30:31], v[22:23], v[30:31], v[42:43] neg_lo:[0,0,1] neg_hi:[0,0,1]
	v_pk_fma_f32 v[22:23], v[22:23], v[38:39], v[42:43]
	ds_read2_b32 v[38:39], v11 offset1:1
	v_mov_b32_e32 v31, v23
	s_waitcnt lgkmcnt(1)
	v_mov_b32_e32 v22, v47
	v_mov_b32_e32 v23, v18
	;; [unrolled: 1-line block ×3, first 2 shown]
	v_pk_mul_f32 v[34:35], v[108:109], v[34:35]
	v_pk_add_f32 v[14:15], v[14:15], v[30:31] neg_lo:[0,1] neg_hi:[0,1]
	v_pk_fma_f32 v[42:43], v[22:23], v[18:19], v[34:35] neg_lo:[0,0,1] neg_hi:[0,0,1]
	v_pk_fma_f32 v[18:19], v[22:23], v[18:19], v[34:35]
	v_mov_b32_e32 v30, v53
	v_mov_b32_e32 v43, v19
	;; [unrolled: 1-line block ×3, first 2 shown]
	scratch_load_dwordx4 v[108:111], off, off offset:120
	v_mov_b32_e32 v31, v51
	s_waitcnt lgkmcnt(0)
	v_mov_b32_e32 v18, v39
	v_mov_b32_e32 v53, v50
	v_pk_mul_f32 v[30:31], v[46:47], v[30:31]
	v_mov_b32_e32 v11, 0xab4
	v_pk_add_f32 v[14:15], v[14:15], v[42:43] neg_lo:[0,1] neg_hi:[0,1]
	ds_read2_b32 v[34:35], v11 offset1:1
	v_pk_fma_f32 v[42:43], v[18:19], v[52:53], v[30:31] neg_lo:[0,0,1] neg_hi:[0,0,1]
	v_pk_fma_f32 v[18:19], v[18:19], v[52:53], v[30:31]
	scratch_load_dwordx4 v[50:53], off, off offset:136
	v_mov_b32_e32 v43, v19
	v_mov_b32_e32 v11, 0xaac
	v_pk_add_f32 v[14:15], v[14:15], v[42:43] neg_lo:[0,1] neg_hi:[0,1]
	ds_read2_b32 v[42:43], v11 offset1:1
	s_waitcnt vmcnt(8)
	v_mov_b32_e32 v22, v59
	v_mov_b32_e32 v23, v57
	s_waitcnt lgkmcnt(1)
	v_mov_b32_e32 v18, v35
	v_mov_b32_e32 v19, v46
	;; [unrolled: 1-line block ×3, first 2 shown]
	v_pk_mul_f32 v[22:23], v[38:39], v[22:23]
	s_waitcnt vmcnt(5)
	v_mov_b32_e32 v30, v71
	v_mov_b32_e32 v31, v69
	v_pk_fma_f32 v[46:47], v[18:19], v[58:59], v[22:23] neg_lo:[0,0,1] neg_hi:[0,0,1]
	v_pk_fma_f32 v[18:19], v[18:19], v[58:59], v[22:23]
	v_mov_b32_e32 v71, v68
	v_mov_b32_e32 v47, v19
	s_waitcnt lgkmcnt(0)
	v_mov_b32_e32 v18, v43
	v_mov_b32_e32 v19, v38
	v_pk_mul_f32 v[30:31], v[34:35], v[30:31]
	v_mov_b32_e32 v11, 0xaa4
	v_pk_fma_f32 v[38:39], v[18:19], v[70:71], v[30:31] neg_lo:[0,0,1] neg_hi:[0,0,1]
	v_pk_fma_f32 v[18:19], v[18:19], v[70:71], v[30:31]
	v_pk_add_f32 v[14:15], v[14:15], v[46:47] neg_lo:[0,1] neg_hi:[0,1]
	v_mov_b32_e32 v39, v19
	scratch_load_dwordx2 v[18:19], off, off offset:160
	ds_read2_b32 v[46:47], v11 offset1:1
	s_waitcnt vmcnt(5)
	v_mov_b32_e32 v22, v75
	v_mov_b32_e32 v23, v73
	;; [unrolled: 1-line block ×4, first 2 shown]
	s_waitcnt lgkmcnt(0)
	v_mov_b32_e32 v30, v47
	v_pk_mul_f32 v[22:23], v[42:43], v[22:23]
	v_mov_b32_e32 v11, 0xa9c
	v_pk_add_f32 v[14:15], v[14:15], v[38:39] neg_lo:[0,1] neg_hi:[0,1]
	v_pk_fma_f32 v[38:39], v[30:31], v[74:75], v[22:23] neg_lo:[0,0,1] neg_hi:[0,0,1]
	v_pk_fma_f32 v[22:23], v[30:31], v[74:75], v[22:23]
	ds_read2_b32 v[30:31], v11 offset1:1
	v_mov_b32_e32 v34, v79
	v_mov_b32_e32 v35, v77
	;; [unrolled: 1-line block ×3, first 2 shown]
	v_pk_add_f32 v[14:15], v[14:15], v[38:39] neg_lo:[0,1] neg_hi:[0,1]
	s_waitcnt vmcnt(4)
	v_mov_b32_e32 v22, v104
	v_mov_b32_e32 v23, v106
	s_waitcnt lgkmcnt(0)
	v_mov_b32_e32 v38, v31
	v_mov_b32_e32 v39, v42
	v_mov_b32_e32 v79, v76
	v_pk_mul_f32 v[34:35], v[46:47], v[34:35]
	v_mov_b32_e32 v47, v28
	v_mov_b32_e32 v104, v107
	v_pk_fma_f32 v[42:43], v[38:39], v[78:79], v[34:35] neg_lo:[0,0,1] neg_hi:[0,0,1]
	v_pk_fma_f32 v[34:35], v[38:39], v[78:79], v[34:35]
	v_pk_mul_f32 v[22:23], v[46:47], v[22:23]
	v_mul_f32_e32 v11, v30, v106
	v_mov_b32_e32 v43, v35
	v_pk_fma_f32 v[34:35], v[30:31], v[104:105], v[22:23] op_sel:[0,0,1] op_sel_hi:[1,1,0] neg_lo:[1,0,0] neg_hi:[1,0,0]
	v_pk_fma_f32 v[22:23], v[30:31], v[104:105], v[22:23] op_sel:[0,0,1] op_sel_hi:[1,1,0]
	v_fmac_f32_e32 v11, v28, v107
	ds_read_b128 v[28:31], v100 offset:2688
	v_pk_add_f32 v[14:15], v[14:15], v[42:43] neg_lo:[0,1] neg_hi:[0,1]
	v_mov_b32_e32 v35, v23
	v_pk_add_f32 v[14:15], v[14:15], v[34:35] neg_lo:[0,1] neg_hi:[0,1]
	s_waitcnt vmcnt(3)
	v_mul_f32_e32 v22, v26, v81
	v_sub_f32_e32 v11, v15, v11
	v_mul_f32_e32 v15, v27, v81
	v_fma_f32 v15, v26, v80, -v15
	v_fmac_f32_e32 v22, v27, v80
	ds_read_b128 v[56:59], v100 offset:2672
	v_sub_f32_e32 v14, v14, v15
	v_sub_f32_e32 v11, v11, v22
	s_waitcnt lgkmcnt(1)
	v_mul_f32_e32 v15, v31, v83
	v_mul_f32_e32 v22, v30, v83
	v_fma_f32 v15, v30, v82, -v15
	v_fmac_f32_e32 v22, v31, v82
	v_sub_f32_e32 v14, v14, v15
	v_sub_f32_e32 v11, v11, v22
	s_waitcnt vmcnt(2)
	v_mul_f32_e32 v15, v29, v109
	v_mul_f32_e32 v22, v28, v109
	v_fma_f32 v15, v28, v108, -v15
	v_fmac_f32_e32 v22, v29, v108
	ds_read_b128 v[26:29], v100 offset:2656
	v_sub_f32_e32 v14, v14, v15
	v_sub_f32_e32 v11, v11, v22
	s_waitcnt lgkmcnt(1)
	v_mul_f32_e32 v15, v59, v111
	v_mul_f32_e32 v22, v58, v111
	v_fma_f32 v15, v58, v110, -v15
	v_fmac_f32_e32 v22, v59, v110
	v_sub_f32_e32 v14, v14, v15
	v_sub_f32_e32 v11, v11, v22
	s_waitcnt vmcnt(1)
	v_mul_f32_e32 v15, v57, v51
	v_mul_f32_e32 v22, v56, v51
	v_fma_f32 v15, v56, v50, -v15
	v_fmac_f32_e32 v22, v57, v50
	v_sub_f32_e32 v14, v14, v15
	v_sub_f32_e32 v11, v11, v22
	s_waitcnt lgkmcnt(0)
	v_mul_f32_e32 v15, v29, v53
	v_mul_f32_e32 v22, v28, v53
	v_fma_f32 v15, v28, v52, -v15
	v_fmac_f32_e32 v22, v29, v52
	ds_read_b128 v[28:31], v100 offset:2640
	v_sub_f32_e32 v14, v14, v15
	v_mul_f32_e32 v15, v27, v65
	v_sub_f32_e32 v11, v11, v22
	v_fma_f32 v15, v26, v64, -v15
	v_mul_f32_e32 v22, v26, v65
	v_fmac_f32_e32 v22, v27, v64
	v_sub_f32_e32 v14, v14, v15
	s_waitcnt vmcnt(0) lgkmcnt(0)
	v_mul_f32_e32 v15, v31, v19
	v_mul_f32_e32 v19, v30, v19
	v_sub_f32_e32 v11, v11, v22
	v_fmac_f32_e32 v19, v31, v18
	v_fma_f32 v15, v30, v18, -v15
	v_sub_f32_e32 v11, v11, v19
	v_sub_f32_e32 v18, v14, v15
	v_mul_f32_e32 v14, v29, v11
	v_mul_f32_e32 v15, v28, v11
	v_fma_f32 v14, v28, v18, -v14
	v_fmac_f32_e32 v15, v29, v18
	scratch_store_dwordx2 off, v[14:15], off offset:168
	scratch_load_dwordx4 v[62:65], off, off offset:160
	scratch_load_dwordx4 v[68:71], off, off
	s_nop 0
	scratch_store_dwordx2 off, v[8:9], off offset:176
	scratch_load_dwordx2 v[8:9], off, off offset:176
	s_nop 0
	scratch_load_dwordx4 v[72:75], off, off offset:16
	scratch_load_dwordx4 v[80:83], off, off offset:32
	;; [unrolled: 1-line block ×3, first 2 shown]
	ds_read2_b64 v[76:79], v1 offset0:192 offset1:224
	scratch_load_dwordx4 v[108:111], off, off offset:56
	scratch_load_dword v34, off, off offset:52
	ds_read2_b64 v[50:53], v1 offset0:128 offset1:160
	ds_read2_b64 v[56:59], v1 offset0:64 offset1:96
	ds_read2_b64 v[28:31], v1 offset1:32
	ds_write2_b64 v85, v[88:89], v[86:87] offset0:192 offset1:224
	ds_write2_b64 v85, v[92:93], v[90:91] offset0:128 offset1:160
	;; [unrolled: 1-line block ×3, first 2 shown]
	ds_write2_b64 v85, v[4:5], v[98:99] offset1:32
	ds_write2_b64 v102, v[12:13], v[2:3] offset0:192 offset1:224
	ds_write2_b64 v102, v[20:21], v[16:17] offset0:128 offset1:160
	;; [unrolled: 1-line block ×3, first 2 shown]
	ds_write2_b64 v102, v[40:41], v[36:37] offset1:32
	v_mov_b32_e32 v2, 0x9f4
	ds_read2_b32 v[2:3], v2 offset1:1
	ds_write2_b64 v103, v[48:49], v[44:45] offset0:192 offset1:224
	ds_write2_b64 v103, v[60:61], v[54:55] offset0:128 offset1:160
	s_waitcnt vmcnt(8)
	ds_write2_b64 v103, v[64:65], v[66:67] offset0:64 offset1:96
	s_waitcnt vmcnt(7)
	v_mul_f32_e32 v4, v10, v69
	s_waitcnt lgkmcnt(3)
	v_fma_f32 v11, v3, v68, -v4
	v_mov_b32_e32 v4, 0x9ec
	ds_read2_b32 v[4:5], v4 offset1:1
	v_mul_f32_e32 v3, v3, v69
	v_fmac_f32_e32 v3, v10, v68
	s_waitcnt vmcnt(5)
	v_sub_f32_e32 v10, v8, v11
	v_mul_f32_e32 v8, v2, v71
	s_waitcnt lgkmcnt(0)
	v_fma_f32 v11, v5, v70, -v8
	v_mov_b32_e32 v8, 0x9e4
	v_sub_f32_e32 v3, v9, v3
	ds_read2_b32 v[8:9], v8 offset1:1
	v_mul_f32_e32 v5, v5, v71
	v_fmac_f32_e32 v5, v2, v70
	v_sub_f32_e32 v3, v3, v5
	s_waitcnt vmcnt(4)
	v_mul_f32_e32 v5, v4, v73
	v_sub_f32_e32 v2, v10, v11
	s_waitcnt lgkmcnt(0)
	v_fma_f32 v10, v9, v72, -v5
	v_mov_b32_e32 v5, 0x9dc
	ds_read2_b32 v[32:33], v5 offset1:1
	v_mov_b32_e32 v20, 0x9d4
	ds_read2_b32 v[40:41], v20 offset1:1
	v_sub_f32_e32 v2, v2, v10
	scratch_load_dwordx4 v[12:15], off, off offset:64
	scratch_load_dwordx4 v[16:19], off, off offset:72
	s_waitcnt vmcnt(5) lgkmcnt(1)
	v_mul_f32_e32 v11, v32, v81
	s_waitcnt lgkmcnt(0)
	v_fma_f32 v24, v41, v80, -v11
	v_mov_b32_e32 v11, 0x9c4
	ds_read2_b32 v[60:61], v11 offset1:1
	v_mul_f32_e32 v5, v9, v73
	v_fmac_f32_e32 v5, v4, v72
	v_mul_f32_e32 v4, v8, v75
	v_fma_f32 v4, v33, v74, -v4
	v_pk_add_f32 v[2:3], v[2:3], v[4:5] neg_lo:[0,1] neg_hi:[0,1]
	v_mov_b32_e32 v4, 0x9cc
	ds_read2_b32 v[4:5], v4 offset1:1
	v_mul_f32_e32 v25, v33, v75
	v_mov_b32_e32 v33, v80
	v_mov_b32_e32 v80, v83
	;; [unrolled: 1-line block ×3, first 2 shown]
	s_waitcnt lgkmcnt(0)
	v_mov_b32_e32 v46, v5
	v_mov_b32_e32 v32, v82
	v_mul_f32_e32 v48, v5, v82
	v_pk_mul_f32 v[54:55], v[40:41], v[80:81]
	v_fmac_f32_e32 v25, v8, v74
	v_mov_b32_e32 v35, v83
	v_pk_fma_f32 v[48:49], v[40:41], v[80:81], v[48:49] op_sel_hi:[1,1,0] neg_lo:[1,0,0] neg_hi:[1,0,0]
	v_pk_fma_f32 v[32:33], v[46:47], v[32:33], v[54:55]
	v_pk_add_f32 v[2:3], v[2:3], v[24:25] neg_lo:[0,1] neg_hi:[0,1]
	s_waitcnt vmcnt(4)
	v_mov_b32_e32 v105, v106
	v_mov_b32_e32 v44, v104
	;; [unrolled: 1-line block ×6, first 2 shown]
	s_waitcnt vmcnt(2)
	v_mov_b32_e32 v41, v34
	v_pk_mul_f32 v[34:35], v[4:5], v[34:35]
	v_pk_add_f32 v[2:3], v[2:3], v[48:49] neg_lo:[0,1] neg_hi:[0,1]
	v_pk_fma_f32 v[48:49], v[32:33], v[104:105], v[34:35] neg_lo:[0,0,1] neg_hi:[0,0,1]
	v_pk_fma_f32 v[32:33], v[32:33], v[44:45], v[34:35]
	v_mov_b32_e32 v11, 0x9b4
	v_mov_b32_e32 v49, v33
	v_pk_add_f32 v[32:33], v[2:3], v[48:49] neg_lo:[0,1] neg_hi:[0,1]
	ds_read2_b32 v[48:49], v11 offset1:1
	v_mov_b32_e32 v11, 0x9ac
	ds_read2_b32 v[64:65], v11 offset1:1
	scratch_load_dwordx4 v[20:23], off, off offset:80
	scratch_load_dwordx4 v[24:27], off, off offset:88
	;; [unrolled: 1-line block ×3, first 2 shown]
	v_mov_b32_e32 v5, 0x9bc
	ds_read2_b32 v[46:47], v5 offset1:1
	v_mov_b32_e32 v35, v4
	scratch_load_dwordx4 v[2:5], off, off offset:112
	v_mov_b32_e32 v40, v109
	v_mov_b32_e32 v107, v104
	s_waitcnt lgkmcnt(0)
	v_mov_b32_e32 v34, v47
	v_pk_mul_f32 v[40:41], v[60:61], v[40:41]
	scratch_load_dwordx4 v[72:75], off, off offset:144
	v_pk_fma_f32 v[54:55], v[34:35], v[106:107], v[40:41] neg_lo:[0,0,1] neg_hi:[0,0,1]
	v_pk_fma_f32 v[34:35], v[34:35], v[106:107], v[40:41]
	v_mov_b32_e32 v44, v111
	v_mov_b32_e32 v55, v35
	v_pk_add_f32 v[40:41], v[32:33], v[54:55] neg_lo:[0,1] neg_hi:[0,1]
	scratch_load_dwordx4 v[32:35], off, off offset:128
	v_mov_b32_e32 v45, v109
	v_mov_b32_e32 v54, v49
	;; [unrolled: 1-line block ×4, first 2 shown]
	v_pk_mul_f32 v[44:45], v[46:47], v[44:45]
	v_mov_b32_e32 v11, 0x9a4
	v_pk_fma_f32 v[66:67], v[54:55], v[110:111], v[44:45] neg_lo:[0,0,1] neg_hi:[0,0,1]
	v_pk_fma_f32 v[44:45], v[54:55], v[110:111], v[44:45]
	ds_read_b96 v[8:10], v100 offset:2448
	v_mov_b32_e32 v67, v45
	v_mov_b32_e32 v44, v65
	;; [unrolled: 1-line block ×3, first 2 shown]
	v_pk_add_f32 v[40:41], v[40:41], v[66:67] neg_lo:[0,1] neg_hi:[0,1]
	s_waitcnt lgkmcnt(0)
	v_mov_b32_e32 v43, v10
	v_mov_b32_e32 v42, v9
	s_waitcnt vmcnt(7)
	v_mov_b32_e32 v60, v15
	v_mov_b32_e32 v61, v13
	v_mov_b32_e32 v15, v12
	v_pk_mul_f32 v[46:47], v[48:49], v[60:61]
	ds_read2_b32 v[60:61], v11 offset1:1
	v_pk_fma_f32 v[54:55], v[44:45], v[14:15], v[46:47] neg_lo:[0,0,1] neg_hi:[0,0,1]
	v_pk_fma_f32 v[14:15], v[44:45], v[14:15], v[46:47]
	v_mov_b32_e32 v11, 0x99c
	v_mov_b32_e32 v55, v15
	v_pk_add_f32 v[14:15], v[40:41], v[54:55] neg_lo:[0,1] neg_hi:[0,1]
	v_mov_b32_e32 v41, v48
	scratch_load_dwordx2 v[48:49], off, off offset:168
	ds_read2_b32 v[44:45], v11 offset1:1
	s_waitcnt vmcnt(7)
	v_mov_b32_e32 v12, v19
	v_mov_b32_e32 v13, v17
	s_waitcnt lgkmcnt(1)
	v_mov_b32_e32 v40, v61
	v_mov_b32_e32 v19, v16
	v_pk_mul_f32 v[12:13], v[64:65], v[12:13]
	v_mov_b32_e32 v11, v60
	v_pk_fma_f32 v[46:47], v[40:41], v[18:19], v[12:13] neg_lo:[0,0,1] neg_hi:[0,0,1]
	v_pk_fma_f32 v[12:13], v[40:41], v[18:19], v[12:13]
	s_waitcnt vmcnt(6)
	v_mov_b32_e32 v16, v23
	v_mov_b32_e32 v17, v21
	;; [unrolled: 1-line block ×3, first 2 shown]
	v_pk_add_f32 v[12:13], v[14:15], v[46:47] neg_lo:[0,1] neg_hi:[0,1]
	s_waitcnt lgkmcnt(0)
	v_mov_b32_e32 v14, v45
	v_mov_b32_e32 v15, v64
	;; [unrolled: 1-line block ×3, first 2 shown]
	s_waitcnt vmcnt(5)
	v_mov_b32_e32 v18, v27
	v_mov_b32_e32 v19, v25
	v_pk_mul_f32 v[16:17], v[60:61], v[16:17]
	v_mov_b32_e32 v27, v24
	v_pk_fma_f32 v[20:21], v[14:15], v[22:23], v[16:17] neg_lo:[0,0,1] neg_hi:[0,0,1]
	v_pk_fma_f32 v[14:15], v[14:15], v[22:23], v[16:17]
	v_pk_mul_f32 v[16:17], v[44:45], v[18:19]
	v_mov_b32_e32 v21, v15
	v_pk_fma_f32 v[18:19], v[10:11], v[26:27], v[16:17] neg_lo:[0,0,1] neg_hi:[0,0,1]
	v_pk_fma_f32 v[10:11], v[10:11], v[26:27], v[16:17]
	scratch_load_dwordx2 v[26:27], off, off
	v_pk_add_f32 v[12:13], v[12:13], v[20:21] neg_lo:[0,1] neg_hi:[0,1]
	s_waitcnt vmcnt(5)
	v_mov_b32_e32 v14, v36
	v_mov_b32_e32 v15, v38
	;; [unrolled: 1-line block ×5, first 2 shown]
	v_pk_add_f32 v[10:11], v[12:13], v[18:19] neg_lo:[0,1] neg_hi:[0,1]
	v_pk_mul_f32 v[12:13], v[44:45], v[14:15]
	v_mul_f32_e32 v9, v9, v38
	v_pk_fma_f32 v[14:15], v[42:43], v[36:37], v[12:13] op_sel:[0,0,1] op_sel_hi:[1,1,0] neg_lo:[1,0,0] neg_hi:[1,0,0]
	v_pk_fma_f32 v[12:13], v[42:43], v[36:37], v[12:13] op_sel:[0,0,1] op_sel_hi:[1,1,0]
	v_fmac_f32_e32 v9, v8, v39
	v_mov_b32_e32 v15, v13
	ds_read_b64 v[12:13], v100 offset:2440
	scratch_load_dwordx4 v[36:39], off, off
	v_pk_add_f32 v[14:15], v[10:11], v[14:15] neg_lo:[0,1] neg_hi:[0,1]
	scratch_load_dwordx4 v[40:43], off, off offset:8
	v_sub_f32_e32 v15, v15, v9
	s_waitcnt vmcnt(6) lgkmcnt(0)
	v_mul_f32_e32 v8, v13, v3
	v_fma_f32 v16, v12, v2, -v8
	v_mov_b32_e32 v8, 0x978
	ds_read2_b64 v[8:11], v8 offset1:1
	v_mul_f32_e32 v12, v12, v3
	v_fmac_f32_e32 v12, v13, v2
	v_sub_f32_e32 v13, v14, v16
	scratch_load_dwordx4 v[44:47], off, off offset:16
	s_waitcnt lgkmcnt(0)
	v_mul_f32_e32 v14, v11, v5
	v_fma_f32 v14, v10, v4, -v14
	v_mul_f32_e32 v10, v10, v5
	v_sub_f32_e32 v12, v15, v12
	v_fmac_f32_e32 v10, v11, v4
	v_sub_f32_e32 v10, v12, v10
	s_waitcnt vmcnt(5)
	v_mul_f32_e32 v12, v9, v33
	v_fma_f32 v12, v8, v32, -v12
	v_mul_f32_e32 v8, v8, v33
	v_sub_f32_e32 v11, v13, v14
	v_mov_b32_e32 v13, 0x968
	v_fmac_f32_e32 v8, v9, v32
	ds_read2_b64 v[14:17], v13 offset1:1
	v_sub_f32_e32 v9, v11, v12
	v_sub_f32_e32 v8, v10, v8
	scratch_load_dwordx4 v[10:13], off, off offset:24
	s_waitcnt lgkmcnt(0)
	v_mul_f32_e32 v18, v17, v35
	v_fma_f32 v18, v16, v34, -v18
	v_sub_f32_e32 v9, v9, v18
	scratch_load_dwordx4 v[18:21], off, off offset:32
	v_mul_f32_e32 v16, v16, v35
	v_fmac_f32_e32 v16, v17, v34
	v_sub_f32_e32 v8, v8, v16
	v_mul_f32_e32 v16, v15, v73
	v_mul_f32_e32 v22, v14, v73
	v_fma_f32 v16, v14, v72, -v16
	v_fmac_f32_e32 v22, v15, v72
	v_mov_b32_e32 v14, 0x958
	v_sub_f32_e32 v9, v9, v16
	ds_read2_b64 v[64:67], v14 offset1:1
	scratch_load_dwordx4 v[14:17], off, off offset:48
	scratch_load_dwordx4 v[68:71], off, off offset:64
	v_sub_f32_e32 v8, v8, v22
	scratch_load_dwordx4 v[22:25], off, off offset:40
	s_waitcnt lgkmcnt(0)
	v_mul_f32_e32 v55, v66, v75
	v_fmac_f32_e32 v55, v67, v74
	v_sub_f32_e32 v8, v8, v55
	v_mov_b32_e32 v55, 0x948
	ds_read2_b64 v[80:83], v55 offset1:1
	v_mul_f32_e32 v54, v67, v75
	v_fma_f32 v54, v66, v74, -v54
	v_sub_f32_e32 v9, v9, v54
	v_mul_f32_e32 v54, v65, v63
	v_fma_f32 v54, v64, v62, -v54
	v_mul_f32_e32 v55, v64, v63
	v_fmac_f32_e32 v55, v65, v62
	v_sub_f32_e32 v9, v9, v54
	s_waitcnt vmcnt(9) lgkmcnt(0)
	v_mul_f32_e32 v54, v83, v49
	v_mul_f32_e32 v49, v82, v49
	v_sub_f32_e32 v8, v8, v55
	v_fmac_f32_e32 v49, v83, v48
	v_fma_f32 v54, v82, v48, -v54
	v_sub_f32_e32 v8, v8, v49
	v_sub_f32_e32 v48, v9, v54
	v_mul_f32_e32 v9, v81, v8
	v_mul_f32_e32 v85, v80, v8
	v_mov_b32_e32 v8, 0x8f4
	v_fma_f32 v84, v80, v48, -v9
	ds_read2st64_b32 v[54:55], v101 offset0:7 offset1:8
	ds_read2_b32 v[8:9], v8 offset1:1
	v_fmac_f32_e32 v85, v81, v48
	scratch_load_dwordx4 v[86:89], off, off offset:80
	scratch_load_dwordx4 v[90:93], off, off offset:88
	s_waitcnt vmcnt(10) lgkmcnt(1)
	v_mul_f32_e32 v48, v55, v27
	s_waitcnt lgkmcnt(0)
	v_fma_f32 v64, v9, v26, -v48
	v_mul_f32_e32 v9, v9, v27
	v_mov_b32_e32 v27, 0x8ec
	ds_read2_b32 v[48:49], v27 offset1:1
	v_fmac_f32_e32 v9, v55, v26
	v_sub_f32_e32 v26, v6, v64
	s_waitcnt vmcnt(9)
	v_mul_f32_e32 v6, v8, v39
	scratch_load_dwordx4 v[64:67], off, off offset:72
	s_waitcnt lgkmcnt(0)
	v_fma_f32 v27, v49, v38, -v6
	v_mov_b32_e32 v6, 0x8e4
	v_sub_f32_e32 v9, v7, v9
	ds_read2_b32 v[6:7], v6 offset1:1
	v_mul_f32_e32 v39, v49, v39
	v_fmac_f32_e32 v39, v8, v38
	s_waitcnt vmcnt(9)
	v_mul_f32_e32 v8, v48, v43
	v_sub_f32_e32 v26, v26, v27
	s_waitcnt lgkmcnt(0)
	v_fma_f32 v38, v7, v42, -v8
	v_mov_b32_e32 v8, 0x8dc
	v_sub_f32_e32 v27, v9, v39
	ds_read2_b32 v[8:9], v8 offset1:1
	v_mul_f32_e32 v7, v7, v43
	v_sub_f32_e32 v38, v26, v38
	s_waitcnt vmcnt(8)
	v_mul_f32_e32 v26, v6, v47
	v_fmac_f32_e32 v7, v48, v42
	s_waitcnt lgkmcnt(0)
	v_fma_f32 v42, v9, v46, -v26
	v_mov_b32_e32 v26, 0x8d4
	v_sub_f32_e32 v7, v27, v7
	ds_read2_b32 v[26:27], v26 offset1:1
	v_mul_f32_e32 v39, v9, v47
	v_fmac_f32_e32 v39, v6, v46
	v_sub_f32_e32 v6, v38, v42
	s_waitcnt vmcnt(7)
	v_mul_f32_e32 v9, v8, v13
	s_waitcnt lgkmcnt(0)
	v_fma_f32 v38, v27, v12, -v9
	v_mul_f32_e32 v9, v27, v13
	v_fmac_f32_e32 v9, v8, v12
	v_mov_b32_e32 v8, 0x8cc
	ds_read2_b32 v[12:13], v8 offset1:1
	scratch_load_dwordx4 v[94:97], off, off offset:96
	scratch_load_dwordx4 v[104:107], off, off offset:104
	s_waitcnt vmcnt(8)
	v_mul_f32_e32 v8, v26, v21
	v_pk_add_f32 v[6:7], v[6:7], v[38:39] neg_lo:[0,1] neg_hi:[0,1]
	s_waitcnt lgkmcnt(0)
	v_fma_f32 v8, v13, v20, -v8
	v_pk_add_f32 v[6:7], v[6:7], v[8:9] neg_lo:[0,1] neg_hi:[0,1]
	v_mov_b32_e32 v8, 0x8c4
	ds_read2_b32 v[8:9], v8 offset1:1
	v_mov_b32_e32 v27, v20
	v_mov_b32_e32 v47, v26
	s_waitcnt vmcnt(7)
	v_mov_b32_e32 v38, v16
	s_waitcnt vmcnt(6)
	v_mov_b32_e32 v39, v68
	s_waitcnt vmcnt(5) lgkmcnt(0)
	v_mul_f32_e32 v48, v9, v24
	v_mov_b32_e32 v20, v25
	v_pk_mul_f32 v[98:99], v[12:13], v[20:21]
	v_pk_fma_f32 v[20:21], v[12:13], v[20:21], v[48:49] op_sel_hi:[1,1,0] neg_lo:[1,0,0] neg_hi:[1,0,0]
	v_mov_b32_e32 v13, 0x8bc
	v_mov_b32_e32 v43, v24
	;; [unrolled: 1-line block ×5, first 2 shown]
	ds_read2_b32 v[48:49], v13 offset1:1
	v_pk_fma_f32 v[26:27], v[46:47], v[26:27], v[98:99]
	v_pk_mul_f32 v[24:25], v[8:9], v[24:25]
	v_mov_b32_e32 v9, 0x8b4
	v_mov_b32_e32 v21, v27
	ds_read2_b32 v[26:27], v9 offset1:1
	v_mov_b32_e32 v42, v16
	v_pk_add_f32 v[6:7], v[6:7], v[20:21] neg_lo:[0,1] neg_hi:[0,1]
	s_waitcnt lgkmcnt(1)
	v_mov_b32_e32 v20, v49
	v_mov_b32_e32 v21, v12
	;; [unrolled: 1-line block ×4, first 2 shown]
	v_pk_fma_f32 v[38:39], v[20:21], v[38:39], v[24:25] neg_lo:[0,0,1] neg_hi:[0,0,1]
	v_pk_fma_f32 v[20:21], v[20:21], v[42:43], v[24:25]
	v_mov_b32_e32 v9, v16
	v_mov_b32_e32 v39, v21
	s_waitcnt lgkmcnt(0)
	v_mov_b32_e32 v20, v27
	v_mov_b32_e32 v21, v8
	;; [unrolled: 1-line block ×3, first 2 shown]
	v_pk_mul_f32 v[12:13], v[48:49], v[12:13]
	v_pk_add_f32 v[6:7], v[6:7], v[38:39] neg_lo:[0,1] neg_hi:[0,1]
	v_pk_fma_f32 v[38:39], v[20:21], v[8:9], v[12:13] neg_lo:[0,0,1] neg_hi:[0,0,1]
	v_pk_fma_f32 v[8:9], v[20:21], v[8:9], v[12:13]
	v_mov_b32_e32 v24, 0x8ac
	v_mov_b32_e32 v39, v9
	v_pk_add_f32 v[12:13], v[6:7], v[38:39] neg_lo:[0,1] neg_hi:[0,1]
	scratch_load_dwordx4 v[6:9], off, off offset:120
	ds_read2_b32 v[24:25], v24 offset1:1
	v_mov_b32_e32 v16, v71
	v_mov_b32_e32 v17, v69
	;; [unrolled: 1-line block ×4, first 2 shown]
	s_waitcnt lgkmcnt(0)
	v_mov_b32_e32 v20, v25
	v_pk_mul_f32 v[16:17], v[26:27], v[16:17]
	v_mov_b32_e32 v27, 0x8a4
	v_pk_fma_f32 v[46:47], v[20:21], v[70:71], v[16:17] neg_lo:[0,0,1] neg_hi:[0,0,1]
	v_pk_fma_f32 v[16:17], v[20:21], v[70:71], v[16:17]
	scratch_load_dwordx4 v[68:71], off, off offset:152
	v_mov_b32_e32 v47, v17
	v_pk_add_f32 v[12:13], v[12:13], v[46:47] neg_lo:[0,1] neg_hi:[0,1]
	scratch_load_dwordx4 v[46:49], off, off offset:136
	s_waitcnt vmcnt(5)
	v_mov_b32_e32 v38, v67
	v_mov_b32_e32 v39, v65
	ds_read2_b32 v[42:43], v27 offset1:1
	v_mov_b32_e32 v17, v26
	v_pk_mul_f32 v[26:27], v[24:25], v[38:39]
	v_mov_b32_e32 v25, 0x89c
	ds_read2_b32 v[38:39], v25 offset1:1
	s_waitcnt lgkmcnt(1)
	v_mov_b32_e32 v16, v43
	v_mov_b32_e32 v67, v64
	;; [unrolled: 1-line block ×4, first 2 shown]
	v_pk_fma_f32 v[64:65], v[16:17], v[66:67], v[26:27] neg_lo:[0,0,1] neg_hi:[0,0,1]
	v_pk_fma_f32 v[16:17], v[16:17], v[66:67], v[26:27]
	v_mov_b32_e32 v89, v86
	v_mov_b32_e32 v65, v17
	s_waitcnt lgkmcnt(0)
	v_mov_b32_e32 v16, v39
	v_mov_b32_e32 v17, v24
	v_pk_mul_f32 v[20:21], v[42:43], v[20:21]
	v_pk_add_f32 v[12:13], v[12:13], v[64:65] neg_lo:[0,1] neg_hi:[0,1]
	v_pk_fma_f32 v[64:65], v[16:17], v[88:89], v[20:21] neg_lo:[0,0,1] neg_hi:[0,0,1]
	v_pk_fma_f32 v[16:17], v[16:17], v[88:89], v[20:21]
	v_mov_b32_e32 v26, 0x894
	v_mov_b32_e32 v65, v17
	v_pk_add_f32 v[12:13], v[12:13], v[64:65] neg_lo:[0,1] neg_hi:[0,1]
	scratch_load_dwordx4 v[64:67], off, off offset:160
	ds_read2_b32 v[26:27], v26 offset1:1
	v_mov_b32_e32 v24, v93
	v_mov_b32_e32 v25, v91
	;; [unrolled: 1-line block ×4, first 2 shown]
	s_waitcnt lgkmcnt(0)
	v_mov_b32_e32 v16, v27
	v_pk_mul_f32 v[24:25], v[38:39], v[24:25]
	ds_read_b96 v[80:82], v100 offset:2176
	v_pk_fma_f32 v[42:43], v[16:17], v[92:93], v[24:25] neg_lo:[0,0,1] neg_hi:[0,0,1]
	v_pk_fma_f32 v[16:17], v[16:17], v[92:93], v[24:25]
	scratch_store_dwordx2 off, v[84:85], off offset:176
	v_mov_b32_e32 v16, 0x88c
	ds_read2_b32 v[24:25], v16 offset1:1
	scratch_load_dwordx4 v[60:63], off, off offset:168
	s_waitcnt vmcnt(7)
	v_mov_b32_e32 v20, v97
	v_mov_b32_e32 v21, v95
	;; [unrolled: 1-line block ×3, first 2 shown]
	v_pk_add_f32 v[12:13], v[12:13], v[42:43] neg_lo:[0,1] neg_hi:[0,1]
	s_waitcnt vmcnt(6)
	v_mov_b32_e32 v16, v104
	v_mov_b32_e32 v17, v106
	s_waitcnt lgkmcnt(0)
	v_mov_b32_e32 v42, v25
	v_mov_b32_e32 v43, v38
	;; [unrolled: 1-line block ×3, first 2 shown]
	v_pk_mul_f32 v[20:21], v[26:27], v[20:21]
	v_mov_b32_e32 v27, v82
	v_mov_b32_e32 v104, v107
	v_pk_fma_f32 v[38:39], v[42:43], v[96:97], v[20:21] neg_lo:[0,0,1] neg_hi:[0,0,1]
	v_pk_fma_f32 v[20:21], v[42:43], v[96:97], v[20:21]
	v_pk_mul_f32 v[16:17], v[26:27], v[16:17]
	scratch_load_dwordx2 v[42:43], off, off
	v_mov_b32_e32 v39, v21
	v_pk_fma_f32 v[20:21], v[24:25], v[104:105], v[16:17] op_sel:[0,0,1] op_sel_hi:[1,1,0] neg_lo:[1,0,0] neg_hi:[1,0,0]
	v_pk_fma_f32 v[16:17], v[24:25], v[104:105], v[16:17] op_sel:[0,0,1] op_sel_hi:[1,1,0]
	v_pk_add_f32 v[12:13], v[12:13], v[38:39] neg_lo:[0,1] neg_hi:[0,1]
	v_mov_b32_e32 v21, v17
	scratch_load_dwordx2 v[16:17], off, off offset:8
	v_mul_f32_e32 v24, v24, v106
	v_fmac_f32_e32 v24, v82, v107
	v_pk_add_f32 v[12:13], v[12:13], v[20:21] neg_lo:[0,1] neg_hi:[0,1]
	v_mul_f32_e32 v20, v81, v5
	v_sub_f32_e32 v13, v13, v24
	v_fma_f32 v24, v80, v4, -v20
	scratch_load_dwordx2 v[20:21], off, off offset:16
	v_mul_f32_e32 v5, v80, v5
	v_fmac_f32_e32 v5, v81, v4
	v_sub_f32_e32 v4, v12, v24
	v_sub_f32_e32 v5, v13, v5
	ds_read_b128 v[24:27], v100 offset:2160
	ds_read_b128 v[86:89], v100 offset:2112
	;; [unrolled: 1-line block ×4, first 2 shown]
	scratch_load_dwordx2 v[12:13], off, off offset:24
	s_waitcnt vmcnt(9) lgkmcnt(3)
	v_mul_f32_e32 v38, v27, v9
	v_mul_f32_e32 v9, v26, v9
	v_fma_f32 v38, v26, v8, -v38
	v_fmac_f32_e32 v9, v27, v8
	v_mul_f32_e32 v8, v25, v35
	v_sub_f32_e32 v5, v5, v9
	v_fma_f32 v26, v24, v34, -v8
	scratch_load_dwordx2 v[8:9], off, off offset:32
	v_mul_f32_e32 v24, v24, v35
	v_fmac_f32_e32 v24, v25, v34
	scratch_load_dwordx2 v[34:35], off, off offset:40
	v_sub_f32_e32 v4, v4, v38
	scratch_load_dwordx2 v[38:39], off, off offset:48
	v_sub_f32_e32 v5, v5, v24
	s_waitcnt vmcnt(10) lgkmcnt(0)
	v_mul_f32_e32 v24, v83, v49
	v_mul_f32_e32 v25, v82, v49
	v_sub_f32_e32 v4, v4, v26
	v_fma_f32 v24, v82, v48, -v24
	v_fmac_f32_e32 v25, v83, v48
	v_sub_f32_e32 v4, v4, v24
	v_sub_f32_e32 v5, v5, v25
	v_mul_f32_e32 v24, v81, v75
	v_mul_f32_e32 v25, v80, v75
	v_fma_f32 v24, v80, v74, -v24
	v_fmac_f32_e32 v25, v81, v74
	v_sub_f32_e32 v4, v4, v24
	v_sub_f32_e32 v5, v5, v25
	v_mul_f32_e32 v24, v93, v71
	v_mul_f32_e32 v25, v92, v71
	v_fma_f32 v24, v92, v70, -v24
	v_fmac_f32_e32 v25, v93, v70
	v_sub_f32_e32 v4, v4, v24
	v_sub_f32_e32 v5, v5, v25
	scratch_load_dwordx4 v[24:27], off, off offset:56
	scratch_load_dwordx4 v[80:83], off, off offset:72
	scratch_load_dwordx2 v[48:49], off, off offset:56
	scratch_load_dwordx4 v[92:95], off, off offset:88
	s_waitcnt vmcnt(13)
	v_mul_f32_e32 v55, v91, v67
	v_fma_f32 v55, v90, v66, -v55
	v_mul_f32_e32 v67, v90, v67
	v_fmac_f32_e32 v67, v91, v66
	v_sub_f32_e32 v4, v4, v55
	v_mul_f32_e32 v55, v89, v85
	v_mul_f32_e32 v66, v88, v85
	v_fma_f32 v55, v88, v84, -v55
	v_fmac_f32_e32 v66, v89, v84
	scratch_load_dwordx4 v[88:91], off, off offset:80
	v_sub_f32_e32 v5, v5, v67
	v_sub_f32_e32 v5, v5, v66
	;; [unrolled: 1-line block ×3, first 2 shown]
	v_mul_f32_e32 v4, v87, v5
	v_mov_b32_e32 v66, 0x7f4
	v_mul_f32_e32 v5, v86, v5
	v_fma_f32 v4, v86, v55, -v4
	ds_read2_b32 v[66:67], v66 offset1:1
	v_fmac_f32_e32 v5, v87, v55
	s_waitcnt vmcnt(12)
	ds_write2_b64 v103, v[4:5], v[62:63] offset1:32
	v_mov_b32_e32 v62, 0x7ec
	ds_read2_b32 v[62:63], v62 offset1:1
	scratch_load_dwordx4 v[96:99], off, off offset:96
	scratch_load_dwordx4 v[106:109], off, off offset:112
	s_waitcnt vmcnt(13)
	v_mul_f32_e32 v55, v54, v43
	s_waitcnt lgkmcnt(2)
	v_mul_f32_e32 v43, v67, v43
	v_fma_f32 v55, v67, v42, -v55
	v_fmac_f32_e32 v43, v54, v42
	v_sub_f32_e32 v54, v78, v55
	v_sub_f32_e32 v55, v79, v43
	s_waitcnt vmcnt(12)
	v_mul_f32_e32 v42, v66, v17
	s_waitcnt lgkmcnt(0)
	v_fma_f32 v67, v63, v16, -v42
	v_mov_b32_e32 v42, 0x7e4
	ds_read2_b32 v[42:43], v42 offset1:1
	v_mul_f32_e32 v17, v63, v17
	v_fmac_f32_e32 v17, v66, v16
	v_sub_f32_e32 v55, v55, v17
	s_waitcnt vmcnt(11)
	v_mul_f32_e32 v16, v62, v21
	s_waitcnt lgkmcnt(0)
	v_fma_f32 v63, v43, v20, -v16
	v_mov_b32_e32 v16, 0x7dc
	ds_read2_b32 v[16:17], v16 offset1:1
	v_mul_f32_e32 v21, v43, v21
	v_sub_f32_e32 v54, v54, v67
	v_fmac_f32_e32 v21, v62, v20
	s_waitcnt vmcnt(10)
	v_mul_f32_e32 v20, v42, v13
	v_sub_f32_e32 v43, v54, v63
	v_sub_f32_e32 v54, v55, v21
	s_waitcnt lgkmcnt(0)
	v_fma_f32 v55, v17, v12, -v20
	v_mul_f32_e32 v13, v17, v13
	v_mov_b32_e32 v17, 0x7d4
	ds_read2_b32 v[20:21], v17 offset1:1
	v_fmac_f32_e32 v13, v42, v12
	v_sub_f32_e32 v12, v43, v55
	v_sub_f32_e32 v17, v54, v13
	s_waitcnt vmcnt(9)
	v_mul_f32_e32 v13, v16, v9
	s_waitcnt lgkmcnt(0)
	v_mul_f32_e32 v43, v21, v9
	v_mov_b32_e32 v9, 0x7cc
	scratch_load_dwordx4 v[102:105], off, off offset:104
	ds_read2_b32 v[54:55], v9 offset1:1
	v_fma_f32 v13, v21, v8, -v13
	v_fmac_f32_e32 v43, v16, v8
	v_sub_f32_e32 v16, v12, v13
	s_waitcnt vmcnt(9)
	v_mul_f32_e32 v8, v20, v35
	s_waitcnt lgkmcnt(0)
	v_mul_f32_e32 v21, v55, v35
	v_mov_b32_e32 v12, 0x7c4
	v_fma_f32 v42, v55, v34, -v8
	v_fmac_f32_e32 v21, v20, v34
	ds_read2_b32 v[34:35], v12 offset1:1
	s_waitcnt vmcnt(8)
	v_mul_f32_e32 v20, v54, v39
	v_pk_add_f32 v[16:17], v[16:17], v[42:43] neg_lo:[0,1] neg_hi:[0,1]
	v_mov_b32_e32 v55, v38
	v_mov_b32_e32 v67, v54
	s_waitcnt lgkmcnt(0)
	v_fma_f32 v20, v35, v38, -v20
	v_pk_add_f32 v[16:17], v[16:17], v[20:21] neg_lo:[0,1] neg_hi:[0,1]
	v_mov_b32_e32 v20, 0x7bc
	ds_read2_b32 v[20:21], v20 offset1:1
	s_waitcnt vmcnt(7)
	v_mov_b32_e32 v42, v26
	s_waitcnt vmcnt(6)
	v_mov_b32_e32 v43, v80
	;; [unrolled: 2-line block ×3, first 2 shown]
	v_pk_mul_f32 v[74:75], v[34:35], v[38:39]
	s_waitcnt lgkmcnt(0)
	v_mul_f32_e32 v70, v21, v48
	v_pk_fma_f32 v[38:39], v[34:35], v[38:39], v[70:71] op_sel_hi:[1,1,0] neg_lo:[1,0,0] neg_hi:[1,0,0]
	v_mov_b32_e32 v35, 0x7b4
	v_mov_b32_e32 v63, v48
	;; [unrolled: 1-line block ×5, first 2 shown]
	ds_read2_b32 v[70:71], v35 offset1:1
	v_pk_fma_f32 v[54:55], v[66:67], v[54:55], v[74:75]
	v_pk_mul_f32 v[48:49], v[20:21], v[48:49]
	v_mov_b32_e32 v21, 0x7ac
	v_mov_b32_e32 v39, v55
	ds_read2_b32 v[54:55], v21 offset1:1
	v_mov_b32_e32 v62, v26
	v_pk_add_f32 v[16:17], v[16:17], v[38:39] neg_lo:[0,1] neg_hi:[0,1]
	s_waitcnt lgkmcnt(1)
	v_mov_b32_e32 v38, v71
	v_mov_b32_e32 v39, v34
	;; [unrolled: 1-line block ×4, first 2 shown]
	v_pk_fma_f32 v[42:43], v[38:39], v[42:43], v[48:49] neg_lo:[0,0,1] neg_hi:[0,0,1]
	v_pk_fma_f32 v[38:39], v[38:39], v[62:63], v[48:49]
	v_mov_b32_e32 v21, v26
	v_mov_b32_e32 v43, v39
	s_waitcnt lgkmcnt(0)
	v_mov_b32_e32 v38, v55
	v_mov_b32_e32 v39, v20
	;; [unrolled: 1-line block ×3, first 2 shown]
	v_pk_mul_f32 v[34:35], v[70:71], v[34:35]
	v_pk_add_f32 v[16:17], v[16:17], v[42:43] neg_lo:[0,1] neg_hi:[0,1]
	v_pk_fma_f32 v[48:49], v[38:39], v[20:21], v[34:35] neg_lo:[0,0,1] neg_hi:[0,0,1]
	v_pk_fma_f32 v[20:21], v[38:39], v[20:21], v[34:35]
	scratch_load_dwordx2 v[34:35], off, off offset:136
	v_mov_b32_e32 v42, 0x7a4
	ds_read2_b32 v[42:43], v42 offset1:1
	scratch_load_dwordx2 v[62:63], off, off offset:144
	v_mov_b32_e32 v26, v83
	v_mov_b32_e32 v27, v81
	;; [unrolled: 1-line block ×3, first 2 shown]
	s_waitcnt lgkmcnt(0)
	v_mov_b32_e32 v20, v43
	v_mov_b32_e32 v21, v70
	;; [unrolled: 1-line block ×3, first 2 shown]
	v_pk_mul_f32 v[26:27], v[54:55], v[26:27]
	v_pk_add_f32 v[16:17], v[16:17], v[48:49] neg_lo:[0,1] neg_hi:[0,1]
	v_pk_fma_f32 v[66:67], v[20:21], v[82:83], v[26:27] neg_lo:[0,0,1] neg_hi:[0,0,1]
	v_pk_fma_f32 v[20:21], v[20:21], v[82:83], v[26:27]
	scratch_load_dwordx2 v[26:27], off, off offset:152
	v_mov_b32_e32 v48, 0x79c
	ds_read2_b32 v[48:49], v48 offset1:1
	s_waitcnt vmcnt(6)
	v_mov_b32_e32 v38, v91
	v_mov_b32_e32 v39, v89
	scratch_load_dwordx2 v[74:75], off, off offset:160
	v_mov_b32_e32 v67, v21
	s_waitcnt lgkmcnt(0)
	v_mov_b32_e32 v20, v49
	v_mov_b32_e32 v21, v54
	;; [unrolled: 1-line block ×3, first 2 shown]
	v_pk_mul_f32 v[38:39], v[42:43], v[38:39]
	v_pk_add_f32 v[16:17], v[16:17], v[66:67] neg_lo:[0,1] neg_hi:[0,1]
	v_pk_fma_f32 v[66:67], v[20:21], v[90:91], v[38:39] neg_lo:[0,0,1] neg_hi:[0,0,1]
	v_mov_b32_e32 v43, 0x794
	v_pk_fma_f32 v[20:21], v[20:21], v[90:91], v[38:39]
	ds_read2_b32 v[70:71], v43 offset1:1
	v_mov_b32_e32 v67, v21
	v_mov_b32_e32 v21, v42
	scratch_load_dwordx2 v[42:43], off, off offset:168
	v_mov_b32_e32 v54, v95
	v_mov_b32_e32 v55, v93
	s_waitcnt lgkmcnt(0)
	v_mov_b32_e32 v20, v71
	v_mov_b32_e32 v95, v92
	v_pk_mul_f32 v[54:55], v[48:49], v[54:55]
	v_pk_add_f32 v[16:17], v[16:17], v[66:67] neg_lo:[0,1] neg_hi:[0,1]
	v_pk_fma_f32 v[66:67], v[20:21], v[94:95], v[54:55] neg_lo:[0,0,1] neg_hi:[0,0,1]
	v_pk_fma_f32 v[20:21], v[20:21], v[94:95], v[54:55]
	scratch_load_dwordx2 v[54:55], off, off offset:176
	v_mov_b32_e32 v49, 0x78c
	ds_read2_b32 v[78:79], v49 offset1:1
	ds_read_b96 v[84:86], v100 offset:1920
	s_waitcnt vmcnt(8)
	v_mov_b32_e32 v38, v99
	v_mov_b32_e32 v39, v97
	;; [unrolled: 1-line block ×3, first 2 shown]
	s_waitcnt lgkmcnt(1)
	v_mov_b32_e32 v20, v79
	v_mov_b32_e32 v21, v48
	;; [unrolled: 1-line block ×3, first 2 shown]
	v_pk_mul_f32 v[38:39], v[70:71], v[38:39]
	v_pk_add_f32 v[16:17], v[16:17], v[66:67] neg_lo:[0,1] neg_hi:[0,1]
	s_waitcnt vmcnt(6)
	v_mov_b32_e32 v48, v105
	v_mov_b32_e32 v49, v103
	v_pk_fma_f32 v[66:67], v[20:21], v[98:99], v[38:39] neg_lo:[0,0,1] neg_hi:[0,0,1]
	v_pk_fma_f32 v[20:21], v[20:21], v[98:99], v[38:39]
	s_waitcnt lgkmcnt(0)
	v_mov_b32_e32 v38, v86
	v_mov_b32_e32 v67, v21
	v_mov_b32_e32 v39, v70
	v_mov_b32_e32 v105, v102
	v_pk_mul_f32 v[48:49], v[78:79], v[48:49]
	v_pk_add_f32 v[16:17], v[16:17], v[66:67] neg_lo:[0,1] neg_hi:[0,1]
	v_pk_fma_f32 v[66:67], v[38:39], v[104:105], v[48:49] neg_lo:[0,0,1] neg_hi:[0,0,1]
	v_pk_fma_f32 v[38:39], v[38:39], v[104:105], v[48:49]
	scratch_load_dwordx2 v[48:49], off, off
	v_mov_b32_e32 v20, v106
	v_mov_b32_e32 v21, v108
	;; [unrolled: 1-line block ×6, first 2 shown]
	v_pk_mul_f32 v[20:21], v[78:79], v[20:21]
	v_mov_b32_e32 v67, v39
	v_pk_fma_f32 v[38:39], v[12:13], v[106:107], v[20:21] op_sel:[0,0,1] op_sel_hi:[1,1,0] neg_lo:[1,0,0] neg_hi:[1,0,0]
	v_pk_fma_f32 v[12:13], v[12:13], v[106:107], v[20:21] op_sel:[0,0,1] op_sel_hi:[1,1,0]
	ds_read_b64 v[8:9], v100 offset:1912
	v_mov_b32_e32 v39, v13
	scratch_load_dwordx2 v[12:13], off, off offset:8
	v_pk_add_f32 v[16:17], v[16:17], v[66:67] neg_lo:[0,1] neg_hi:[0,1]
	v_mul_f32_e32 v20, v85, v108
	v_fmac_f32_e32 v20, v84, v109
	v_pk_add_f32 v[16:17], v[16:17], v[38:39] neg_lo:[0,1] neg_hi:[0,1]
	ds_read2_b64 v[78:81], v100 offset0:237 offset1:238
	v_sub_f32_e32 v17, v17, v20
	s_waitcnt lgkmcnt(1)
	v_mul_f32_e32 v20, v9, v33
	v_fma_f32 v38, v8, v32, -v20
	scratch_load_dwordx2 v[20:21], off, off offset:16
	v_mul_f32_e32 v8, v8, v33
	v_fmac_f32_e32 v8, v9, v32
	v_sub_f32_e32 v9, v16, v38
	s_waitcnt vmcnt(8) lgkmcnt(0)
	v_mul_f32_e32 v16, v81, v35
	v_sub_f32_e32 v8, v17, v8
	v_fma_f32 v32, v80, v34, -v16
	scratch_load_dwordx2 v[16:17], off, off offset:24
	v_mul_f32_e32 v33, v80, v35
	v_fmac_f32_e32 v33, v81, v34
	v_sub_f32_e32 v9, v9, v32
	s_waitcnt vmcnt(8)
	v_mul_f32_e32 v32, v79, v63
	v_sub_f32_e32 v8, v8, v33
	v_fma_f32 v38, v78, v62, -v32
	v_mul_f32_e32 v39, v78, v63
	ds_read2_b64 v[32:35], v100 offset0:235 offset1:236
	v_fmac_f32_e32 v39, v79, v62
	scratch_load_dwordx2 v[62:63], off, off offset:32
	v_sub_f32_e32 v9, v9, v38
	v_sub_f32_e32 v8, v8, v39
	s_waitcnt vmcnt(8) lgkmcnt(0)
	v_mul_f32_e32 v38, v35, v27
	v_mul_f32_e32 v27, v34, v27
	v_fmac_f32_e32 v27, v35, v26
	v_fma_f32 v38, v34, v26, -v38
	v_sub_f32_e32 v8, v8, v27
	scratch_load_dwordx2 v[26:27], off, off offset:40
	ds_read2_b64 v[78:81], v100 offset0:233 offset1:234
	scratch_load_dwordx2 v[66:67], off, off offset:48
	s_waitcnt vmcnt(9)
	v_mul_f32_e32 v34, v33, v75
	v_fma_f32 v34, v32, v74, -v34
	v_mul_f32_e32 v32, v32, v75
	v_fmac_f32_e32 v32, v33, v74
	v_sub_f32_e32 v8, v8, v32
	s_waitcnt vmcnt(8) lgkmcnt(0)
	v_mul_f32_e32 v32, v81, v43
	v_mul_f32_e32 v33, v80, v43
	v_fma_f32 v32, v80, v42, -v32
	v_fmac_f32_e32 v33, v81, v42
	scratch_load_dwordx2 v[42:43], off, off offset:56
	v_sub_f32_e32 v9, v9, v38
	v_sub_f32_e32 v9, v9, v34
	;; [unrolled: 1-line block ×3, first 2 shown]
	s_waitcnt vmcnt(8)
	v_mul_f32_e32 v32, v79, v55
	v_fma_f32 v32, v78, v54, -v32
	v_mul_f32_e32 v38, v78, v55
	v_sub_f32_e32 v8, v8, v33
	v_fmac_f32_e32 v38, v79, v54
	v_sub_f32_e32 v9, v9, v32
	ds_read2_b64 v[78:81], v100 offset0:231 offset1:232
	scratch_load_dwordx4 v[32:35], off, off offset:64
	scratch_load_dwordx4 v[82:85], off, off offset:80
	scratch_load_dwordx2 v[54:55], off, off offset:64
	v_sub_f32_e32 v8, v8, v38
	v_mov_b32_e32 v70, 0x6f4
	s_waitcnt lgkmcnt(0)
	v_mul_f32_e32 v38, v81, v5
	v_mul_f32_e32 v39, v80, v5
	v_fma_f32 v38, v80, v4, -v38
	v_fmac_f32_e32 v39, v81, v4
	v_sub_f32_e32 v74, v9, v38
	v_sub_f32_e32 v39, v8, v39
	ds_read2st64_b32 v[8:9], v101 offset0:5 offset1:6
	ds_read2_b32 v[70:71], v70 offset1:1
	v_mul_f32_e32 v38, v79, v39
	v_mul_f32_e32 v39, v78, v39
	v_fma_f32 v38, v78, v74, -v38
	v_fmac_f32_e32 v39, v79, v74
	s_waitcnt vmcnt(10) lgkmcnt(1)
	v_mul_f32_e32 v74, v9, v49
	s_waitcnt lgkmcnt(0)
	v_fma_f32 v78, v71, v48, -v74
	v_mul_f32_e32 v49, v71, v49
	v_fmac_f32_e32 v49, v9, v48
	v_sub_f32_e32 v9, v76, v78
	scratch_load_dwordx4 v[78:81], off, off offset:88
	v_mov_b32_e32 v71, 0x6ec
	ds_read2_b32 v[74:75], v71 offset1:1
	s_waitcnt vmcnt(10)
	v_mul_f32_e32 v48, v70, v13
	v_sub_f32_e32 v71, v77, v49
	scratch_load_dwordx4 v[86:89], off, off offset:96
	scratch_load_dwordx4 v[90:93], off, off offset:104
	s_waitcnt lgkmcnt(0)
	v_fma_f32 v76, v75, v12, -v48
	v_mov_b32_e32 v48, 0x6e4
	ds_read2_b32 v[48:49], v48 offset1:1
	v_mul_f32_e32 v13, v75, v13
	v_fmac_f32_e32 v13, v70, v12
	s_waitcnt vmcnt(11)
	v_mul_f32_e32 v12, v74, v21
	v_sub_f32_e32 v70, v71, v13
	s_waitcnt lgkmcnt(0)
	v_fma_f32 v71, v49, v20, -v12
	v_mov_b32_e32 v12, 0x6dc
	ds_read2_b32 v[12:13], v12 offset1:1
	v_mul_f32_e32 v21, v49, v21
	v_fmac_f32_e32 v21, v74, v20
	v_sub_f32_e32 v20, v70, v21
	s_waitcnt vmcnt(10)
	v_mul_f32_e32 v21, v48, v17
	s_waitcnt lgkmcnt(0)
	v_fma_f32 v21, v13, v16, -v21
	v_mul_f32_e32 v13, v13, v17
	v_fmac_f32_e32 v13, v48, v16
	v_mov_b32_e32 v16, 0x6d4
	ds_read2_b32 v[16:17], v16 offset1:1
	v_sub_f32_e32 v9, v9, v76
	v_sub_f32_e32 v13, v20, v13
	;; [unrolled: 1-line block ×3, first 2 shown]
	s_waitcnt vmcnt(9)
	v_mul_f32_e32 v20, v12, v63
	s_waitcnt lgkmcnt(0)
	v_fma_f32 v48, v17, v62, -v20
	v_mul_f32_e32 v17, v17, v63
	v_mov_b32_e32 v20, 0x6cc
	v_sub_f32_e32 v9, v9, v21
	ds_read2_b32 v[20:21], v20 offset1:1
	v_fmac_f32_e32 v17, v12, v62
	v_sub_f32_e32 v13, v13, v17
	v_mov_b32_e32 v17, 0x6c4
	v_sub_f32_e32 v9, v9, v48
	ds_read2_b32 v[48:49], v17 offset1:1
	s_waitcnt vmcnt(8)
	v_mul_f32_e32 v12, v16, v27
	s_waitcnt lgkmcnt(1)
	v_fma_f32 v12, v21, v26, -v12
	v_mul_f32_e32 v17, v21, v27
	v_sub_f32_e32 v12, v9, v12
	s_waitcnt vmcnt(7)
	v_mul_f32_e32 v9, v20, v67
	v_fmac_f32_e32 v17, v16, v26
	s_waitcnt lgkmcnt(0)
	v_fma_f32 v16, v49, v66, -v9
	v_mov_b32_e32 v9, 0x6bc
	ds_read2_b32 v[26:27], v9 offset1:1
	v_mul_f32_e32 v21, v49, v67
	s_waitcnt vmcnt(6)
	v_mul_f32_e32 v9, v48, v43
	v_fmac_f32_e32 v21, v20, v66
	v_pk_add_f32 v[12:13], v[12:13], v[16:17] neg_lo:[0,1] neg_hi:[0,1]
	s_waitcnt lgkmcnt(0)
	v_fma_f32 v20, v27, v42, -v9
	v_mov_b32_e32 v9, 0x6b4
	ds_read2_b32 v[16:17], v9 offset1:1
	scratch_load_dwordx4 v[94:97], off, off offset:112
	scratch_load_dwordx4 v[102:105], off, off offset:120
	v_mov_b32_e32 v49, v42
	v_mov_b32_e32 v9, 0x6ac
	s_waitcnt lgkmcnt(0)
	v_mov_b32_e32 v66, v17
	s_waitcnt vmcnt(5)
	v_mul_f32_e32 v70, v17, v54
	v_mov_b32_e32 v42, v55
	v_pk_mul_f32 v[98:99], v[26:27], v[42:43]
	v_pk_fma_f32 v[42:43], v[26:27], v[42:43], v[70:71] op_sel_hi:[1,1,0] neg_lo:[1,0,0] neg_hi:[1,0,0]
	ds_read2_b32 v[70:71], v9 offset1:1
	v_mov_b32_e32 v67, v48
	v_mov_b32_e32 v48, v54
	;; [unrolled: 1-line block ×4, first 2 shown]
	v_pk_fma_f32 v[48:49], v[66:67], v[48:49], v[98:99]
	v_mov_b32_e32 v9, 0x6a4
	v_mov_b32_e32 v43, v49
	v_pk_mul_f32 v[48:49], v[16:17], v[54:55]
	ds_read2_b32 v[54:55], v9 offset1:1
	v_pk_add_f32 v[12:13], v[12:13], v[20:21] neg_lo:[0,1] neg_hi:[0,1]
	v_mov_b32_e32 v20, v34
	v_mov_b32_e32 v21, v82
	;; [unrolled: 1-line block ×3, first 2 shown]
	v_pk_add_f32 v[12:13], v[12:13], v[42:43] neg_lo:[0,1] neg_hi:[0,1]
	s_waitcnt lgkmcnt(1)
	v_mov_b32_e32 v42, v71
	v_mov_b32_e32 v43, v26
	v_pk_fma_f32 v[20:21], v[42:43], v[20:21], v[48:49] neg_lo:[0,0,1] neg_hi:[0,0,1]
	v_pk_fma_f32 v[42:43], v[42:43], v[62:63], v[48:49]
	v_mov_b32_e32 v26, v83
	v_mov_b32_e32 v27, v35
	;; [unrolled: 1-line block ×3, first 2 shown]
	v_pk_add_f32 v[12:13], v[12:13], v[20:21] neg_lo:[0,1] neg_hi:[0,1]
	s_waitcnt lgkmcnt(0)
	v_mov_b32_e32 v20, v55
	v_mov_b32_e32 v21, v16
	;; [unrolled: 1-line block ×6, first 2 shown]
	v_pk_mul_f32 v[26:27], v[70:71], v[26:27]
	v_mov_b32_e32 v9, 0x69c
	v_pk_fma_f32 v[48:49], v[20:21], v[16:17], v[26:27] neg_lo:[0,0,1] neg_hi:[0,0,1]
	v_pk_fma_f32 v[16:17], v[20:21], v[16:17], v[26:27]
	v_pk_mul_f32 v[26:27], v[54:55], v[34:35]
	scratch_load_dwordx2 v[34:35], off, off offset:144
	ds_read2_b32 v[42:43], v9 offset1:1
	v_mov_b32_e32 v49, v17
	v_mov_b32_e32 v17, v70
	;; [unrolled: 1-line block ×3, first 2 shown]
	v_pk_add_f32 v[12:13], v[12:13], v[48:49] neg_lo:[0,1] neg_hi:[0,1]
	s_waitcnt lgkmcnt(0)
	v_mov_b32_e32 v16, v43
	v_pk_fma_f32 v[48:49], v[16:17], v[84:85], v[26:27] neg_lo:[0,0,1] neg_hi:[0,0,1]
	v_pk_fma_f32 v[16:17], v[16:17], v[84:85], v[26:27]
	v_mov_b32_e32 v9, 0x694
	v_mov_b32_e32 v49, v17
	scratch_load_dwordx2 v[16:17], off, off offset:152
	ds_read2_b32 v[62:63], v9 offset1:1
	v_mov_b32_e32 v27, v54
	scratch_load_dwordx2 v[54:55], off, off offset:160
	s_waitcnt vmcnt(7)
	v_mov_b32_e32 v20, v81
	v_mov_b32_e32 v21, v79
	s_waitcnt lgkmcnt(0)
	v_mov_b32_e32 v26, v63
	v_mov_b32_e32 v81, v78
	v_pk_mul_f32 v[20:21], v[42:43], v[20:21]
	v_pk_add_f32 v[12:13], v[12:13], v[48:49] neg_lo:[0,1] neg_hi:[0,1]
	v_pk_fma_f32 v[66:67], v[26:27], v[80:81], v[20:21] neg_lo:[0,0,1] neg_hi:[0,0,1]
	v_pk_fma_f32 v[20:21], v[26:27], v[80:81], v[20:21]
	v_mov_b32_e32 v9, 0x68c
	v_mov_b32_e32 v67, v21
	scratch_load_dwordx2 v[20:21], off, off offset:168
	v_pk_add_f32 v[12:13], v[12:13], v[66:67] neg_lo:[0,1] neg_hi:[0,1]
	scratch_load_dwordx2 v[66:67], off, off offset:176
	ds_read2_b32 v[70:71], v9 offset1:1
	v_mov_b32_e32 v9, 0x684
	ds_read2_b32 v[78:79], v9 offset1:1
	s_waitcnt vmcnt(8)
	v_mov_b32_e32 v48, v89
	v_mov_b32_e32 v49, v87
	s_waitcnt lgkmcnt(1)
	v_mov_b32_e32 v26, v71
	v_mov_b32_e32 v27, v42
	;; [unrolled: 1-line block ×3, first 2 shown]
	v_pk_mul_f32 v[48:49], v[62:63], v[48:49]
	s_waitcnt vmcnt(7)
	v_mov_b32_e32 v42, v93
	v_mov_b32_e32 v43, v91
	v_pk_fma_f32 v[80:81], v[26:27], v[88:89], v[48:49] neg_lo:[0,0,1] neg_hi:[0,0,1]
	v_pk_fma_f32 v[26:27], v[26:27], v[88:89], v[48:49]
	v_mov_b32_e32 v93, v90
	v_mov_b32_e32 v81, v27
	s_waitcnt lgkmcnt(0)
	v_mov_b32_e32 v26, v79
	v_mov_b32_e32 v27, v62
	v_pk_mul_f32 v[42:43], v[70:71], v[42:43]
	v_mov_b32_e32 v9, 0x67c
	ds_read_b96 v[74:76], v100 offset:1648
	v_pk_fma_f32 v[62:63], v[26:27], v[92:93], v[42:43] neg_lo:[0,0,1] neg_hi:[0,0,1]
	v_pk_fma_f32 v[26:27], v[26:27], v[92:93], v[42:43]
	ds_read2_b32 v[42:43], v9 offset1:1
	v_pk_add_f32 v[12:13], v[12:13], v[80:81] neg_lo:[0,1] neg_hi:[0,1]
	s_waitcnt vmcnt(6)
	v_mov_b32_e32 v48, v97
	v_mov_b32_e32 v49, v95
	;; [unrolled: 1-line block ×3, first 2 shown]
	v_pk_add_f32 v[12:13], v[12:13], v[62:63] neg_lo:[0,1] neg_hi:[0,1]
	s_waitcnt vmcnt(5)
	v_mov_b32_e32 v26, v102
	v_mov_b32_e32 v27, v104
	s_waitcnt lgkmcnt(0)
	v_mov_b32_e32 v62, v43
	v_mov_b32_e32 v63, v70
	;; [unrolled: 1-line block ×3, first 2 shown]
	v_pk_mul_f32 v[48:49], v[78:79], v[48:49]
	v_mov_b32_e32 v79, v76
	v_mov_b32_e32 v102, v105
	v_pk_fma_f32 v[70:71], v[62:63], v[96:97], v[48:49] neg_lo:[0,0,1] neg_hi:[0,0,1]
	v_pk_fma_f32 v[48:49], v[62:63], v[96:97], v[48:49]
	v_pk_mul_f32 v[26:27], v[78:79], v[26:27]
	v_mov_b32_e32 v71, v49
	scratch_load_dwordx2 v[62:63], off, off
	v_pk_fma_f32 v[48:49], v[42:43], v[102:103], v[26:27] op_sel:[0,0,1] op_sel_hi:[1,1,0] neg_lo:[1,0,0] neg_hi:[1,0,0]
	v_pk_fma_f32 v[26:27], v[42:43], v[102:103], v[26:27] op_sel:[0,0,1] op_sel_hi:[1,1,0]
	v_pk_add_f32 v[12:13], v[12:13], v[70:71] neg_lo:[0,1] neg_hi:[0,1]
	v_mov_b32_e32 v49, v27
	scratch_load_dwordx2 v[26:27], off, off offset:8
	v_mul_f32_e32 v9, v42, v104
	v_fmac_f32_e32 v9, v76, v105
	v_pk_add_f32 v[12:13], v[12:13], v[48:49] neg_lo:[0,1] neg_hi:[0,1]
	v_mul_f32_e32 v42, v74, v47
	v_sub_f32_e32 v9, v13, v9
	v_mul_f32_e32 v13, v75, v47
	v_fma_f32 v13, v74, v46, -v13
	v_fmac_f32_e32 v42, v75, v46
	v_sub_f32_e32 v70, v12, v13
	scratch_load_dwordx2 v[12:13], off, off offset:16
	ds_read_b128 v[46:49], v100 offset:1632
	v_sub_f32_e32 v9, v9, v42
	ds_read_b128 v[78:81], v100 offset:1584
	ds_read_b128 v[74:77], v100 offset:1600
	;; [unrolled: 1-line block ×3, first 2 shown]
	s_waitcnt vmcnt(7) lgkmcnt(3)
	v_mul_f32_e32 v42, v49, v35
	v_fma_f32 v71, v48, v34, -v42
	scratch_load_dwordx2 v[42:43], off, off offset:24
	v_mul_f32_e32 v35, v48, v35
	v_fmac_f32_e32 v35, v49, v34
	v_sub_f32_e32 v34, v70, v71
	scratch_load_dwordx2 v[70:71], off, off offset:32
	v_sub_f32_e32 v9, v9, v35
	s_waitcnt vmcnt(8)
	v_mul_f32_e32 v35, v47, v17
	v_mul_f32_e32 v17, v46, v17
	v_fma_f32 v35, v46, v16, -v35
	v_fmac_f32_e32 v17, v47, v16
	s_waitcnt vmcnt(7) lgkmcnt(0)
	v_mul_f32_e32 v16, v85, v55
	v_sub_f32_e32 v34, v34, v35
	v_sub_f32_e32 v9, v9, v17
	v_fma_f32 v35, v84, v54, -v16
	scratch_load_dwordx2 v[16:17], off, off offset:40
	v_mul_f32_e32 v46, v84, v55
	v_fmac_f32_e32 v46, v85, v54
	v_sub_f32_e32 v34, v34, v35
	s_waitcnt vmcnt(7)
	v_mul_f32_e32 v35, v83, v21
	v_mul_f32_e32 v21, v82, v21
	v_sub_f32_e32 v9, v9, v46
	v_fmac_f32_e32 v21, v83, v20
	v_fma_f32 v35, v82, v20, -v35
	v_sub_f32_e32 v9, v9, v21
	scratch_load_dwordx2 v[20:21], off, off offset:48
	scratch_load_dwordx2 v[54:55], off, off offset:56
	s_waitcnt vmcnt(8)
	v_mul_f32_e32 v46, v76, v67
	v_fmac_f32_e32 v46, v77, v66
	v_sub_f32_e32 v9, v9, v46
	v_mul_f32_e32 v46, v74, v5
	v_sub_f32_e32 v34, v34, v35
	v_mul_f32_e32 v35, v77, v67
	v_fmac_f32_e32 v46, v75, v4
	v_fma_f32 v35, v76, v66, -v35
	v_sub_f32_e32 v9, v9, v46
	v_mul_f32_e32 v46, v80, v39
	v_sub_f32_e32 v34, v34, v35
	v_mul_f32_e32 v35, v75, v5
	scratch_load_dwordx2 v[66:67], off, off offset:64
	v_fmac_f32_e32 v46, v81, v38
	v_fma_f32 v35, v74, v4, -v35
	v_sub_f32_e32 v9, v9, v46
	scratch_load_dwordx4 v[46:49], off, off offset:72
	scratch_load_dwordx4 v[74:77], off, off offset:88
	scratch_load_dwordx2 v[98:99], off, off offset:72
	scratch_load_dwordx4 v[86:89], off, off offset:112
	v_sub_f32_e32 v34, v34, v35
	v_mul_f32_e32 v35, v81, v39
	v_fma_f32 v35, v80, v38, -v35
	v_sub_f32_e32 v82, v34, v35
	v_mul_f32_e32 v34, v79, v9
	v_mul_f32_e32 v35, v78, v9
	v_mov_b32_e32 v9, 0x5f4
	ds_read2_b32 v[80:81], v9 offset1:1
	v_fma_f32 v34, v78, v82, -v34
	v_mov_b32_e32 v78, 0x5ec
	v_fmac_f32_e32 v35, v79, v82
	ds_read2_b32 v[78:79], v78 offset1:1
	s_waitcnt vmcnt(12)
	v_mul_f32_e32 v9, v8, v63
	s_waitcnt lgkmcnt(1)
	v_mul_f32_e32 v63, v81, v63
	v_fmac_f32_e32 v63, v8, v62
	v_fma_f32 v9, v81, v62, -v9
	v_sub_f32_e32 v52, v52, v9
	s_waitcnt vmcnt(11)
	v_mul_f32_e32 v8, v80, v27
	s_waitcnt lgkmcnt(0)
	v_fma_f32 v62, v79, v26, -v8
	v_mov_b32_e32 v8, 0x5e4
	ds_read2_b32 v[8:9], v8 offset1:1
	v_mul_f32_e32 v27, v79, v27
	v_fmac_f32_e32 v27, v80, v26
	v_sub_f32_e32 v53, v53, v63
	v_sub_f32_e32 v52, v52, v62
	v_sub_f32_e32 v53, v53, v27
	scratch_load_dwordx4 v[82:85], off, off offset:104
	s_waitcnt vmcnt(11)
	v_mul_f32_e32 v26, v78, v13
	s_waitcnt lgkmcnt(0)
	v_fma_f32 v62, v9, v12, -v26
	v_mul_f32_e32 v9, v9, v13
	v_mov_b32_e32 v13, 0x5dc
	ds_read2_b32 v[26:27], v13 offset1:1
	v_fmac_f32_e32 v9, v78, v12
	v_sub_f32_e32 v9, v53, v9
	v_sub_f32_e32 v52, v52, v62
	s_waitcnt vmcnt(10)
	v_mul_f32_e32 v12, v8, v43
	s_waitcnt lgkmcnt(0)
	v_fma_f32 v53, v27, v42, -v12
	v_mov_b32_e32 v12, 0x5d4
	ds_read2_b32 v[12:13], v12 offset1:1
	v_mul_f32_e32 v27, v27, v43
	v_fmac_f32_e32 v27, v8, v42
	s_waitcnt vmcnt(9)
	v_mul_f32_e32 v8, v26, v71
	v_sub_f32_e32 v27, v9, v27
	s_waitcnt lgkmcnt(0)
	v_fma_f32 v43, v13, v70, -v8
	v_mov_b32_e32 v8, 0x5cc
	ds_read2_b32 v[8:9], v8 offset1:1
	v_mul_f32_e32 v13, v13, v71
	v_sub_f32_e32 v42, v52, v53
	v_fmac_f32_e32 v13, v26, v70
	s_waitcnt vmcnt(8)
	v_mul_f32_e32 v26, v12, v17
	v_sub_f32_e32 v42, v42, v43
	s_waitcnt lgkmcnt(0)
	v_fma_f32 v43, v9, v16, -v26
	v_mul_f32_e32 v9, v9, v17
	v_sub_f32_e32 v13, v27, v13
	v_mov_b32_e32 v17, 0x5c4
	v_fmac_f32_e32 v9, v12, v16
	ds_read2_b32 v[26:27], v17 offset1:1
	v_sub_f32_e32 v17, v13, v9
	v_mov_b32_e32 v13, 0x5bc
	v_sub_f32_e32 v12, v42, v43
	ds_read2_b32 v[42:43], v13 offset1:1
	s_waitcnt vmcnt(7)
	v_mul_f32_e32 v9, v8, v21
	s_waitcnt lgkmcnt(1)
	v_mul_f32_e32 v21, v27, v21
	v_fma_f32 v9, v27, v20, -v9
	v_fmac_f32_e32 v21, v8, v20
	s_waitcnt vmcnt(6)
	v_mul_f32_e32 v8, v26, v55
	s_waitcnt lgkmcnt(0)
	v_mul_f32_e32 v27, v43, v55
	v_mov_b32_e32 v55, 0x5a4
	ds_read2_b32 v[108:109], v55 offset1:1
	scratch_load_dwordx4 v[78:81], off, off offset:96
	v_sub_f32_e32 v16, v12, v9
	v_fma_f32 v20, v43, v54, -v8
	v_mov_b32_e32 v12, 0x5b4
	ds_read2_b32 v[62:63], v12 offset1:1
	v_pk_add_f32 v[16:17], v[16:17], v[20:21] neg_lo:[0,1] neg_hi:[0,1]
	v_mov_b32_e32 v20, 0x5ac
	ds_read2_b32 v[20:21], v20 offset1:1
	scratch_load_dwordx4 v[90:93], off, off offset:120
	scratch_load_dwordx4 v[94:97], off, off offset:128
	v_fmac_f32_e32 v27, v26, v54
	s_waitcnt vmcnt(8)
	v_mul_f32_e32 v26, v42, v67
	s_waitcnt lgkmcnt(1)
	v_fma_f32 v26, v63, v66, -v26
	v_mov_b32_e32 v43, v66
	s_waitcnt vmcnt(5)
	v_mov_b32_e32 v66, v99
	s_waitcnt lgkmcnt(0)
	v_mov_b32_e32 v102, v21
	v_mov_b32_e32 v103, v42
	;; [unrolled: 1-line block ×3, first 2 shown]
	v_mul_f32_e32 v104, v21, v98
	v_pk_mul_f32 v[106:107], v[62:63], v[66:67]
	v_pk_fma_f32 v[66:67], v[62:63], v[66:67], v[104:105] op_sel_hi:[1,1,0] neg_lo:[1,0,0] neg_hi:[1,0,0]
	v_pk_fma_f32 v[42:43], v[102:103], v[42:43], v[106:107]
	v_pk_add_f32 v[16:17], v[16:17], v[26:27] neg_lo:[0,1] neg_hi:[0,1]
	v_mov_b32_e32 v71, v98
	v_mov_b32_e32 v98, v49
	;; [unrolled: 1-line block ×3, first 2 shown]
	v_pk_add_f32 v[16:17], v[16:17], v[66:67] neg_lo:[0,1] neg_hi:[0,1]
	v_pk_mul_f32 v[66:67], v[20:21], v[98:99]
	v_mov_b32_e32 v21, 0x59c
	ds_read2_b32 v[98:99], v21 offset1:1
	v_mov_b32_e32 v26, v48
	v_mov_b32_e32 v27, v74
	;; [unrolled: 1-line block ×5, first 2 shown]
	v_pk_fma_f32 v[26:27], v[42:43], v[26:27], v[66:67] neg_lo:[0,0,1] neg_hi:[0,0,1]
	v_pk_fma_f32 v[42:43], v[42:43], v[70:71], v[66:67]
	v_mov_b32_e32 v62, v75
	v_mov_b32_e32 v63, v49
	;; [unrolled: 1-line block ×3, first 2 shown]
	v_pk_add_f32 v[16:17], v[16:17], v[26:27] neg_lo:[0,1] neg_hi:[0,1]
	s_waitcnt lgkmcnt(0)
	v_mov_b32_e32 v26, v99
	v_mov_b32_e32 v27, v20
	;; [unrolled: 1-line block ×4, first 2 shown]
	v_pk_mul_f32 v[48:49], v[108:109], v[62:63]
	v_mov_b32_e32 v55, 0x594
	v_pk_fma_f32 v[62:63], v[26:27], v[20:21], v[48:49] neg_lo:[0,0,1] neg_hi:[0,0,1]
	v_pk_fma_f32 v[20:21], v[26:27], v[20:21], v[48:49]
	ds_read2_b32 v[66:67], v55 offset1:1
	v_mov_b32_e32 v63, v21
	scratch_load_dwordx2 v[20:21], off, off offset:152
	v_pk_add_f32 v[16:17], v[16:17], v[62:63] neg_lo:[0,1] neg_hi:[0,1]
	scratch_load_dwordx2 v[62:63], off, off offset:160
	v_mov_b32_e32 v42, v77
	v_mov_b32_e32 v43, v75
	;; [unrolled: 1-line block ×5, first 2 shown]
	v_pk_mul_f32 v[42:43], v[98:99], v[42:43]
	ds_read2_b32 v[70:71], v55 offset1:1
	s_waitcnt lgkmcnt(1)
	v_mov_b32_e32 v26, v67
	v_pk_fma_f32 v[74:75], v[26:27], v[76:77], v[42:43] neg_lo:[0,0,1] neg_hi:[0,0,1]
	v_pk_fma_f32 v[26:27], v[26:27], v[76:77], v[42:43]
	scratch_load_dwordx2 v[42:43], off, off offset:168
	scratch_load_dwordx2 v[76:77], off, off offset:176
	v_mov_b32_e32 v55, 0x584
	v_mov_b32_e32 v75, v27
	s_waitcnt lgkmcnt(0)
	v_mov_b32_e32 v26, v71
	v_mov_b32_e32 v27, v98
	v_pk_add_f32 v[16:17], v[16:17], v[74:75] neg_lo:[0,1] neg_hi:[0,1]
	s_waitcnt vmcnt(7)
	v_mov_b32_e32 v74, v85
	v_mov_b32_e32 v75, v83
	;; [unrolled: 1-line block ×3, first 2 shown]
	ds_read_b96 v[52:54], v100 offset:1392
	ds_read_b64 v[8:9], v100 offset:1384
	scratch_load_dwordx2 v[82:83], off, off offset:64
	ds_write2_b64 v1, v[34:35], v[38:39] offset0:192 offset1:224
	s_waitcnt lgkmcnt(2)
	v_mov_b32_e32 v13, v54
	s_waitcnt vmcnt(7)
	v_mov_b32_e32 v48, v81
	v_mov_b32_e32 v49, v79
	;; [unrolled: 1-line block ×3, first 2 shown]
	v_pk_mul_f32 v[48:49], v[66:67], v[48:49]
	ds_read2_b32 v[78:79], v55 offset1:1
	v_pk_fma_f32 v[98:99], v[26:27], v[80:81], v[48:49] neg_lo:[0,0,1] neg_hi:[0,0,1]
	v_pk_fma_f32 v[26:27], v[26:27], v[80:81], v[48:49]
	v_mov_b32_e32 v55, 0x57c
	v_mov_b32_e32 v99, v27
	;; [unrolled: 1-line block ×3, first 2 shown]
	v_pk_mul_f32 v[66:67], v[70:71], v[74:75]
	ds_read2_b32 v[74:75], v55 offset1:1
	s_waitcnt lgkmcnt(1)
	v_mov_b32_e32 v26, v79
	v_mov_b32_e32 v48, v89
	;; [unrolled: 1-line block ×3, first 2 shown]
	v_pk_fma_f32 v[80:81], v[26:27], v[84:85], v[66:67] neg_lo:[0,0,1] neg_hi:[0,0,1]
	v_pk_fma_f32 v[26:27], v[26:27], v[84:85], v[66:67]
	v_mov_b32_e32 v89, v86
	v_mov_b32_e32 v81, v27
	s_waitcnt lgkmcnt(0)
	v_mov_b32_e32 v26, v75
	v_mov_b32_e32 v27, v70
	v_pk_mul_f32 v[48:49], v[78:79], v[48:49]
	s_waitcnt vmcnt(6)
	v_mov_b32_e32 v66, v93
	v_pk_fma_f32 v[70:71], v[26:27], v[88:89], v[48:49] neg_lo:[0,0,1] neg_hi:[0,0,1]
	v_pk_fma_f32 v[26:27], v[26:27], v[88:89], v[48:49]
	v_mov_b32_e32 v49, v78
	scratch_load_dwordx2 v[78:79], off, off
	v_mov_b32_e32 v67, v91
	v_pk_add_f32 v[16:17], v[16:17], v[98:99] neg_lo:[0,1] neg_hi:[0,1]
	v_mov_b32_e32 v71, v27
	s_waitcnt vmcnt(6)
	v_mov_b32_e32 v26, v94
	v_mov_b32_e32 v27, v96
	;; [unrolled: 1-line block ×4, first 2 shown]
	v_pk_mul_f32 v[54:55], v[74:75], v[66:67]
	v_mov_b32_e32 v75, v52
	v_mov_b32_e32 v12, v53
	v_pk_add_f32 v[16:17], v[16:17], v[80:81] neg_lo:[0,1] neg_hi:[0,1]
	v_mov_b32_e32 v94, v97
	v_pk_fma_f32 v[66:67], v[48:49], v[92:93], v[54:55] neg_lo:[0,0,1] neg_hi:[0,0,1]
	v_pk_fma_f32 v[48:49], v[48:49], v[92:93], v[54:55]
	v_pk_mul_f32 v[26:27], v[74:75], v[26:27]
	v_pk_add_f32 v[16:17], v[16:17], v[70:71] neg_lo:[0,1] neg_hi:[0,1]
	v_mov_b32_e32 v67, v49
	v_pk_fma_f32 v[48:49], v[12:13], v[94:95], v[26:27] op_sel:[0,0,1] op_sel_hi:[1,1,0] neg_lo:[1,0,0] neg_hi:[1,0,0]
	v_pk_fma_f32 v[12:13], v[12:13], v[94:95], v[26:27] op_sel:[0,0,1] op_sel_hi:[1,1,0]
	v_pk_add_f32 v[16:17], v[16:17], v[66:67] neg_lo:[0,1] neg_hi:[0,1]
	v_mov_b32_e32 v49, v13
	v_pk_add_f32 v[12:13], v[16:17], v[48:49] neg_lo:[0,1] neg_hi:[0,1]
	scratch_load_dwordx2 v[16:17], off, off offset:8
	v_mul_f32_e32 v26, v53, v96
	v_fmac_f32_e32 v26, v52, v97
	v_sub_f32_e32 v26, v13, v26
	v_mul_f32_e32 v13, v9, v73
	v_fma_f32 v13, v8, v72, -v13
	v_mul_f32_e32 v8, v8, v73
	ds_read2_b64 v[52:55], v100 offset0:171 offset1:172
	v_fmac_f32_e32 v8, v9, v72
	v_sub_f32_e32 v9, v12, v13
	scratch_load_dwordx2 v[12:13], off, off offset:16
	v_sub_f32_e32 v8, v26, v8
	s_waitcnt vmcnt(7) lgkmcnt(0)
	v_mul_f32_e32 v26, v55, v21
	v_mul_f32_e32 v21, v54, v21
	v_fmac_f32_e32 v21, v55, v20
	v_fma_f32 v26, v54, v20, -v26
	v_sub_f32_e32 v8, v8, v21
	scratch_load_dwordx2 v[20:21], off, off offset:24
	v_sub_f32_e32 v9, v9, v26
	s_waitcnt vmcnt(7)
	v_mul_f32_e32 v26, v53, v63
	v_mul_f32_e32 v27, v52, v63
	v_fma_f32 v26, v52, v62, -v26
	ds_read2_b64 v[70:73], v100 offset0:169 offset1:170
	v_fmac_f32_e32 v27, v53, v62
	v_sub_f32_e32 v9, v9, v26
	v_sub_f32_e32 v8, v8, v27
	scratch_load_dwordx2 v[26:27], off, off offset:32
	s_waitcnt vmcnt(7) lgkmcnt(0)
	v_mul_f32_e32 v48, v73, v43
	v_fma_f32 v48, v72, v42, -v48
	v_sub_f32_e32 v9, v9, v48
	scratch_load_dwordx2 v[48:49], off, off offset:40
	scratch_load_dwordx2 v[62:63], off, off offset:48
	;; [unrolled: 1-line block ×3, first 2 shown]
	ds_read2_b64 v[52:55], v100 offset0:167 offset1:168
	v_mul_f32_e32 v43, v72, v43
	v_fmac_f32_e32 v43, v73, v42
	v_sub_f32_e32 v8, v8, v43
	s_waitcnt vmcnt(9)
	v_mul_f32_e32 v42, v71, v77
	v_mul_f32_e32 v43, v70, v77
	v_fma_f32 v42, v70, v76, -v42
	v_fmac_f32_e32 v43, v71, v76
	ds_read2_b64 v[70:73], v100 offset0:165 offset1:166
	v_sub_f32_e32 v9, v9, v42
	v_sub_f32_e32 v8, v8, v43
	s_waitcnt lgkmcnt(1)
	v_mul_f32_e32 v42, v55, v5
	v_mul_f32_e32 v43, v54, v5
	v_fma_f32 v42, v54, v4, -v42
	v_fmac_f32_e32 v43, v55, v4
	v_sub_f32_e32 v9, v9, v42
	v_sub_f32_e32 v8, v8, v43
	v_mul_f32_e32 v42, v53, v39
	v_mul_f32_e32 v43, v52, v39
	v_fma_f32 v42, v52, v38, -v42
	v_fmac_f32_e32 v43, v53, v38
	v_sub_f32_e32 v9, v9, v42
	v_sub_f32_e32 v8, v8, v43
	s_waitcnt lgkmcnt(0)
	v_mul_f32_e32 v42, v73, v35
	v_mul_f32_e32 v43, v72, v35
	v_fma_f32 v42, v72, v34, -v42
	v_fmac_f32_e32 v43, v73, v34
	scratch_load_dwordx2 v[94:95], off, off offset:72
	v_sub_f32_e32 v52, v9, v42
	v_sub_f32_e32 v43, v8, v43
	v_mov_b32_e32 v53, 0x4f4
	ds_read2st64_b32 v[8:9], v101 offset0:3 offset1:4
	ds_read2_b32 v[74:75], v53 offset1:1
	v_mul_f32_e32 v42, v71, v43
	v_mul_f32_e32 v43, v70, v43
	v_fma_f32 v42, v70, v52, -v42
	v_fmac_f32_e32 v43, v71, v52
	s_waitcnt vmcnt(8) lgkmcnt(1)
	v_mul_f32_e32 v52, v9, v79
	s_waitcnt lgkmcnt(0)
	v_fma_f32 v80, v75, v78, -v52
	scratch_load_dwordx4 v[52:55], off, off offset:80
	scratch_load_dwordx4 v[70:73], off, off offset:96
	scratch_load_dwordx2 v[96:97], off, off offset:80
	scratch_load_dwordx4 v[86:89], off, off offset:128
	v_mov_b32_e32 v76, 0x4ec
	ds_read2_b32 v[76:77], v76 offset1:1
	v_mul_f32_e32 v75, v75, v79
	v_fmac_f32_e32 v75, v9, v78
	v_sub_f32_e32 v9, v50, v80
	v_sub_f32_e32 v75, v51, v75
	s_waitcnt vmcnt(11)
	v_mul_f32_e32 v50, v74, v17
	s_waitcnt lgkmcnt(0)
	v_fma_f32 v78, v77, v16, -v50
	v_mov_b32_e32 v50, 0x4e4
	ds_read2_b32 v[50:51], v50 offset1:1
	v_mul_f32_e32 v17, v77, v17
	v_fmac_f32_e32 v17, v74, v16
	v_sub_f32_e32 v74, v75, v17
	v_sub_f32_e32 v9, v9, v78
	scratch_load_dwordx4 v[78:81], off, off offset:112
	scratch_load_dwordx4 v[90:93], off, off offset:136
	s_waitcnt vmcnt(12)
	v_mul_f32_e32 v16, v76, v13
	s_waitcnt lgkmcnt(0)
	v_fma_f32 v75, v51, v12, -v16
	v_mov_b32_e32 v16, 0x4dc
	ds_read2_b32 v[16:17], v16 offset1:1
	v_mul_f32_e32 v13, v51, v13
	v_fmac_f32_e32 v13, v76, v12
	v_sub_f32_e32 v51, v74, v13
	s_waitcnt vmcnt(11)
	v_mul_f32_e32 v12, v50, v21
	s_waitcnt lgkmcnt(0)
	v_fma_f32 v74, v17, v20, -v12
	v_mov_b32_e32 v12, 0x4d4
	ds_read2_b32 v[12:13], v12 offset1:1
	v_mul_f32_e32 v17, v17, v21
	v_fmac_f32_e32 v17, v50, v20
	v_sub_f32_e32 v17, v51, v17
	v_sub_f32_e32 v9, v9, v75
	;; [unrolled: 1-line block ×3, first 2 shown]
	s_waitcnt vmcnt(10)
	v_mul_f32_e32 v20, v16, v27
	s_waitcnt lgkmcnt(0)
	v_fma_f32 v50, v13, v26, -v20
	v_mov_b32_e32 v20, 0x4cc
	ds_read2_b32 v[20:21], v20 offset1:1
	v_mul_f32_e32 v13, v13, v27
	v_fmac_f32_e32 v13, v16, v26
	v_sub_f32_e32 v16, v17, v13
	s_waitcnt vmcnt(9)
	v_mul_f32_e32 v13, v12, v49
	s_waitcnt lgkmcnt(0)
	v_fma_f32 v17, v21, v48, -v13
	v_mul_f32_e32 v21, v21, v49
	v_fmac_f32_e32 v21, v12, v48
	v_mov_b32_e32 v12, 0x4c4
	ds_read2_b32 v[12:13], v12 offset1:1
	v_sub_f32_e32 v21, v16, v21
	s_waitcnt vmcnt(8)
	v_mul_f32_e32 v16, v20, v63
	v_sub_f32_e32 v9, v9, v50
	v_sub_f32_e32 v9, v9, v17
	s_waitcnt lgkmcnt(0)
	v_fma_f32 v26, v13, v62, -v16
	v_mov_b32_e32 v16, 0x4bc
	ds_read2_b32 v[16:17], v16 offset1:1
	v_mul_f32_e32 v13, v13, v63
	v_fmac_f32_e32 v13, v20, v62
	s_waitcnt vmcnt(7)
	v_mul_f32_e32 v20, v12, v67
	scratch_load_dwordx4 v[74:77], off, off offset:104
	v_sub_f32_e32 v9, v9, v26
	s_waitcnt lgkmcnt(0)
	v_fma_f32 v26, v17, v66, -v20
	v_mov_b32_e32 v20, 0x4b4
	v_sub_f32_e32 v13, v21, v13
	ds_read2_b32 v[20:21], v20 offset1:1
	v_mul_f32_e32 v27, v17, v67
	v_fmac_f32_e32 v27, v12, v66
	v_sub_f32_e32 v12, v9, v26
	v_mul_f32_e32 v9, v16, v83
	s_waitcnt lgkmcnt(0)
	v_mul_f32_e32 v17, v21, v83
	v_fma_f32 v26, v21, v82, -v9
	v_fmac_f32_e32 v17, v16, v82
	scratch_load_dwordx4 v[82:85], off, off offset:120
	v_mov_b32_e32 v9, 0x4ac
	ds_read2_b32 v[62:63], v9 offset1:1
	s_waitcnt vmcnt(8)
	v_mul_f32_e32 v9, v20, v95
	v_pk_add_f32 v[12:13], v[12:13], v[26:27] neg_lo:[0,1] neg_hi:[0,1]
	v_mov_b32_e32 v21, v94
	v_mov_b32_e32 v99, v20
	s_waitcnt lgkmcnt(0)
	v_fma_f32 v16, v63, v94, -v9
	v_mov_b32_e32 v9, 0x4a4
	v_pk_add_f32 v[12:13], v[12:13], v[16:17] neg_lo:[0,1] neg_hi:[0,1]
	ds_read2_b32 v[16:17], v9 offset1:1
	s_waitcnt vmcnt(5)
	v_mov_b32_e32 v94, v97
	v_mov_b32_e32 v20, v96
	v_pk_mul_f32 v[104:105], v[62:63], v[94:95]
	v_mov_b32_e32 v9, 0x49c
	s_waitcnt lgkmcnt(0)
	v_mov_b32_e32 v98, v17
	v_mul_f32_e32 v102, v17, v96
	ds_read2_b32 v[106:107], v9 offset1:1
	v_pk_fma_f32 v[94:95], v[62:63], v[94:95], v[102:103] op_sel_hi:[1,1,0] neg_lo:[1,0,0] neg_hi:[1,0,0]
	v_pk_fma_f32 v[20:21], v[98:99], v[20:21], v[104:105]
	v_mov_b32_e32 v67, v96
	v_mov_b32_e32 v96, v55
	;; [unrolled: 1-line block ×4, first 2 shown]
	v_pk_add_f32 v[12:13], v[12:13], v[94:95] neg_lo:[0,1] neg_hi:[0,1]
	v_pk_mul_f32 v[94:95], v[16:17], v[96:97]
	ds_read2_b32 v[96:97], v9 offset1:1
	v_mov_b32_e32 v26, v54
	v_mov_b32_e32 v27, v70
	;; [unrolled: 1-line block ×3, first 2 shown]
	s_waitcnt lgkmcnt(1)
	v_mov_b32_e32 v20, v107
	v_mov_b32_e32 v21, v62
	;; [unrolled: 1-line block ×5, first 2 shown]
	v_pk_fma_f32 v[26:27], v[20:21], v[26:27], v[94:95] neg_lo:[0,0,1] neg_hi:[0,0,1]
	v_pk_fma_f32 v[20:21], v[20:21], v[66:67], v[94:95]
	v_mov_b32_e32 v17, v54
	v_pk_mul_f32 v[54:55], v[106:107], v[62:63]
	ds_read2_b32 v[62:63], v9 offset1:1
	v_mov_b32_e32 v27, v21
	s_waitcnt lgkmcnt(1)
	v_mov_b32_e32 v20, v97
	v_mov_b32_e32 v21, v16
	;; [unrolled: 1-line block ×3, first 2 shown]
	v_pk_fma_f32 v[66:67], v[20:21], v[16:17], v[54:55] neg_lo:[0,0,1] neg_hi:[0,0,1]
	v_pk_fma_f32 v[16:17], v[20:21], v[16:17], v[54:55]
	scratch_load_dwordx2 v[54:55], off, off offset:160
	v_pk_add_f32 v[12:13], v[12:13], v[26:27] neg_lo:[0,1] neg_hi:[0,1]
	v_mov_b32_e32 v26, v73
	v_mov_b32_e32 v27, v71
	;; [unrolled: 1-line block ×3, first 2 shown]
	s_waitcnt lgkmcnt(0)
	v_mov_b32_e32 v16, v63
	v_mov_b32_e32 v17, v106
	;; [unrolled: 1-line block ×3, first 2 shown]
	v_pk_mul_f32 v[26:27], v[96:97], v[26:27]
	v_pk_add_f32 v[12:13], v[12:13], v[66:67] neg_lo:[0,1] neg_hi:[0,1]
	v_pk_fma_f32 v[66:67], v[16:17], v[72:73], v[26:27] neg_lo:[0,0,1] neg_hi:[0,0,1]
	v_pk_fma_f32 v[16:17], v[16:17], v[72:73], v[26:27]
	scratch_load_dwordx2 v[94:95], off, off offset:176
	v_mov_b32_e32 v67, v17
	scratch_load_dwordx2 v[16:17], off, off offset:168
	v_mov_b32_e32 v9, 0x484
	ds_read2_b32 v[70:71], v9 offset1:1
	v_mov_b32_e32 v9, 0x47c
	v_mov_b32_e32 v27, v96
	ds_read2_b32 v[72:73], v9 offset1:1
	v_pk_add_f32 v[12:13], v[12:13], v[66:67] neg_lo:[0,1] neg_hi:[0,1]
	s_waitcnt vmcnt(4)
	v_mov_b32_e32 v20, v77
	v_mov_b32_e32 v21, v75
	s_waitcnt lgkmcnt(1)
	v_mov_b32_e32 v26, v71
	v_mov_b32_e32 v77, v74
	v_pk_mul_f32 v[20:21], v[62:63], v[20:21]
	v_mov_b32_e32 v66, v81
	v_mov_b32_e32 v67, v79
	v_pk_fma_f32 v[74:75], v[26:27], v[76:77], v[20:21] neg_lo:[0,0,1] neg_hi:[0,0,1]
	v_pk_fma_f32 v[20:21], v[26:27], v[76:77], v[20:21]
	v_mov_b32_e32 v9, 0x474
	v_mov_b32_e32 v75, v21
	v_mov_b32_e32 v21, v62
	v_pk_mul_f32 v[62:63], v[70:71], v[66:67]
	ds_read2_b32 v[66:67], v9 offset1:1
	s_waitcnt lgkmcnt(1)
	v_mov_b32_e32 v20, v73
	v_mov_b32_e32 v81, v78
	v_pk_add_f32 v[12:13], v[12:13], v[74:75] neg_lo:[0,1] neg_hi:[0,1]
	s_waitcnt vmcnt(3)
	v_mov_b32_e32 v26, v85
	v_mov_b32_e32 v27, v83
	v_pk_fma_f32 v[74:75], v[20:21], v[80:81], v[62:63] neg_lo:[0,0,1] neg_hi:[0,0,1]
	v_pk_fma_f32 v[20:21], v[20:21], v[80:81], v[62:63]
	v_mov_b32_e32 v85, v82
	v_mov_b32_e32 v75, v21
	s_waitcnt lgkmcnt(0)
	v_mov_b32_e32 v20, v67
	v_mov_b32_e32 v21, v70
	v_pk_mul_f32 v[26:27], v[72:73], v[26:27]
	v_mov_b32_e32 v9, 0x46c
	ds_read_b96 v[48:50], v100 offset:1120
	v_pk_fma_f32 v[70:71], v[20:21], v[84:85], v[26:27] neg_lo:[0,0,1] neg_hi:[0,0,1]
	v_pk_fma_f32 v[20:21], v[20:21], v[84:85], v[26:27]
	ds_read2_b32 v[26:27], v9 offset1:1
	v_pk_add_f32 v[12:13], v[12:13], v[74:75] neg_lo:[0,1] neg_hi:[0,1]
	v_mov_b32_e32 v62, v89
	v_mov_b32_e32 v63, v87
	;; [unrolled: 1-line block ×3, first 2 shown]
	v_pk_add_f32 v[12:13], v[12:13], v[70:71] neg_lo:[0,1] neg_hi:[0,1]
	v_mov_b32_e32 v20, v90
	v_mov_b32_e32 v21, v92
	s_waitcnt lgkmcnt(0)
	v_mov_b32_e32 v70, v27
	v_mov_b32_e32 v71, v72
	v_mov_b32_e32 v89, v86
	v_pk_mul_f32 v[62:63], v[66:67], v[62:63]
	v_mov_b32_e32 v67, v50
	v_mov_b32_e32 v90, v93
	v_pk_fma_f32 v[72:73], v[70:71], v[88:89], v[62:63] neg_lo:[0,0,1] neg_hi:[0,0,1]
	v_pk_fma_f32 v[62:63], v[70:71], v[88:89], v[62:63]
	scratch_load_dwordx2 v[80:81], off, off
	v_pk_mul_f32 v[20:21], v[66:67], v[20:21]
	v_mov_b32_e32 v73, v63
	v_pk_fma_f32 v[62:63], v[26:27], v[90:91], v[20:21] op_sel:[0,0,1] op_sel_hi:[1,1,0] neg_lo:[1,0,0] neg_hi:[1,0,0]
	v_pk_fma_f32 v[20:21], v[26:27], v[90:91], v[20:21] op_sel:[0,0,1] op_sel_hi:[1,1,0]
	v_pk_add_f32 v[12:13], v[12:13], v[72:73] neg_lo:[0,1] neg_hi:[0,1]
	v_mov_b32_e32 v63, v21
	scratch_load_dwordx2 v[20:21], off, off offset:8
	v_mul_f32_e32 v9, v26, v92
	scratch_load_dwordx2 v[26:27], off, off offset:16
	v_fmac_f32_e32 v9, v50, v93
	v_pk_add_f32 v[12:13], v[12:13], v[62:63] neg_lo:[0,1] neg_hi:[0,1]
	s_nop 0
	v_sub_f32_e32 v9, v13, v9
	v_mul_f32_e32 v13, v49, v69
	v_fma_f32 v13, v48, v68, -v13
	v_mul_f32_e32 v48, v48, v69
	v_fmac_f32_e32 v48, v49, v68
	v_sub_f32_e32 v62, v12, v13
	v_sub_f32_e32 v9, v9, v48
	ds_read_b128 v[48:51], v100 offset:1104
	ds_read_b128 v[68:71], v100 offset:1056
	;; [unrolled: 1-line block ×4, first 2 shown]
	scratch_load_dwordx2 v[12:13], off, off offset:24
	scratch_load_dwordx2 v[82:83], off, off offset:64
	;; [unrolled: 1-line block ×4, first 2 shown]
	s_waitcnt vmcnt(9) lgkmcnt(3)
	v_mul_f32_e32 v63, v51, v55
	v_fma_f32 v63, v50, v54, -v63
	v_mul_f32_e32 v50, v50, v55
	v_fmac_f32_e32 v50, v51, v54
	scratch_load_dwordx2 v[54:55], off, off offset:32
	v_sub_f32_e32 v9, v9, v50
	s_waitcnt vmcnt(8)
	v_mul_f32_e32 v50, v49, v17
	v_mul_f32_e32 v17, v48, v17
	v_fmac_f32_e32 v17, v49, v16
	v_fma_f32 v50, v48, v16, -v50
	v_sub_f32_e32 v9, v9, v17
	scratch_load_dwordx2 v[16:17], off, off offset:40
	v_sub_f32_e32 v51, v62, v63
	scratch_load_dwordx2 v[62:63], off, off offset:48
	v_sub_f32_e32 v48, v51, v50
	s_waitcnt lgkmcnt(0)
	v_mul_f32_e32 v49, v79, v95
	v_mul_f32_e32 v50, v78, v95
	v_fma_f32 v49, v78, v94, -v49
	v_fmac_f32_e32 v50, v79, v94
	v_sub_f32_e32 v48, v48, v49
	v_sub_f32_e32 v9, v9, v50
	v_mul_f32_e32 v49, v77, v5
	v_mul_f32_e32 v50, v76, v5
	v_fma_f32 v49, v76, v4, -v49
	v_fmac_f32_e32 v50, v77, v4
	scratch_load_dwordx2 v[76:77], off, off offset:56
	v_sub_f32_e32 v9, v9, v50
	v_mul_f32_e32 v50, v74, v39
	v_sub_f32_e32 v48, v48, v49
	v_mul_f32_e32 v49, v75, v39
	v_fmac_f32_e32 v50, v75, v38
	v_fma_f32 v49, v74, v38, -v49
	v_sub_f32_e32 v9, v9, v50
	v_mul_f32_e32 v50, v72, v35
	v_sub_f32_e32 v48, v48, v49
	v_mul_f32_e32 v49, v73, v35
	v_fmac_f32_e32 v50, v73, v34
	v_fma_f32 v49, v72, v34, -v49
	;; [unrolled: 6-line block ×3, first 2 shown]
	v_sub_f32_e32 v9, v9, v50
	v_sub_f32_e32 v48, v48, v49
	v_mul_f32_e32 v49, v69, v9
	v_mul_f32_e32 v67, v68, v9
	v_fma_f32 v66, v68, v48, -v49
	v_fmac_f32_e32 v67, v69, v48
	ds_write2_b64 v1, v[66:67], v[42:43] offset0:128 offset1:160
	ds_read2_b32 v[72:73], v100 offset0:253 offset1:254
	scratch_load_dwordx4 v[48:51], off, off offset:88
	scratch_load_dwordx4 v[68:71], off, off offset:104
	scratch_load_dwordx2 v[98:99], off, off offset:88
	ds_read2_b32 v[74:75], v100 offset0:251 offset1:252
	ds_read_b96 v[92:94], v100 offset:864
	s_waitcnt vmcnt(13)
	v_mul_f32_e32 v9, v8, v81
	s_waitcnt lgkmcnt(2)
	v_fma_f32 v9, v73, v80, -v9
	v_mul_f32_e32 v73, v73, v81
	v_fmac_f32_e32 v73, v8, v80
	v_sub_f32_e32 v58, v58, v9
	v_sub_f32_e32 v59, v59, v73
	s_waitcnt vmcnt(12)
	v_mul_f32_e32 v8, v72, v21
	s_waitcnt lgkmcnt(1)
	v_fma_f32 v73, v75, v20, -v8
	ds_read2_b32 v[8:9], v100 offset0:249 offset1:250
	v_mul_f32_e32 v21, v75, v21
	v_fmac_f32_e32 v21, v72, v20
	s_waitcnt vmcnt(11)
	v_mul_f32_e32 v20, v74, v27
	v_sub_f32_e32 v59, v59, v21
	s_waitcnt lgkmcnt(0)
	v_fma_f32 v72, v9, v26, -v20
	ds_read2_b32 v[20:21], v100 offset0:247 offset1:248
	v_mul_f32_e32 v9, v9, v27
	v_fmac_f32_e32 v9, v74, v26
	v_sub_f32_e32 v9, v59, v9
	v_sub_f32_e32 v58, v58, v73
	;; [unrolled: 1-line block ×3, first 2 shown]
	s_waitcnt vmcnt(10)
	v_mul_f32_e32 v26, v8, v13
	s_waitcnt lgkmcnt(0)
	v_fma_f32 v59, v21, v12, -v26
	ds_read2_b32 v[26:27], v100 offset0:245 offset1:246
	v_mul_f32_e32 v13, v21, v13
	v_fmac_f32_e32 v13, v8, v12
	v_sub_f32_e32 v13, v9, v13
	v_sub_f32_e32 v12, v58, v59
	scratch_load_dwordx4 v[72:75], off, off offset:112
	s_waitcnt vmcnt(7)
	v_mul_f32_e32 v8, v20, v55
	s_waitcnt lgkmcnt(0)
	v_fma_f32 v21, v27, v54, -v8
	ds_read2_b32 v[8:9], v100 offset0:243 offset1:244
	v_mul_f32_e32 v27, v27, v55
	v_fmac_f32_e32 v27, v20, v54
	v_sub_f32_e32 v20, v12, v21
	v_sub_f32_e32 v21, v13, v27
	s_waitcnt vmcnt(6)
	v_mul_f32_e32 v12, v26, v17
	s_waitcnt lgkmcnt(0)
	v_fma_f32 v27, v9, v16, -v12
	ds_read2_b32 v[12:13], v100 offset0:241 offset1:242
	v_mul_f32_e32 v9, v9, v17
	v_fmac_f32_e32 v9, v26, v16
	s_waitcnt vmcnt(5)
	v_mul_f32_e32 v16, v8, v63
	v_sub_f32_e32 v9, v21, v9
	s_waitcnt lgkmcnt(0)
	v_fma_f32 v21, v13, v62, -v16
	ds_read2_b32 v[16:17], v100 offset0:239 offset1:240
	v_mul_f32_e32 v13, v13, v63
	v_sub_f32_e32 v20, v20, v27
	v_fmac_f32_e32 v13, v8, v62
	v_sub_f32_e32 v20, v20, v21
	v_sub_f32_e32 v13, v9, v13
	s_waitcnt vmcnt(4)
	v_mul_f32_e32 v8, v12, v77
	s_waitcnt lgkmcnt(0)
	v_fma_f32 v21, v17, v76, -v8
	ds_read2_b32 v[8:9], v100 offset0:237 offset1:238
	v_mul_f32_e32 v17, v17, v77
	v_fmac_f32_e32 v17, v12, v76
	v_sub_f32_e32 v12, v20, v21
	ds_read2_b32 v[20:21], v100 offset0:235 offset1:236
	scratch_load_dwordx4 v[76:79], off, off offset:120
	v_sub_f32_e32 v13, v13, v17
	v_mul_f32_e32 v17, v16, v83
	s_waitcnt lgkmcnt(1)
	v_fma_f32 v26, v9, v82, -v17
	v_mul_f32_e32 v17, v9, v83
	v_fmac_f32_e32 v17, v16, v82
	v_mul_f32_e32 v9, v8, v85
	scratch_load_dwordx4 v[80:83], off, off offset:128
	s_waitcnt lgkmcnt(0)
	v_fma_f32 v16, v21, v84, -v9
	v_mul_f32_e32 v9, v21, v85
	v_sub_f32_e32 v12, v12, v26
	v_fmac_f32_e32 v9, v8, v84
	ds_read2_b32 v[26:27], v100 offset0:233 offset1:234
	ds_read_b64 v[54:55], v100 offset:856
	scratch_load_dwordx4 v[84:87], off, off offset:136
	scratch_load_dwordx4 v[88:91], off, off offset:144
	v_mul_f32_e32 v8, v20, v97
	v_pk_add_f32 v[12:13], v[12:13], v[16:17] neg_lo:[0,1] neg_hi:[0,1]
	s_waitcnt lgkmcnt(1)
	v_fma_f32 v8, v27, v96, -v8
	v_pk_add_f32 v[8:9], v[12:13], v[8:9] neg_lo:[0,1] neg_hi:[0,1]
	ds_read2_b32 v[12:13], v100 offset0:231 offset1:232
	v_mov_b32_e32 v21, v96
	s_waitcnt vmcnt(5)
	v_mov_b32_e32 v96, v99
	v_mov_b32_e32 v103, v20
	;; [unrolled: 1-line block ×3, first 2 shown]
	s_waitcnt lgkmcnt(0)
	v_mov_b32_e32 v102, v13
	v_mul_f32_e32 v104, v13, v98
	v_pk_mul_f32 v[106:107], v[26:27], v[96:97]
	ds_read2_b32 v[108:109], v100 offset0:229 offset1:230
	v_pk_fma_f32 v[96:97], v[26:27], v[96:97], v[104:105] op_sel_hi:[1,1,0] neg_lo:[1,0,0] neg_hi:[1,0,0]
	v_pk_fma_f32 v[20:21], v[102:103], v[20:21], v[106:107]
	v_mov_b32_e32 v63, v98
	v_mov_b32_e32 v98, v51
	;; [unrolled: 1-line block ×3, first 2 shown]
	v_pk_add_f32 v[8:9], v[8:9], v[96:97] neg_lo:[0,1] neg_hi:[0,1]
	v_pk_mul_f32 v[96:97], v[12:13], v[98:99]
	ds_read2_b32 v[98:99], v100 offset0:227 offset1:228
	v_mov_b32_e32 v16, v50
	v_mov_b32_e32 v17, v68
	;; [unrolled: 1-line block ×3, first 2 shown]
	s_waitcnt lgkmcnt(1)
	v_mov_b32_e32 v20, v109
	v_mov_b32_e32 v21, v26
	v_pk_fma_f32 v[16:17], v[20:21], v[16:17], v[96:97] neg_lo:[0,0,1] neg_hi:[0,0,1]
	v_pk_fma_f32 v[20:21], v[20:21], v[62:63], v[96:97]
	v_mov_b32_e32 v26, v69
	v_mov_b32_e32 v27, v51
	;; [unrolled: 1-line block ×3, first 2 shown]
	v_pk_add_f32 v[8:9], v[8:9], v[16:17] neg_lo:[0,1] neg_hi:[0,1]
	s_waitcnt lgkmcnt(0)
	v_mov_b32_e32 v16, v99
	v_mov_b32_e32 v17, v12
	;; [unrolled: 1-line block ×4, first 2 shown]
	v_pk_mul_f32 v[26:27], v[108:109], v[26:27]
	scratch_load_dwordx2 v[50:51], off, off offset:168
	v_pk_fma_f32 v[96:97], v[16:17], v[12:13], v[26:27] neg_lo:[0,0,1] neg_hi:[0,0,1]
	v_pk_fma_f32 v[12:13], v[16:17], v[12:13], v[26:27]
	scratch_load_dwordx2 v[16:17], off, off offset:176
	ds_read2_b32 v[62:63], v100 offset0:225 offset1:226
	v_mov_b32_e32 v20, v71
	v_mov_b32_e32 v21, v69
	;; [unrolled: 1-line block ×3, first 2 shown]
	ds_read2_b32 v[68:69], v100 offset0:223 offset1:224
	v_mov_b32_e32 v97, v13
	s_waitcnt lgkmcnt(1)
	v_mov_b32_e32 v12, v63
	v_mov_b32_e32 v13, v108
	v_pk_mul_f32 v[20:21], v[98:99], v[20:21]
	v_pk_add_f32 v[8:9], v[8:9], v[96:97] neg_lo:[0,1] neg_hi:[0,1]
	s_waitcnt vmcnt(6)
	v_mov_b32_e32 v26, v75
	v_mov_b32_e32 v27, v73
	v_pk_fma_f32 v[96:97], v[12:13], v[70:71], v[20:21] neg_lo:[0,0,1] neg_hi:[0,0,1]
	v_pk_fma_f32 v[12:13], v[12:13], v[70:71], v[20:21]
	v_mov_b32_e32 v75, v72
	v_mov_b32_e32 v97, v13
	s_waitcnt lgkmcnt(0)
	v_mov_b32_e32 v12, v69
	v_mov_b32_e32 v13, v98
	v_pk_mul_f32 v[26:27], v[62:63], v[26:27]
	ds_read2_b32 v[70:71], v100 offset0:221 offset1:222
	v_pk_fma_f32 v[72:73], v[12:13], v[74:75], v[26:27] neg_lo:[0,0,1] neg_hi:[0,0,1]
	v_pk_fma_f32 v[12:13], v[12:13], v[74:75], v[26:27]
	v_pk_add_f32 v[8:9], v[8:9], v[96:97] neg_lo:[0,1] neg_hi:[0,1]
	v_mov_b32_e32 v73, v13
	v_mov_b32_e32 v13, v62
	ds_read2_b32 v[62:63], v100 offset0:219 offset1:220
	s_waitcnt vmcnt(5)
	v_mov_b32_e32 v20, v79
	v_mov_b32_e32 v21, v77
	s_waitcnt lgkmcnt(1)
	v_mov_b32_e32 v12, v71
	v_mov_b32_e32 v79, v76
	v_pk_mul_f32 v[20:21], v[68:69], v[20:21]
	v_pk_add_f32 v[8:9], v[8:9], v[72:73] neg_lo:[0,1] neg_hi:[0,1]
	s_waitcnt vmcnt(4)
	v_mov_b32_e32 v26, v83
	v_mov_b32_e32 v27, v81
	v_pk_fma_f32 v[72:73], v[12:13], v[78:79], v[20:21] neg_lo:[0,0,1] neg_hi:[0,0,1]
	v_pk_fma_f32 v[12:13], v[12:13], v[78:79], v[20:21]
	v_mov_b32_e32 v83, v80
	v_mov_b32_e32 v73, v13
	s_waitcnt lgkmcnt(0)
	v_mov_b32_e32 v12, v63
	v_mov_b32_e32 v13, v68
	v_pk_mul_f32 v[26:27], v[70:71], v[26:27]
	s_waitcnt vmcnt(3)
	v_mov_b32_e32 v20, v87
	v_mov_b32_e32 v21, v85
	v_pk_fma_f32 v[68:69], v[12:13], v[82:83], v[26:27] neg_lo:[0,0,1] neg_hi:[0,0,1]
	v_pk_fma_f32 v[12:13], v[12:13], v[82:83], v[26:27]
	v_pk_add_f32 v[8:9], v[8:9], v[72:73] neg_lo:[0,1] neg_hi:[0,1]
	v_mov_b32_e32 v69, v13
	v_mov_b32_e32 v26, v94
	v_mov_b32_e32 v27, v70
	v_mov_b32_e32 v87, v84
	v_pk_mul_f32 v[20:21], v[62:63], v[20:21]
	v_pk_add_f32 v[8:9], v[8:9], v[68:69] neg_lo:[0,1] neg_hi:[0,1]
	v_pk_fma_f32 v[68:69], v[26:27], v[86:87], v[20:21] neg_lo:[0,0,1] neg_hi:[0,0,1]
	v_pk_fma_f32 v[20:21], v[26:27], v[86:87], v[20:21]
	scratch_load_dwordx2 v[26:27], off, off
	s_waitcnt vmcnt(3)
	v_mov_b32_e32 v12, v88
	v_mov_b32_e32 v13, v90
	;; [unrolled: 1-line block ×6, first 2 shown]
	v_pk_mul_f32 v[12:13], v[62:63], v[12:13]
	v_mov_b32_e32 v69, v21
	v_pk_fma_f32 v[20:21], v[58:59], v[88:89], v[12:13] op_sel:[0,0,1] op_sel_hi:[1,1,0] neg_lo:[1,0,0] neg_hi:[1,0,0]
	v_pk_fma_f32 v[12:13], v[58:59], v[88:89], v[12:13] op_sel:[0,0,1] op_sel_hi:[1,1,0]
	v_pk_add_f32 v[8:9], v[8:9], v[68:69] neg_lo:[0,1] neg_hi:[0,1]
	v_mov_b32_e32 v21, v13
	scratch_load_dwordx2 v[12:13], off, off offset:8
	v_mul_f32_e32 v58, v93, v90
	v_fmac_f32_e32 v58, v92, v91
	v_pk_add_f32 v[8:9], v[8:9], v[20:21] neg_lo:[0,1] neg_hi:[0,1]
	v_mul_f32_e32 v20, v55, v65
	v_sub_f32_e32 v9, v9, v58
	v_fma_f32 v58, v54, v64, -v20
	scratch_load_dwordx2 v[20:21], off, off offset:16
	v_sub_f32_e32 v8, v8, v58
	scratch_load_dwordx2 v[58:59], off, off offset:24
	ds_read2_b64 v[68:71], v100 offset0:105 offset1:106
	v_mul_f32_e32 v54, v54, v65
	v_fmac_f32_e32 v54, v55, v64
	ds_read2_b64 v[62:65], v100 offset0:103 offset1:104
	scratch_load_dwordx2 v[72:73], off, off offset:32
	v_sub_f32_e32 v9, v9, v54
	s_waitcnt vmcnt(6) lgkmcnt(1)
	v_mul_f32_e32 v54, v71, v51
	v_mul_f32_e32 v51, v70, v51
	v_fma_f32 v54, v70, v50, -v54
	v_fmac_f32_e32 v51, v71, v50
	s_waitcnt vmcnt(5)
	v_mul_f32_e32 v50, v69, v17
	v_mul_f32_e32 v17, v68, v17
	v_sub_f32_e32 v8, v8, v54
	v_sub_f32_e32 v9, v9, v51
	v_fma_f32 v50, v68, v16, -v50
	v_fmac_f32_e32 v17, v69, v16
	s_waitcnt lgkmcnt(0)
	v_mul_f32_e32 v16, v65, v5
	v_sub_f32_e32 v8, v8, v50
	v_sub_f32_e32 v9, v9, v17
	v_fma_f32 v50, v64, v4, -v16
	scratch_load_dwordx2 v[16:17], off, off offset:40
	scratch_load_dwordx2 v[74:75], off, off offset:48
	;; [unrolled: 1-line block ×5, first 2 shown]
	ds_read2_b64 v[68:71], v100 offset0:101 offset1:102
	v_mul_f32_e32 v51, v64, v5
	v_fmac_f32_e32 v51, v65, v4
	v_sub_f32_e32 v8, v8, v50
	v_sub_f32_e32 v9, v9, v51
	v_mul_f32_e32 v50, v63, v39
	v_mul_f32_e32 v51, v62, v39
	v_fma_f32 v50, v62, v38, -v50
	v_fmac_f32_e32 v51, v63, v38
	ds_read2_b64 v[62:65], v100 offset0:99 offset1:100
	v_sub_f32_e32 v9, v9, v51
	s_waitcnt lgkmcnt(1)
	v_mul_f32_e32 v51, v70, v35
	v_sub_f32_e32 v8, v8, v50
	v_mul_f32_e32 v50, v71, v35
	v_fmac_f32_e32 v51, v71, v34
	v_fma_f32 v50, v70, v34, -v50
	v_sub_f32_e32 v9, v9, v51
	v_mul_f32_e32 v51, v68, v43
	v_sub_f32_e32 v8, v8, v50
	v_mul_f32_e32 v50, v69, v43
	v_fmac_f32_e32 v51, v69, v42
	v_fma_f32 v50, v68, v42, -v50
	v_sub_f32_e32 v9, v9, v51
	s_waitcnt lgkmcnt(0)
	v_mul_f32_e32 v51, v64, v67
	v_sub_f32_e32 v8, v8, v50
	v_mul_f32_e32 v50, v65, v67
	v_fmac_f32_e32 v51, v65, v66
	v_fma_f32 v50, v64, v66, -v50
	v_sub_f32_e32 v51, v9, v51
	v_sub_f32_e32 v54, v8, v50
	v_mul_f32_e32 v8, v63, v51
	v_fma_f32 v50, v62, v54, -v8
	ds_read2_b32 v[8:9], v100 offset0:127 offset1:191
	ds_read2_b32 v[78:79], v100 offset0:189 offset1:190
	scratch_load_dwordx2 v[64:65], off, off offset:80
	scratch_load_dwordx2 v[92:93], off, off offset:88
	v_mul_f32_e32 v51, v62, v51
	v_fmac_f32_e32 v51, v63, v54
	s_waitcnt vmcnt(11) lgkmcnt(1)
	v_mul_f32_e32 v54, v9, v27
	s_waitcnt lgkmcnt(0)
	v_mul_f32_e32 v27, v79, v27
	v_fmac_f32_e32 v27, v9, v26
	v_fma_f32 v54, v79, v26, -v54
	v_sub_f32_e32 v79, v57, v27
	ds_read2_b32 v[26:27], v100 offset0:187 offset1:188
	v_sub_f32_e32 v9, v56, v54
	scratch_load_dwordx4 v[54:57], off, off offset:96
	scratch_load_dwordx4 v[68:71], off, off offset:112
	scratch_load_dwordx2 v[94:95], off, off offset:96
	scratch_load_dwordx4 v[88:91], off, off offset:152
	s_waitcnt vmcnt(14)
	v_mul_f32_e32 v62, v78, v13
	s_waitcnt lgkmcnt(0)
	v_fma_f32 v84, v27, v12, -v62
	ds_read2_b32 v[62:63], v100 offset0:185 offset1:186
	v_mul_f32_e32 v13, v27, v13
	v_fmac_f32_e32 v13, v78, v12
	s_waitcnt vmcnt(13)
	v_mul_f32_e32 v12, v26, v21
	v_sub_f32_e32 v27, v79, v13
	s_waitcnt lgkmcnt(0)
	v_fma_f32 v78, v63, v20, -v12
	ds_read2_b32 v[12:13], v100 offset0:183 offset1:184
	v_mul_f32_e32 v21, v63, v21
	v_fmac_f32_e32 v21, v26, v20
	s_waitcnt vmcnt(12)
	v_mul_f32_e32 v20, v62, v59
	v_sub_f32_e32 v26, v27, v21
	s_waitcnt lgkmcnt(0)
	v_fma_f32 v27, v13, v58, -v20
	ds_read2_b32 v[20:21], v100 offset0:181 offset1:182
	v_mul_f32_e32 v13, v13, v59
	v_sub_f32_e32 v9, v9, v84
	v_fmac_f32_e32 v13, v62, v58
	v_sub_f32_e32 v9, v9, v78
	v_sub_f32_e32 v13, v26, v13
	s_waitcnt vmcnt(11)
	v_mul_f32_e32 v26, v12, v73
	v_sub_f32_e32 v9, v9, v27
	s_waitcnt lgkmcnt(0)
	v_fma_f32 v58, v21, v72, -v26
	ds_read2_b32 v[26:27], v100 offset0:179 offset1:180
	v_mul_f32_e32 v21, v21, v73
	v_fmac_f32_e32 v21, v12, v72
	v_sub_f32_e32 v9, v9, v58
	s_waitcnt vmcnt(10)
	v_mul_f32_e32 v12, v20, v17
	v_sub_f32_e32 v21, v13, v21
	s_waitcnt lgkmcnt(0)
	v_fma_f32 v58, v27, v16, -v12
	ds_read2_b32 v[12:13], v100 offset0:177 offset1:178
	v_mul_f32_e32 v17, v27, v17
	v_fmac_f32_e32 v17, v20, v16
	s_waitcnt vmcnt(9)
	v_mul_f32_e32 v16, v26, v75
	v_sub_f32_e32 v20, v21, v17
	s_waitcnt lgkmcnt(0)
	v_fma_f32 v21, v13, v74, -v16
	ds_read2_b32 v[16:17], v100 offset0:175 offset1:176
	v_mul_f32_e32 v13, v13, v75
	v_fmac_f32_e32 v13, v26, v74
	v_sub_f32_e32 v9, v9, v58
	v_sub_f32_e32 v13, v20, v13
	s_waitcnt vmcnt(8)
	v_mul_f32_e32 v20, v12, v77
	v_sub_f32_e32 v9, v9, v21
	s_waitcnt lgkmcnt(0)
	v_fma_f32 v26, v17, v76, -v20
	ds_read2_b32 v[20:21], v100 offset0:173 offset1:174
	scratch_load_dwordx4 v[72:75], off, off offset:120
	v_mul_f32_e32 v17, v17, v77
	v_fmac_f32_e32 v17, v12, v76
	s_waitcnt vmcnt(8)
	v_mul_f32_e32 v12, v16, v81
	v_sub_f32_e32 v9, v9, v26
	v_sub_f32_e32 v17, v13, v17
	s_waitcnt lgkmcnt(0)
	v_fma_f32 v26, v21, v80, -v12
	ds_read2_b32 v[12:13], v100 offset0:171 offset1:172
	v_mul_f32_e32 v21, v21, v81
	scratch_load_dwordx4 v[76:79], off, off offset:128
	v_fmac_f32_e32 v21, v16, v80
	v_sub_f32_e32 v17, v17, v21
	s_waitcnt vmcnt(8)
	v_mul_f32_e32 v16, v20, v83
	s_waitcnt lgkmcnt(0)
	v_mul_f32_e32 v21, v13, v83
	v_fma_f32 v16, v13, v82, -v16
	v_fmac_f32_e32 v21, v20, v82
	scratch_load_dwordx4 v[80:83], off, off offset:136
	scratch_load_dwordx4 v[84:87], off, off offset:144
	v_sub_f32_e32 v9, v9, v26
	ds_read2_b32 v[26:27], v100 offset0:169 offset1:170
	ds_read2_b32 v[58:59], v100 offset0:167 offset1:168
	v_sub_f32_e32 v16, v9, v16
	s_waitcnt vmcnt(9)
	v_mul_f32_e32 v9, v12, v65
	ds_read2_b32 v[106:107], v100 offset0:163 offset1:164
	s_waitcnt lgkmcnt(2)
	v_fma_f32 v20, v27, v64, -v9
	v_mul_f32_e32 v13, v27, v65
	s_waitcnt vmcnt(8)
	v_mul_f32_e32 v9, v26, v93
	v_fmac_f32_e32 v13, v12, v64
	v_pk_add_f32 v[16:17], v[16:17], v[20:21] neg_lo:[0,1] neg_hi:[0,1]
	s_waitcnt lgkmcnt(1)
	v_fma_f32 v12, v59, v92, -v9
	v_pk_add_f32 v[12:13], v[16:17], v[12:13] neg_lo:[0,1] neg_hi:[0,1]
	ds_read2_b32 v[16:17], v100 offset0:165 offset1:166
	v_mov_b32_e32 v27, v92
	s_waitcnt vmcnt(5)
	v_mov_b32_e32 v92, v95
	v_mov_b32_e32 v99, v26
	;; [unrolled: 1-line block ×3, first 2 shown]
	s_waitcnt lgkmcnt(0)
	v_mov_b32_e32 v98, v17
	v_mul_f32_e32 v102, v17, v94
	v_pk_mul_f32 v[104:105], v[58:59], v[92:93]
	v_pk_fma_f32 v[92:93], v[58:59], v[92:93], v[102:103] op_sel_hi:[1,1,0] neg_lo:[1,0,0] neg_hi:[1,0,0]
	v_pk_fma_f32 v[26:27], v[98:99], v[26:27], v[104:105]
	v_mov_b32_e32 v97, v94
	v_mov_b32_e32 v94, v57
	;; [unrolled: 1-line block ×3, first 2 shown]
	v_pk_add_f32 v[12:13], v[12:13], v[92:93] neg_lo:[0,1] neg_hi:[0,1]
	v_pk_mul_f32 v[92:93], v[16:17], v[94:95]
	ds_read2_b32 v[94:95], v100 offset0:161 offset1:162
	v_mov_b32_e32 v20, v56
	v_mov_b32_e32 v21, v68
	;; [unrolled: 1-line block ×5, first 2 shown]
	v_pk_fma_f32 v[20:21], v[26:27], v[20:21], v[92:93] neg_lo:[0,0,1] neg_hi:[0,0,1]
	v_pk_fma_f32 v[26:27], v[26:27], v[96:97], v[92:93]
	v_mov_b32_e32 v58, v69
	v_mov_b32_e32 v59, v57
	;; [unrolled: 1-line block ×3, first 2 shown]
	v_pk_add_f32 v[12:13], v[12:13], v[20:21] neg_lo:[0,1] neg_hi:[0,1]
	s_waitcnt lgkmcnt(0)
	v_mov_b32_e32 v20, v95
	v_mov_b32_e32 v21, v16
	;; [unrolled: 1-line block ×4, first 2 shown]
	v_pk_mul_f32 v[56:57], v[106:107], v[58:59]
	ds_read2_b32 v[92:93], v100 offset0:159 offset1:160
	v_pk_fma_f32 v[58:59], v[20:21], v[16:17], v[56:57] neg_lo:[0,0,1] neg_hi:[0,0,1]
	v_pk_fma_f32 v[16:17], v[20:21], v[16:17], v[56:57]
	scratch_load_dwordx2 v[20:21], off, off offset:176
	v_mov_b32_e32 v59, v17
	v_pk_add_f32 v[12:13], v[12:13], v[58:59] neg_lo:[0,1] neg_hi:[0,1]
	ds_read2_b32 v[58:59], v100 offset0:157 offset1:158
	v_mov_b32_e32 v26, v71
	v_mov_b32_e32 v27, v69
	s_waitcnt lgkmcnt(1)
	v_mov_b32_e32 v16, v93
	v_mov_b32_e32 v17, v106
	;; [unrolled: 1-line block ×3, first 2 shown]
	v_pk_mul_f32 v[26:27], v[94:95], v[26:27]
	ds_read_b96 v[62:64], v100 offset:592
	v_pk_fma_f32 v[68:69], v[16:17], v[70:71], v[26:27] neg_lo:[0,0,1] neg_hi:[0,0,1]
	v_pk_fma_f32 v[16:17], v[16:17], v[70:71], v[26:27]
	s_waitcnt vmcnt(4)
	v_mov_b32_e32 v56, v75
	v_mov_b32_e32 v57, v73
	;; [unrolled: 1-line block ×3, first 2 shown]
	s_waitcnt lgkmcnt(1)
	v_mov_b32_e32 v16, v59
	v_mov_b32_e32 v17, v94
	v_mov_b32_e32 v75, v72
	v_pk_mul_f32 v[56:57], v[92:93], v[56:57]
	v_pk_add_f32 v[12:13], v[12:13], v[68:69] neg_lo:[0,1] neg_hi:[0,1]
	ds_read2_b32 v[68:69], v100 offset0:155 offset1:156
	v_pk_fma_f32 v[70:71], v[16:17], v[74:75], v[56:57] neg_lo:[0,0,1] neg_hi:[0,0,1]
	v_pk_fma_f32 v[16:17], v[16:17], v[74:75], v[56:57]
	s_waitcnt vmcnt(3)
	v_mov_b32_e32 v26, v79
	v_mov_b32_e32 v71, v17
	v_pk_add_f32 v[12:13], v[12:13], v[70:71] neg_lo:[0,1] neg_hi:[0,1]
	ds_read2_b32 v[70:71], v100 offset0:153 offset1:154
	v_mov_b32_e32 v27, v77
	s_waitcnt lgkmcnt(1)
	v_mov_b32_e32 v16, v69
	v_mov_b32_e32 v17, v92
	;; [unrolled: 1-line block ×3, first 2 shown]
	v_pk_mul_f32 v[26:27], v[58:59], v[26:27]
	s_waitcnt vmcnt(2)
	v_mov_b32_e32 v56, v83
	v_mov_b32_e32 v57, v81
	v_pk_fma_f32 v[72:73], v[16:17], v[78:79], v[26:27] neg_lo:[0,0,1] neg_hi:[0,0,1]
	v_pk_fma_f32 v[16:17], v[16:17], v[78:79], v[26:27]
	v_mov_b32_e32 v83, v80
	v_mov_b32_e32 v73, v17
	s_waitcnt lgkmcnt(0)
	v_mov_b32_e32 v16, v71
	v_mov_b32_e32 v17, v58
	v_pk_mul_f32 v[56:57], v[68:69], v[56:57]
	scratch_load_dwordx2 v[80:81], off, off
	v_pk_fma_f32 v[58:59], v[16:17], v[82:83], v[56:57] neg_lo:[0,0,1] neg_hi:[0,0,1]
	v_pk_fma_f32 v[16:17], v[16:17], v[82:83], v[56:57]
	ds_read2_b32 v[56:57], v100 offset0:151 offset1:152
	v_pk_add_f32 v[12:13], v[12:13], v[72:73] neg_lo:[0,1] neg_hi:[0,1]
	s_waitcnt vmcnt(2)
	v_mov_b32_e32 v26, v87
	v_mov_b32_e32 v27, v85
	;; [unrolled: 1-line block ×3, first 2 shown]
	v_pk_add_f32 v[12:13], v[12:13], v[58:59] neg_lo:[0,1] neg_hi:[0,1]
	v_mov_b32_e32 v16, v88
	v_mov_b32_e32 v17, v90
	s_waitcnt lgkmcnt(0)
	v_mov_b32_e32 v58, v57
	v_mov_b32_e32 v59, v68
	;; [unrolled: 1-line block ×3, first 2 shown]
	v_pk_mul_f32 v[26:27], v[70:71], v[26:27]
	v_mov_b32_e32 v71, v64
	scratch_load_dwordx2 v[82:83], off, off offset:8
	v_mov_b32_e32 v88, v91
	v_pk_fma_f32 v[68:69], v[58:59], v[86:87], v[26:27] neg_lo:[0,0,1] neg_hi:[0,0,1]
	v_pk_fma_f32 v[26:27], v[58:59], v[86:87], v[26:27]
	v_pk_mul_f32 v[16:17], v[70:71], v[16:17]
	v_mov_b32_e32 v69, v27
	v_pk_fma_f32 v[26:27], v[56:57], v[88:89], v[16:17] op_sel:[0,0,1] op_sel_hi:[1,1,0] neg_lo:[1,0,0] neg_hi:[1,0,0]
	v_pk_fma_f32 v[16:17], v[56:57], v[88:89], v[16:17] op_sel:[0,0,1] op_sel_hi:[1,1,0]
	v_pk_add_f32 v[12:13], v[12:13], v[68:69] neg_lo:[0,1] neg_hi:[0,1]
	v_mov_b32_e32 v27, v17
	v_mul_f32_e32 v9, v56, v90
	v_fmac_f32_e32 v9, v64, v91
	v_pk_add_f32 v[16:17], v[12:13], v[26:27] neg_lo:[0,1] neg_hi:[0,1]
	v_mul_f32_e32 v12, v63, v61
	v_sub_f32_e32 v9, v17, v9
	v_fma_f32 v17, v62, v60, -v12
	scratch_load_dwordx2 v[12:13], off, off offset:16
	ds_read_b128 v[56:59], v100 offset:576
	v_mul_f32_e32 v26, v62, v61
	v_fmac_f32_e32 v26, v63, v60
	v_sub_f32_e32 v27, v16, v17
	v_sub_f32_e32 v9, v9, v26
	s_waitcnt vmcnt(3) lgkmcnt(0)
	v_mul_f32_e32 v16, v59, v21
	ds_read_b128 v[76:79], v100 offset:528
	ds_read_b128 v[72:75], v100 offset:544
	;; [unrolled: 1-line block ×3, first 2 shown]
	v_fma_f32 v26, v58, v20, -v16
	scratch_load_dwordx2 v[16:17], off, off offset:24
	v_mul_f32_e32 v21, v58, v21
	v_fmac_f32_e32 v21, v59, v20
	v_mul_f32_e32 v20, v57, v5
	v_sub_f32_e32 v26, v27, v26
	v_sub_f32_e32 v9, v9, v21
	v_fma_f32 v27, v56, v4, -v20
	scratch_load_dwordx2 v[20:21], off, off offset:32
	v_mul_f32_e32 v56, v56, v5
	v_fmac_f32_e32 v56, v57, v4
	v_sub_f32_e32 v57, v26, v27
	s_waitcnt lgkmcnt(0)
	v_mul_f32_e32 v26, v63, v39
	v_sub_f32_e32 v9, v9, v56
	v_fma_f32 v56, v62, v38, -v26
	scratch_load_dwordx2 v[26:27], off, off offset:40
	v_mul_f32_e32 v58, v62, v39
	v_fmac_f32_e32 v58, v63, v38
	scratch_load_dwordx2 v[62:63], off, off offset:48
	scratch_load_dwordx2 v[70:71], off, off offset:56
	;; [unrolled: 1-line block ×4, first 2 shown]
	v_sub_f32_e32 v9, v9, v58
	v_mul_f32_e32 v58, v60, v35
	v_sub_f32_e32 v56, v57, v56
	v_mul_f32_e32 v57, v61, v35
	v_fmac_f32_e32 v58, v61, v34
	v_fma_f32 v57, v60, v34, -v57
	v_sub_f32_e32 v9, v9, v58
	v_mul_f32_e32 v58, v74, v43
	v_sub_f32_e32 v56, v56, v57
	v_mul_f32_e32 v57, v75, v43
	v_fmac_f32_e32 v58, v75, v42
	v_fma_f32 v57, v74, v42, -v57
	;; [unrolled: 6-line block ×3, first 2 shown]
	v_sub_f32_e32 v9, v9, v58
	v_mul_f32_e32 v58, v78, v51
	scratch_load_dwordx2 v[74:75], off, off offset:72
	v_sub_f32_e32 v56, v56, v57
	v_mul_f32_e32 v57, v79, v51
	v_fmac_f32_e32 v58, v79, v50
	v_fma_f32 v57, v78, v50, -v57
	v_sub_f32_e32 v9, v9, v58
	v_sub_f32_e32 v59, v56, v57
	v_mul_f32_e32 v56, v77, v9
	v_fma_f32 v60, v76, v59, -v56
	ds_read2_b32 v[56:57], v100 offset0:125 offset1:126
	v_mul_f32_e32 v61, v76, v9
	scratch_load_dwordx2 v[72:73], off, off offset:80
	v_fmac_f32_e32 v61, v77, v59
	ds_read2_b32 v[76:77], v100 offset0:123 offset1:124
	s_waitcnt vmcnt(11)
	v_mul_f32_e32 v9, v8, v81
	s_waitcnt lgkmcnt(1)
	v_fma_f32 v9, v57, v80, -v9
	v_mul_f32_e32 v57, v57, v81
	v_fmac_f32_e32 v57, v8, v80
	v_sub_f32_e32 v58, v30, v9
	s_waitcnt vmcnt(10)
	v_mul_f32_e32 v30, v56, v83
	scratch_load_dwordx2 v[8:9], off, off offset:96
	v_sub_f32_e32 v57, v31, v57
	s_waitcnt lgkmcnt(0)
	v_fma_f32 v59, v77, v82, -v30
	ds_read2_b32 v[30:31], v100 offset0:121 offset1:122
	v_mul_f32_e32 v78, v77, v83
	ds_write2_b64 v1, v[60:61], v[50:51] offset0:64 offset1:96
	v_fmac_f32_e32 v78, v56, v82
	v_sub_f32_e32 v77, v58, v59
	v_sub_f32_e32 v78, v57, v78
	s_waitcnt vmcnt(10)
	v_mul_f32_e32 v56, v76, v13
	s_waitcnt lgkmcnt(1)
	v_fma_f32 v79, v31, v12, -v56
	scratch_load_dwordx4 v[56:59], off, off offset:104
	scratch_load_dwordx4 v[80:83], off, off offset:120
	scratch_load_dwordx2 v[92:93], off, off offset:104
	ds_read2_b32 v[84:85], v100 offset0:119 offset1:120
	ds_read_b96 v[88:90], v100 offset:336
	v_mul_f32_e32 v13, v31, v13
	v_fmac_f32_e32 v13, v76, v12
	v_sub_f32_e32 v31, v77, v79
	s_waitcnt vmcnt(12)
	v_mul_f32_e32 v12, v30, v17
	v_sub_f32_e32 v76, v78, v13
	s_waitcnt lgkmcnt(1)
	v_fma_f32 v77, v85, v16, -v12
	ds_read2_b32 v[12:13], v100 offset0:117 offset1:118
	v_mul_f32_e32 v17, v85, v17
	v_fmac_f32_e32 v17, v30, v16
	v_sub_f32_e32 v30, v31, v77
	s_waitcnt vmcnt(11)
	v_mul_f32_e32 v16, v84, v21
	v_sub_f32_e32 v31, v76, v17
	s_waitcnt lgkmcnt(0)
	v_fma_f32 v76, v13, v20, -v16
	ds_read2_b32 v[16:17], v100 offset0:115 offset1:116
	v_mul_f32_e32 v13, v13, v21
	v_fmac_f32_e32 v13, v84, v20
	v_sub_f32_e32 v13, v31, v13
	s_waitcnt vmcnt(10)
	v_mul_f32_e32 v20, v12, v27
	s_waitcnt lgkmcnt(0)
	v_fma_f32 v31, v17, v26, -v20
	ds_read2_b32 v[20:21], v100 offset0:113 offset1:114
	v_mul_f32_e32 v17, v17, v27
	v_fmac_f32_e32 v17, v12, v26
	s_waitcnt vmcnt(9)
	v_mul_f32_e32 v12, v16, v63
	v_sub_f32_e32 v17, v13, v17
	s_waitcnt lgkmcnt(0)
	v_fma_f32 v27, v21, v62, -v12
	ds_read2_b32 v[12:13], v100 offset0:111 offset1:112
	v_sub_f32_e32 v30, v30, v76
	v_mul_f32_e32 v21, v21, v63
	v_sub_f32_e32 v26, v30, v31
	v_fmac_f32_e32 v21, v16, v62
	s_waitcnt vmcnt(8)
	v_mul_f32_e32 v16, v20, v71
	v_sub_f32_e32 v26, v26, v27
	v_sub_f32_e32 v21, v17, v21
	s_waitcnt lgkmcnt(0)
	v_fma_f32 v27, v13, v70, -v16
	ds_read2_b32 v[16:17], v100 offset0:109 offset1:110
	v_mul_f32_e32 v13, v13, v71
	v_fmac_f32_e32 v13, v20, v70
	s_waitcnt vmcnt(7)
	v_mul_f32_e32 v20, v12, v69
	v_sub_f32_e32 v26, v26, v27
	v_sub_f32_e32 v13, v21, v13
	s_waitcnt lgkmcnt(0)
	v_fma_f32 v27, v17, v68, -v20
	ds_read2_b32 v[20:21], v100 offset0:107 offset1:108
	v_mul_f32_e32 v17, v17, v69
	v_fmac_f32_e32 v17, v12, v68
	s_waitcnt vmcnt(5)
	v_mul_f32_e32 v12, v16, v75
	v_sub_f32_e32 v26, v26, v27
	v_sub_f32_e32 v17, v13, v17
	s_waitcnt lgkmcnt(0)
	v_fma_f32 v27, v21, v74, -v12
	ds_read2_b32 v[12:13], v100 offset0:105 offset1:106
	scratch_load_dwordx4 v[76:79], off, off offset:128
	v_mul_f32_e32 v21, v21, v75
	v_fmac_f32_e32 v21, v16, v74
	v_sub_f32_e32 v16, v26, v27
	ds_read2_b32 v[26:27], v100 offset0:103 offset1:104
	v_sub_f32_e32 v17, v17, v21
	s_waitcnt vmcnt(5)
	v_mul_f32_e32 v21, v20, v73
	s_waitcnt lgkmcnt(1)
	v_fma_f32 v30, v13, v72, -v21
	v_mul_f32_e32 v21, v13, v73
	scratch_load_dwordx4 v[68:71], off, off offset:136
	v_fmac_f32_e32 v21, v20, v72
	v_sub_f32_e32 v16, v16, v30
	scratch_load_dwordx4 v[72:75], off, off offset:144
	ds_read2_b32 v[30:31], v100 offset0:101 offset1:102
	ds_read_b64 v[94:95], v100 offset:328
	v_mul_f32_e32 v13, v12, v65
	s_waitcnt lgkmcnt(2)
	v_fma_f32 v20, v27, v64, -v13
	v_mul_f32_e32 v13, v27, v65
	v_fmac_f32_e32 v13, v12, v64
	s_waitcnt vmcnt(6)
	v_mul_f32_e32 v12, v26, v9
	v_pk_add_f32 v[16:17], v[16:17], v[20:21] neg_lo:[0,1] neg_hi:[0,1]
	s_waitcnt lgkmcnt(1)
	v_fma_f32 v12, v31, v8, -v12
	scratch_load_dwordx4 v[62:65], off, off offset:152
	scratch_load_dwordx4 v[84:87], off, off offset:160
	v_pk_add_f32 v[12:13], v[16:17], v[12:13] neg_lo:[0,1] neg_hi:[0,1]
	ds_read2_b32 v[16:17], v100 offset0:99 offset1:100
	v_mov_b32_e32 v27, v8
	v_mov_b32_e32 v103, v26
	ds_read2_b32 v[108:109], v100 offset0:97 offset1:98
	s_waitcnt vmcnt(5)
	v_mov_b32_e32 v8, v93
	s_waitcnt lgkmcnt(1)
	v_mov_b32_e32 v102, v17
	v_mov_b32_e32 v26, v92
	v_pk_mul_f32 v[106:107], v[30:31], v[8:9]
	v_mul_f32_e32 v104, v17, v92
	v_pk_fma_f32 v[26:27], v[102:103], v[26:27], v[106:107]
	scratch_load_dwordx2 v[102:103], off, off offset:176
	v_pk_fma_f32 v[8:9], v[30:31], v[8:9], v[104:105] op_sel_hi:[1,1,0] neg_lo:[1,0,0] neg_hi:[1,0,0]
	v_mov_b32_e32 v99, v92
	v_mov_b32_e32 v92, v59
	;; [unrolled: 1-line block ×3, first 2 shown]
	v_pk_add_f32 v[8:9], v[12:13], v[8:9] neg_lo:[0,1] neg_hi:[0,1]
	v_mov_b32_e32 v13, v30
	v_pk_mul_f32 v[30:31], v[16:17], v[92:93]
	ds_read2_b32 v[92:93], v100 offset0:95 offset1:96
	v_mov_b32_e32 v20, v58
	v_mov_b32_e32 v21, v80
	;; [unrolled: 1-line block ×3, first 2 shown]
	s_waitcnt lgkmcnt(1)
	v_mov_b32_e32 v12, v109
	v_pk_fma_f32 v[20:21], v[12:13], v[20:21], v[30:31] neg_lo:[0,0,1] neg_hi:[0,0,1]
	v_pk_fma_f32 v[12:13], v[12:13], v[98:99], v[30:31]
	ds_read2_b32 v[30:31], v100 offset0:93 offset1:94
	v_mov_b32_e32 v26, v81
	v_mov_b32_e32 v27, v59
	;; [unrolled: 1-line block ×3, first 2 shown]
	s_waitcnt lgkmcnt(1)
	v_mov_b32_e32 v12, v93
	v_mov_b32_e32 v13, v16
	;; [unrolled: 1-line block ×4, first 2 shown]
	v_pk_mul_f32 v[26:27], v[108:109], v[26:27]
	v_pk_add_f32 v[8:9], v[8:9], v[20:21] neg_lo:[0,1] neg_hi:[0,1]
	v_pk_fma_f32 v[58:59], v[12:13], v[16:17], v[26:27] neg_lo:[0,0,1] neg_hi:[0,0,1]
	v_pk_fma_f32 v[12:13], v[12:13], v[16:17], v[26:27]
	ds_read2_b32 v[26:27], v100 offset0:91 offset1:92
	v_mov_b32_e32 v20, v83
	v_mov_b32_e32 v21, v81
	v_mov_b32_e32 v59, v13
	s_waitcnt lgkmcnt(1)
	v_mov_b32_e32 v12, v31
	v_mov_b32_e32 v13, v108
	v_mov_b32_e32 v83, v80
	v_pk_mul_f32 v[20:21], v[92:93], v[20:21]
	v_pk_add_f32 v[8:9], v[8:9], v[58:59] neg_lo:[0,1] neg_hi:[0,1]
	v_pk_fma_f32 v[58:59], v[12:13], v[82:83], v[20:21] neg_lo:[0,0,1] neg_hi:[0,0,1]
	v_pk_fma_f32 v[12:13], v[12:13], v[82:83], v[20:21]
	v_mov_b32_e32 v96, v89
	v_mov_b32_e32 v59, v13
	v_pk_add_f32 v[8:9], v[8:9], v[58:59] neg_lo:[0,1] neg_hi:[0,1]
	s_waitcnt lgkmcnt(0)
	v_mov_b32_e32 v12, v27
	v_mov_b32_e32 v13, v92
	ds_read2_b32 v[58:59], v100 offset0:89 offset1:90
	v_mov_b32_e32 v97, v90
	s_waitcnt vmcnt(5)
	v_mov_b32_e32 v16, v79
	v_mov_b32_e32 v17, v77
	v_mov_b32_e32 v79, v76
	v_pk_mul_f32 v[16:17], v[30:31], v[16:17]
	s_waitcnt vmcnt(4)
	v_mov_b32_e32 v20, v71
	v_pk_fma_f32 v[76:77], v[12:13], v[78:79], v[16:17] neg_lo:[0,0,1] neg_hi:[0,0,1]
	v_pk_fma_f32 v[12:13], v[12:13], v[78:79], v[16:17]
	v_mov_b32_e32 v21, v69
	v_mov_b32_e32 v77, v13
	;; [unrolled: 1-line block ×3, first 2 shown]
	ds_read2_b32 v[30:31], v100 offset0:87 offset1:88
	s_waitcnt lgkmcnt(1)
	v_mov_b32_e32 v12, v59
	v_mov_b32_e32 v71, v68
	v_pk_mul_f32 v[20:21], v[26:27], v[20:21]
	s_waitcnt vmcnt(3)
	v_mov_b32_e32 v16, v75
	v_mov_b32_e32 v17, v73
	v_pk_fma_f32 v[68:69], v[12:13], v[70:71], v[20:21] neg_lo:[0,0,1] neg_hi:[0,0,1]
	v_pk_fma_f32 v[12:13], v[12:13], v[70:71], v[20:21]
	v_mov_b32_e32 v75, v72
	v_mov_b32_e32 v69, v13
	s_waitcnt lgkmcnt(0)
	v_mov_b32_e32 v12, v31
	v_mov_b32_e32 v13, v26
	v_pk_mul_f32 v[16:17], v[58:59], v[16:17]
	v_pk_add_f32 v[8:9], v[8:9], v[76:77] neg_lo:[0,1] neg_hi:[0,1]
	s_waitcnt vmcnt(2)
	v_mov_b32_e32 v20, v65
	v_mov_b32_e32 v21, v63
	v_pk_fma_f32 v[26:27], v[12:13], v[74:75], v[16:17] neg_lo:[0,0,1] neg_hi:[0,0,1]
	v_pk_fma_f32 v[12:13], v[12:13], v[74:75], v[16:17]
	v_pk_add_f32 v[8:9], v[8:9], v[68:69] neg_lo:[0,1] neg_hi:[0,1]
	v_mov_b32_e32 v27, v13
	s_waitcnt vmcnt(1)
	v_mov_b32_e32 v12, v84
	v_mov_b32_e32 v13, v86
	;; [unrolled: 1-line block ×5, first 2 shown]
	v_pk_mul_f32 v[20:21], v[30:31], v[20:21]
	v_mov_b32_e32 v31, v88
	v_pk_add_f32 v[8:9], v[8:9], v[26:27] neg_lo:[0,1] neg_hi:[0,1]
	v_mov_b32_e32 v84, v87
	v_pk_fma_f32 v[26:27], v[16:17], v[64:65], v[20:21] neg_lo:[0,0,1] neg_hi:[0,0,1]
	v_pk_fma_f32 v[16:17], v[16:17], v[64:65], v[20:21]
	v_pk_mul_f32 v[12:13], v[30:31], v[12:13]
	v_mov_b32_e32 v27, v17
	v_pk_fma_f32 v[16:17], v[96:97], v[84:85], v[12:13] op_sel:[0,0,1] op_sel_hi:[1,1,0] neg_lo:[1,0,0] neg_hi:[1,0,0]
	v_pk_fma_f32 v[12:13], v[96:97], v[84:85], v[12:13] op_sel:[0,0,1] op_sel_hi:[1,1,0]
	ds_read2_b64 v[62:65], v100 offset0:39 offset1:40
	v_pk_add_f32 v[8:9], v[8:9], v[26:27] neg_lo:[0,1] neg_hi:[0,1]
	v_mov_b32_e32 v17, v13
	v_mul_f32_e32 v12, v89, v86
	v_fmac_f32_e32 v12, v88, v87
	v_pk_add_f32 v[8:9], v[8:9], v[16:17] neg_lo:[0,1] neg_hi:[0,1]
	s_waitcnt vmcnt(0)
	v_mul_f32_e32 v13, v94, v103
	v_sub_f32_e32 v9, v9, v12
	v_mul_f32_e32 v12, v95, v103
	v_fma_f32 v12, v94, v102, -v12
	v_fmac_f32_e32 v13, v95, v102
	ds_read2_b64 v[68:71], v100 offset0:37 offset1:38
	v_sub_f32_e32 v8, v8, v12
	v_sub_f32_e32 v9, v9, v13
	s_waitcnt lgkmcnt(1)
	v_mul_f32_e32 v12, v65, v5
	v_mul_f32_e32 v13, v64, v5
	v_fma_f32 v12, v64, v4, -v12
	v_fmac_f32_e32 v13, v65, v4
	v_sub_f32_e32 v8, v8, v12
	v_sub_f32_e32 v9, v9, v13
	v_mul_f32_e32 v12, v63, v39
	v_mul_f32_e32 v13, v62, v39
	v_fma_f32 v12, v62, v38, -v12
	v_fmac_f32_e32 v13, v63, v38
	ds_read2_b64 v[62:65], v100 offset0:35 offset1:36
	v_sub_f32_e32 v8, v8, v12
	v_sub_f32_e32 v9, v9, v13
	s_waitcnt lgkmcnt(1)
	v_mul_f32_e32 v12, v71, v35
	v_mul_f32_e32 v13, v70, v35
	v_fma_f32 v12, v70, v34, -v12
	v_fmac_f32_e32 v13, v71, v34
	v_sub_f32_e32 v8, v8, v12
	v_sub_f32_e32 v9, v9, v13
	v_mul_f32_e32 v12, v69, v43
	;; [unrolled: 14-line block ×3, first 2 shown]
	v_mul_f32_e32 v13, v62, v51
	v_fma_f32 v12, v62, v50, -v12
	v_fmac_f32_e32 v13, v63, v50
	v_sub_f32_e32 v8, v8, v12
	v_sub_f32_e32 v9, v9, v13
	s_waitcnt lgkmcnt(0)
	v_mul_f32_e32 v12, v71, v61
	v_mul_f32_e32 v13, v70, v61
	v_fma_f32 v12, v70, v60, -v12
	v_fmac_f32_e32 v13, v71, v60
	v_sub_f32_e32 v8, v8, v12
	v_sub_f32_e32 v9, v9, v13
	ds_read_b32 v17, v100 offset:252
	ds_read2_b32 v[12:13], v100 offset0:61 offset1:62
	ds_read2_b32 v[26:27], v100 offset0:59 offset1:60
	;; [unrolled: 1-line block ×4, first 2 shown]
	v_mul_f32_e32 v16, v69, v9
	v_mul_f32_e32 v59, v68, v9
	v_fma_f32 v58, v68, v8, -v16
	v_fmac_f32_e32 v59, v69, v8
	s_waitcnt lgkmcnt(4)
	v_mul_f32_e32 v8, v17, v37
	s_waitcnt lgkmcnt(3)
	v_fma_f32 v8, v13, v36, -v8
	v_mul_f32_e32 v9, v13, v37
	v_fmac_f32_e32 v9, v17, v36
	v_sub_f32_e32 v13, v28, v8
	v_mul_f32_e32 v8, v12, v41
	v_sub_f32_e32 v17, v29, v9
	s_waitcnt lgkmcnt(2)
	v_fma_f32 v16, v27, v40, -v8
	ds_read2_b32 v[8:9], v100 offset0:57 offset1:58
	v_mul_f32_e32 v20, v27, v41
	v_fmac_f32_e32 v20, v12, v40
	v_mul_f32_e32 v12, v26, v45
	v_sub_f32_e32 v16, v13, v16
	v_sub_f32_e32 v17, v17, v20
	s_waitcnt lgkmcnt(0)
	v_fma_f32 v20, v9, v44, -v12
	ds_read2_b32 v[12:13], v100 offset0:55 offset1:56
	v_mul_f32_e32 v9, v9, v45
	v_fmac_f32_e32 v9, v26, v44
	v_sub_f32_e32 v20, v16, v20
	v_mul_f32_e32 v16, v8, v11
	v_sub_f32_e32 v9, v17, v9
	s_waitcnt lgkmcnt(0)
	v_fma_f32 v21, v13, v10, -v16
	ds_read2_b32 v[16:17], v100 offset0:53 offset1:54
	v_mul_f32_e32 v11, v13, v11
	v_fmac_f32_e32 v11, v8, v10
	v_mul_f32_e32 v8, v12, v19
	v_sub_f32_e32 v11, v9, v11
	s_waitcnt lgkmcnt(0)
	v_fma_f32 v13, v17, v18, -v8
	ds_read2_b32 v[8:9], v100 offset0:51 offset1:52
	v_sub_f32_e32 v10, v20, v21
	v_mul_f32_e32 v17, v17, v19
	v_fmac_f32_e32 v17, v12, v18
	v_sub_f32_e32 v12, v10, v13
	v_mul_f32_e32 v10, v16, v23
	v_sub_f32_e32 v13, v11, v17
	s_waitcnt lgkmcnt(0)
	v_fma_f32 v17, v9, v22, -v10
	ds_read2_b32 v[10:11], v100 offset0:49 offset1:50
	v_mul_f32_e32 v9, v9, v23
	v_fmac_f32_e32 v9, v16, v22
	v_sub_f32_e32 v12, v12, v17
	ds_read2_b32 v[16:17], v100 offset0:47 offset1:48
	v_sub_f32_e32 v9, v13, v9
	v_mul_f32_e32 v13, v8, v15
	s_waitcnt lgkmcnt(1)
	v_fma_f32 v13, v11, v14, -v13
	v_mul_f32_e32 v11, v11, v15
	scratch_load_dwordx4 v[26:29], off, off offset:128
	v_fmac_f32_e32 v11, v8, v14
	v_mul_f32_e32 v8, v10, v25
	v_sub_f32_e32 v12, v12, v13
	v_sub_f32_e32 v11, v9, v11
	s_waitcnt lgkmcnt(0)
	v_fma_f32 v13, v17, v24, -v8
	ds_read2_b32 v[8:9], v100 offset0:45 offset1:46
	v_mul_f32_e32 v14, v17, v25
	ds_read2_b32 v[20:21], v100 offset0:43 offset1:44
	v_fmac_f32_e32 v14, v10, v24
	v_sub_f32_e32 v10, v12, v13
	v_mul_f32_e32 v12, v16, v33
	s_waitcnt lgkmcnt(1)
	v_fma_f32 v17, v9, v32, -v12
	v_mul_f32_e32 v9, v9, v33
	v_fmac_f32_e32 v9, v16, v32
	v_sub_f32_e32 v10, v10, v17
	ds_read2_b32 v[16:17], v100 offset0:41 offset1:42
	v_sub_f32_e32 v11, v11, v14
	s_waitcnt lgkmcnt(1)
	v_mul_f32_e32 v18, v21, v47
	scratch_load_dwordx4 v[12:15], off, off offset:136
	v_sub_f32_e32 v9, v11, v9
	v_mul_f32_e32 v11, v8, v47
	v_fmac_f32_e32 v18, v8, v46
	v_fma_f32 v11, v21, v46, -v11
	v_sub_f32_e32 v22, v9, v18
	v_mul_f32_e32 v18, v20, v53
	v_sub_f32_e32 v21, v10, v11
	scratch_load_dwordx4 v[8:11], off, off offset:144
	s_waitcnt lgkmcnt(0)
	v_fma_f32 v23, v17, v52, -v18
	ds_read2_b32 v[18:19], v100 offset0:39 offset1:40
	v_mul_f32_e32 v17, v17, v53
	v_fmac_f32_e32 v17, v20, v52
	v_mul_f32_e32 v20, v16, v49
	v_sub_f32_e32 v24, v21, v23
	v_sub_f32_e32 v17, v22, v17
	s_waitcnt lgkmcnt(0)
	v_fma_f32 v25, v19, v48, -v20
	scratch_load_dwordx4 v[20:23], off, off offset:152
	v_mul_f32_e32 v33, v19, v49
	v_fmac_f32_e32 v33, v16, v48
	v_sub_f32_e32 v16, v24, v25
	ds_read2_b32 v[24:25], v100 offset0:35 offset1:36
	v_mul_f32_e32 v19, v18, v55
	v_fma_f32 v32, v31, v54, -v19
	v_mul_f32_e32 v37, v31, v55
	v_fmac_f32_e32 v37, v18, v54
	v_pk_add_f32 v[32:33], v[16:17], v[32:33] neg_lo:[0,1] neg_hi:[0,1]
	scratch_load_dwordx4 v[16:19], off, off offset:160
	v_mul_f32_e32 v31, v30, v57
	s_waitcnt lgkmcnt(0)
	v_fma_f32 v36, v25, v56, -v31
	v_pk_add_f32 v[46:47], v[32:33], v[36:37] neg_lo:[0,1] neg_hi:[0,1]
	v_mov_b32_e32 v49, v30
	scratch_load_dwordx4 v[30:33], off, off offset:168
	ds_read2_b32 v[36:37], v100 offset0:33 offset1:34
	v_mov_b32_e32 v53, v56
	v_mov_b32_e32 v56, v3
	;; [unrolled: 1-line block ×3, first 2 shown]
	v_pk_mul_f32 v[62:63], v[24:25], v[56:57]
	s_waitcnt lgkmcnt(0)
	v_mov_b32_e32 v48, v37
	v_mul_f32_e32 v54, v37, v2
	v_pk_fma_f32 v[48:49], v[48:49], v[52:53], v[62:63]
	ds_read2_b32 v[52:53], v100 offset0:29 offset1:30
	v_mov_b32_e32 v45, v2
	v_mov_b32_e32 v2, v7
	v_pk_fma_f32 v[54:55], v[24:25], v[56:57], v[54:55] op_sel_hi:[1,1,0] neg_lo:[1,0,0] neg_hi:[1,0,0]
	v_mov_b32_e32 v40, v6
	v_mov_b32_e32 v44, v6
	;; [unrolled: 1-line block ×5, first 2 shown]
	v_pk_mul_f32 v[2:3], v[36:37], v[2:3]
	v_pk_add_f32 v[46:47], v[46:47], v[54:55] neg_lo:[0,1] neg_hi:[0,1]
	v_mov_b32_e32 v25, v7
	v_mov_b32_e32 v37, v6
	ds_read2_b32 v[6:7], v100 offset0:27 offset1:28
	s_waitcnt vmcnt(5)
	v_mov_b32_e32 v41, v26
	v_pk_fma_f32 v[40:41], v[48:49], v[40:41], v[2:3] neg_lo:[0,0,1] neg_hi:[0,0,1]
	v_pk_fma_f32 v[2:3], v[48:49], v[44:45], v[2:3]
	v_mov_b32_e32 v24, v27
	v_mov_b32_e32 v41, v3
	v_pk_add_f32 v[2:3], v[46:47], v[40:41] neg_lo:[0,1] neg_hi:[0,1]
	s_waitcnt lgkmcnt(1)
	v_mov_b32_e32 v40, v53
	v_mov_b32_e32 v41, v36
	;; [unrolled: 1-line block ×3, first 2 shown]
	v_pk_mul_f32 v[24:25], v[64:65], v[24:25]
	v_mov_b32_e32 v44, v29
	v_pk_fma_f32 v[46:47], v[40:41], v[36:37], v[24:25] neg_lo:[0,0,1] neg_hi:[0,0,1]
	v_pk_fma_f32 v[24:25], v[40:41], v[36:37], v[24:25]
	v_mov_b32_e32 v45, v27
	v_mov_b32_e32 v47, v25
	v_pk_add_f32 v[24:25], v[2:3], v[46:47] neg_lo:[0,1] neg_hi:[0,1]
	ds_read2_b32 v[2:3], v100 offset0:25 offset1:26
	s_waitcnt lgkmcnt(1)
	v_mov_b32_e32 v36, v7
	v_mov_b32_e32 v37, v64
	v_mov_b32_e32 v29, v26
	v_pk_mul_f32 v[26:27], v[52:53], v[44:45]
	s_waitcnt vmcnt(4)
	v_mov_b32_e32 v40, v15
	v_pk_fma_f32 v[44:45], v[36:37], v[28:29], v[26:27] neg_lo:[0,0,1] neg_hi:[0,0,1]
	v_pk_fma_f32 v[26:27], v[36:37], v[28:29], v[26:27]
	ds_read2_b32 v[36:37], v100 offset0:23 offset1:24
	v_mov_b32_e32 v41, v13
	v_mov_b32_e32 v45, v27
	s_waitcnt lgkmcnt(1)
	v_mov_b32_e32 v26, v3
	v_mov_b32_e32 v27, v52
	;; [unrolled: 1-line block ×3, first 2 shown]
	v_pk_mul_f32 v[28:29], v[6:7], v[40:41]
	s_waitcnt vmcnt(3)
	v_mov_b32_e32 v12, v11
	v_mov_b32_e32 v13, v9
	v_pk_fma_f32 v[40:41], v[26:27], v[14:15], v[28:29] neg_lo:[0,0,1] neg_hi:[0,0,1]
	v_pk_fma_f32 v[14:15], v[26:27], v[14:15], v[28:29]
	v_pk_add_f32 v[24:25], v[24:25], v[44:45] neg_lo:[0,1] neg_hi:[0,1]
	v_mov_b32_e32 v41, v15
	v_mov_b32_e32 v11, v8
	v_pk_mul_f32 v[8:9], v[2:3], v[12:13]
	ds_read2_b32 v[12:13], v100 offset0:21 offset1:22
	v_pk_add_f32 v[14:15], v[24:25], v[40:41] neg_lo:[0,1] neg_hi:[0,1]
	s_waitcnt lgkmcnt(1)
	v_mov_b32_e32 v24, v37
	v_mov_b32_e32 v25, v6
	v_pk_fma_f32 v[26:27], v[24:25], v[10:11], v[8:9] neg_lo:[0,0,1] neg_hi:[0,0,1]
	v_pk_fma_f32 v[8:9], v[24:25], v[10:11], v[8:9]
	s_waitcnt vmcnt(2)
	v_mov_b32_e32 v6, v23
	v_mov_b32_e32 v27, v9
	;; [unrolled: 1-line block ×3, first 2 shown]
	v_pk_add_f32 v[8:9], v[14:15], v[26:27] neg_lo:[0,1] neg_hi:[0,1]
	ds_read2_b32 v[14:15], v100 offset0:19 offset1:20
	s_waitcnt lgkmcnt(1)
	v_mov_b32_e32 v10, v13
	v_mov_b32_e32 v11, v2
	;; [unrolled: 1-line block ×3, first 2 shown]
	v_pk_mul_f32 v[6:7], v[36:37], v[6:7]
	s_waitcnt vmcnt(1)
	v_mov_b32_e32 v2, v19
	v_pk_fma_f32 v[20:21], v[10:11], v[22:23], v[6:7] neg_lo:[0,0,1] neg_hi:[0,0,1]
	v_pk_fma_f32 v[6:7], v[10:11], v[22:23], v[6:7]
	v_mov_b32_e32 v3, v17
	v_mov_b32_e32 v21, v7
	v_pk_add_f32 v[10:11], v[8:9], v[20:21] neg_lo:[0,1] neg_hi:[0,1]
	ds_read_b96 v[6:8], v100 offset:64
	s_waitcnt lgkmcnt(1)
	v_mov_b32_e32 v20, v15
	v_mov_b32_e32 v21, v36
	;; [unrolled: 1-line block ×3, first 2 shown]
	v_pk_mul_f32 v[2:3], v[12:13], v[2:3]
	s_waitcnt vmcnt(0)
	v_mov_b32_e32 v16, v31
	v_pk_fma_f32 v[22:23], v[20:21], v[18:19], v[2:3] neg_lo:[0,0,1] neg_hi:[0,0,1]
	v_pk_fma_f32 v[2:3], v[20:21], v[18:19], v[2:3]
	v_mov_b32_e32 v17, v33
	v_mov_b32_e32 v23, v3
	v_pk_add_f32 v[2:3], v[10:11], v[22:23] neg_lo:[0,1] neg_hi:[0,1]
	v_pk_mul_f32 v[10:11], v[14:15], v[16:17] op_sel:[0,1] op_sel_hi:[1,0]
	v_mov_b32_e32 v9, v12
	v_mov_b32_e32 v12, v32
	;; [unrolled: 1-line block ×3, first 2 shown]
	s_waitcnt lgkmcnt(0)
	v_mov_b32_e32 v17, v8
	v_pk_fma_f32 v[18:19], v[8:9], v[12:13], v[10:11] neg_lo:[0,0,1] neg_hi:[0,0,1]
	v_pk_fma_f32 v[8:9], v[8:9], v[12:13], v[10:11]
	v_mov_b32_e32 v10, v5
	v_mov_b32_e32 v19, v9
	;; [unrolled: 1-line block ×6, first 2 shown]
	v_pk_mul_f32 v[8:9], v[8:9], v[10:11]
	v_mov_b32_e32 v32, v4
	v_mul_f32_e32 v5, v7, v5
	v_pk_add_f32 v[2:3], v[2:3], v[18:19] neg_lo:[0,1] neg_hi:[0,1]
	v_pk_fma_f32 v[8:9], v[16:17], v[32:33], v[8:9]
	v_fma_f32 v4, v6, v4, -v5
	v_sub_f32_e32 v18, v2, v4
	v_sub_f32_e32 v6, v3, v9
	ds_read_b128 v[2:5], v100 offset:48
	v_sub_f32_e32 v19, v6, v8
	ds_read_b128 v[6:9], v100
	ds_read_b128 v[10:13], v100 offset:16
	ds_read_b128 v[14:17], v100 offset:32
	s_waitcnt lgkmcnt(3)
	v_mul_f32_e32 v20, v5, v39
	v_fma_f32 v20, v4, v38, -v20
	v_mul_f32_e32 v4, v4, v39
	v_fmac_f32_e32 v4, v5, v38
	v_sub_f32_e32 v5, v18, v20
	v_mul_f32_e32 v18, v3, v35
	v_fma_f32 v18, v2, v34, -v18
	v_mul_f32_e32 v2, v2, v35
	v_sub_f32_e32 v4, v19, v4
	v_fmac_f32_e32 v2, v3, v34
	v_sub_f32_e32 v3, v5, v18
	v_sub_f32_e32 v2, v4, v2
	s_waitcnt lgkmcnt(0)
	v_mul_f32_e32 v4, v17, v43
	v_mul_f32_e32 v5, v16, v43
	v_fma_f32 v4, v16, v42, -v4
	v_fmac_f32_e32 v5, v17, v42
	v_sub_f32_e32 v3, v3, v4
	v_sub_f32_e32 v2, v2, v5
	v_mul_f32_e32 v4, v15, v67
	v_mul_f32_e32 v5, v14, v67
	v_fma_f32 v4, v14, v66, -v4
	v_fmac_f32_e32 v5, v15, v66
	v_sub_f32_e32 v3, v3, v4
	v_sub_f32_e32 v2, v2, v5
	;; [unrolled: 6-line block ×4, first 2 shown]
	v_mul_f32_e32 v5, v8, v59
	v_mul_f32_e32 v2, v9, v59
	v_fmac_f32_e32 v5, v9, v58
	v_fma_f32 v2, v8, v58, -v2
	v_sub_f32_e32 v4, v4, v5
	v_sub_f32_e32 v2, v3, v2
	v_pk_mul_f32 v[4:5], v[6:7], v[4:5] op_sel:[1,0] op_sel_hi:[0,0]
	v_pk_fma_f32 v[8:9], v[6:7], v[2:3], v[4:5] neg_lo:[0,0,1] neg_hi:[0,0,1]
	v_pk_fma_f32 v[2:3], v[6:7], v[2:3], v[4:5] op_sel_hi:[1,0,1]
	s_nop 0
	v_mov_b32_e32 v9, v3
	ds_write2_b64 v1, v[8:9], v[58:59] offset1:32
.LBB170_26:
	s_cmp_gt_i32 s10, -1
	s_cbranch_scc0 .LBB170_53
; %bb.27:
	s_cmp_lt_u32 s10, 27
	s_cbranch_scc1 .LBB170_35
; %bb.28:
	s_lshl_b32 s11, s10, 8
	v_add_u32_e32 v62, s11, v1
	v_add_u32_e32 v2, 0xffffff00, v62
	;; [unrolled: 1-line block ×4, first 2 shown]
	ds_read_b64 v[6:7], v62
	ds_read_b64 v[8:9], v2
	;; [unrolled: 1-line block ×4, first 2 shown]
	v_add_u32_e32 v18, 0xfffff600, v62
	v_add_u32_e32 v20, 0xfffff500, v62
	s_waitcnt lgkmcnt(2)
	scratch_store_dwordx4 off, v[6:9], off
	s_waitcnt lgkmcnt(0)
	scratch_store_dwordx4 off, v[2:5], off offset:16
	v_add_u32_e32 v6, 0xfffffc00, v62
	v_add_u32_e32 v7, 0xfffffb00, v62
	ds_read_b64 v[10:11], v6
	ds_read_b64 v[12:13], v7
	v_add_u32_e32 v6, 0xfffffa00, v62
	v_add_u32_e32 v7, 0xfffff900, v62
	ds_read_b64 v[14:15], v6
	ds_read_b64 v[16:17], v7
	v_add_u32_e32 v6, 0xfffff800, v62
	s_waitcnt lgkmcnt(2)
	scratch_store_dwordx4 off, v[10:13], off offset:32
	v_add_u32_e32 v7, 0xfffff700, v62
	ds_read_b64 v[22:23], v6
	ds_read_b64 v[24:25], v7
	;; [unrolled: 1-line block ×4, first 2 shown]
	v_add_u32_e32 v6, 0xfffff400, v62
	v_add_u32_e32 v26, 0xfffff200, v62
	;; [unrolled: 1-line block ×4, first 2 shown]
	ds_read_b64 v[30:31], v6
	ds_read_b64 v[32:33], v7
	;; [unrolled: 1-line block ×4, first 2 shown]
	s_waitcnt lgkmcnt(8)
	scratch_store_dwordx4 off, v[14:17], off offset:48
	s_waitcnt lgkmcnt(6)
	scratch_store_dwordx4 off, v[22:25], off offset:64
	;; [unrolled: 2-line block ×5, first 2 shown]
	v_add_u32_e32 v6, 0xfffff000, v62
	v_add_u32_e32 v7, 0xffffef00, v62
	ds_read_b64 v[34:35], v6
	ds_read_b64 v[36:37], v7
	v_add_u32_e32 v6, 0xffffee00, v62
	v_add_u32_e32 v7, 0xffffed00, v62
	ds_read_b64 v[38:39], v6
	ds_read_b64 v[40:41], v7
	v_add_u32_e32 v6, 0xffffec00, v62
	s_waitcnt lgkmcnt(2)
	scratch_store_dwordx4 off, v[34:37], off offset:128
	v_add_u32_e32 v7, 0xffffeb00, v62
	v_add_u32_e32 v46, 0xffffea00, v62
	;; [unrolled: 1-line block ×3, first 2 shown]
	ds_read_b64 v[42:43], v6
	ds_read_b64 v[44:45], v7
	;; [unrolled: 1-line block ×4, first 2 shown]
	v_add_u32_e32 v6, 0xffffe800, v62
	v_add_u32_e32 v7, 0xffffe700, v62
	;; [unrolled: 1-line block ×4, first 2 shown]
	ds_read_b64 v[56:57], v6
	ds_read_b64 v[54:55], v7
	;; [unrolled: 1-line block ×4, first 2 shown]
	s_cmp_gt_i32 s7, s10
	s_waitcnt lgkmcnt(8)
	scratch_store_dwordx4 off, v[38:41], off offset:144
	s_waitcnt lgkmcnt(6)
	scratch_store_dwordx4 off, v[42:45], off offset:160
	s_waitcnt lgkmcnt(5)
	scratch_store_dwordx2 off, v[60:61], off offset:176
	s_cbranch_scc1 .LBB170_30
; %bb.29:
	scratch_load_dwordx4 v[46:49], off, off
	scratch_load_dwordx2 v[6:7], off, off offset:16
	s_cbranch_execz .LBB170_31
	s_branch .LBB170_34
.LBB170_30:
                                        ; implicit-def: $vgpr47
                                        ; implicit-def: $vgpr6
.LBB170_31:
	scratch_load_dwordx2 v[6:7], off, off
	s_waitcnt vmcnt(2)
	v_lshlrev_b32_e32 v46, 3, v0
	s_lshl_b32 s4, s28, 3
	v_lshl_or_b32 v46, s28, 8, v46
	s_add_i32 s4, s11, s4
	v_add_u32_e32 v48, 0x1f00, v46
	s_addk_i32 s4, 0xe4f8
	s_mov_b32 s5, s7
.LBB170_32:                             ; =>This Inner Loop Header: Depth=1
	v_mov_b32_e32 v49, s4
	ds_read_b64 v[46:47], v48
	v_add_u32_e32 v100, 0x1000, v49
	v_add_u32_e32 v63, 0x1800, v49
	;; [unrolled: 1-line block ×3, first 2 shown]
	ds_read2_b64 v[64:67], v49 offset0:192 offset1:224
	ds_read2_b64 v[68:71], v49 offset0:128 offset1:160
	;; [unrolled: 1-line block ×3, first 2 shown]
	ds_read2_b64 v[76:79], v49 offset1:32
	ds_read2_b64 v[80:83], v63 offset0:64 offset1:96
	ds_read2_b64 v[84:87], v63 offset1:32
	ds_read2_b64 v[88:91], v100 offset0:192 offset1:224
	ds_read2_b64 v[92:95], v100 offset0:128 offset1:160
	ds_read2_b64 v[96:99], v100 offset0:64 offset1:96
	ds_read2_b64 v[100:103], v100 offset1:32
	ds_read2_b64 v[104:107], v172 offset0:192 offset1:224
	ds_read2_b64 v[108:111], v172 offset0:128 offset1:160
	;; [unrolled: 1-line block ×3, first 2 shown]
	s_waitcnt lgkmcnt(12)
	v_pk_mul_f32 v[118:119], v[64:65], v[46:47] op_sel:[0,1]
	s_waitcnt lgkmcnt(11)
	v_pk_mul_f32 v[120:121], v[70:71], v[46:47] op_sel:[0,1]
	v_pk_mul_f32 v[122:123], v[68:69], v[46:47] op_sel:[0,1]
	s_waitcnt lgkmcnt(10)
	v_pk_mul_f32 v[124:125], v[74:75], v[46:47] op_sel:[0,1]
	;; [unrolled: 3-line block ×11, first 2 shown]
	v_pk_mul_f32 v[162:163], v[108:109], v[46:47] op_sel:[0,1]
	v_pk_fma_f32 v[166:167], v[64:65], v[46:47], v[118:119] op_sel:[0,0,1] op_sel_hi:[1,1,0] neg_lo:[0,0,1] neg_hi:[0,0,1]
	v_pk_fma_f32 v[118:119], v[64:65], v[46:47], v[118:119] op_sel:[0,0,1] op_sel_hi:[1,0,0]
	s_waitcnt lgkmcnt(0)
	v_pk_mul_f32 v[64:65], v[114:115], v[46:47] op_sel:[0,1]
	v_pk_mul_f32 v[116:117], v[66:67], v[46:47] op_sel:[0,1]
	v_pk_fma_f32 v[168:169], v[70:71], v[46:47], v[120:121] op_sel:[0,0,1] op_sel_hi:[1,1,0] neg_lo:[0,0,1] neg_hi:[0,0,1]
	v_pk_fma_f32 v[70:71], v[70:71], v[46:47], v[120:121] op_sel:[0,0,1] op_sel_hi:[1,0,0]
	v_pk_fma_f32 v[120:121], v[68:69], v[46:47], v[122:123] op_sel:[0,0,1] op_sel_hi:[1,1,0] neg_lo:[0,0,1] neg_hi:[0,0,1]
	v_pk_fma_f32 v[68:69], v[68:69], v[46:47], v[122:123] op_sel:[0,0,1] op_sel_hi:[1,0,0]
	v_pk_fma_f32 v[122:123], v[74:75], v[46:47], v[124:125] op_sel:[0,0,1] op_sel_hi:[1,1,0] neg_lo:[0,0,1] neg_hi:[0,0,1]
	v_pk_fma_f32 v[74:75], v[74:75], v[46:47], v[124:125] op_sel:[0,0,1] op_sel_hi:[1,0,0]
	v_pk_fma_f32 v[124:125], v[72:73], v[46:47], v[126:127] op_sel:[0,0,1] op_sel_hi:[1,1,0] neg_lo:[0,0,1] neg_hi:[0,0,1]
	v_pk_fma_f32 v[72:73], v[72:73], v[46:47], v[126:127] op_sel:[0,0,1] op_sel_hi:[1,0,0]
	v_pk_fma_f32 v[126:127], v[78:79], v[46:47], v[128:129] op_sel:[0,0,1] op_sel_hi:[1,1,0] neg_lo:[0,0,1] neg_hi:[0,0,1]
	v_pk_fma_f32 v[78:79], v[78:79], v[46:47], v[128:129] op_sel:[0,0,1] op_sel_hi:[1,0,0]
	v_pk_fma_f32 v[128:129], v[76:77], v[46:47], v[130:131] op_sel:[0,0,1] op_sel_hi:[1,1,0] neg_lo:[0,0,1] neg_hi:[0,0,1]
	v_pk_fma_f32 v[76:77], v[76:77], v[46:47], v[130:131] op_sel:[0,0,1] op_sel_hi:[1,0,0]
	v_pk_fma_f32 v[130:131], v[82:83], v[46:47], v[132:133] op_sel:[0,0,1] op_sel_hi:[1,1,0] neg_lo:[0,0,1] neg_hi:[0,0,1]
	v_pk_fma_f32 v[82:83], v[82:83], v[46:47], v[132:133] op_sel:[0,0,1] op_sel_hi:[1,0,0]
	v_pk_fma_f32 v[132:133], v[80:81], v[46:47], v[134:135] op_sel:[0,0,1] op_sel_hi:[1,1,0] neg_lo:[0,0,1] neg_hi:[0,0,1]
	v_pk_fma_f32 v[80:81], v[80:81], v[46:47], v[134:135] op_sel:[0,0,1] op_sel_hi:[1,0,0]
	v_pk_fma_f32 v[134:135], v[86:87], v[46:47], v[136:137] op_sel:[0,0,1] op_sel_hi:[1,1,0] neg_lo:[0,0,1] neg_hi:[0,0,1]
	v_pk_fma_f32 v[86:87], v[86:87], v[46:47], v[136:137] op_sel:[0,0,1] op_sel_hi:[1,0,0]
	v_pk_fma_f32 v[136:137], v[84:85], v[46:47], v[138:139] op_sel:[0,0,1] op_sel_hi:[1,1,0] neg_lo:[0,0,1] neg_hi:[0,0,1]
	v_pk_fma_f32 v[84:85], v[84:85], v[46:47], v[138:139] op_sel:[0,0,1] op_sel_hi:[1,0,0]
	v_pk_fma_f32 v[138:139], v[90:91], v[46:47], v[140:141] op_sel:[0,0,1] op_sel_hi:[1,1,0] neg_lo:[0,0,1] neg_hi:[0,0,1]
	v_pk_fma_f32 v[90:91], v[90:91], v[46:47], v[140:141] op_sel:[0,0,1] op_sel_hi:[1,0,0]
	v_pk_fma_f32 v[140:141], v[88:89], v[46:47], v[142:143] op_sel:[0,0,1] op_sel_hi:[1,1,0] neg_lo:[0,0,1] neg_hi:[0,0,1]
	v_pk_fma_f32 v[88:89], v[88:89], v[46:47], v[142:143] op_sel:[0,0,1] op_sel_hi:[1,0,0]
	v_pk_fma_f32 v[142:143], v[94:95], v[46:47], v[144:145] op_sel:[0,0,1] op_sel_hi:[1,1,0] neg_lo:[0,0,1] neg_hi:[0,0,1]
	v_pk_fma_f32 v[94:95], v[94:95], v[46:47], v[144:145] op_sel:[0,0,1] op_sel_hi:[1,0,0]
	v_pk_fma_f32 v[144:145], v[92:93], v[46:47], v[146:147] op_sel:[0,0,1] op_sel_hi:[1,1,0] neg_lo:[0,0,1] neg_hi:[0,0,1]
	v_pk_fma_f32 v[92:93], v[92:93], v[46:47], v[146:147] op_sel:[0,0,1] op_sel_hi:[1,0,0]
	v_pk_fma_f32 v[146:147], v[98:99], v[46:47], v[148:149] op_sel:[0,0,1] op_sel_hi:[1,1,0] neg_lo:[0,0,1] neg_hi:[0,0,1]
	v_pk_fma_f32 v[98:99], v[98:99], v[46:47], v[148:149] op_sel:[0,0,1] op_sel_hi:[1,0,0]
	v_pk_fma_f32 v[148:149], v[96:97], v[46:47], v[150:151] op_sel:[0,0,1] op_sel_hi:[1,1,0] neg_lo:[0,0,1] neg_hi:[0,0,1]
	v_pk_fma_f32 v[96:97], v[96:97], v[46:47], v[150:151] op_sel:[0,0,1] op_sel_hi:[1,0,0]
	v_pk_fma_f32 v[150:151], v[102:103], v[46:47], v[152:153] op_sel:[0,0,1] op_sel_hi:[1,1,0] neg_lo:[0,0,1] neg_hi:[0,0,1]
	v_pk_fma_f32 v[102:103], v[102:103], v[46:47], v[152:153] op_sel:[0,0,1] op_sel_hi:[1,0,0]
	v_pk_fma_f32 v[152:153], v[100:101], v[46:47], v[154:155] op_sel:[0,0,1] op_sel_hi:[1,1,0] neg_lo:[0,0,1] neg_hi:[0,0,1]
	v_pk_fma_f32 v[100:101], v[100:101], v[46:47], v[154:155] op_sel:[0,0,1] op_sel_hi:[1,0,0]
	v_pk_fma_f32 v[154:155], v[106:107], v[46:47], v[156:157] op_sel:[0,0,1] op_sel_hi:[1,1,0] neg_lo:[0,0,1] neg_hi:[0,0,1]
	v_pk_fma_f32 v[106:107], v[106:107], v[46:47], v[156:157] op_sel:[0,0,1] op_sel_hi:[1,0,0]
	v_pk_fma_f32 v[156:157], v[104:105], v[46:47], v[158:159] op_sel:[0,0,1] op_sel_hi:[1,1,0] neg_lo:[0,0,1] neg_hi:[0,0,1]
	v_pk_fma_f32 v[104:105], v[104:105], v[46:47], v[158:159] op_sel:[0,0,1] op_sel_hi:[1,0,0]
	v_pk_fma_f32 v[158:159], v[110:111], v[46:47], v[160:161] op_sel:[0,0,1] op_sel_hi:[1,1,0] neg_lo:[0,0,1] neg_hi:[0,0,1]
	v_pk_fma_f32 v[110:111], v[110:111], v[46:47], v[160:161] op_sel:[0,0,1] op_sel_hi:[1,0,0]
	v_pk_fma_f32 v[160:161], v[108:109], v[46:47], v[162:163] op_sel:[0,0,1] op_sel_hi:[1,1,0] neg_lo:[0,0,1] neg_hi:[0,0,1]
	v_pk_fma_f32 v[108:109], v[108:109], v[46:47], v[162:163] op_sel:[0,0,1] op_sel_hi:[1,0,0]
	v_pk_fma_f32 v[162:163], v[114:115], v[46:47], v[64:65] op_sel:[0,0,1] op_sel_hi:[1,1,0] neg_lo:[0,0,1] neg_hi:[0,0,1]
	v_pk_fma_f32 v[114:115], v[114:115], v[46:47], v[64:65] op_sel:[0,0,1] op_sel_hi:[1,0,0]
	v_pk_mul_f32 v[64:65], v[112:113], v[46:47] op_sel:[0,1]
	v_pk_fma_f32 v[164:165], v[66:67], v[46:47], v[116:117] op_sel:[0,0,1] op_sel_hi:[1,1,0] neg_lo:[0,0,1] neg_hi:[0,0,1]
	v_pk_fma_f32 v[116:117], v[66:67], v[46:47], v[116:117] op_sel:[0,0,1] op_sel_hi:[1,0,0]
	v_pk_fma_f32 v[170:171], v[112:113], v[46:47], v[64:65] op_sel:[0,0,1] op_sel_hi:[1,1,0] neg_lo:[0,0,1] neg_hi:[0,0,1]
	v_pk_fma_f32 v[112:113], v[112:113], v[46:47], v[64:65] op_sel:[0,0,1] op_sel_hi:[1,0,0]
	ds_read2_b64 v[64:67], v172 offset1:32
	v_mov_b32_e32 v165, v117
	v_mov_b32_e32 v167, v119
	;; [unrolled: 1-line block ×3, first 2 shown]
	s_add_i32 s5, s5, -1
	s_waitcnt lgkmcnt(0)
	v_pk_mul_f32 v[172:173], v[66:67], v[46:47] op_sel:[0,1]
	s_add_i32 s4, s4, -8
	v_pk_fma_f32 v[174:175], v[66:67], v[46:47], v[172:173] op_sel:[0,0,1] op_sel_hi:[1,1,0] neg_lo:[0,0,1] neg_hi:[0,0,1]
	v_pk_fma_f32 v[66:67], v[66:67], v[46:47], v[172:173] op_sel:[0,0,1] op_sel_hi:[1,0,0]
	v_pk_mul_f32 v[172:173], v[64:65], v[46:47] op_sel:[0,1]
	v_mov_b32_e32 v121, v69
	v_pk_fma_f32 v[176:177], v[64:65], v[46:47], v[172:173] op_sel:[0,0,1] op_sel_hi:[1,1,0] neg_lo:[0,0,1] neg_hi:[0,0,1]
	v_pk_fma_f32 v[46:47], v[64:65], v[46:47], v[172:173] op_sel:[0,0,1] op_sel_hi:[1,0,0]
	v_mov_b32_e32 v123, v75
	v_mov_b32_e32 v125, v73
	;; [unrolled: 1-line block ×24, first 2 shown]
	v_add_u32_e32 v48, 0xffffff00, v48
	s_cmp_gt_i32 s5, s10
	v_pk_add_f32 v[42:43], v[42:43], v[164:165] neg_lo:[0,1] neg_hi:[0,1]
	v_pk_add_f32 v[44:45], v[44:45], v[166:167] neg_lo:[0,1] neg_hi:[0,1]
	;; [unrolled: 1-line block ×8, first 2 shown]
	s_waitcnt vmcnt(0)
	v_pk_add_f32 v[6:7], v[6:7], v[130:131] neg_lo:[0,1] neg_hi:[0,1]
	v_pk_add_f32 v[8:9], v[8:9], v[132:133] neg_lo:[0,1] neg_hi:[0,1]
	;; [unrolled: 1-line block ×20, first 2 shown]
	s_cbranch_scc1 .LBB170_32
; %bb.33:
	scratch_store_dwordx4 off, v[6:9], off
	scratch_store_dwordx4 off, v[2:5], off offset:16
	scratch_store_dwordx4 off, v[10:13], off offset:32
	;; [unrolled: 1-line block ×10, first 2 shown]
	scratch_store_dwordx2 off, v[60:61], off offset:176
	v_mov_b32_e32 v47, v7
	v_mov_b32_e32 v46, v6
	;; [unrolled: 1-line block ×6, first 2 shown]
.LBB170_34:
	s_mul_i32 s4, s10, 0x108
	v_mov_b32_e32 v2, s4
	ds_read_b64 v[4:5], v2
	s_add_i32 s5, s10, -1
	s_lshl_b32 s12, s5, 8
	s_lshl_b32 s5, s5, 3
	s_add_i32 s5, s12, s5
	s_waitcnt vmcnt(1) lgkmcnt(0)
	v_mul_f32_e32 v2, v5, v47
	v_fma_f32 v2, v4, v46, -v2
	v_mul_f32_e32 v3, v4, v47
	v_mov_b32_e32 v4, s5
	ds_read2_b64 v[8:11], v4 offset1:1
	v_fmac_f32_e32 v3, v5, v46
	s_lshl_b32 s5, s10, 3
	scratch_store_dwordx2 off, v[2:3], off
	ds_write_b64 v62, v[2:3]
	s_waitcnt lgkmcnt(1)
	v_mul_f32_e32 v5, v10, v3
	v_mul_f32_e32 v4, v11, v3
	v_fmac_f32_e32 v5, v11, v2
	v_fma_f32 v4, v10, v2, -v4
	v_sub_f32_e32 v5, v49, v5
	v_sub_f32_e32 v10, v48, v4
	v_mul_f32_e32 v4, v9, v5
	v_fma_f32 v4, v8, v10, -v4
	v_mul_f32_e32 v5, v8, v5
	v_add_u32_e32 v8, s12, v1
	s_add_i32 s12, s10, -2
	s_lshl_b32 s13, s12, 8
	v_fmac_f32_e32 v5, v9, v10
	s_add_i32 s14, s13, s5
	ds_write_b64 v8, v[4:5]
	v_mov_b32_e32 v8, s14
	ds_read_b64 v[8:9], v8
	s_lshl_b32 s12, s12, 3
	s_add_i32 s12, s13, s12
	scratch_store_dwordx2 off, v[4:5], off offset:8
	s_waitcnt lgkmcnt(0)
	v_mul_f32_e32 v10, v9, v3
	v_fma_f32 v10, v8, v2, -v10
	v_mul_f32_e32 v8, v8, v3
	v_fmac_f32_e32 v8, v9, v2
	s_waitcnt vmcnt(2)
	v_sub_f32_e32 v7, v7, v8
	v_mov_b32_e32 v8, s12
	v_sub_f32_e32 v6, v6, v10
	ds_read2_b64 v[8:11], v8 offset1:1
	s_add_i32 s12, s10, -3
	s_waitcnt lgkmcnt(0)
	v_mul_f32_e32 v12, v11, v5
	v_fma_f32 v12, v10, v4, -v12
	v_mul_f32_e32 v10, v10, v5
	v_fmac_f32_e32 v10, v11, v4
	v_sub_f32_e32 v7, v7, v10
	v_sub_f32_e32 v11, v6, v12
	v_mul_f32_e32 v6, v9, v7
	v_mul_f32_e32 v7, v8, v7
	v_fma_f32 v6, v8, v11, -v6
	v_fmac_f32_e32 v7, v9, v11
	v_add_u32_e32 v8, s13, v1
	ds_write_b64 v8, v[6:7]
	scratch_load_dwordx4 v[8:11], off, off offset:24
	s_lshl_b32 s13, s12, 8
	s_add_i32 s14, s13, s5
	s_add_i32 s14, s14, -8
	v_mov_b32_e32 v12, s14
	ds_read2_b64 v[12:15], v12 offset1:1
	s_lshl_b32 s12, s12, 3
	s_add_i32 s12, s13, s12
	scratch_store_dwordx2 off, v[6:7], off offset:16
	s_waitcnt lgkmcnt(0)
	v_mul_f32_e32 v16, v15, v3
	v_fma_f32 v16, v14, v2, -v16
	v_mul_f32_e32 v14, v14, v3
	v_fmac_f32_e32 v14, v15, v2
	s_waitcnt vmcnt(1)
	v_sub_f32_e32 v9, v9, v14
	v_mul_f32_e32 v14, v13, v5
	v_fma_f32 v14, v12, v4, -v14
	v_mul_f32_e32 v12, v12, v5
	v_fmac_f32_e32 v12, v13, v4
	v_sub_f32_e32 v8, v8, v16
	v_sub_f32_e32 v9, v9, v12
	v_mov_b32_e32 v12, s12
	v_sub_f32_e32 v8, v8, v14
	ds_read2_b64 v[12:15], v12 offset1:1
	s_add_i32 s12, s10, -4
	s_waitcnt lgkmcnt(0)
	v_mul_f32_e32 v16, v15, v7
	v_fma_f32 v16, v14, v6, -v16
	v_mul_f32_e32 v14, v14, v7
	v_fmac_f32_e32 v14, v15, v6
	v_sub_f32_e32 v9, v9, v14
	v_sub_f32_e32 v15, v8, v16
	v_mul_f32_e32 v8, v13, v9
	v_fma_f32 v8, v12, v15, -v8
	v_mul_f32_e32 v9, v12, v9
	v_add_u32_e32 v12, s13, v1
	s_lshl_b32 s13, s12, 8
	v_fmac_f32_e32 v9, v13, v15
	s_add_i32 s14, s13, s5
	ds_write_b64 v12, v[8:9]
	v_mov_b32_e32 v12, s14
	ds_read_b64 v[12:13], v12
	s_add_i32 s14, s14, -16
	s_lshl_b32 s12, s12, 3
	s_add_i32 s12, s13, s12
	scratch_store_dwordx2 off, v[8:9], off offset:24
	s_waitcnt lgkmcnt(0)
	v_mul_f32_e32 v14, v13, v3
	v_fma_f32 v14, v12, v2, -v14
	v_mul_f32_e32 v12, v12, v3
	v_fmac_f32_e32 v12, v13, v2
	v_sub_f32_e32 v14, v10, v14
	v_mov_b32_e32 v10, s14
	v_sub_f32_e32 v15, v11, v12
	ds_read2_b64 v[10:13], v10 offset1:1
	s_waitcnt lgkmcnt(0)
	v_mul_f32_e32 v16, v13, v5
	v_fma_f32 v16, v12, v4, -v16
	v_mul_f32_e32 v12, v12, v5
	v_fmac_f32_e32 v12, v13, v4
	v_sub_f32_e32 v13, v14, v16
	v_mul_f32_e32 v14, v11, v7
	v_fma_f32 v14, v10, v6, -v14
	v_mul_f32_e32 v10, v10, v7
	v_sub_f32_e32 v12, v15, v12
	v_fmac_f32_e32 v10, v11, v6
	v_sub_f32_e32 v10, v12, v10
	v_mov_b32_e32 v12, s12
	v_sub_f32_e32 v11, v13, v14
	ds_read2_b64 v[12:15], v12 offset1:1
	s_waitcnt lgkmcnt(0)
	v_mul_f32_e32 v16, v15, v9
	v_fma_f32 v16, v14, v8, -v16
	v_mul_f32_e32 v14, v14, v9
	v_fmac_f32_e32 v14, v15, v8
	v_sub_f32_e32 v15, v11, v16
	v_sub_f32_e32 v11, v10, v14
	v_mul_f32_e32 v10, v13, v11
	v_mul_f32_e32 v11, v12, v11
	v_fma_f32 v10, v12, v15, -v10
	v_fmac_f32_e32 v11, v13, v15
	v_add_u32_e32 v12, s13, v1
	ds_write_b64 v12, v[10:11]
	scratch_load_dwordx4 v[12:15], off, off offset:40
	s_add_i32 s13, s10, -5
	s_lshl_b32 s12, s13, 8
	s_add_i32 s14, s12, s5
	s_add_i32 s15, s14, -8
	v_mov_b32_e32 v16, s15
	ds_read2_b64 v[16:19], v16 offset1:1
	s_sub_i32 s14, s14, 24
	s_lshl_b32 s13, s13, 3
	s_add_i32 s13, s12, s13
	scratch_store_dwordx2 off, v[10:11], off offset:32
	s_waitcnt lgkmcnt(0)
	v_mul_f32_e32 v20, v19, v3
	v_fma_f32 v20, v18, v2, -v20
	v_mul_f32_e32 v18, v18, v3
	v_fmac_f32_e32 v18, v19, v2
	s_waitcnt vmcnt(1)
	v_sub_f32_e32 v13, v13, v18
	v_mul_f32_e32 v18, v17, v5
	v_fma_f32 v18, v16, v4, -v18
	v_mul_f32_e32 v16, v16, v5
	v_fmac_f32_e32 v16, v17, v4
	v_sub_f32_e32 v12, v12, v20
	v_sub_f32_e32 v13, v13, v16
	v_mov_b32_e32 v16, s14
	v_sub_f32_e32 v12, v12, v18
	ds_read2_b64 v[16:19], v16 offset1:1
	s_waitcnt lgkmcnt(0)
	v_mul_f32_e32 v20, v19, v7
	v_fma_f32 v20, v18, v6, -v20
	v_mul_f32_e32 v18, v18, v7
	v_fmac_f32_e32 v18, v19, v6
	v_sub_f32_e32 v13, v13, v18
	v_mul_f32_e32 v18, v17, v9
	v_fma_f32 v18, v16, v8, -v18
	v_mul_f32_e32 v16, v16, v9
	v_fmac_f32_e32 v16, v17, v8
	v_sub_f32_e32 v12, v12, v20
	v_sub_f32_e32 v13, v13, v16
	v_mov_b32_e32 v16, s13
	v_sub_f32_e32 v12, v12, v18
	ds_read2_b64 v[16:19], v16 offset1:1
	s_waitcnt lgkmcnt(0)
	v_mul_f32_e32 v20, v19, v11
	v_fma_f32 v20, v18, v10, -v20
	v_mul_f32_e32 v18, v18, v11
	v_fmac_f32_e32 v18, v19, v10
	v_sub_f32_e32 v13, v13, v18
	v_sub_f32_e32 v19, v12, v20
	v_mul_f32_e32 v12, v17, v13
	v_fma_f32 v12, v16, v19, -v12
	v_mul_f32_e32 v13, v16, v13
	v_add_u32_e32 v16, s12, v1
	s_add_i32 s12, s10, -6
	s_lshl_b32 s13, s12, 8
	v_fmac_f32_e32 v13, v17, v19
	s_add_i32 s14, s13, s5
	ds_write_b64 v16, v[12:13]
	v_mov_b32_e32 v16, s14
	ds_read_b64 v[16:17], v16
	s_add_i32 s15, s14, -16
	s_sub_i32 s14, s14, 32
	s_lshl_b32 s12, s12, 3
	s_add_i32 s12, s13, s12
	s_waitcnt lgkmcnt(0)
	v_mul_f32_e32 v18, v17, v3
	v_fma_f32 v18, v16, v2, -v18
	v_mul_f32_e32 v16, v16, v3
	v_fmac_f32_e32 v16, v17, v2
	v_sub_f32_e32 v18, v14, v18
	v_mov_b32_e32 v14, s15
	v_sub_f32_e32 v19, v15, v16
	ds_read2_b64 v[14:17], v14 offset1:1
	scratch_store_dwordx2 off, v[12:13], off offset:40
	s_waitcnt lgkmcnt(0)
	v_mul_f32_e32 v20, v17, v5
	v_fma_f32 v20, v16, v4, -v20
	v_mul_f32_e32 v16, v16, v5
	v_fmac_f32_e32 v16, v17, v4
	v_sub_f32_e32 v17, v18, v20
	v_mul_f32_e32 v18, v15, v7
	v_fma_f32 v18, v14, v6, -v18
	v_mul_f32_e32 v14, v14, v7
	v_sub_f32_e32 v16, v19, v16
	v_fmac_f32_e32 v14, v15, v6
	v_sub_f32_e32 v19, v16, v14
	v_mov_b32_e32 v14, s14
	v_sub_f32_e32 v18, v17, v18
	ds_read2_b64 v[14:17], v14 offset1:1
	s_waitcnt lgkmcnt(0)
	v_mul_f32_e32 v20, v17, v9
	v_fma_f32 v20, v16, v8, -v20
	v_mul_f32_e32 v16, v16, v9
	v_fmac_f32_e32 v16, v17, v8
	v_sub_f32_e32 v17, v18, v20
	v_mul_f32_e32 v18, v15, v11
	v_fma_f32 v18, v14, v10, -v18
	v_mul_f32_e32 v14, v14, v11
	v_sub_f32_e32 v16, v19, v16
	v_fmac_f32_e32 v14, v15, v10
	v_sub_f32_e32 v19, v16, v14
	v_mov_b32_e32 v14, s12
	v_sub_f32_e32 v18, v17, v18
	ds_read2_b64 v[14:17], v14 offset1:1
	s_waitcnt lgkmcnt(0)
	v_mul_f32_e32 v20, v17, v13
	v_fma_f32 v20, v16, v12, -v20
	v_mul_f32_e32 v16, v16, v13
	v_fmac_f32_e32 v16, v17, v12
	v_sub_f32_e32 v16, v19, v16
	v_sub_f32_e32 v17, v18, v20
	v_mul_f32_e32 v18, v15, v16
	v_mul_f32_e32 v23, v14, v16
	v_fma_f32 v22, v14, v17, -v18
	v_fmac_f32_e32 v23, v15, v17
	v_add_u32_e32 v14, s13, v1
	ds_write_b64 v14, v[22:23]
	scratch_load_dwordx4 v[14:17], off, off offset:56
	s_add_i32 s13, s10, -7
	s_lshl_b32 s12, s13, 8
	s_add_i32 s14, s12, s5
	s_add_i32 s15, s14, -8
	v_mov_b32_e32 v18, s15
	ds_read2_b64 v[18:21], v18 offset1:1
	s_sub_i32 s15, s14, 24
	s_sub_i32 s14, s14, 40
	s_lshl_b32 s13, s13, 3
	s_add_i32 s13, s12, s13
	s_waitcnt lgkmcnt(0)
	v_mul_f32_e32 v24, v21, v3
	v_fma_f32 v24, v20, v2, -v24
	v_mul_f32_e32 v3, v20, v3
	v_fmac_f32_e32 v3, v21, v2
	scratch_store_dwordx2 off, v[22:23], off offset:48
	s_waitcnt vmcnt(1)
	v_sub_f32_e32 v2, v14, v24
	v_mul_f32_e32 v14, v19, v5
	v_fma_f32 v14, v18, v4, -v14
	v_mul_f32_e32 v5, v18, v5
	v_sub_f32_e32 v3, v15, v3
	v_fmac_f32_e32 v5, v19, v4
	v_sub_f32_e32 v14, v2, v14
	v_mov_b32_e32 v2, s15
	v_sub_f32_e32 v15, v3, v5
	ds_read2_b64 v[2:5], v2 offset1:1
	s_waitcnt lgkmcnt(0)
	v_mul_f32_e32 v18, v5, v7
	v_fma_f32 v18, v4, v6, -v18
	v_mul_f32_e32 v4, v4, v7
	v_fmac_f32_e32 v4, v5, v6
	v_mul_f32_e32 v6, v3, v9
	v_fma_f32 v6, v2, v8, -v6
	v_mul_f32_e32 v2, v2, v9
	v_sub_f32_e32 v4, v15, v4
	v_fmac_f32_e32 v2, v3, v8
	v_sub_f32_e32 v5, v14, v18
	v_sub_f32_e32 v7, v4, v2
	v_mov_b32_e32 v2, s14
	v_sub_f32_e32 v6, v5, v6
	ds_read2_b64 v[2:5], v2 offset1:1
	s_waitcnt lgkmcnt(0)
	v_mul_f32_e32 v8, v5, v11
	v_fma_f32 v8, v4, v10, -v8
	v_mul_f32_e32 v4, v4, v11
	v_fmac_f32_e32 v4, v5, v10
	v_sub_f32_e32 v5, v6, v8
	v_mul_f32_e32 v6, v3, v13
	v_fma_f32 v6, v2, v12, -v6
	v_mul_f32_e32 v2, v2, v13
	v_sub_f32_e32 v4, v7, v4
	v_fmac_f32_e32 v2, v3, v12
	v_sub_f32_e32 v7, v4, v2
	v_mov_b32_e32 v2, s13
	v_sub_f32_e32 v6, v5, v6
	ds_read2_b64 v[2:5], v2 offset1:1
	s_waitcnt lgkmcnt(0)
	v_mul_f32_e32 v8, v5, v23
	v_fma_f32 v8, v4, v22, -v8
	v_mul_f32_e32 v4, v4, v23
	v_fmac_f32_e32 v4, v5, v22
	v_sub_f32_e32 v4, v7, v4
	v_sub_f32_e32 v5, v6, v8
	v_mul_f32_e32 v6, v3, v4
	v_mul_f32_e32 v13, v2, v4
	v_fma_f32 v12, v2, v5, -v6
	v_fmac_f32_e32 v13, v3, v5
	scratch_store_dwordx2 off, v[12:13], off offset:56
	scratch_load_dwordx4 v[2:5], off, off offset:48
	v_add_u32_e32 v6, s12, v1
	s_add_i32 s12, s10, -8
	s_lshl_b32 s13, s12, 8
	s_add_i32 s14, s13, s5
	v_mov_b32_e32 v8, s14
	ds_read_b64 v[8:9], v8
	s_add_i32 s15, s14, -16
	s_lshl_b32 s12, s12, 3
	s_add_i32 s12, s13, s12
	s_waitcnt vmcnt(0)
	ds_write_b64 v6, v[4:5]
	scratch_load_dwordx4 v[4:7], off, off
	s_waitcnt vmcnt(0) lgkmcnt(1)
	v_mul_f32_e32 v10, v9, v5
	v_fma_f32 v10, v8, v4, -v10
	v_mul_f32_e32 v5, v8, v5
	v_mov_b32_e32 v8, s15
	v_fmac_f32_e32 v5, v9, v4
	v_sub_f32_e32 v4, v16, v10
	ds_read2_b64 v[8:11], v8 offset1:1
	v_sub_f32_e32 v5, v17, v5
	s_sub_i32 s15, s14, 32
	s_sub_i32 s14, s14, 48
	s_waitcnt lgkmcnt(0)
	v_mul_f32_e32 v14, v11, v7
	v_mul_f32_e32 v7, v10, v7
	v_fma_f32 v14, v10, v6, -v14
	v_fmac_f32_e32 v7, v11, v6
	v_sub_f32_e32 v10, v4, v14
	v_sub_f32_e32 v11, v5, v7
	scratch_load_dwordx4 v[4:7], off, off offset:16
	s_waitcnt vmcnt(0)
	v_mul_f32_e32 v14, v9, v5
	v_mul_f32_e32 v5, v8, v5
	v_fma_f32 v14, v8, v4, -v14
	v_fmac_f32_e32 v5, v9, v4
	v_mov_b32_e32 v8, s15
	v_sub_f32_e32 v4, v10, v14
	v_sub_f32_e32 v5, v11, v5
	ds_read2_b64 v[8:11], v8 offset1:1
	s_waitcnt lgkmcnt(0)
	v_mul_f32_e32 v14, v11, v7
	v_mul_f32_e32 v7, v10, v7
	v_fma_f32 v14, v10, v6, -v14
	v_fmac_f32_e32 v7, v11, v6
	v_sub_f32_e32 v10, v4, v14
	v_sub_f32_e32 v11, v5, v7
	scratch_load_dwordx4 v[4:7], off, off offset:32
	s_waitcnt vmcnt(0)
	v_mul_f32_e32 v14, v9, v5
	v_mul_f32_e32 v5, v8, v5
	v_fma_f32 v14, v8, v4, -v14
	v_fmac_f32_e32 v5, v9, v4
	v_mov_b32_e32 v8, s14
	v_sub_f32_e32 v4, v10, v14
	v_sub_f32_e32 v5, v11, v5
	ds_read2_b64 v[8:11], v8 offset1:1
	s_waitcnt lgkmcnt(0)
	v_mul_f32_e32 v14, v11, v7
	v_mul_f32_e32 v7, v10, v7
	v_fma_f32 v14, v10, v6, -v14
	v_fmac_f32_e32 v7, v11, v6
	v_mul_f32_e32 v6, v9, v3
	v_mul_f32_e32 v3, v8, v3
	v_sub_f32_e32 v4, v4, v14
	v_sub_f32_e32 v5, v5, v7
	v_fma_f32 v6, v8, v2, -v6
	v_fmac_f32_e32 v3, v9, v2
	v_mov_b32_e32 v2, s12
	v_sub_f32_e32 v6, v4, v6
	v_sub_f32_e32 v7, v5, v3
	ds_read2_b64 v[2:5], v2 offset1:1
	s_waitcnt lgkmcnt(0)
	v_mul_f32_e32 v8, v5, v13
	v_fma_f32 v8, v4, v12, -v8
	v_mul_f32_e32 v4, v4, v13
	v_fmac_f32_e32 v4, v5, v12
	v_sub_f32_e32 v4, v7, v4
	v_sub_f32_e32 v5, v6, v8
	v_mul_f32_e32 v6, v3, v4
	v_mul_f32_e32 v7, v2, v4
	scratch_load_dwordx4 v[8:11], off, off
	v_fma_f32 v6, v2, v5, -v6
	v_fmac_f32_e32 v7, v3, v5
	v_add_u32_e32 v2, s13, v1
	ds_write_b64 v2, v[6:7]
	scratch_load_dwordx4 v[2:5], off, off offset:72
	s_add_i32 s13, s10, -9
	s_lshl_b32 s12, s13, 8
	s_add_i32 s14, s12, s5
	s_add_i32 s15, s14, -8
	v_mov_b32_e32 v12, s15
	ds_read2_b64 v[12:15], v12 offset1:1
	s_sub_i32 s15, s14, 24
	s_lshl_b32 s13, s13, 3
	s_add_i32 s13, s12, s13
	scratch_store_dwordx2 off, v[6:7], off offset:64
	s_waitcnt vmcnt(2) lgkmcnt(0)
	v_mul_f32_e32 v16, v15, v9
	v_mul_f32_e32 v9, v14, v9
	v_fmac_f32_e32 v9, v15, v8
	v_fma_f32 v16, v14, v8, -v16
	v_mul_f32_e32 v8, v13, v11
	s_waitcnt vmcnt(1)
	v_sub_f32_e32 v3, v3, v9
	v_mul_f32_e32 v9, v12, v11
	v_sub_f32_e32 v2, v2, v16
	v_fma_f32 v8, v12, v10, -v8
	v_fmac_f32_e32 v9, v13, v10
	scratch_store_dword off, v2, off offset:72
	v_sub_f32_e32 v2, v2, v8
	v_sub_f32_e32 v3, v3, v9
	scratch_load_dwordx4 v[8:11], off, off offset:16
	v_mov_b32_e32 v12, s15
	ds_read2_b64 v[12:15], v12 offset1:1
	s_sub_i32 s15, s14, 40
	s_sub_i32 s14, s14, 56
	s_waitcnt vmcnt(0) lgkmcnt(0)
	v_mul_f32_e32 v16, v15, v9
	v_mul_f32_e32 v9, v14, v9
	v_fmac_f32_e32 v9, v15, v8
	v_fma_f32 v16, v14, v8, -v16
	v_sub_f32_e32 v3, v3, v9
	v_mul_f32_e32 v8, v13, v11
	v_mul_f32_e32 v9, v12, v11
	v_sub_f32_e32 v2, v2, v16
	v_fma_f32 v8, v12, v10, -v8
	v_fmac_f32_e32 v9, v13, v10
	v_sub_f32_e32 v2, v2, v8
	v_sub_f32_e32 v3, v3, v9
	scratch_load_dwordx4 v[8:11], off, off offset:32
	v_mov_b32_e32 v12, s15
	ds_read2_b64 v[12:15], v12 offset1:1
	s_waitcnt vmcnt(0) lgkmcnt(0)
	v_mul_f32_e32 v16, v15, v9
	v_mul_f32_e32 v9, v14, v9
	v_fmac_f32_e32 v9, v15, v8
	v_fma_f32 v16, v14, v8, -v16
	v_sub_f32_e32 v3, v3, v9
	v_mul_f32_e32 v8, v13, v11
	v_mul_f32_e32 v9, v12, v11
	v_sub_f32_e32 v2, v2, v16
	v_fma_f32 v8, v12, v10, -v8
	v_fmac_f32_e32 v9, v13, v10
	v_sub_f32_e32 v2, v2, v8
	v_sub_f32_e32 v3, v3, v9
	scratch_load_dwordx4 v[8:11], off, off offset:48
	v_mov_b32_e32 v12, s14
	ds_read2_b64 v[12:15], v12 offset1:1
	s_waitcnt vmcnt(0) lgkmcnt(0)
	v_mul_f32_e32 v16, v15, v9
	v_mul_f32_e32 v9, v14, v9
	v_fma_f32 v16, v14, v8, -v16
	v_fmac_f32_e32 v9, v15, v8
	v_mul_f32_e32 v8, v13, v11
	v_sub_f32_e32 v2, v2, v16
	v_sub_f32_e32 v3, v3, v9
	v_fma_f32 v8, v12, v10, -v8
	v_mul_f32_e32 v9, v12, v11
	v_fmac_f32_e32 v9, v13, v10
	v_sub_f32_e32 v2, v2, v8
	v_mov_b32_e32 v8, s13
	v_sub_f32_e32 v3, v3, v9
	ds_read2_b64 v[8:11], v8 offset1:1
	s_add_i32 s13, s10, -10
	s_waitcnt lgkmcnt(0)
	v_mul_f32_e32 v12, v11, v7
	v_mul_f32_e32 v7, v10, v7
	v_fmac_f32_e32 v7, v11, v6
	v_fma_f32 v12, v10, v6, -v12
	v_sub_f32_e32 v3, v3, v7
	v_sub_f32_e32 v6, v2, v12
	v_mul_f32_e32 v2, v9, v3
	v_mul_f32_e32 v3, v8, v3
	v_fma_f32 v2, v8, v6, -v2
	v_fmac_f32_e32 v3, v9, v6
	scratch_store_dwordx2 off, v[2:3], off offset:72
	scratch_load_dwordx4 v[6:9], off, off offset:64
	scratch_load_dwordx4 v[12:15], off, off
	v_add_u32_e32 v10, s12, v1
	s_lshl_b32 s12, s13, 8
	s_add_i32 s14, s12, s5
	s_add_i32 s15, s14, -8
	s_lshl_b32 s13, s13, 3
	s_add_i32 s13, s12, s13
	s_waitcnt vmcnt(1)
	ds_write_b64 v10, v[8:9]
	v_mov_b32_e32 v8, s15
	ds_read2_b64 v[8:11], v8 offset1:1
	s_waitcnt vmcnt(0)
	v_mov_b32_e32 v18, v12
	v_mov_b32_e32 v21, v13
	;; [unrolled: 1-line block ×4, first 2 shown]
	s_waitcnt lgkmcnt(0)
	v_pk_mul_f32 v[12:13], v[10:11], v[12:13]
	v_mov_b32_e32 v17, v10
	v_sub_f32_e32 v10, v12, v13
	v_sub_f32_e32 v4, v4, v10
	v_mov_b32_e32 v10, v11
	v_mov_b32_e32 v11, v8
	v_mov_b32_e32 v16, v9
	v_pk_mul_f32 v[10:11], v[10:11], v[18:19]
	v_mul_f32_e32 v9, v9, v14
	v_pk_fma_f32 v[12:13], v[16:17], v[20:21], v[10:11] op_sel:[0,0,1] op_sel_hi:[1,1,0] neg_lo:[1,0,0] neg_hi:[1,0,0]
	v_pk_fma_f32 v[10:11], v[16:17], v[20:21], v[10:11] op_sel:[0,0,1] op_sel_hi:[1,1,0]
	v_fmac_f32_e32 v9, v8, v15
	v_mov_b32_e32 v13, v11
	v_pk_add_f32 v[4:5], v[4:5], v[12:13] neg_lo:[0,1] neg_hi:[0,1]
	s_add_i32 s15, s14, -16
	v_sub_f32_e32 v14, v5, v9
	scratch_load_dwordx4 v[8:11], off, off offset:16
	s_nop 0
	scratch_store_dwordx2 off, v[4:5], off offset:80
	v_mov_b32_e32 v5, s15
	ds_read_b64 v[12:13], v5
	s_sub_i32 s15, s14, 32
	s_waitcnt vmcnt(1) lgkmcnt(0)
	v_mul_f32_e32 v5, v13, v9
	v_mul_f32_e32 v9, v12, v9
	v_fma_f32 v5, v12, v8, -v5
	v_fmac_f32_e32 v9, v13, v8
	v_mov_b32_e32 v8, s15
	v_sub_f32_e32 v4, v4, v5
	v_sub_f32_e32 v5, v14, v9
	ds_read2_b64 v[12:15], v8 offset1:1
	s_sub_i32 s15, s14, 48
	s_sub_i32 s14, s14, 64
	s_waitcnt lgkmcnt(0)
	v_mul_f32_e32 v8, v15, v11
	v_mul_f32_e32 v9, v14, v11
	v_fma_f32 v8, v14, v10, -v8
	v_fmac_f32_e32 v9, v15, v10
	v_sub_f32_e32 v4, v4, v8
	v_sub_f32_e32 v5, v5, v9
	scratch_load_dwordx4 v[8:11], off, off offset:32
	s_waitcnt vmcnt(0)
	v_mul_f32_e32 v14, v13, v9
	v_mul_f32_e32 v9, v12, v9
	v_fma_f32 v14, v12, v8, -v14
	v_fmac_f32_e32 v9, v13, v8
	v_mov_b32_e32 v8, s15
	v_sub_f32_e32 v4, v4, v14
	ds_read2_b64 v[12:15], v8 offset1:1
	v_sub_f32_e32 v5, v5, v9
	s_waitcnt lgkmcnt(0)
	v_mul_f32_e32 v8, v15, v11
	v_mul_f32_e32 v9, v14, v11
	v_fma_f32 v8, v14, v10, -v8
	v_fmac_f32_e32 v9, v15, v10
	v_sub_f32_e32 v4, v4, v8
	v_sub_f32_e32 v5, v5, v9
	scratch_load_dwordx4 v[8:11], off, off offset:48
	s_waitcnt vmcnt(0)
	v_mul_f32_e32 v14, v13, v9
	v_mul_f32_e32 v9, v12, v9
	v_fma_f32 v14, v12, v8, -v14
	v_fmac_f32_e32 v9, v13, v8
	v_mov_b32_e32 v8, s14
	v_sub_f32_e32 v4, v4, v14
	ds_read2_b64 v[12:15], v8 offset1:1
	v_sub_f32_e32 v5, v5, v9
	s_waitcnt lgkmcnt(0)
	v_mul_f32_e32 v8, v15, v11
	v_fma_f32 v8, v14, v10, -v8
	v_mul_f32_e32 v9, v14, v11
	v_sub_f32_e32 v4, v4, v8
	v_mul_f32_e32 v8, v13, v7
	v_fmac_f32_e32 v9, v15, v10
	v_fma_f32 v8, v12, v6, -v8
	v_mul_f32_e32 v7, v12, v7
	v_sub_f32_e32 v5, v5, v9
	v_fmac_f32_e32 v7, v13, v6
	v_sub_f32_e32 v8, v4, v8
	v_mov_b32_e32 v4, s13
	v_sub_f32_e32 v9, v5, v7
	ds_read2_b64 v[4:7], v4 offset1:1
	s_waitcnt lgkmcnt(0)
	v_mul_f32_e32 v10, v7, v3
	v_mul_f32_e32 v3, v6, v3
	v_fmac_f32_e32 v3, v7, v2
	v_fma_f32 v10, v6, v2, -v10
	v_sub_f32_e32 v3, v9, v3
	v_sub_f32_e32 v2, v8, v10
	v_mul_f32_e32 v6, v5, v3
	v_mul_f32_e32 v17, v4, v3
	v_fma_f32 v16, v4, v2, -v6
	v_fmac_f32_e32 v17, v5, v2
	scratch_store_dwordx2 off, v[16:17], off offset:80
	scratch_load_dwordx4 v[2:5], off, off offset:72
	scratch_load_dwordx4 v[8:11], off, off
	v_add_u32_e32 v6, s12, v1
	s_add_i32 s12, s10, -11
	s_lshl_b32 s13, s12, 8
	s_add_i32 s14, s13, s5
	s_add_i32 s15, s14, -4
	v_mov_b32_e32 v12, s15
	ds_read2_b32 v[20:21], v12 offset1:1
	scratch_load_dwordx4 v[12:15], off, off offset:8
	v_mov_b32_e32 v19, s14
	s_add_i32 s16, s14, -16
	v_mov_b32_e32 v26, s16
	ds_read_b32 v18, v19 offset:4
	ds_read_b32 v27, v26
	s_sub_i32 s15, s14, 24
	s_lshl_b32 s12, s12, 3
	s_add_i32 s12, s13, s12
	s_waitcnt vmcnt(2)
	ds_write_b64 v6, v[4:5]
	scratch_load_dwordx4 v[4:7], off, off offset:88
	ds_read2_b32 v[24:25], v19 offset1:1
	s_waitcnt vmcnt(2)
	v_mov_b32_e32 v22, v8
	v_mov_b32_e32 v23, v10
	;; [unrolled: 1-line block ×4, first 2 shown]
	s_waitcnt lgkmcnt(0)
	v_pk_mul_f32 v[8:9], v[24:25], v[8:9]
	s_waitcnt vmcnt(1)
	v_mov_b32_e32 v24, v12
	v_sub_f32_e32 v8, v8, v9
	v_mov_b32_e32 v25, v14
	v_mov_b32_e32 v12, v15
	s_waitcnt vmcnt(0)
	v_sub_f32_e32 v4, v4, v8
	ds_read2_b32 v[8:9], v26 offset0:1 offset1:2
	s_waitcnt lgkmcnt(0)
	v_mov_b32_e32 v19, v9
	v_pk_mul_f32 v[18:19], v[18:19], v[22:23]
	s_nop 0
	v_pk_fma_f32 v[22:23], v[20:21], v[10:11], v[18:19] op_sel:[0,0,1] op_sel_hi:[1,1,0] neg_lo:[1,0,0] neg_hi:[1,0,0]
	v_pk_fma_f32 v[10:11], v[20:21], v[10:11], v[18:19] op_sel:[0,0,1] op_sel_hi:[1,1,0]
	v_mov_b32_e32 v21, v27
	v_mov_b32_e32 v23, v11
	v_pk_mul_f32 v[10:11], v[20:21], v[24:25]
	v_pk_add_f32 v[4:5], v[4:5], v[22:23] neg_lo:[0,1] neg_hi:[0,1]
	v_pk_fma_f32 v[18:19], v[8:9], v[12:13], v[10:11] op_sel:[0,0,1] op_sel_hi:[1,1,0] neg_lo:[1,0,0] neg_hi:[1,0,0]
	v_pk_fma_f32 v[10:11], v[8:9], v[12:13], v[10:11] op_sel:[0,0,1] op_sel_hi:[1,1,0]
	v_mul_f32_e32 v8, v8, v14
	v_mov_b32_e32 v19, v11
	v_fmac_f32_e32 v8, v27, v15
	v_pk_add_f32 v[4:5], v[4:5], v[18:19] neg_lo:[0,1] neg_hi:[0,1]
	scratch_store_dwordx2 off, v[4:5], off offset:88
	v_sub_f32_e32 v14, v5, v8
	scratch_load_dwordx4 v[8:11], off, off offset:24
	v_mov_b32_e32 v5, s15
	ds_read_b64 v[12:13], v5
	s_sub_i32 s15, s14, 40
	s_waitcnt vmcnt(0) lgkmcnt(0)
	v_mul_f32_e32 v5, v13, v9
	v_mul_f32_e32 v9, v12, v9
	v_fma_f32 v5, v12, v8, -v5
	v_fmac_f32_e32 v9, v13, v8
	v_mov_b32_e32 v8, s15
	v_sub_f32_e32 v4, v4, v5
	v_sub_f32_e32 v5, v14, v9
	ds_read2_b64 v[12:15], v8 offset1:1
	s_sub_i32 s15, s14, 56
	s_addk_i32 s14, 0xffb8
	s_waitcnt lgkmcnt(0)
	v_mul_f32_e32 v8, v15, v11
	v_mul_f32_e32 v9, v14, v11
	v_fma_f32 v8, v14, v10, -v8
	v_fmac_f32_e32 v9, v15, v10
	v_sub_f32_e32 v4, v4, v8
	v_sub_f32_e32 v5, v5, v9
	scratch_load_dwordx4 v[8:11], off, off offset:40
	s_waitcnt vmcnt(0)
	v_mul_f32_e32 v14, v13, v9
	v_mul_f32_e32 v9, v12, v9
	v_fma_f32 v14, v12, v8, -v14
	v_fmac_f32_e32 v9, v13, v8
	v_mov_b32_e32 v8, s15
	v_sub_f32_e32 v4, v4, v14
	ds_read2_b64 v[12:15], v8 offset1:1
	v_sub_f32_e32 v5, v5, v9
	s_waitcnt lgkmcnt(0)
	v_mul_f32_e32 v8, v15, v11
	v_mul_f32_e32 v9, v14, v11
	v_fma_f32 v8, v14, v10, -v8
	v_fmac_f32_e32 v9, v15, v10
	v_sub_f32_e32 v4, v4, v8
	v_sub_f32_e32 v5, v5, v9
	scratch_load_dwordx4 v[8:11], off, off offset:56
	s_waitcnt vmcnt(0)
	v_mul_f32_e32 v14, v13, v9
	v_mul_f32_e32 v9, v12, v9
	v_fma_f32 v14, v12, v8, -v14
	v_fmac_f32_e32 v9, v13, v8
	v_mov_b32_e32 v8, s14
	v_sub_f32_e32 v4, v4, v14
	ds_read2_b64 v[12:15], v8 offset1:1
	v_sub_f32_e32 v5, v5, v9
	s_waitcnt lgkmcnt(0)
	v_mul_f32_e32 v8, v15, v11
	v_fma_f32 v8, v14, v10, -v8
	v_mul_f32_e32 v9, v14, v11
	v_fmac_f32_e32 v9, v15, v10
	v_sub_f32_e32 v4, v4, v8
	v_mul_f32_e32 v8, v13, v3
	v_mul_f32_e32 v3, v12, v3
	v_sub_f32_e32 v5, v5, v9
	v_fma_f32 v8, v12, v2, -v8
	v_fmac_f32_e32 v3, v13, v2
	v_mov_b32_e32 v2, s12
	v_sub_f32_e32 v8, v4, v8
	v_sub_f32_e32 v9, v5, v3
	ds_read2_b64 v[2:5], v2 offset1:1
	s_waitcnt lgkmcnt(0)
	v_mul_f32_e32 v10, v5, v17
	v_fma_f32 v10, v4, v16, -v10
	v_mul_f32_e32 v4, v4, v17
	v_fmac_f32_e32 v4, v5, v16
	v_sub_f32_e32 v4, v9, v4
	v_sub_f32_e32 v5, v8, v10
	v_mul_f32_e32 v8, v3, v4
	v_mul_f32_e32 v9, v2, v4
	v_fma_f32 v8, v2, v5, -v8
	v_fmac_f32_e32 v9, v3, v5
	scratch_store_dwordx2 off, v[8:9], off offset:88
	scratch_load_dwordx4 v[2:5], off, off offset:80
	v_add_u32_e32 v10, s13, v1
	s_add_i32 s13, s10, -12
	s_lshl_b32 s12, s13, 8
	s_add_i32 s14, s12, s5
	s_add_i32 s15, s14, -4
	s_sub_i32 s17, s14, 24
	v_mov_b32_e32 v28, s17
	v_mov_b32_e32 v14, s15
	ds_read_b32 v29, v28
	ds_read2_b32 v[22:23], v14 offset1:1
	s_add_i32 s16, s14, -12
	s_sub_i32 s15, s14, 32
	s_lshl_b32 s13, s13, 3
	s_add_i32 s13, s12, s13
	s_waitcnt vmcnt(0)
	ds_write_b64 v10, v[4:5]
	scratch_load_dwordx4 v[10:13], off, off
	v_mov_b32_e32 v5, s14
	ds_read_b32 v4, v5 offset:4
	scratch_load_dwordx4 v[14:17], off, off offset:8
	scratch_load_dwordx4 v[18:21], off, off offset:16
	ds_read2_b32 v[26:27], v5 offset1:1
	s_waitcnt vmcnt(2)
	v_mov_b32_e32 v24, v10
	v_mov_b32_e32 v25, v12
	;; [unrolled: 1-line block ×4, first 2 shown]
	s_waitcnt lgkmcnt(0)
	v_pk_mul_f32 v[10:11], v[26:27], v[10:11]
	s_nop 0
	v_sub_f32_e32 v5, v10, v11
	v_sub_f32_e32 v6, v6, v5
	v_mov_b32_e32 v5, s16
	ds_read2_b32 v[10:11], v5 offset1:1
	s_waitcnt lgkmcnt(0)
	v_mov_b32_e32 v5, v11
	v_pk_mul_f32 v[4:5], v[4:5], v[24:25]
	s_waitcnt vmcnt(1)
	v_mov_b32_e32 v24, v17
	v_pk_fma_f32 v[26:27], v[22:23], v[12:13], v[4:5] op_sel:[0,0,1] op_sel_hi:[1,1,0] neg_lo:[1,0,0] neg_hi:[1,0,0]
	v_pk_fma_f32 v[4:5], v[22:23], v[12:13], v[4:5] op_sel:[0,0,1] op_sel_hi:[1,1,0]
	v_mov_b32_e32 v25, v15
	v_mov_b32_e32 v27, v5
	v_pk_add_f32 v[4:5], v[6:7], v[26:27] neg_lo:[0,1] neg_hi:[0,1]
	ds_read2_b32 v[6:7], v28 offset0:1 offset1:2
	s_waitcnt vmcnt(0)
	v_mov_b32_e32 v12, v18
	v_mov_b32_e32 v13, v20
	;; [unrolled: 1-line block ×4, first 2 shown]
	s_waitcnt lgkmcnt(0)
	v_mov_b32_e32 v26, v7
	v_pk_mul_f32 v[14:15], v[10:11], v[24:25]
	v_mov_b32_e32 v11, v29
	v_mov_b32_e32 v18, v21
	v_pk_fma_f32 v[22:23], v[26:27], v[16:17], v[14:15] neg_lo:[0,0,1] neg_hi:[0,0,1]
	v_pk_fma_f32 v[14:15], v[26:27], v[16:17], v[14:15]
	v_pk_mul_f32 v[10:11], v[10:11], v[12:13]
	v_mov_b32_e32 v23, v15
	v_pk_fma_f32 v[12:13], v[6:7], v[18:19], v[10:11] op_sel:[0,0,1] op_sel_hi:[1,1,0] neg_lo:[1,0,0] neg_hi:[1,0,0]
	v_pk_fma_f32 v[10:11], v[6:7], v[18:19], v[10:11] op_sel:[0,0,1] op_sel_hi:[1,1,0]
	v_pk_add_f32 v[4:5], v[4:5], v[22:23] neg_lo:[0,1] neg_hi:[0,1]
	v_mov_b32_e32 v13, v11
	v_mul_f32_e32 v6, v6, v20
	v_fmac_f32_e32 v6, v29, v21
	v_pk_add_f32 v[10:11], v[4:5], v[12:13] neg_lo:[0,1] neg_hi:[0,1]
	scratch_store_dwordx2 off, v[10:11], off offset:96
	v_sub_f32_e32 v14, v11, v6
	scratch_load_dwordx4 v[4:7], off, off offset:32
	v_mov_b32_e32 v11, s15
	ds_read_b64 v[12:13], v11
	s_sub_i32 s15, s14, 48
	s_waitcnt vmcnt(0) lgkmcnt(0)
	v_mul_f32_e32 v11, v13, v5
	v_fma_f32 v11, v12, v4, -v11
	v_mul_f32_e32 v5, v12, v5
	v_fmac_f32_e32 v5, v13, v4
	v_sub_f32_e32 v4, v10, v11
	v_mov_b32_e32 v10, s15
	ds_read2_b64 v[10:13], v10 offset1:1
	v_sub_f32_e32 v5, v14, v5
	s_sub_i32 s15, s14, 64
	s_addk_i32 s14, 0xffb0
	s_waitcnt lgkmcnt(0)
	v_mul_f32_e32 v14, v13, v7
	v_mul_f32_e32 v7, v12, v7
	v_fma_f32 v14, v12, v6, -v14
	v_fmac_f32_e32 v7, v13, v6
	v_sub_f32_e32 v12, v4, v14
	v_sub_f32_e32 v13, v5, v7
	scratch_load_dwordx4 v[4:7], off, off offset:48
	s_waitcnt vmcnt(0)
	v_mul_f32_e32 v14, v11, v5
	v_mul_f32_e32 v5, v10, v5
	v_fma_f32 v14, v10, v4, -v14
	v_fmac_f32_e32 v5, v11, v4
	v_mov_b32_e32 v10, s15
	v_sub_f32_e32 v4, v12, v14
	v_sub_f32_e32 v5, v13, v5
	ds_read2_b64 v[10:13], v10 offset1:1
	s_waitcnt lgkmcnt(0)
	v_mul_f32_e32 v14, v13, v7
	v_mul_f32_e32 v7, v12, v7
	v_fma_f32 v14, v12, v6, -v14
	v_fmac_f32_e32 v7, v13, v6
	v_sub_f32_e32 v12, v4, v14
	v_sub_f32_e32 v13, v5, v7
	scratch_load_dwordx4 v[4:7], off, off offset:64
	s_waitcnt vmcnt(0)
	v_mul_f32_e32 v14, v11, v5
	v_mul_f32_e32 v5, v10, v5
	v_fma_f32 v14, v10, v4, -v14
	v_fmac_f32_e32 v5, v11, v4
	v_mov_b32_e32 v10, s14
	v_sub_f32_e32 v4, v12, v14
	v_sub_f32_e32 v5, v13, v5
	ds_read2_b64 v[10:13], v10 offset1:1
	s_waitcnt lgkmcnt(0)
	v_mul_f32_e32 v14, v13, v7
	v_mul_f32_e32 v7, v12, v7
	v_fma_f32 v14, v12, v6, -v14
	v_fmac_f32_e32 v7, v13, v6
	v_mul_f32_e32 v6, v11, v3
	v_mul_f32_e32 v3, v10, v3
	v_sub_f32_e32 v4, v4, v14
	v_sub_f32_e32 v5, v5, v7
	v_fma_f32 v6, v10, v2, -v6
	v_fmac_f32_e32 v3, v11, v2
	v_mov_b32_e32 v2, s13
	v_sub_f32_e32 v6, v4, v6
	v_sub_f32_e32 v7, v5, v3
	ds_read2_b64 v[2:5], v2 offset1:1
	s_add_i32 s13, s10, -13
	s_waitcnt lgkmcnt(0)
	v_mul_f32_e32 v10, v5, v9
	v_fma_f32 v10, v4, v8, -v10
	v_mul_f32_e32 v4, v4, v9
	v_fmac_f32_e32 v4, v5, v8
	v_sub_f32_e32 v4, v7, v4
	v_sub_f32_e32 v5, v6, v10
	v_mul_f32_e32 v6, v3, v4
	v_mul_f32_e32 v9, v2, v4
	v_fma_f32 v8, v2, v5, -v6
	v_fmac_f32_e32 v9, v3, v5
	scratch_store_dwordx2 off, v[8:9], off offset:96
	scratch_load_dwordx4 v[2:5], off, off offset:88
	v_add_u32_e32 v6, s12, v1
	s_lshl_b32 s12, s13, 8
	s_add_i32 s14, s12, s5
	s_sub_i32 s18, s14, 32
	scratch_load_dwordx4 v[10:13], off, off
	v_mov_b32_e32 v34, s18
	ds_read_b32 v35, v34
	s_add_i32 s15, s14, -4
	v_mov_b32_e32 v27, s14
	v_mov_b32_e32 v14, s15
	ds_read_b32 v26, v27 offset:4
	ds_read2_b32 v[28:29], v14 offset1:1
	s_add_i32 s16, s14, -12
	s_sub_i32 s17, s14, 20
	s_sub_i32 s15, s14, 40
	s_lshl_b32 s13, s13, 3
	s_add_i32 s13, s12, s13
	s_waitcnt vmcnt(1)
	ds_write_b64 v6, v[4:5]
	scratch_load_dwordx4 v[4:7], off, off offset:104
	scratch_load_dwordx4 v[14:17], off, off offset:8
	;; [unrolled: 1-line block ×4, first 2 shown]
	ds_read2_b32 v[32:33], v27 offset1:1
	s_waitcnt vmcnt(4)
	v_mov_b32_e32 v30, v10
	v_mov_b32_e32 v31, v12
	;; [unrolled: 1-line block ×4, first 2 shown]
	s_waitcnt lgkmcnt(0)
	v_pk_mul_f32 v[10:11], v[32:33], v[10:11]
	s_nop 0
	v_sub_f32_e32 v10, v10, v11
	s_waitcnt vmcnt(3)
	v_sub_f32_e32 v4, v4, v10
	v_mov_b32_e32 v10, s16
	ds_read2_b32 v[10:11], v10 offset1:1
	s_waitcnt lgkmcnt(0)
	v_mov_b32_e32 v27, v11
	v_pk_mul_f32 v[26:27], v[26:27], v[30:31]
	s_waitcnt vmcnt(2)
	v_mov_b32_e32 v30, v17
	v_pk_fma_f32 v[32:33], v[28:29], v[12:13], v[26:27] op_sel:[0,0,1] op_sel_hi:[1,1,0] neg_lo:[1,0,0] neg_hi:[1,0,0]
	v_pk_fma_f32 v[12:13], v[28:29], v[12:13], v[26:27] op_sel:[0,0,1] op_sel_hi:[1,1,0]
	v_mov_b32_e32 v31, v15
	v_mov_b32_e32 v12, s17
	;; [unrolled: 1-line block ×3, first 2 shown]
	ds_read2_b32 v[12:13], v12 offset1:1
	v_mov_b32_e32 v27, v28
	v_mov_b32_e32 v17, v14
	v_pk_mul_f32 v[28:29], v[10:11], v[30:31]
	s_waitcnt vmcnt(1)
	v_mov_b32_e32 v14, v21
	s_waitcnt lgkmcnt(0)
	v_mov_b32_e32 v26, v13
	v_pk_fma_f32 v[30:31], v[26:27], v[16:17], v[28:29] neg_lo:[0,0,1] neg_hi:[0,0,1]
	v_pk_fma_f32 v[16:17], v[26:27], v[16:17], v[28:29]
	v_mov_b32_e32 v15, v19
	v_mov_b32_e32 v31, v17
	ds_read2_b32 v[16:17], v34 offset0:1 offset1:2
	v_mov_b32_e32 v29, v10
	v_mov_b32_e32 v21, v18
	v_pk_mul_f32 v[10:11], v[12:13], v[14:15]
	s_waitcnt vmcnt(0)
	v_mov_b32_e32 v26, v22
	s_waitcnt lgkmcnt(0)
	v_mov_b32_e32 v28, v17
	v_mov_b32_e32 v27, v24
	v_pk_fma_f32 v[14:15], v[28:29], v[20:21], v[10:11] neg_lo:[0,0,1] neg_hi:[0,0,1]
	v_pk_fma_f32 v[10:11], v[28:29], v[20:21], v[10:11]
	v_mov_b32_e32 v13, v35
	v_pk_add_f32 v[4:5], v[4:5], v[32:33] neg_lo:[0,1] neg_hi:[0,1]
	v_mov_b32_e32 v22, v25
	v_mov_b32_e32 v15, v11
	v_pk_mul_f32 v[10:11], v[12:13], v[26:27]
	v_pk_add_f32 v[4:5], v[4:5], v[30:31] neg_lo:[0,1] neg_hi:[0,1]
	v_pk_fma_f32 v[12:13], v[16:17], v[22:23], v[10:11] op_sel:[0,0,1] op_sel_hi:[1,1,0] neg_lo:[1,0,0] neg_hi:[1,0,0]
	v_pk_fma_f32 v[10:11], v[16:17], v[22:23], v[10:11] op_sel:[0,0,1] op_sel_hi:[1,1,0]
	v_pk_add_f32 v[4:5], v[4:5], v[14:15] neg_lo:[0,1] neg_hi:[0,1]
	v_mov_b32_e32 v13, v11
	v_mul_f32_e32 v10, v16, v24
	v_fmac_f32_e32 v10, v35, v25
	v_pk_add_f32 v[4:5], v[4:5], v[12:13] neg_lo:[0,1] neg_hi:[0,1]
	scratch_store_dwordx2 off, v[4:5], off offset:104
	v_sub_f32_e32 v16, v5, v10
	scratch_load_dwordx4 v[10:13], off, off offset:40
	v_mov_b32_e32 v5, s15
	ds_read_b64 v[14:15], v5
	s_sub_i32 s15, s14, 56
	s_waitcnt vmcnt(0) lgkmcnt(0)
	v_mul_f32_e32 v5, v15, v11
	v_mul_f32_e32 v11, v14, v11
	v_fma_f32 v5, v14, v10, -v5
	v_fmac_f32_e32 v11, v15, v10
	v_mov_b32_e32 v10, s15
	v_sub_f32_e32 v4, v4, v5
	v_sub_f32_e32 v5, v16, v11
	ds_read2_b64 v[14:17], v10 offset1:1
	s_add_i32 s15, s14, 0xffffffb8
	s_addk_i32 s14, 0xffa8
	s_waitcnt lgkmcnt(0)
	v_mul_f32_e32 v10, v17, v13
	v_mul_f32_e32 v11, v16, v13
	v_fma_f32 v10, v16, v12, -v10
	v_fmac_f32_e32 v11, v17, v12
	v_sub_f32_e32 v4, v4, v10
	v_sub_f32_e32 v5, v5, v11
	scratch_load_dwordx4 v[10:13], off, off offset:56
	s_waitcnt vmcnt(0)
	v_mul_f32_e32 v16, v15, v11
	v_mul_f32_e32 v11, v14, v11
	v_fma_f32 v16, v14, v10, -v16
	v_fmac_f32_e32 v11, v15, v10
	v_mov_b32_e32 v10, s15
	v_sub_f32_e32 v4, v4, v16
	ds_read2_b64 v[14:17], v10 offset1:1
	v_sub_f32_e32 v5, v5, v11
	s_waitcnt lgkmcnt(0)
	v_mul_f32_e32 v10, v17, v13
	v_mul_f32_e32 v11, v16, v13
	v_fma_f32 v10, v16, v12, -v10
	v_fmac_f32_e32 v11, v17, v12
	v_sub_f32_e32 v4, v4, v10
	v_sub_f32_e32 v5, v5, v11
	scratch_load_dwordx4 v[10:13], off, off offset:72
	s_waitcnt vmcnt(0)
	v_mul_f32_e32 v16, v15, v11
	v_mul_f32_e32 v11, v14, v11
	v_fma_f32 v16, v14, v10, -v16
	v_fmac_f32_e32 v11, v15, v10
	v_mov_b32_e32 v10, s14
	v_sub_f32_e32 v4, v4, v16
	ds_read2_b64 v[14:17], v10 offset1:1
	v_sub_f32_e32 v5, v5, v11
	s_waitcnt lgkmcnt(0)
	v_mul_f32_e32 v10, v17, v13
	v_fma_f32 v10, v16, v12, -v10
	v_mul_f32_e32 v11, v16, v13
	v_fmac_f32_e32 v11, v17, v12
	v_sub_f32_e32 v4, v4, v10
	v_mul_f32_e32 v10, v15, v3
	v_mul_f32_e32 v3, v14, v3
	v_sub_f32_e32 v5, v5, v11
	v_fma_f32 v10, v14, v2, -v10
	v_fmac_f32_e32 v3, v15, v2
	v_mov_b32_e32 v2, s13
	v_sub_f32_e32 v10, v4, v10
	v_sub_f32_e32 v11, v5, v3
	ds_read2_b64 v[2:5], v2 offset1:1
	s_add_i32 s13, s10, -14
	s_waitcnt lgkmcnt(0)
	v_mul_f32_e32 v12, v5, v9
	v_fma_f32 v12, v4, v8, -v12
	v_mul_f32_e32 v4, v4, v9
	v_fmac_f32_e32 v4, v5, v8
	v_sub_f32_e32 v4, v11, v4
	v_sub_f32_e32 v5, v10, v12
	v_mul_f32_e32 v8, v3, v4
	v_mul_f32_e32 v9, v2, v4
	v_fma_f32 v8, v2, v5, -v8
	v_fmac_f32_e32 v9, v3, v5
	scratch_store_dwordx2 off, v[8:9], off offset:104
	scratch_load_dwordx4 v[2:5], off, off offset:96
	v_add_u32_e32 v10, s12, v1
	s_lshl_b32 s12, s13, 8
	s_add_i32 s14, s12, s5
	s_sub_i32 s19, s14, 40
	v_mov_b32_e32 v36, s19
	ds_read_b32 v37, v36
	s_add_i32 s15, s14, -4
	v_mov_b32_e32 v14, s15
	ds_read2_b32 v[26:27], v14 offset1:1
	s_add_i32 s16, s14, -12
	s_sub_i32 s17, s14, 20
	s_sub_i32 s18, s14, 28
	;; [unrolled: 1-line block ×3, first 2 shown]
	s_lshl_b32 s13, s13, 3
	s_add_i32 s13, s12, s13
	s_waitcnt vmcnt(0)
	ds_write_b64 v10, v[4:5]
	scratch_load_dwordx4 v[10:13], off, off
	v_mov_b32_e32 v5, s14
	ds_read_b32 v4, v5 offset:4
	scratch_load_dwordx4 v[14:17], off, off offset:8
	scratch_load_dwordx4 v[18:21], off, off offset:16
	;; [unrolled: 1-line block ×3, first 2 shown]
	s_waitcnt vmcnt(3)
	v_mov_b32_e32 v29, v12
	v_mov_b32_e32 v30, v13
	ds_read2_b32 v[12:13], v5 offset1:1
	v_mov_b32_e32 v28, v10
	v_mov_b32_e32 v31, v11
	s_waitcnt lgkmcnt(0)
	v_pk_mul_f32 v[10:11], v[12:13], v[10:11]
	s_nop 0
	v_sub_f32_e32 v5, v10, v11
	scratch_load_dwordx4 v[10:13], off, off offset:32
	v_sub_f32_e32 v6, v6, v5
	v_mov_b32_e32 v5, s16
	ds_read2_b32 v[32:33], v5 offset1:1
	s_waitcnt lgkmcnt(0)
	v_mov_b32_e32 v5, v33
	v_pk_mul_f32 v[4:5], v[4:5], v[28:29]
	s_waitcnt vmcnt(3)
	v_mov_b32_e32 v28, v17
	v_pk_fma_f32 v[34:35], v[26:27], v[30:31], v[4:5] op_sel:[0,0,1] op_sel_hi:[1,1,0] neg_lo:[1,0,0] neg_hi:[1,0,0]
	v_pk_fma_f32 v[4:5], v[26:27], v[30:31], v[4:5] op_sel:[0,0,1] op_sel_hi:[1,1,0]
	v_mov_b32_e32 v29, v15
	v_mov_b32_e32 v35, v5
	v_pk_add_f32 v[4:5], v[6:7], v[34:35] neg_lo:[0,1] neg_hi:[0,1]
	v_mov_b32_e32 v6, s17
	ds_read2_b32 v[6:7], v6 offset1:1
	v_mov_b32_e32 v31, v26
	v_mov_b32_e32 v17, v14
	v_pk_mul_f32 v[26:27], v[32:33], v[28:29]
	s_waitcnt vmcnt(2)
	v_mov_b32_e32 v14, v21
	s_waitcnt lgkmcnt(0)
	v_mov_b32_e32 v30, v7
	v_pk_fma_f32 v[28:29], v[30:31], v[16:17], v[26:27] neg_lo:[0,0,1] neg_hi:[0,0,1]
	v_pk_fma_f32 v[16:17], v[30:31], v[16:17], v[26:27]
	v_mov_b32_e32 v15, v19
	v_mov_b32_e32 v16, s18
	;; [unrolled: 1-line block ×3, first 2 shown]
	ds_read2_b32 v[16:17], v16 offset1:1
	v_mov_b32_e32 v27, v32
	v_mov_b32_e32 v21, v18
	v_pk_mul_f32 v[14:15], v[6:7], v[14:15]
	v_pk_add_f32 v[4:5], v[4:5], v[28:29] neg_lo:[0,1] neg_hi:[0,1]
	s_waitcnt lgkmcnt(0)
	v_mov_b32_e32 v26, v17
	v_pk_fma_f32 v[28:29], v[26:27], v[20:21], v[14:15] neg_lo:[0,0,1] neg_hi:[0,0,1]
	v_pk_fma_f32 v[14:15], v[26:27], v[20:21], v[14:15]
	s_waitcnt vmcnt(1)
	v_mov_b32_e32 v18, v25
	v_mov_b32_e32 v29, v15
	ds_read2_b32 v[14:15], v36 offset0:1 offset1:2
	v_mov_b32_e32 v19, v23
	v_mov_b32_e32 v27, v6
	;; [unrolled: 1-line block ×3, first 2 shown]
	v_pk_mul_f32 v[6:7], v[16:17], v[18:19]
	s_waitcnt lgkmcnt(0)
	v_mov_b32_e32 v26, v15
	v_pk_fma_f32 v[18:19], v[26:27], v[24:25], v[6:7] neg_lo:[0,0,1] neg_hi:[0,0,1]
	v_pk_fma_f32 v[6:7], v[26:27], v[24:25], v[6:7]
	v_mov_b32_e32 v17, v37
	v_mov_b32_e32 v19, v7
	v_pk_add_f32 v[4:5], v[4:5], v[28:29] neg_lo:[0,1] neg_hi:[0,1]
	s_waitcnt vmcnt(0)
	v_mov_b32_e32 v20, v10
	v_mov_b32_e32 v21, v12
	v_mov_b32_e32 v10, v13
	v_pk_mul_f32 v[6:7], v[16:17], v[20:21]
	v_pk_add_f32 v[4:5], v[4:5], v[18:19] neg_lo:[0,1] neg_hi:[0,1]
	v_pk_fma_f32 v[16:17], v[14:15], v[10:11], v[6:7] op_sel:[0,0,1] op_sel_hi:[1,1,0] neg_lo:[1,0,0] neg_hi:[1,0,0]
	v_pk_fma_f32 v[6:7], v[14:15], v[10:11], v[6:7] op_sel:[0,0,1] op_sel_hi:[1,1,0]
	s_nop 0
	v_mov_b32_e32 v17, v7
	v_mul_f32_e32 v6, v14, v12
	v_fmac_f32_e32 v6, v37, v13
	v_pk_add_f32 v[10:11], v[4:5], v[16:17] neg_lo:[0,1] neg_hi:[0,1]
	scratch_store_dwordx2 off, v[10:11], off offset:112
	v_sub_f32_e32 v14, v11, v6
	scratch_load_dwordx4 v[4:7], off, off offset:48
	v_mov_b32_e32 v11, s15
	ds_read_b64 v[12:13], v11
	s_sub_i32 s15, s14, 64
	s_waitcnt vmcnt(0) lgkmcnt(0)
	v_mul_f32_e32 v11, v13, v5
	v_fma_f32 v11, v12, v4, -v11
	v_mul_f32_e32 v5, v12, v5
	v_fmac_f32_e32 v5, v13, v4
	v_sub_f32_e32 v4, v10, v11
	v_mov_b32_e32 v10, s15
	ds_read2_b64 v[10:13], v10 offset1:1
	v_sub_f32_e32 v5, v14, v5
	s_add_i32 s15, s14, 0xffffffb0
	s_addk_i32 s14, 0xffa0
	s_waitcnt lgkmcnt(0)
	v_mul_f32_e32 v14, v13, v7
	v_fma_f32 v14, v12, v6, -v14
	v_mul_f32_e32 v7, v12, v7
	v_fmac_f32_e32 v7, v13, v6
	v_sub_f32_e32 v4, v4, v14
	scratch_load_dwordx4 v[12:15], off, off offset:64
	v_sub_f32_e32 v5, v5, v7
	s_waitcnt vmcnt(0)
	v_mul_f32_e32 v6, v11, v13
	v_fma_f32 v6, v10, v12, -v6
	v_mul_f32_e32 v7, v10, v13
	v_fmac_f32_e32 v7, v11, v12
	v_sub_f32_e32 v10, v4, v6
	v_mov_b32_e32 v4, s15
	v_sub_f32_e32 v11, v5, v7
	ds_read2_b64 v[4:7], v4 offset1:1
	s_waitcnt lgkmcnt(0)
	v_mul_f32_e32 v12, v7, v15
	v_fma_f32 v12, v6, v14, -v12
	v_mul_f32_e32 v6, v6, v15
	v_fmac_f32_e32 v6, v7, v14
	v_sub_f32_e32 v7, v10, v12
	v_sub_f32_e32 v6, v11, v6
	scratch_load_dwordx4 v[10:13], off, off offset:80
	s_waitcnt vmcnt(0)
	v_mul_f32_e32 v14, v5, v11
	v_fma_f32 v14, v4, v10, -v14
	v_mul_f32_e32 v4, v4, v11
	v_fmac_f32_e32 v4, v5, v10
	v_sub_f32_e32 v11, v6, v4
	v_mov_b32_e32 v4, s14
	v_sub_f32_e32 v10, v7, v14
	ds_read2_b64 v[4:7], v4 offset1:1
	s_waitcnt lgkmcnt(0)
	v_mul_f32_e32 v14, v7, v13
	v_fma_f32 v14, v6, v12, -v14
	v_mul_f32_e32 v6, v6, v13
	v_fmac_f32_e32 v6, v7, v12
	v_sub_f32_e32 v7, v10, v14
	v_mul_f32_e32 v10, v5, v3
	v_mul_f32_e32 v3, v4, v3
	v_sub_f32_e32 v6, v11, v6
	v_fma_f32 v10, v4, v2, -v10
	v_fmac_f32_e32 v3, v5, v2
	v_mov_b32_e32 v2, s13
	v_sub_f32_e32 v6, v6, v3
	ds_read2_b64 v[2:5], v2 offset1:1
	v_sub_f32_e32 v7, v7, v10
	s_add_i32 s13, s10, -15
	s_sub_i32 s10, s10, 28
	s_waitcnt lgkmcnt(0)
	v_mul_f32_e32 v10, v5, v9
	v_fma_f32 v10, v4, v8, -v10
	v_mul_f32_e32 v4, v4, v9
	v_fmac_f32_e32 v4, v5, v8
	v_sub_f32_e32 v5, v6, v4
	v_sub_f32_e32 v7, v7, v10
	v_mul_f32_e32 v4, v3, v5
	v_mul_f32_e32 v5, v2, v5
	v_fma_f32 v4, v2, v7, -v4
	v_fmac_f32_e32 v5, v3, v7
	scratch_store_dwordx2 off, v[4:5], off offset:112
	scratch_load_dwordx4 v[6:9], off, off offset:104
	v_add_u32_e32 v2, s12, v1
	s_lshl_b32 s12, s13, 8
	s_add_i32 s14, s12, s5
	s_add_i32 s15, s14, -4
	s_sub_i32 s20, s14, 48
	v_mov_b32_e32 v25, s14
	v_mov_b32_e32 v38, s20
	;; [unrolled: 1-line block ×3, first 2 shown]
	ds_read_b32 v24, v25 offset:4
	ds_read2_b32 v[26:27], v12 offset1:1
	ds_read_b32 v39, v38
	s_add_i32 s16, s14, -12
	s_sub_i32 s17, s14, 20
	s_sub_i32 s18, s14, 28
	;; [unrolled: 1-line block ×4, first 2 shown]
	s_lshl_b32 s13, s13, 3
	s_add_i32 s13, s12, s13
	s_waitcnt vmcnt(0)
	ds_write_b64 v2, v[8:9]
	scratch_load_dwordx4 v[2:5], off, off offset:120
	scratch_load_dwordx4 v[8:11], off, off
	scratch_load_dwordx4 v[12:15], off, off offset:8
	scratch_load_dwordx4 v[16:19], off, off offset:16
	;; [unrolled: 1-line block ×3, first 2 shown]
	s_waitcnt vmcnt(3)
	v_mov_b32_e32 v29, v10
	v_mov_b32_e32 v30, v11
	ds_read2_b32 v[10:11], v25 offset1:1
	v_mov_b32_e32 v28, v8
	v_mov_b32_e32 v31, v9
	s_waitcnt lgkmcnt(0)
	v_pk_mul_f32 v[8:9], v[10:11], v[8:9]
	s_nop 0
	v_sub_f32_e32 v8, v8, v9
	v_sub_f32_e32 v2, v2, v8
	v_mov_b32_e32 v8, s16
	ds_read2_b32 v[32:33], v8 offset1:1
	scratch_load_dwordx4 v[8:11], off, off offset:32
	s_waitcnt lgkmcnt(0)
	v_mov_b32_e32 v25, v33
	v_pk_mul_f32 v[24:25], v[24:25], v[28:29]
	s_waitcnt vmcnt(3)
	v_mov_b32_e32 v29, v13
	v_pk_fma_f32 v[34:35], v[26:27], v[30:31], v[24:25] op_sel:[0,0,1] op_sel_hi:[1,1,0] neg_lo:[1,0,0] neg_hi:[1,0,0]
	v_pk_fma_f32 v[24:25], v[26:27], v[30:31], v[24:25] op_sel:[0,0,1] op_sel_hi:[1,1,0]
	v_mov_b32_e32 v13, s17
	v_mov_b32_e32 v35, v25
	v_pk_add_f32 v[2:3], v[2:3], v[34:35] neg_lo:[0,1] neg_hi:[0,1]
	v_mov_b32_e32 v35, v26
	scratch_load_dwordx4 v[24:27], off, off offset:40
	ds_read2_b32 v[30:31], v13 offset1:1
	v_mov_b32_e32 v28, v15
	v_mov_b32_e32 v15, v12
	v_pk_mul_f32 v[28:29], v[32:33], v[28:29]
	s_waitcnt vmcnt(3)
	v_mov_b32_e32 v12, v19
	s_waitcnt lgkmcnt(0)
	v_mov_b32_e32 v34, v31
	v_pk_fma_f32 v[36:37], v[34:35], v[14:15], v[28:29] neg_lo:[0,0,1] neg_hi:[0,0,1]
	v_pk_fma_f32 v[14:15], v[34:35], v[14:15], v[28:29]
	v_mov_b32_e32 v13, v17
	v_mov_b32_e32 v14, s18
	v_mov_b32_e32 v37, v15
	ds_read2_b32 v[14:15], v14 offset1:1
	v_mov_b32_e32 v29, v32
	v_mov_b32_e32 v19, v16
	v_pk_mul_f32 v[12:13], v[30:31], v[12:13]
	s_waitcnt vmcnt(2)
	v_mov_b32_e32 v16, v23
	s_waitcnt lgkmcnt(0)
	v_mov_b32_e32 v28, v15
	v_pk_fma_f32 v[32:33], v[28:29], v[18:19], v[12:13] neg_lo:[0,0,1] neg_hi:[0,0,1]
	v_pk_fma_f32 v[12:13], v[28:29], v[18:19], v[12:13]
	v_mov_b32_e32 v17, v21
	v_mov_b32_e32 v12, s19
	;; [unrolled: 1-line block ×3, first 2 shown]
	ds_read2_b32 v[12:13], v12 offset1:1
	v_mov_b32_e32 v19, v30
	v_mov_b32_e32 v23, v20
	v_pk_mul_f32 v[16:17], v[14:15], v[16:17]
	v_pk_add_f32 v[2:3], v[2:3], v[36:37] neg_lo:[0,1] neg_hi:[0,1]
	s_waitcnt lgkmcnt(0)
	v_mov_b32_e32 v18, v13
	v_pk_fma_f32 v[28:29], v[18:19], v[22:23], v[16:17] neg_lo:[0,0,1] neg_hi:[0,0,1]
	v_pk_fma_f32 v[16:17], v[18:19], v[22:23], v[16:17]
	v_mov_b32_e32 v23, v14
	v_mov_b32_e32 v29, v17
	ds_read2_b32 v[16:17], v38 offset0:1 offset1:2
	v_pk_add_f32 v[2:3], v[2:3], v[32:33] neg_lo:[0,1] neg_hi:[0,1]
	s_waitcnt lgkmcnt(0)
	v_mov_b32_e32 v22, v17
	v_pk_add_f32 v[2:3], v[2:3], v[28:29] neg_lo:[0,1] neg_hi:[0,1]
	s_waitcnt vmcnt(1)
	v_mov_b32_e32 v20, v11
	v_mov_b32_e32 v21, v9
	;; [unrolled: 1-line block ×3, first 2 shown]
	v_pk_mul_f32 v[8:9], v[12:13], v[20:21]
	v_mov_b32_e32 v13, v39
	v_pk_fma_f32 v[14:15], v[22:23], v[10:11], v[8:9] neg_lo:[0,0,1] neg_hi:[0,0,1]
	v_pk_fma_f32 v[8:9], v[22:23], v[10:11], v[8:9]
	s_waitcnt vmcnt(0)
	v_mov_b32_e32 v18, v24
	v_mov_b32_e32 v19, v26
	v_mov_b32_e32 v24, v27
	v_mov_b32_e32 v15, v9
	v_pk_mul_f32 v[8:9], v[12:13], v[18:19]
	v_pk_add_f32 v[2:3], v[2:3], v[14:15] neg_lo:[0,1] neg_hi:[0,1]
	v_pk_fma_f32 v[10:11], v[16:17], v[24:25], v[8:9] op_sel:[0,0,1] op_sel_hi:[1,1,0] neg_lo:[1,0,0] neg_hi:[1,0,0]
	v_pk_fma_f32 v[8:9], v[16:17], v[24:25], v[8:9] op_sel:[0,0,1] op_sel_hi:[1,1,0]
	s_nop 0
	v_mov_b32_e32 v11, v9
	v_mul_f32_e32 v8, v16, v26
	v_fmac_f32_e32 v8, v39, v27
	v_pk_add_f32 v[2:3], v[2:3], v[10:11] neg_lo:[0,1] neg_hi:[0,1]
	scratch_store_dwordx2 off, v[2:3], off offset:120
	v_sub_f32_e32 v14, v3, v8
	scratch_load_dwordx4 v[8:11], off, off offset:56
	v_mov_b32_e32 v3, s15
	ds_read_b64 v[12:13], v3
	s_add_i32 s15, s14, 0xffffffb8
	s_waitcnt vmcnt(0) lgkmcnt(0)
	v_mul_f32_e32 v3, v13, v9
	v_mul_f32_e32 v9, v12, v9
	v_fma_f32 v3, v12, v8, -v3
	v_fmac_f32_e32 v9, v13, v8
	v_mov_b32_e32 v8, s15
	v_sub_f32_e32 v2, v2, v3
	v_sub_f32_e32 v3, v14, v9
	ds_read2_b64 v[12:15], v8 offset1:1
	s_add_i32 s15, s14, 0xffffffa8
	s_addk_i32 s14, 0xff98
	s_waitcnt lgkmcnt(0)
	v_mul_f32_e32 v8, v15, v11
	v_mul_f32_e32 v9, v14, v11
	v_fma_f32 v8, v14, v10, -v8
	v_fmac_f32_e32 v9, v15, v10
	scratch_load_dwordx4 v[14:17], off, off offset:72
	v_sub_f32_e32 v2, v2, v8
	v_sub_f32_e32 v3, v3, v9
	s_waitcnt vmcnt(0)
	v_mul_f32_e32 v8, v13, v15
	v_fma_f32 v8, v12, v14, -v8
	v_mul_f32_e32 v9, v12, v15
	v_fmac_f32_e32 v9, v13, v14
	v_sub_f32_e32 v2, v2, v8
	v_mov_b32_e32 v8, s15
	v_sub_f32_e32 v3, v3, v9
	ds_read2_b64 v[8:11], v8 offset1:1
	s_waitcnt lgkmcnt(0)
	v_mul_f32_e32 v12, v11, v17
	v_fma_f32 v12, v10, v16, -v12
	v_mul_f32_e32 v10, v10, v17
	v_fmac_f32_e32 v10, v11, v16
	v_sub_f32_e32 v2, v2, v12
	v_sub_f32_e32 v3, v3, v10
	scratch_load_dwordx4 v[10:13], off, off offset:88
	s_waitcnt vmcnt(0)
	v_mul_f32_e32 v14, v9, v11
	v_fma_f32 v14, v8, v10, -v14
	v_mul_f32_e32 v8, v8, v11
	v_fmac_f32_e32 v8, v9, v10
	v_sub_f32_e32 v3, v3, v8
	v_mov_b32_e32 v8, s14
	ds_read2_b64 v[8:11], v8 offset1:1
	v_sub_f32_e32 v2, v2, v14
	s_waitcnt lgkmcnt(0)
	v_mul_f32_e32 v14, v11, v13
	v_fma_f32 v14, v10, v12, -v14
	v_mul_f32_e32 v10, v10, v13
	v_fmac_f32_e32 v10, v11, v12
	v_sub_f32_e32 v3, v3, v10
	v_mul_f32_e32 v10, v9, v7
	v_mul_f32_e32 v7, v8, v7
	v_sub_f32_e32 v2, v2, v14
	v_fma_f32 v10, v8, v6, -v10
	v_fmac_f32_e32 v7, v9, v6
	v_sub_f32_e32 v10, v2, v10
	v_sub_f32_e32 v11, v3, v7
	scratch_load_dwordx2 v[2:3], off, off offset:112
	v_mov_b32_e32 v6, s13
	ds_read2_b64 v[6:9], v6 offset1:1
	s_waitcnt vmcnt(0) lgkmcnt(0)
	v_mul_f32_e32 v12, v9, v3
	v_mul_f32_e32 v3, v8, v3
	v_fmac_f32_e32 v3, v9, v2
	v_fma_f32 v12, v8, v2, -v12
	v_sub_f32_e32 v3, v11, v3
	v_sub_f32_e32 v8, v10, v12
	v_mul_f32_e32 v2, v7, v3
	v_mul_f32_e32 v3, v6, v3
	v_fma_f32 v2, v6, v8, -v2
	v_fmac_f32_e32 v3, v7, v8
	scratch_store_dwordx2 off, v[2:3], off offset:120
	scratch_load_dwordx4 v[6:9], off, off offset:112
	v_add_u32_e32 v2, s12, v1
	s_add_i32 s12, s11, 0xfffff000
	s_add_i32 s13, s12, s5
	s_add_i32 s14, s13, -4
	s_sub_i32 s20, s13, 56
	scratch_load_dword v3, off, off offset:4
	v_mov_b32_e32 v25, s13
	v_mov_b32_e32 v36, s20
	ds_read_b32 v24, v25 offset:4
	ds_read_b32 v37, v36
	s_add_i32 s15, s13, -12
	s_sub_i32 s16, s13, 20
	s_sub_i32 s17, s13, 28
	;; [unrolled: 1-line block ×4, first 2 shown]
	s_waitcnt vmcnt(1)
	ds_write_b64 v2, v[8:9]
	v_mov_b32_e32 v2, s14
	ds_read2_b32 v[26:27], v2 offset1:1
	scratch_load_dwordx4 v[8:11], off, off offset:8
	scratch_load_dwordx4 v[12:15], off, off
	scratch_load_dwordx4 v[16:19], off, off offset:16
	scratch_load_dwordx4 v[20:23], off, off offset:24
	s_sub_i32 s14, s13, 64
	s_waitcnt vmcnt(4)
	v_mov_b32_e32 v29, v3
	s_waitcnt lgkmcnt(0)
	v_mov_b32_e32 v35, v26
	s_waitcnt vmcnt(3)
	v_mov_b32_e32 v2, v9
	s_waitcnt vmcnt(2)
	v_mov_b32_e32 v13, v14
	ds_read2_b32 v[14:15], v25 offset1:1
	v_mov_b32_e32 v28, v12
	v_mov_b32_e32 v30, v9
	;; [unrolled: 1-line block ×4, first 2 shown]
	s_waitcnt lgkmcnt(0)
	v_pk_mul_f32 v[14:15], v[14:15], v[28:29]
	s_nop 0
	v_sub_f32_e32 v14, v14, v15
	v_sub_f32_e32 v4, v4, v14
	v_mov_b32_e32 v14, s15
	ds_read2_b32 v[28:29], v14 offset1:1
	s_waitcnt lgkmcnt(0)
	v_mov_b32_e32 v25, v29
	v_pk_mul_f32 v[24:25], v[24:25], v[12:13]
	scratch_load_dwordx4 v[12:15], off, off offset:32
	v_pk_fma_f32 v[32:33], v[26:27], v[30:31], v[24:25] op_sel:[0,0,1] op_sel_hi:[1,1,0] neg_lo:[1,0,0] neg_hi:[1,0,0]
	v_pk_fma_f32 v[2:3], v[26:27], v[2:3], v[24:25] op_sel:[0,0,1] op_sel_hi:[1,1,0]
	v_pk_mul_f32 v[8:9], v[28:29], v[30:31] op_sel:[0,1] op_sel_hi:[1,0]
	v_mov_b32_e32 v33, v3
	v_mov_b32_e32 v2, s16
	v_pk_add_f32 v[24:25], v[4:5], v[32:33] neg_lo:[0,1] neg_hi:[0,1]
	ds_read2_b32 v[32:33], v2 offset1:1
	scratch_load_dwordx4 v[2:5], off, off offset:40
	s_waitcnt vmcnt(3)
	v_mov_b32_e32 v26, v19
	v_mov_b32_e32 v27, v17
	;; [unrolled: 1-line block ×3, first 2 shown]
	s_waitcnt lgkmcnt(0)
	v_mov_b32_e32 v34, v33
	v_pk_fma_f32 v[30:31], v[34:35], v[10:11], v[8:9] neg_lo:[0,0,1] neg_hi:[0,0,1]
	v_pk_fma_f32 v[8:9], v[34:35], v[10:11], v[8:9]
	v_mov_b32_e32 v35, v28
	v_mov_b32_e32 v31, v9
	;; [unrolled: 1-line block ×3, first 2 shown]
	v_pk_add_f32 v[24:25], v[24:25], v[30:31] neg_lo:[0,1] neg_hi:[0,1]
	ds_read2_b32 v[30:31], v8 offset1:1
	scratch_load_dwordx4 v[8:11], off, off offset:48
	v_pk_mul_f32 v[26:27], v[32:33], v[26:27]
	s_waitcnt vmcnt(3)
	v_mov_b32_e32 v17, v21
	v_mov_b32_e32 v21, s18
	s_waitcnt lgkmcnt(0)
	v_mov_b32_e32 v34, v31
	v_pk_fma_f32 v[28:29], v[34:35], v[18:19], v[26:27] neg_lo:[0,0,1] neg_hi:[0,0,1]
	v_pk_fma_f32 v[18:19], v[34:35], v[18:19], v[26:27]
	v_mov_b32_e32 v16, v23
	v_mov_b32_e32 v29, v19
	v_pk_add_f32 v[18:19], v[24:25], v[28:29] neg_lo:[0,1] neg_hi:[0,1]
	ds_read2_b32 v[24:25], v21 offset1:1
	v_mov_b32_e32 v27, v32
	v_mov_b32_e32 v23, v20
	v_pk_mul_f32 v[16:17], v[30:31], v[16:17]
	s_waitcnt lgkmcnt(0)
	v_mov_b32_e32 v26, v25
	v_pk_fma_f32 v[28:29], v[26:27], v[22:23], v[16:17] neg_lo:[0,0,1] neg_hi:[0,0,1]
	v_pk_fma_f32 v[16:17], v[26:27], v[22:23], v[16:17]
	v_mov_b32_e32 v23, v30
	v_mov_b32_e32 v29, v17
	v_pk_add_f32 v[16:17], v[18:19], v[28:29] neg_lo:[0,1] neg_hi:[0,1]
	s_waitcnt vmcnt(2)
	v_mov_b32_e32 v21, v13
	v_mov_b32_e32 v13, s19
	ds_read2_b32 v[18:19], v13 offset1:1
	v_mov_b32_e32 v20, v15
	v_mov_b32_e32 v15, v12
	v_pk_mul_f32 v[20:21], v[24:25], v[20:21]
	s_waitcnt lgkmcnt(0)
	v_mov_b32_e32 v22, v19
	v_pk_fma_f32 v[26:27], v[22:23], v[14:15], v[20:21] neg_lo:[0,0,1] neg_hi:[0,0,1]
	v_pk_fma_f32 v[14:15], v[22:23], v[14:15], v[20:21]
	s_waitcnt vmcnt(1)
	v_mov_b32_e32 v12, v5
	v_mov_b32_e32 v27, v15
	v_pk_add_f32 v[14:15], v[16:17], v[26:27] neg_lo:[0,1] neg_hi:[0,1]
	ds_read2_b32 v[16:17], v36 offset0:1 offset1:2
	v_mov_b32_e32 v13, v3
	v_mov_b32_e32 v23, v24
	;; [unrolled: 1-line block ×3, first 2 shown]
	v_pk_mul_f32 v[2:3], v[18:19], v[12:13]
	s_waitcnt lgkmcnt(0)
	v_mov_b32_e32 v22, v17
	v_pk_fma_f32 v[12:13], v[22:23], v[4:5], v[2:3] neg_lo:[0,0,1] neg_hi:[0,0,1]
	s_waitcnt vmcnt(0)
	v_mov_b32_e32 v20, v8
	v_mov_b32_e32 v21, v10
	v_pk_fma_f32 v[2:3], v[22:23], v[4:5], v[2:3]
	v_mov_b32_e32 v19, v37
	v_mov_b32_e32 v8, v11
	;; [unrolled: 1-line block ×3, first 2 shown]
	v_pk_mul_f32 v[4:5], v[18:19], v[20:21]
	v_pk_add_f32 v[2:3], v[14:15], v[12:13] neg_lo:[0,1] neg_hi:[0,1]
	v_pk_fma_f32 v[12:13], v[16:17], v[8:9], v[4:5] op_sel:[0,0,1] op_sel_hi:[1,1,0] neg_lo:[1,0,0] neg_hi:[1,0,0]
	v_pk_fma_f32 v[4:5], v[16:17], v[8:9], v[4:5] op_sel:[0,0,1] op_sel_hi:[1,1,0]
	s_nop 0
	v_mov_b32_e32 v13, v5
	v_mul_f32_e32 v4, v16, v10
	v_fmac_f32_e32 v4, v37, v11
	v_pk_add_f32 v[8:9], v[2:3], v[12:13] neg_lo:[0,1] neg_hi:[0,1]
	v_mov_b32_e32 v10, s14
	v_sub_f32_e32 v9, v9, v4
	scratch_load_dwordx4 v[2:5], off, off offset:64
	ds_read_b64 v[10:11], v10
	s_add_i32 s14, s13, 0xffffffb0
	s_waitcnt vmcnt(0) lgkmcnt(0)
	v_mul_f32_e32 v12, v11, v3
	v_fma_f32 v12, v10, v2, -v12
	v_mul_f32_e32 v3, v10, v3
	v_fmac_f32_e32 v3, v11, v2
	v_sub_f32_e32 v2, v8, v12
	v_mov_b32_e32 v8, s14
	v_sub_f32_e32 v3, v9, v3
	ds_read2_b64 v[8:11], v8 offset1:1
	s_add_i32 s14, s13, 0xffffffa0
	s_addk_i32 s13, 0xff90
	s_waitcnt lgkmcnt(0)
	v_mul_f32_e32 v12, v11, v5
	v_fma_f32 v12, v10, v4, -v12
	v_mul_f32_e32 v5, v10, v5
	v_fmac_f32_e32 v5, v11, v4
	v_sub_f32_e32 v2, v2, v12
	scratch_load_dwordx4 v[10:13], off, off offset:80
	v_sub_f32_e32 v3, v3, v5
	s_waitcnt vmcnt(0)
	v_mul_f32_e32 v4, v9, v11
	v_fma_f32 v4, v8, v10, -v4
	v_mul_f32_e32 v5, v8, v11
	v_fmac_f32_e32 v5, v9, v10
	v_sub_f32_e32 v8, v2, v4
	v_mov_b32_e32 v2, s14
	v_sub_f32_e32 v9, v3, v5
	ds_read2_b64 v[2:5], v2 offset1:1
	s_waitcnt lgkmcnt(0)
	v_mul_f32_e32 v10, v5, v13
	v_fma_f32 v10, v4, v12, -v10
	v_mul_f32_e32 v4, v4, v13
	v_fmac_f32_e32 v4, v5, v12
	v_sub_f32_e32 v5, v8, v10
	v_sub_f32_e32 v4, v9, v4
	scratch_load_dwordx4 v[8:11], off, off offset:96
	s_waitcnt vmcnt(0)
	v_mul_f32_e32 v12, v3, v9
	v_fma_f32 v12, v2, v8, -v12
	v_mul_f32_e32 v2, v2, v9
	v_fmac_f32_e32 v2, v3, v8
	v_sub_f32_e32 v9, v4, v2
	v_mov_b32_e32 v2, s13
	v_sub_f32_e32 v8, v5, v12
	ds_read2_b64 v[2:5], v2 offset1:1
	s_add_i32 s13, s4, 0xffffef80
	s_waitcnt lgkmcnt(0)
	v_mul_f32_e32 v12, v5, v11
	v_fma_f32 v12, v4, v10, -v12
	v_mul_f32_e32 v4, v4, v11
	v_fmac_f32_e32 v4, v5, v10
	v_sub_f32_e32 v5, v8, v12
	v_mul_f32_e32 v8, v3, v7
	v_fma_f32 v8, v2, v6, -v8
	v_mul_f32_e32 v2, v2, v7
	v_fmac_f32_e32 v2, v3, v6
	scratch_load_dwordx2 v[6:7], off, off offset:120
	v_sub_f32_e32 v4, v9, v4
	v_sub_f32_e32 v9, v4, v2
	v_mov_b32_e32 v2, s13
	v_sub_f32_e32 v8, v5, v8
	ds_read2_b64 v[2:5], v2 offset1:1
	s_waitcnt vmcnt(0) lgkmcnt(0)
	v_mul_f32_e32 v10, v5, v7
	v_fma_f32 v10, v4, v6, -v10
	v_mul_f32_e32 v4, v4, v7
	v_fmac_f32_e32 v4, v5, v6
	v_sub_f32_e32 v5, v9, v4
	v_sub_f32_e32 v6, v8, v10
	v_mul_f32_e32 v4, v3, v5
	v_mul_f32_e32 v5, v2, v5
	v_fma_f32 v4, v2, v6, -v4
	v_fmac_f32_e32 v5, v3, v6
	scratch_store_dwordx2 off, v[4:5], off offset:128
	scratch_load_dwordx4 v[6:9], off, off offset:120
	v_add_u32_e32 v2, s12, v1
	s_add_i32 s12, s11, 0xffffef00
	s_add_i32 s13, s12, s5
	s_add_i32 s14, s13, -4
	v_mov_b32_e32 v12, s14
	ds_read2_b32 v[26:27], v12 offset1:1
	scratch_load_dwordx4 v[12:15], off, off offset:16
	v_mov_b32_e32 v20, s13
	ds_read_b32 v25, v20 offset:4
	s_add_i32 s15, s13, -12
	scratch_load_dwordx4 v[16:19], off, off offset:24
	s_sub_i32 s16, s13, 20
	s_sub_i32 s17, s13, 28
	;; [unrolled: 1-line block ×6, first 2 shown]
	v_mov_b32_e32 v38, s21
	ds_read_b32 v39, v38
	s_add_i32 s14, s13, 0xffffffb8
	s_waitcnt vmcnt(2)
	ds_write_b64 v2, v[8:9]
	scratch_load_dwordx4 v[2:5], off, off offset:136
	scratch_load_dwordx4 v[8:11], off, off
	ds_read2_b32 v[20:21], v20 offset1:1
	s_waitcnt vmcnt(3)
	v_mov_b32_e32 v29, v12
	v_mov_b32_e32 v36, v13
	s_waitcnt vmcnt(0)
	v_mov_b32_e32 v31, v8
	v_mov_b32_e32 v33, v9
	s_waitcnt lgkmcnt(0)
	v_pk_mul_f32 v[8:9], v[20:21], v[8:9]
	v_mov_b32_e32 v32, v11
	v_sub_f32_e32 v8, v8, v9
	v_sub_f32_e32 v2, v2, v8
	v_mov_b32_e32 v8, s15
	ds_read2_b32 v[34:35], v8 offset1:1
	v_mov_b32_e32 v28, v10
	v_mov_b32_e32 v30, v10
	v_pk_mul_f32 v[8:9], v[26:27], v[32:33]
	scratch_load_dwordx4 v[20:23], off, off offset:32
	s_waitcnt lgkmcnt(0)
	v_mov_b32_e32 v24, v35
	v_pk_fma_f32 v[28:29], v[34:35], v[28:29], v[8:9] op_sel:[1,0,0] op_sel_hi:[0,1,1] neg_lo:[0,0,1] neg_hi:[0,0,1]
	v_pk_fma_f32 v[8:9], v[24:25], v[30:31], v[8:9]
	v_mov_b32_e32 v37, v11
	v_mov_b32_e32 v29, v9
	;; [unrolled: 1-line block ×3, first 2 shown]
	v_pk_add_f32 v[2:3], v[2:3], v[28:29] neg_lo:[0,1] neg_hi:[0,1]
	ds_read2_b32 v[28:29], v8 offset1:1
	v_mov_b32_e32 v27, v10
	scratch_load_dwordx4 v[8:11], off, off offset:40
	v_mov_b32_e32 v25, v26
	v_mov_b32_e32 v26, v12
	s_waitcnt lgkmcnt(0)
	v_mov_b32_e32 v24, v29
	v_mov_b32_e32 v31, v13
	v_pk_mul_f32 v[32:33], v[34:35], v[36:37]
	v_mov_b32_e32 v13, s17
	v_pk_fma_f32 v[36:37], v[24:25], v[26:27], v[32:33] neg_lo:[0,0,1] neg_hi:[0,0,1]
	v_pk_fma_f32 v[24:25], v[24:25], v[26:27], v[32:33]
	ds_read2_b32 v[32:33], v13 offset1:1
	v_mov_b32_e32 v30, v15
	v_mov_b32_e32 v37, v25
	v_pk_add_f32 v[2:3], v[2:3], v[36:37] neg_lo:[0,1] neg_hi:[0,1]
	v_mov_b32_e32 v37, v34
	s_waitcnt lgkmcnt(0)
	v_mov_b32_e32 v36, v33
	v_mov_b32_e32 v15, v12
	v_pk_mul_f32 v[12:13], v[28:29], v[30:31]
	scratch_load_dwordx4 v[24:27], off, off offset:48
	v_pk_fma_f32 v[30:31], v[36:37], v[14:15], v[12:13] neg_lo:[0,0,1] neg_hi:[0,0,1]
	v_pk_fma_f32 v[12:13], v[36:37], v[14:15], v[12:13]
	v_mov_b32_e32 v34, v19
	v_mov_b32_e32 v31, v13
	;; [unrolled: 1-line block ×3, first 2 shown]
	v_pk_add_f32 v[2:3], v[2:3], v[30:31] neg_lo:[0,1] neg_hi:[0,1]
	ds_read2_b32 v[30:31], v12 offset1:1
	scratch_load_dwordx4 v[12:15], off, off offset:56
	v_mov_b32_e32 v35, v17
	v_mov_b32_e32 v37, v28
	;; [unrolled: 1-line block ×3, first 2 shown]
	s_waitcnt lgkmcnt(0)
	v_mov_b32_e32 v36, v31
	v_pk_mul_f32 v[28:29], v[32:33], v[34:35]
	s_waitcnt vmcnt(3)
	v_mov_b32_e32 v16, v23
	v_pk_fma_f32 v[34:35], v[36:37], v[18:19], v[28:29] neg_lo:[0,0,1] neg_hi:[0,0,1]
	v_pk_fma_f32 v[18:19], v[36:37], v[18:19], v[28:29]
	v_mov_b32_e32 v17, v21
	v_mov_b32_e32 v18, s19
	;; [unrolled: 1-line block ×3, first 2 shown]
	ds_read2_b32 v[18:19], v18 offset1:1
	v_mov_b32_e32 v29, v32
	v_mov_b32_e32 v23, v20
	v_pk_mul_f32 v[16:17], v[30:31], v[16:17]
	s_waitcnt vmcnt(2)
	v_mov_b32_e32 v21, v9
	s_waitcnt lgkmcnt(0)
	v_mov_b32_e32 v28, v19
	v_pk_fma_f32 v[32:33], v[28:29], v[22:23], v[16:17] neg_lo:[0,0,1] neg_hi:[0,0,1]
	v_pk_fma_f32 v[16:17], v[28:29], v[22:23], v[16:17]
	v_mov_b32_e32 v9, s20
	v_mov_b32_e32 v33, v17
	ds_read2_b32 v[16:17], v9 offset1:1
	v_mov_b32_e32 v20, v11
	v_mov_b32_e32 v23, v30
	v_mov_b32_e32 v11, v8
	v_pk_mul_f32 v[20:21], v[18:19], v[20:21]
	s_waitcnt lgkmcnt(0)
	v_mov_b32_e32 v22, v17
	v_pk_fma_f32 v[28:29], v[22:23], v[10:11], v[20:21] neg_lo:[0,0,1] neg_hi:[0,0,1]
	v_pk_fma_f32 v[10:11], v[22:23], v[10:11], v[20:21]
	v_mov_b32_e32 v23, v18
	v_mov_b32_e32 v29, v11
	ds_read2_b32 v[10:11], v38 offset0:1 offset1:2
	s_waitcnt vmcnt(1)
	v_mov_b32_e32 v8, v27
	v_mov_b32_e32 v9, v25
	;; [unrolled: 1-line block ×3, first 2 shown]
	v_pk_mul_f32 v[8:9], v[16:17], v[8:9]
	s_waitcnt lgkmcnt(0)
	v_mov_b32_e32 v22, v11
	v_pk_add_f32 v[2:3], v[2:3], v[34:35] neg_lo:[0,1] neg_hi:[0,1]
	v_pk_fma_f32 v[18:19], v[22:23], v[26:27], v[8:9] neg_lo:[0,0,1] neg_hi:[0,0,1]
	v_pk_fma_f32 v[8:9], v[22:23], v[26:27], v[8:9]
	s_waitcnt vmcnt(0)
	v_mov_b32_e32 v20, v12
	v_mov_b32_e32 v21, v14
	;; [unrolled: 1-line block ×3, first 2 shown]
	v_pk_add_f32 v[2:3], v[2:3], v[32:33] neg_lo:[0,1] neg_hi:[0,1]
	v_mov_b32_e32 v12, v15
	v_mov_b32_e32 v19, v9
	v_pk_mul_f32 v[8:9], v[16:17], v[20:21]
	v_pk_add_f32 v[2:3], v[2:3], v[28:29] neg_lo:[0,1] neg_hi:[0,1]
	v_pk_fma_f32 v[16:17], v[10:11], v[12:13], v[8:9] op_sel:[0,0,1] op_sel_hi:[1,1,0] neg_lo:[1,0,0] neg_hi:[1,0,0]
	v_pk_fma_f32 v[8:9], v[10:11], v[12:13], v[8:9] op_sel:[0,0,1] op_sel_hi:[1,1,0]
	v_pk_add_f32 v[2:3], v[2:3], v[18:19] neg_lo:[0,1] neg_hi:[0,1]
	v_mov_b32_e32 v17, v9
	v_mul_f32_e32 v8, v10, v14
	v_fmac_f32_e32 v8, v39, v15
	v_pk_add_f32 v[2:3], v[2:3], v[16:17] neg_lo:[0,1] neg_hi:[0,1]
	v_mov_b32_e32 v12, s14
	v_sub_f32_e32 v3, v3, v8
	scratch_load_dwordx4 v[8:11], off, off offset:72
	ds_read_b64 v[12:13], v12
	s_add_i32 s14, s13, 0xffffffa8
	scratch_load_dword v24, off, off offset:20
	s_waitcnt vmcnt(1) lgkmcnt(0)
	v_mul_f32_e32 v14, v13, v9
	v_mul_f32_e32 v9, v12, v9
	v_fma_f32 v14, v12, v8, -v14
	v_fmac_f32_e32 v9, v13, v8
	v_mov_b32_e32 v8, s14
	v_sub_f32_e32 v2, v2, v14
	ds_read2_b64 v[12:15], v8 offset1:1
	v_sub_f32_e32 v3, v3, v9
	s_add_i32 s14, s13, 0xffffff98
	s_addk_i32 s13, 0xff88
	s_waitcnt lgkmcnt(0)
	v_mul_f32_e32 v8, v15, v11
	v_mul_f32_e32 v9, v14, v11
	v_fma_f32 v8, v14, v10, -v8
	v_fmac_f32_e32 v9, v15, v10
	scratch_load_dwordx4 v[14:17], off, off offset:88
	v_sub_f32_e32 v2, v2, v8
	v_sub_f32_e32 v3, v3, v9
	s_waitcnt vmcnt(0)
	v_mul_f32_e32 v8, v13, v15
	v_fma_f32 v8, v12, v14, -v8
	v_mul_f32_e32 v9, v12, v15
	v_fmac_f32_e32 v9, v13, v14
	v_sub_f32_e32 v2, v2, v8
	v_mov_b32_e32 v8, s14
	v_sub_f32_e32 v3, v3, v9
	ds_read2_b64 v[8:11], v8 offset1:1
	s_waitcnt lgkmcnt(0)
	v_mul_f32_e32 v12, v11, v17
	v_fma_f32 v12, v10, v16, -v12
	v_mul_f32_e32 v10, v10, v17
	v_fmac_f32_e32 v10, v11, v16
	v_sub_f32_e32 v2, v2, v12
	v_sub_f32_e32 v3, v3, v10
	scratch_load_dwordx4 v[10:13], off, off offset:104
	s_waitcnt vmcnt(0)
	v_mul_f32_e32 v14, v9, v11
	v_fma_f32 v14, v8, v10, -v14
	v_mul_f32_e32 v8, v8, v11
	v_fmac_f32_e32 v8, v9, v10
	v_sub_f32_e32 v3, v3, v8
	v_mov_b32_e32 v8, s13
	ds_read2_b64 v[8:11], v8 offset1:1
	v_sub_f32_e32 v2, v2, v14
	s_add_i32 s13, s4, 0xffffee78
	s_waitcnt lgkmcnt(0)
	v_mul_f32_e32 v14, v11, v13
	v_fma_f32 v14, v10, v12, -v14
	v_mul_f32_e32 v10, v10, v13
	v_fmac_f32_e32 v10, v11, v12
	v_sub_f32_e32 v3, v3, v10
	v_mul_f32_e32 v10, v9, v7
	v_mul_f32_e32 v7, v8, v7
	v_sub_f32_e32 v2, v2, v14
	v_fma_f32 v10, v8, v6, -v10
	v_fmac_f32_e32 v7, v9, v6
	v_sub_f32_e32 v10, v2, v10
	v_sub_f32_e32 v11, v3, v7
	scratch_load_dwordx2 v[2:3], off, off offset:128
	v_mov_b32_e32 v6, s13
	ds_read2_b64 v[6:9], v6 offset1:1
	s_waitcnt vmcnt(0) lgkmcnt(0)
	v_mul_f32_e32 v12, v9, v3
	v_mul_f32_e32 v3, v8, v3
	v_fmac_f32_e32 v3, v9, v2
	v_fma_f32 v12, v8, v2, -v12
	v_sub_f32_e32 v3, v11, v3
	v_sub_f32_e32 v8, v10, v12
	v_mul_f32_e32 v2, v7, v3
	v_mul_f32_e32 v3, v6, v3
	v_fma_f32 v2, v6, v8, -v2
	v_fmac_f32_e32 v3, v7, v8
	scratch_store_dwordx2 off, v[2:3], off offset:136
	scratch_load_dwordx4 v[6:9], off, off offset:128
	v_add_u32_e32 v2, s12, v1
	s_add_i32 s12, s11, 0xffffee00
	s_add_i32 s13, s12, s5
	s_add_i32 s14, s13, -4
	v_mov_b32_e32 v12, s14
	ds_read2_b32 v[26:27], v12 offset1:1
	s_add_i32 s15, s13, -12
	s_add_i32 s22, s13, 0xffffffb8
	v_mov_b32_e32 v36, s22
	ds_read_b32 v37, v36
	s_sub_i32 s16, s13, 20
	s_sub_i32 s17, s13, 28
	;; [unrolled: 1-line block ×6, first 2 shown]
	s_add_i32 s14, s13, 0xffffffb0
	s_waitcnt vmcnt(0)
	ds_write_b64 v2, v[8:9]
	scratch_load_dwordx4 v[8:11], off, off
	v_mov_b32_e32 v2, s13
	ds_read_b32 v3, v2 offset:4
	s_waitcnt vmcnt(0) lgkmcnt(0)
	v_mul_f32_e32 v2, v3, v9
	v_fma_f32 v2, v27, v8, -v2
	v_sub_f32_e32 v4, v4, v2
	v_mov_b32_e32 v2, s15
	ds_read2_b32 v[28:29], v2 offset1:1
	scratch_load_dwordx4 v[12:15], off, off offset:24
	scratch_load_dwordx4 v[16:19], off, off offset:16
	v_mov_b32_e32 v33, v8
	v_mov_b32_e32 v8, v11
	v_mov_b32_e32 v32, v10
	s_waitcnt lgkmcnt(0)
	v_mov_b32_e32 v2, v29
	v_pk_mul_f32 v[34:35], v[26:27], v[8:9]
	v_mov_b32_e32 v31, v10
	v_pk_fma_f32 v[2:3], v[2:3], v[32:33], v[34:35]
	v_mul_f32_e32 v10, v29, v10
	v_mov_b32_e32 v2, s16
	ds_read2_b32 v[32:33], v2 offset1:1
	scratch_load_dwordx4 v[20:23], off, off offset:32
	v_pk_fma_f32 v[8:9], v[26:27], v[8:9], v[10:11] op_sel_hi:[1,1,0] neg_lo:[1,0,0] neg_hi:[1,0,0]
	v_mov_b32_e32 v25, v11
	v_mov_b32_e32 v9, v3
	v_pk_add_f32 v[8:9], v[4:5], v[8:9] neg_lo:[0,1] neg_hi:[0,1]
	scratch_load_dwordx4 v[2:5], off, off offset:40
	s_waitcnt lgkmcnt(0)
	v_mov_b32_e32 v10, v33
	v_mov_b32_e32 v11, v26
	;; [unrolled: 1-line block ×3, first 2 shown]
	v_pk_mul_f32 v[24:25], v[28:29], v[24:25]
	s_waitcnt vmcnt(3)
	v_mov_b32_e32 v26, v13
	s_waitcnt vmcnt(2)
	v_mov_b32_e32 v17, v18
	v_mov_b32_e32 v30, v16
	v_pk_fma_f32 v[34:35], v[10:11], v[16:17], v[24:25] neg_lo:[0,0,1] neg_hi:[0,0,1]
	v_pk_fma_f32 v[10:11], v[10:11], v[30:31], v[24:25]
	v_mov_b32_e32 v19, v16
	v_mov_b32_e32 v35, v11
	v_pk_add_f32 v[24:25], v[8:9], v[34:35] neg_lo:[0,1] neg_hi:[0,1]
	v_mov_b32_e32 v8, s17
	ds_read2_b32 v[30:31], v8 offset1:1
	scratch_load_dwordx4 v[8:11], off, off offset:48
	v_mov_b32_e32 v35, v28
	v_pk_mul_f32 v[16:17], v[32:33], v[26:27]
	v_mov_b32_e32 v29, v13
	s_waitcnt lgkmcnt(0)
	v_mov_b32_e32 v34, v31
	v_pk_fma_f32 v[26:27], v[34:35], v[18:19], v[16:17] neg_lo:[0,0,1] neg_hi:[0,0,1]
	v_pk_fma_f32 v[16:17], v[34:35], v[18:19], v[16:17]
	v_mov_b32_e32 v13, s18
	v_mov_b32_e32 v27, v17
	v_pk_add_f32 v[24:25], v[24:25], v[26:27] neg_lo:[0,1] neg_hi:[0,1]
	ds_read2_b32 v[26:27], v13 offset1:1
	v_mov_b32_e32 v28, v15
	v_mov_b32_e32 v35, v32
	;; [unrolled: 1-line block ×3, first 2 shown]
	v_pk_mul_f32 v[12:13], v[30:31], v[28:29]
	s_waitcnt lgkmcnt(0)
	v_mov_b32_e32 v34, v27
	scratch_load_dwordx4 v[16:19], off, off offset:56
	v_pk_fma_f32 v[28:29], v[34:35], v[14:15], v[12:13] neg_lo:[0,0,1] neg_hi:[0,0,1]
	v_pk_fma_f32 v[12:13], v[34:35], v[14:15], v[12:13]
	s_waitcnt vmcnt(3)
	v_mov_b32_e32 v32, v23
	v_mov_b32_e32 v29, v13
	;; [unrolled: 1-line block ×3, first 2 shown]
	v_pk_add_f32 v[24:25], v[24:25], v[28:29] neg_lo:[0,1] neg_hi:[0,1]
	ds_read2_b32 v[28:29], v12 offset1:1
	scratch_load_dwordx4 v[12:15], off, off offset:64
	v_mov_b32_e32 v33, v21
	v_mov_b32_e32 v35, v30
	;; [unrolled: 1-line block ×3, first 2 shown]
	s_waitcnt lgkmcnt(0)
	v_mov_b32_e32 v34, v29
	v_pk_mul_f32 v[30:31], v[26:27], v[32:33]
	s_waitcnt vmcnt(3)
	v_mov_b32_e32 v21, v3
	v_pk_fma_f32 v[32:33], v[34:35], v[22:23], v[30:31] neg_lo:[0,0,1] neg_hi:[0,0,1]
	v_pk_fma_f32 v[22:23], v[34:35], v[22:23], v[30:31]
	v_mov_b32_e32 v3, s20
	v_mov_b32_e32 v33, v23
	v_pk_add_f32 v[22:23], v[24:25], v[32:33] neg_lo:[0,1] neg_hi:[0,1]
	ds_read2_b32 v[24:25], v3 offset1:1
	v_mov_b32_e32 v20, v5
	v_mov_b32_e32 v31, v26
	;; [unrolled: 1-line block ×3, first 2 shown]
	v_pk_mul_f32 v[20:21], v[28:29], v[20:21]
	s_waitcnt lgkmcnt(0)
	v_mov_b32_e32 v30, v25
	v_pk_fma_f32 v[26:27], v[30:31], v[4:5], v[20:21] neg_lo:[0,0,1] neg_hi:[0,0,1]
	v_pk_fma_f32 v[4:5], v[30:31], v[4:5], v[20:21]
	s_waitcnt vmcnt(2)
	v_mov_b32_e32 v3, v9
	v_mov_b32_e32 v9, s21
	ds_read2_b32 v[20:21], v9 offset1:1
	v_mov_b32_e32 v2, v11
	v_mov_b32_e32 v27, v5
	v_pk_add_f32 v[4:5], v[22:23], v[26:27] neg_lo:[0,1] neg_hi:[0,1]
	v_mov_b32_e32 v23, v28
	s_waitcnt lgkmcnt(0)
	v_mov_b32_e32 v22, v21
	v_mov_b32_e32 v11, v8
	v_pk_mul_f32 v[2:3], v[24:25], v[2:3]
	s_waitcnt vmcnt(1)
	v_mov_b32_e32 v8, v19
	v_pk_fma_f32 v[26:27], v[22:23], v[10:11], v[2:3] neg_lo:[0,0,1] neg_hi:[0,0,1]
	v_pk_fma_f32 v[2:3], v[22:23], v[10:11], v[2:3]
	v_mov_b32_e32 v9, v17
	v_mov_b32_e32 v27, v3
	v_pk_add_f32 v[2:3], v[4:5], v[26:27] neg_lo:[0,1] neg_hi:[0,1]
	ds_read2_b32 v[4:5], v36 offset0:1 offset1:2
	v_mov_b32_e32 v23, v24
	v_mov_b32_e32 v19, v16
	v_pk_mul_f32 v[8:9], v[20:21], v[8:9]
	s_waitcnt vmcnt(0)
	v_mov_b32_e32 v10, v12
	s_waitcnt lgkmcnt(0)
	v_mov_b32_e32 v22, v5
	v_mov_b32_e32 v11, v14
	v_pk_fma_f32 v[16:17], v[22:23], v[18:19], v[8:9] neg_lo:[0,0,1] neg_hi:[0,0,1]
	v_pk_fma_f32 v[8:9], v[22:23], v[18:19], v[8:9]
	v_mov_b32_e32 v21, v37
	v_mov_b32_e32 v12, v15
	;; [unrolled: 1-line block ×3, first 2 shown]
	v_pk_mul_f32 v[8:9], v[20:21], v[10:11]
	v_pk_add_f32 v[2:3], v[2:3], v[16:17] neg_lo:[0,1] neg_hi:[0,1]
	v_pk_fma_f32 v[10:11], v[4:5], v[12:13], v[8:9] op_sel:[0,0,1] op_sel_hi:[1,1,0] neg_lo:[1,0,0] neg_hi:[1,0,0]
	v_pk_fma_f32 v[8:9], v[4:5], v[12:13], v[8:9] op_sel:[0,0,1] op_sel_hi:[1,1,0]
	v_mul_f32_e32 v4, v4, v14
	v_mov_b32_e32 v11, v9
	v_fmac_f32_e32 v4, v37, v15
	v_pk_add_f32 v[8:9], v[2:3], v[10:11] neg_lo:[0,1] neg_hi:[0,1]
	v_mov_b32_e32 v10, s14
	v_sub_f32_e32 v9, v9, v4
	scratch_load_dwordx4 v[2:5], off, off offset:80
	ds_read_b64 v[10:11], v10
	s_add_i32 s14, s13, 0xffffffa0
	s_waitcnt vmcnt(0) lgkmcnt(0)
	v_mul_f32_e32 v12, v11, v3
	v_fma_f32 v12, v10, v2, -v12
	v_mul_f32_e32 v3, v10, v3
	v_fmac_f32_e32 v3, v11, v2
	v_sub_f32_e32 v2, v8, v12
	v_mov_b32_e32 v8, s14
	v_sub_f32_e32 v3, v9, v3
	ds_read2_b64 v[8:11], v8 offset1:1
	s_add_i32 s14, s13, 0xffffff90
	s_addk_i32 s13, 0xff80
	s_waitcnt lgkmcnt(0)
	v_mul_f32_e32 v12, v11, v5
	v_mul_f32_e32 v5, v10, v5
	v_fma_f32 v12, v10, v4, -v12
	v_fmac_f32_e32 v5, v11, v4
	v_sub_f32_e32 v10, v2, v12
	v_sub_f32_e32 v11, v3, v5
	scratch_load_dwordx4 v[2:5], off, off offset:96
	s_waitcnt vmcnt(0)
	v_mul_f32_e32 v12, v9, v3
	v_mul_f32_e32 v3, v8, v3
	v_fma_f32 v12, v8, v2, -v12
	v_fmac_f32_e32 v3, v9, v2
	v_mov_b32_e32 v8, s14
	v_sub_f32_e32 v2, v10, v12
	v_sub_f32_e32 v3, v11, v3
	ds_read2_b64 v[8:11], v8 offset1:1
	s_waitcnt lgkmcnt(0)
	v_mul_f32_e32 v12, v11, v5
	v_mul_f32_e32 v5, v10, v5
	v_fma_f32 v12, v10, v4, -v12
	v_fmac_f32_e32 v5, v11, v4
	v_sub_f32_e32 v10, v2, v12
	v_sub_f32_e32 v11, v3, v5
	scratch_load_dwordx4 v[2:5], off, off offset:112
	s_waitcnt vmcnt(0)
	v_mul_f32_e32 v12, v9, v3
	v_mul_f32_e32 v3, v8, v3
	v_fma_f32 v12, v8, v2, -v12
	v_fmac_f32_e32 v3, v9, v2
	v_mov_b32_e32 v8, s13
	v_sub_f32_e32 v2, v10, v12
	v_sub_f32_e32 v3, v11, v3
	ds_read2_b64 v[8:11], v8 offset1:1
	s_add_i32 s13, s4, 0xffffed70
	s_waitcnt lgkmcnt(0)
	v_mul_f32_e32 v12, v11, v5
	v_mul_f32_e32 v5, v10, v5
	v_fmac_f32_e32 v5, v11, v4
	v_fma_f32 v12, v10, v4, -v12
	v_sub_f32_e32 v3, v3, v5
	v_mul_f32_e32 v4, v9, v7
	v_mul_f32_e32 v5, v8, v7
	v_fma_f32 v4, v8, v6, -v4
	v_fmac_f32_e32 v5, v9, v6
	scratch_load_dwordx2 v[6:7], off, off offset:136
	v_sub_f32_e32 v2, v2, v12
	v_sub_f32_e32 v8, v2, v4
	v_mov_b32_e32 v2, s13
	v_sub_f32_e32 v9, v3, v5
	ds_read2_b64 v[2:5], v2 offset1:1
	s_waitcnt vmcnt(0) lgkmcnt(0)
	v_mul_f32_e32 v10, v5, v7
	v_fma_f32 v10, v4, v6, -v10
	v_mul_f32_e32 v4, v4, v7
	v_fmac_f32_e32 v4, v5, v6
	v_sub_f32_e32 v5, v9, v4
	v_sub_f32_e32 v6, v8, v10
	v_mul_f32_e32 v4, v3, v5
	v_mul_f32_e32 v5, v2, v5
	v_fma_f32 v4, v2, v6, -v4
	v_fmac_f32_e32 v5, v3, v6
	scratch_store_dwordx2 off, v[4:5], off offset:144
	scratch_load_dwordx4 v[6:9], off, off offset:136
	v_add_u32_e32 v2, s12, v1
	s_add_i32 s12, s11, 0xffffed00
	s_add_i32 s13, s12, s5
	s_add_i32 s14, s13, -4
	v_mov_b32_e32 v12, s14
	ds_read2_b32 v[20:21], v12 offset1:1
	v_mov_b32_e32 v12, s13
	ds_read_b32 v12, v12 offset:4
	s_add_i32 s14, s13, -12
	v_mov_b32_e32 v16, s14
	ds_read2_b32 v[24:25], v16 offset1:1
	scratch_load_dwordx4 v[16:19], off, off offset:32
	s_sub_i32 s15, s13, 20
	s_sub_i32 s16, s13, 28
	;; [unrolled: 1-line block ×6, first 2 shown]
	s_add_i32 s21, s13, 0xffffffbc
	s_add_i32 s22, s13, 0xffffffb0
	v_mov_b32_e32 v38, s22
	ds_read_b32 v39, v38
	s_add_i32 s14, s13, 0xffffffa8
	s_waitcnt vmcnt(1)
	ds_write_b64 v2, v[8:9]
	scratch_load_dwordx4 v[2:5], off, off offset:152
	scratch_load_dwordx4 v[8:11], off, off
	s_waitcnt vmcnt(2)
	v_mov_b32_e32 v29, v16
	s_waitcnt vmcnt(0) lgkmcnt(3)
	v_mul_f32_e32 v13, v12, v9
	v_fma_f32 v13, v21, v8, -v13
	v_mul_f32_e32 v9, v21, v9
	v_fmac_f32_e32 v9, v12, v8
	v_sub_f32_e32 v2, v2, v13
	scratch_load_dwordx4 v[12:15], off, off offset:16
	v_mul_f32_e32 v8, v20, v11
	s_waitcnt lgkmcnt(2)
	v_fma_f32 v8, v25, v10, -v8
	v_pk_add_f32 v[2:3], v[2:3], v[8:9] neg_lo:[0,1] neg_hi:[0,1]
	v_mov_b32_e32 v8, s15
	ds_read2_b32 v[26:27], v8 offset1:1
	v_mov_b32_e32 v33, v10
	v_mov_b32_e32 v9, v20
	scratch_load_dwordx4 v[20:23], off, off offset:40
	s_waitcnt lgkmcnt(0)
	v_mov_b32_e32 v8, v27
	s_waitcnt vmcnt(1)
	v_mov_b32_e32 v10, v13
	v_mov_b32_e32 v32, v12
	v_pk_mul_f32 v[36:37], v[24:25], v[10:11]
	v_mul_f32_e32 v34, v27, v12
	v_pk_fma_f32 v[8:9], v[8:9], v[32:33], v[36:37]
	v_pk_fma_f32 v[10:11], v[24:25], v[10:11], v[34:35] op_sel_hi:[1,1,0] neg_lo:[1,0,0] neg_hi:[1,0,0]
	v_mov_b32_e32 v8, s16
	v_mov_b32_e32 v11, v9
	ds_read2_b32 v[32:33], v8 offset1:1
	v_pk_add_f32 v[2:3], v[2:3], v[10:11] neg_lo:[0,1] neg_hi:[0,1]
	scratch_load_dwordx4 v[8:11], off, off offset:48
	v_mov_b32_e32 v31, v12
	v_mov_b32_e32 v12, v15
	;; [unrolled: 1-line block ×4, first 2 shown]
	s_waitcnt lgkmcnt(0)
	v_mov_b32_e32 v34, v33
	v_mov_b32_e32 v35, v24
	v_pk_mul_f32 v[12:13], v[26:27], v[12:13]
	v_mov_b32_e32 v24, v17
	v_pk_fma_f32 v[28:29], v[34:35], v[28:29], v[12:13] neg_lo:[0,0,1] neg_hi:[0,0,1]
	v_pk_fma_f32 v[12:13], v[34:35], v[30:31], v[12:13]
	v_mov_b32_e32 v25, v15
	v_mov_b32_e32 v29, v13
	;; [unrolled: 1-line block ×3, first 2 shown]
	v_pk_add_f32 v[2:3], v[2:3], v[28:29] neg_lo:[0,1] neg_hi:[0,1]
	ds_read2_b32 v[28:29], v12 offset1:1
	v_mov_b32_e32 v31, v26
	v_mov_b32_e32 v26, v16
	;; [unrolled: 1-line block ×4, first 2 shown]
	s_waitcnt lgkmcnt(0)
	v_mov_b32_e32 v30, v29
	v_pk_mul_f32 v[24:25], v[32:33], v[24:25]
	v_mov_b32_e32 v17, s18
	scratch_load_dwordx4 v[12:15], off, off offset:56
	v_pk_fma_f32 v[36:37], v[30:31], v[26:27], v[24:25] neg_lo:[0,0,1] neg_hi:[0,0,1]
	v_pk_fma_f32 v[24:25], v[30:31], v[26:27], v[24:25]
	ds_read2_b32 v[30:31], v17 offset1:1
	v_mov_b32_e32 v34, v19
	v_mov_b32_e32 v37, v25
	v_pk_add_f32 v[2:3], v[2:3], v[36:37] neg_lo:[0,1] neg_hi:[0,1]
	v_mov_b32_e32 v37, v32
	s_waitcnt lgkmcnt(0)
	v_mov_b32_e32 v36, v31
	v_mov_b32_e32 v19, v16
	v_pk_mul_f32 v[16:17], v[28:29], v[34:35]
	scratch_load_dwordx4 v[24:27], off, off offset:64
	v_pk_fma_f32 v[34:35], v[36:37], v[18:19], v[16:17] neg_lo:[0,0,1] neg_hi:[0,0,1]
	v_pk_fma_f32 v[16:17], v[36:37], v[18:19], v[16:17]
	s_waitcnt vmcnt(3)
	v_mov_b32_e32 v32, v23
	v_mov_b32_e32 v35, v17
	;; [unrolled: 1-line block ×3, first 2 shown]
	v_pk_add_f32 v[2:3], v[2:3], v[34:35] neg_lo:[0,1] neg_hi:[0,1]
	ds_read2_b32 v[34:35], v16 offset1:1
	scratch_load_dwordx4 v[16:19], off, off offset:72
	v_mov_b32_e32 v33, v21
	v_mov_b32_e32 v37, v28
	;; [unrolled: 1-line block ×3, first 2 shown]
	s_waitcnt lgkmcnt(0)
	v_mov_b32_e32 v36, v35
	v_pk_mul_f32 v[28:29], v[30:31], v[32:33]
	s_waitcnt vmcnt(3)
	v_mov_b32_e32 v21, v9
	v_pk_fma_f32 v[32:33], v[36:37], v[22:23], v[28:29] neg_lo:[0,0,1] neg_hi:[0,0,1]
	v_pk_fma_f32 v[22:23], v[36:37], v[22:23], v[28:29]
	v_mov_b32_e32 v9, s20
	v_mov_b32_e32 v33, v23
	ds_read2_b32 v[22:23], v9 offset1:1
	v_mov_b32_e32 v20, v11
	v_mov_b32_e32 v29, v30
	;; [unrolled: 1-line block ×3, first 2 shown]
	v_pk_mul_f32 v[20:21], v[34:35], v[20:21]
	s_waitcnt lgkmcnt(0)
	v_mov_b32_e32 v28, v23
	v_pk_fma_f32 v[30:31], v[28:29], v[10:11], v[20:21] neg_lo:[0,0,1] neg_hi:[0,0,1]
	v_pk_fma_f32 v[10:11], v[28:29], v[10:11], v[20:21]
	v_mov_b32_e32 v21, v34
	v_mov_b32_e32 v10, s21
	;; [unrolled: 1-line block ×3, first 2 shown]
	ds_read2_b32 v[10:11], v10 offset1:1
	v_pk_add_f32 v[2:3], v[2:3], v[32:33] neg_lo:[0,1] neg_hi:[0,1]
	s_waitcnt lgkmcnt(0)
	v_mov_b32_e32 v20, v11
	v_pk_add_f32 v[2:3], v[2:3], v[30:31] neg_lo:[0,1] neg_hi:[0,1]
	s_waitcnt vmcnt(2)
	v_mov_b32_e32 v8, v15
	v_mov_b32_e32 v9, v13
	;; [unrolled: 1-line block ×3, first 2 shown]
	v_pk_mul_f32 v[8:9], v[22:23], v[8:9]
	s_waitcnt vmcnt(1)
	v_mov_b32_e32 v12, v27
	v_pk_fma_f32 v[28:29], v[20:21], v[14:15], v[8:9] neg_lo:[0,0,1] neg_hi:[0,0,1]
	v_pk_fma_f32 v[8:9], v[20:21], v[14:15], v[8:9]
	v_mov_b32_e32 v13, v25
	v_mov_b32_e32 v29, v9
	ds_read2_b32 v[8:9], v38 offset0:1 offset1:2
	v_mov_b32_e32 v21, v22
	v_mov_b32_e32 v27, v24
	s_waitcnt vmcnt(0)
	v_mov_b32_e32 v14, v16
	v_mov_b32_e32 v15, v18
	s_waitcnt lgkmcnt(0)
	v_mov_b32_e32 v20, v9
	v_pk_mul_f32 v[12:13], v[10:11], v[12:13]
	v_mov_b32_e32 v11, v39
	v_mov_b32_e32 v16, v19
	v_pk_fma_f32 v[22:23], v[20:21], v[26:27], v[12:13] neg_lo:[0,0,1] neg_hi:[0,0,1]
	v_pk_fma_f32 v[12:13], v[20:21], v[26:27], v[12:13]
	v_pk_mul_f32 v[10:11], v[10:11], v[14:15]
	v_pk_add_f32 v[2:3], v[2:3], v[28:29] neg_lo:[0,1] neg_hi:[0,1]
	v_mov_b32_e32 v23, v13
	v_pk_fma_f32 v[12:13], v[8:9], v[16:17], v[10:11] op_sel:[0,0,1] op_sel_hi:[1,1,0] neg_lo:[1,0,0] neg_hi:[1,0,0]
	v_pk_fma_f32 v[10:11], v[8:9], v[16:17], v[10:11] op_sel:[0,0,1] op_sel_hi:[1,1,0]
	v_pk_add_f32 v[2:3], v[2:3], v[22:23] neg_lo:[0,1] neg_hi:[0,1]
	v_mov_b32_e32 v13, v11
	v_mul_f32_e32 v8, v8, v18
	v_fmac_f32_e32 v8, v39, v19
	v_pk_add_f32 v[2:3], v[2:3], v[12:13] neg_lo:[0,1] neg_hi:[0,1]
	v_mov_b32_e32 v12, s14
	v_sub_f32_e32 v3, v3, v8
	scratch_load_dwordx4 v[8:11], off, off offset:88
	ds_read_b64 v[12:13], v12
	s_add_i32 s14, s13, 0xffffff98
	scratch_load_dword v20, off, off offset:36
	s_waitcnt vmcnt(1) lgkmcnt(0)
	v_mul_f32_e32 v14, v13, v9
	v_mul_f32_e32 v9, v12, v9
	v_fma_f32 v14, v12, v8, -v14
	v_fmac_f32_e32 v9, v13, v8
	v_mov_b32_e32 v8, s14
	v_sub_f32_e32 v2, v2, v14
	ds_read2_b64 v[12:15], v8 offset1:1
	v_sub_f32_e32 v3, v3, v9
	s_add_i32 s14, s13, 0xffffff88
	s_addk_i32 s13, 0xff78
	s_waitcnt lgkmcnt(0)
	v_mul_f32_e32 v8, v15, v11
	v_mul_f32_e32 v9, v14, v11
	v_fma_f32 v8, v14, v10, -v8
	v_fmac_f32_e32 v9, v15, v10
	v_sub_f32_e32 v2, v2, v8
	v_sub_f32_e32 v3, v3, v9
	scratch_load_dwordx4 v[8:11], off, off offset:104
	s_waitcnt vmcnt(0)
	v_mul_f32_e32 v14, v13, v9
	v_mul_f32_e32 v9, v12, v9
	v_fma_f32 v14, v12, v8, -v14
	v_fmac_f32_e32 v9, v13, v8
	v_mov_b32_e32 v8, s14
	v_sub_f32_e32 v2, v2, v14
	ds_read2_b64 v[12:15], v8 offset1:1
	v_sub_f32_e32 v3, v3, v9
	s_waitcnt lgkmcnt(0)
	v_mul_f32_e32 v8, v15, v11
	v_mul_f32_e32 v9, v14, v11
	v_fma_f32 v8, v14, v10, -v8
	v_fmac_f32_e32 v9, v15, v10
	v_sub_f32_e32 v2, v2, v8
	v_sub_f32_e32 v3, v3, v9
	scratch_load_dwordx4 v[8:11], off, off offset:120
	s_waitcnt vmcnt(0)
	v_mul_f32_e32 v14, v13, v9
	v_mul_f32_e32 v9, v12, v9
	v_fma_f32 v14, v12, v8, -v14
	v_fmac_f32_e32 v9, v13, v8
	v_mov_b32_e32 v8, s13
	v_sub_f32_e32 v2, v2, v14
	ds_read2_b64 v[12:15], v8 offset1:1
	v_sub_f32_e32 v3, v3, v9
	s_add_i32 s13, s4, 0xffffec68
	s_waitcnt lgkmcnt(0)
	v_mul_f32_e32 v8, v15, v11
	v_fma_f32 v8, v14, v10, -v8
	v_mul_f32_e32 v9, v14, v11
	v_fmac_f32_e32 v9, v15, v10
	v_sub_f32_e32 v2, v2, v8
	v_mul_f32_e32 v8, v13, v7
	v_mul_f32_e32 v7, v12, v7
	v_sub_f32_e32 v3, v3, v9
	v_fma_f32 v8, v12, v6, -v8
	v_fmac_f32_e32 v7, v13, v6
	v_sub_f32_e32 v10, v2, v8
	v_sub_f32_e32 v11, v3, v7
	scratch_load_dwordx2 v[2:3], off, off offset:144
	v_mov_b32_e32 v6, s13
	ds_read2_b64 v[6:9], v6 offset1:1
	s_waitcnt vmcnt(0) lgkmcnt(0)
	v_mul_f32_e32 v12, v9, v3
	v_mul_f32_e32 v3, v8, v3
	v_fmac_f32_e32 v3, v9, v2
	v_fma_f32 v12, v8, v2, -v12
	v_sub_f32_e32 v3, v11, v3
	v_sub_f32_e32 v8, v10, v12
	v_mul_f32_e32 v2, v7, v3
	v_mul_f32_e32 v3, v6, v3
	v_fma_f32 v2, v6, v8, -v2
	v_fmac_f32_e32 v3, v7, v8
	scratch_store_dwordx2 off, v[2:3], off offset:152
	scratch_load_dwordx4 v[6:9], off, off offset:144
	v_add_u32_e32 v2, s12, v1
	s_add_i32 s12, s11, 0xffffec00
	s_add_i32 s13, s12, s5
	s_add_i32 s14, s13, -4
	v_mov_b32_e32 v12, s13
	ds_read_b32 v12, v12 offset:4
	s_sub_i32 s15, s13, 28
	s_add_i32 s22, s13, 0xffffffa8
	v_mov_b32_e32 v36, s22
	ds_read_b32 v37, v36
	s_sub_i32 s16, s13, 36
	s_sub_i32 s17, s13, 44
	;; [unrolled: 1-line block ×4, first 2 shown]
	s_add_i32 s20, s13, 0xffffffbc
	s_add_i32 s21, s13, 0xffffffb4
	s_waitcnt vmcnt(0)
	ds_write_b64 v2, v[8:9]
	scratch_load_dwordx4 v[8:11], off, off
	v_mov_b32_e32 v2, s14
	ds_read2_b32 v[2:3], v2 offset1:1
	s_add_i32 s14, s13, -12
	s_waitcnt vmcnt(0) lgkmcnt(3)
	v_mul_f32_e32 v13, v12, v9
	s_waitcnt lgkmcnt(0)
	v_fma_f32 v14, v3, v8, -v13
	v_mul_f32_e32 v13, v3, v9
	v_mov_b32_e32 v3, s14
	ds_read2_b32 v[16:17], v3 offset1:1
	v_mul_f32_e32 v3, v2, v11
	v_fmac_f32_e32 v13, v12, v8
	v_sub_f32_e32 v4, v4, v14
	s_sub_i32 s14, s13, 20
	s_waitcnt lgkmcnt(0)
	v_fma_f32 v12, v17, v10, -v3
	v_mul_f32_e32 v3, v17, v11
	v_fmac_f32_e32 v3, v2, v10
	scratch_load_dwordx4 v[8:11], off, off offset:16
	v_pk_add_f32 v[4:5], v[4:5], v[12:13] neg_lo:[0,1] neg_hi:[0,1]
	v_mov_b32_e32 v12, s14
	ds_read2_b32 v[22:23], v12 offset1:1
	v_mov_b32_e32 v31, v16
	s_add_i32 s14, s13, 0xffffffa0
	s_waitcnt vmcnt(0)
	v_mul_f32_e32 v2, v16, v9
	s_waitcnt lgkmcnt(0)
	v_fma_f32 v2, v23, v8, -v2
	v_pk_add_f32 v[24:25], v[4:5], v[2:3] neg_lo:[0,1] neg_hi:[0,1]
	v_mov_b32_e32 v2, s15
	ds_read2_b32 v[26:27], v2 offset1:1
	scratch_load_dwordx4 v[2:5], off, off offset:40
	scratch_load_dwordx4 v[12:15], off, off offset:32
	v_mov_b32_e32 v33, v8
	v_mov_b32_e32 v8, v11
	;; [unrolled: 1-line block ×3, first 2 shown]
	s_waitcnt lgkmcnt(0)
	v_mov_b32_e32 v30, v27
	v_mov_b32_e32 v32, v10
	v_mul_f32_e32 v10, v27, v10
	v_pk_mul_f32 v[34:35], v[22:23], v[8:9]
	scratch_load_dwordx4 v[16:19], off, off offset:48
	v_mov_b32_e32 v21, v11
	v_pk_fma_f32 v[8:9], v[22:23], v[8:9], v[10:11] op_sel_hi:[1,1,0] neg_lo:[1,0,0] neg_hi:[1,0,0]
	v_pk_fma_f32 v[10:11], v[30:31], v[32:33], v[34:35]
	v_mov_b32_e32 v33, v22
	v_mov_b32_e32 v9, v11
	v_pk_add_f32 v[24:25], v[24:25], v[8:9] neg_lo:[0,1] neg_hi:[0,1]
	v_mov_b32_e32 v8, s16
	ds_read2_b32 v[30:31], v8 offset1:1
	scratch_load_dwordx4 v[8:11], off, off offset:56
	v_mov_b32_e32 v35, v20
	v_pk_mul_f32 v[20:21], v[26:27], v[20:21]
	s_waitcnt lgkmcnt(0)
	v_mov_b32_e32 v32, v31
	s_waitcnt vmcnt(3)
	v_mov_b32_e32 v34, v3
	s_waitcnt vmcnt(2)
	v_mov_b32_e32 v13, v14
	v_mov_b32_e32 v28, v12
	v_pk_fma_f32 v[22:23], v[32:33], v[12:13], v[20:21] neg_lo:[0,0,1] neg_hi:[0,0,1]
	v_mov_b32_e32 v13, s17
	v_pk_fma_f32 v[20:21], v[32:33], v[28:29], v[20:21]
	ds_read2_b32 v[28:29], v13 offset1:1
	v_mov_b32_e32 v23, v21
	v_pk_add_f32 v[24:25], v[24:25], v[22:23] neg_lo:[0,1] neg_hi:[0,1]
	scratch_load_dwordx4 v[20:23], off, off offset:64
	v_mov_b32_e32 v33, v26
	s_waitcnt lgkmcnt(0)
	v_mov_b32_e32 v32, v29
	v_mov_b32_e32 v15, v12
	;; [unrolled: 1-line block ×3, first 2 shown]
	v_pk_mul_f32 v[12:13], v[30:31], v[34:35]
	v_mov_b32_e32 v3, s18
	v_pk_fma_f32 v[34:35], v[32:33], v[14:15], v[12:13] neg_lo:[0,0,1] neg_hi:[0,0,1]
	v_pk_fma_f32 v[12:13], v[32:33], v[14:15], v[12:13]
	ds_read2_b32 v[32:33], v3 offset1:1
	v_mov_b32_e32 v26, v5
	v_mov_b32_e32 v35, v13
	v_pk_add_f32 v[24:25], v[24:25], v[34:35] neg_lo:[0,1] neg_hi:[0,1]
	v_mov_b32_e32 v35, v30
	s_waitcnt lgkmcnt(0)
	v_mov_b32_e32 v34, v33
	v_mov_b32_e32 v5, v2
	v_pk_mul_f32 v[2:3], v[28:29], v[26:27]
	scratch_load_dwordx4 v[12:15], off, off offset:72
	v_pk_fma_f32 v[26:27], v[34:35], v[4:5], v[2:3] neg_lo:[0,0,1] neg_hi:[0,0,1]
	v_pk_fma_f32 v[2:3], v[34:35], v[4:5], v[2:3]
	s_waitcnt vmcnt(3)
	v_mov_b32_e32 v30, v19
	v_mov_b32_e32 v27, v3
	;; [unrolled: 1-line block ×3, first 2 shown]
	v_pk_add_f32 v[24:25], v[24:25], v[26:27] neg_lo:[0,1] neg_hi:[0,1]
	ds_read2_b32 v[26:27], v2 offset1:1
	scratch_load_dwordx4 v[2:5], off, off offset:80
	v_mov_b32_e32 v31, v17
	v_mov_b32_e32 v35, v28
	;; [unrolled: 1-line block ×3, first 2 shown]
	s_waitcnt lgkmcnt(0)
	v_mov_b32_e32 v34, v27
	v_pk_mul_f32 v[28:29], v[32:33], v[30:31]
	s_waitcnt vmcnt(3)
	v_mov_b32_e32 v17, v9
	v_pk_fma_f32 v[30:31], v[34:35], v[18:19], v[28:29] neg_lo:[0,0,1] neg_hi:[0,0,1]
	v_pk_fma_f32 v[18:19], v[34:35], v[18:19], v[28:29]
	v_mov_b32_e32 v9, s20
	v_mov_b32_e32 v31, v19
	v_pk_add_f32 v[18:19], v[24:25], v[30:31] neg_lo:[0,1] neg_hi:[0,1]
	ds_read2_b32 v[24:25], v9 offset1:1
	v_mov_b32_e32 v16, v11
	v_mov_b32_e32 v29, v32
	;; [unrolled: 1-line block ×3, first 2 shown]
	v_pk_mul_f32 v[16:17], v[26:27], v[16:17]
	s_waitcnt lgkmcnt(0)
	v_mov_b32_e32 v28, v25
	v_pk_fma_f32 v[30:31], v[28:29], v[10:11], v[16:17] neg_lo:[0,0,1] neg_hi:[0,0,1]
	v_pk_fma_f32 v[10:11], v[28:29], v[10:11], v[16:17]
	v_mov_b32_e32 v16, s21
	ds_read2_b32 v[16:17], v16 offset1:1
	v_mov_b32_e32 v31, v11
	v_pk_add_f32 v[10:11], v[18:19], v[30:31] neg_lo:[0,1] neg_hi:[0,1]
	v_mov_b32_e32 v19, v26
	s_waitcnt lgkmcnt(0)
	v_mov_b32_e32 v18, v17
	s_waitcnt vmcnt(2)
	v_mov_b32_e32 v8, v23
	v_mov_b32_e32 v9, v21
	;; [unrolled: 1-line block ×3, first 2 shown]
	v_pk_mul_f32 v[8:9], v[24:25], v[8:9]
	s_waitcnt vmcnt(1)
	v_mov_b32_e32 v20, v15
	v_pk_fma_f32 v[26:27], v[18:19], v[22:23], v[8:9] neg_lo:[0,0,1] neg_hi:[0,0,1]
	v_pk_fma_f32 v[8:9], v[18:19], v[22:23], v[8:9]
	v_mov_b32_e32 v21, v13
	v_mov_b32_e32 v27, v9
	v_pk_add_f32 v[8:9], v[10:11], v[26:27] neg_lo:[0,1] neg_hi:[0,1]
	ds_read2_b32 v[10:11], v36 offset0:1 offset1:2
	v_mov_b32_e32 v23, v24
	v_mov_b32_e32 v15, v12
	v_pk_mul_f32 v[12:13], v[16:17], v[20:21]
	s_waitcnt vmcnt(0)
	v_mov_b32_e32 v18, v2
	s_waitcnt lgkmcnt(0)
	v_mov_b32_e32 v22, v11
	v_mov_b32_e32 v19, v4
	v_pk_fma_f32 v[20:21], v[22:23], v[14:15], v[12:13] neg_lo:[0,0,1] neg_hi:[0,0,1]
	v_pk_fma_f32 v[12:13], v[22:23], v[14:15], v[12:13]
	v_mov_b32_e32 v17, v37
	v_mov_b32_e32 v2, v5
	v_mov_b32_e32 v21, v13
	v_pk_mul_f32 v[12:13], v[16:17], v[18:19]
	v_pk_add_f32 v[8:9], v[8:9], v[20:21] neg_lo:[0,1] neg_hi:[0,1]
	v_pk_fma_f32 v[14:15], v[10:11], v[2:3], v[12:13] op_sel:[0,0,1] op_sel_hi:[1,1,0] neg_lo:[1,0,0] neg_hi:[1,0,0]
	v_pk_fma_f32 v[2:3], v[10:11], v[2:3], v[12:13] op_sel:[0,0,1] op_sel_hi:[1,1,0]
	s_nop 0
	v_mov_b32_e32 v15, v3
	v_mul_f32_e32 v2, v10, v4
	v_fmac_f32_e32 v2, v37, v5
	v_pk_add_f32 v[8:9], v[8:9], v[14:15] neg_lo:[0,1] neg_hi:[0,1]
	v_mov_b32_e32 v10, s14
	v_sub_f32_e32 v9, v9, v2
	scratch_load_dwordx4 v[2:5], off, off offset:96
	ds_read_b64 v[10:11], v10
	s_add_i32 s14, s13, 0xffffff90
	s_waitcnt vmcnt(0) lgkmcnt(0)
	v_mul_f32_e32 v12, v11, v3
	v_fma_f32 v12, v10, v2, -v12
	v_mul_f32_e32 v3, v10, v3
	v_fmac_f32_e32 v3, v11, v2
	v_sub_f32_e32 v2, v8, v12
	v_mov_b32_e32 v8, s14
	v_sub_f32_e32 v3, v9, v3
	ds_read2_b64 v[8:11], v8 offset1:1
	s_add_i32 s14, s13, 0xffffff80
	s_addk_i32 s13, 0xff70
	s_waitcnt lgkmcnt(0)
	v_mul_f32_e32 v12, v11, v5
	v_mul_f32_e32 v5, v10, v5
	v_fma_f32 v12, v10, v4, -v12
	v_fmac_f32_e32 v5, v11, v4
	v_sub_f32_e32 v10, v2, v12
	v_sub_f32_e32 v11, v3, v5
	scratch_load_dwordx4 v[2:5], off, off offset:112
	s_waitcnt vmcnt(0)
	v_mul_f32_e32 v12, v9, v3
	v_mul_f32_e32 v3, v8, v3
	v_fma_f32 v12, v8, v2, -v12
	v_fmac_f32_e32 v3, v9, v2
	v_mov_b32_e32 v8, s14
	v_sub_f32_e32 v2, v10, v12
	v_sub_f32_e32 v3, v11, v3
	ds_read2_b64 v[8:11], v8 offset1:1
	s_waitcnt lgkmcnt(0)
	v_mul_f32_e32 v12, v11, v5
	v_mul_f32_e32 v5, v10, v5
	v_fma_f32 v12, v10, v4, -v12
	v_fmac_f32_e32 v5, v11, v4
	v_sub_f32_e32 v10, v2, v12
	v_sub_f32_e32 v11, v3, v5
	scratch_load_dwordx4 v[2:5], off, off offset:128
	s_waitcnt vmcnt(0)
	v_mul_f32_e32 v12, v9, v3
	v_mul_f32_e32 v3, v8, v3
	v_fma_f32 v12, v8, v2, -v12
	v_fmac_f32_e32 v3, v9, v2
	v_mov_b32_e32 v8, s13
	v_sub_f32_e32 v2, v10, v12
	v_sub_f32_e32 v3, v11, v3
	ds_read2_b64 v[8:11], v8 offset1:1
	s_add_i32 s13, s4, 0xffffeb60
	s_waitcnt lgkmcnt(0)
	v_mul_f32_e32 v12, v11, v5
	v_mul_f32_e32 v5, v10, v5
	v_fmac_f32_e32 v5, v11, v4
	v_fma_f32 v12, v10, v4, -v12
	v_sub_f32_e32 v3, v3, v5
	v_mul_f32_e32 v4, v9, v7
	v_mul_f32_e32 v5, v8, v7
	v_fma_f32 v4, v8, v6, -v4
	v_fmac_f32_e32 v5, v9, v6
	scratch_load_dwordx2 v[6:7], off, off offset:152
	v_sub_f32_e32 v2, v2, v12
	v_sub_f32_e32 v8, v2, v4
	v_mov_b32_e32 v2, s13
	v_sub_f32_e32 v9, v3, v5
	ds_read2_b64 v[2:5], v2 offset1:1
	s_waitcnt vmcnt(0) lgkmcnt(0)
	v_mul_f32_e32 v10, v5, v7
	v_fma_f32 v10, v4, v6, -v10
	v_mul_f32_e32 v4, v4, v7
	v_fmac_f32_e32 v4, v5, v6
	v_sub_f32_e32 v5, v9, v4
	v_sub_f32_e32 v6, v8, v10
	v_mul_f32_e32 v4, v3, v5
	v_mul_f32_e32 v5, v2, v5
	v_fma_f32 v4, v2, v6, -v4
	v_fmac_f32_e32 v5, v3, v6
	scratch_store_dwordx2 off, v[4:5], off offset:160
	scratch_load_dwordx4 v[2:5], off, off offset:152
	v_add_u32_e32 v6, s12, v1
	scratch_load_dwordx4 v[8:11], off, off
	s_add_i32 s12, s11, 0xffffeb00
	s_add_i32 s13, s12, s5
	s_add_i32 s14, s13, -4
	v_mov_b32_e32 v12, s14
	v_mov_b32_e32 v14, s13
	ds_read2_b32 v[12:13], v12 offset1:1
	ds_read_b32 v14, v14 offset:4
	s_add_i32 s14, s13, -12
	s_sub_i32 s15, s13, 36
	s_sub_i32 s16, s13, 44
	;; [unrolled: 1-line block ×4, first 2 shown]
	s_add_i32 s19, s13, 0xffffffbc
	s_add_i32 s20, s13, 0xffffffb4
	;; [unrolled: 1-line block ×4, first 2 shown]
	v_mov_b32_e32 v38, s22
	ds_read_b32 v39, v38
	s_waitcnt vmcnt(1)
	ds_write_b64 v6, v[4:5]
	scratch_load_dwordx4 v[4:7], off, off offset:168
	s_waitcnt vmcnt(1) lgkmcnt(2)
	v_mul_f32_e32 v15, v14, v9
	v_mul_f32_e32 v9, v13, v9
	v_fma_f32 v15, v13, v8, -v15
	v_fmac_f32_e32 v9, v14, v8
	v_mov_b32_e32 v8, s14
	s_sub_i32 s14, s13, 20
	s_waitcnt vmcnt(0)
	v_sub_f32_e32 v4, v4, v15
	ds_read2_b32 v[14:15], v8 offset1:1
	v_mul_f32_e32 v8, v12, v11
	v_sub_f32_e32 v5, v5, v9
	s_waitcnt lgkmcnt(0)
	v_fma_f32 v8, v15, v10, -v8
	v_mul_f32_e32 v17, v15, v11
	v_fmac_f32_e32 v17, v12, v10
	v_sub_f32_e32 v4, v4, v8
	scratch_load_dwordx4 v[8:11], off, off offset:16
	v_mov_b32_e32 v12, s14
	ds_read2_b32 v[20:21], v12 offset1:1
	s_sub_i32 s14, s13, 28
	s_waitcnt vmcnt(0)
	v_mul_f32_e32 v12, v14, v9
	s_waitcnt lgkmcnt(0)
	v_mul_f32_e32 v9, v21, v9
	v_fma_f32 v16, v21, v8, -v12
	v_fmac_f32_e32 v9, v14, v8
	scratch_load_dwordx4 v[12:15], off, off offset:32
	v_pk_add_f32 v[4:5], v[4:5], v[16:17] neg_lo:[0,1] neg_hi:[0,1]
	v_mov_b32_e32 v16, s14
	ds_read2_b32 v[24:25], v16 offset1:1
	scratch_load_dwordx4 v[16:19], off, off offset:48
	v_mul_f32_e32 v8, v20, v11
	v_mov_b32_e32 v33, v10
	s_add_i32 s14, s13, 0xffffff98
	s_waitcnt lgkmcnt(0)
	v_fma_f32 v8, v25, v10, -v8
	v_pk_add_f32 v[4:5], v[4:5], v[8:9] neg_lo:[0,1] neg_hi:[0,1]
	v_mov_b32_e32 v8, s15
	ds_read2_b32 v[26:27], v8 offset1:1
	v_mov_b32_e32 v9, v20
	scratch_load_dwordx4 v[20:23], off, off offset:56
	s_waitcnt lgkmcnt(0)
	v_mov_b32_e32 v8, v27
	s_waitcnt vmcnt(2)
	v_mov_b32_e32 v10, v13
	v_mov_b32_e32 v32, v12
	v_pk_mul_f32 v[36:37], v[24:25], v[10:11]
	v_mul_f32_e32 v34, v27, v12
	v_pk_fma_f32 v[8:9], v[8:9], v[32:33], v[36:37]
	v_pk_fma_f32 v[10:11], v[24:25], v[10:11], v[34:35] op_sel_hi:[1,1,0] neg_lo:[1,0,0] neg_hi:[1,0,0]
	v_mov_b32_e32 v8, s16
	v_mov_b32_e32 v11, v9
	ds_read2_b32 v[32:33], v8 offset1:1
	v_pk_add_f32 v[4:5], v[4:5], v[10:11] neg_lo:[0,1] neg_hi:[0,1]
	scratch_load_dwordx4 v[8:11], off, off offset:64
	v_mov_b32_e32 v31, v12
	v_mov_b32_e32 v12, v15
	;; [unrolled: 1-line block ×3, first 2 shown]
	s_waitcnt vmcnt(2)
	v_mov_b32_e32 v29, v16
	v_mov_b32_e32 v30, v14
	s_waitcnt lgkmcnt(0)
	v_mov_b32_e32 v34, v33
	v_mov_b32_e32 v35, v24
	v_pk_mul_f32 v[12:13], v[26:27], v[12:13]
	v_mov_b32_e32 v24, v17
	v_pk_fma_f32 v[28:29], v[34:35], v[28:29], v[12:13] neg_lo:[0,0,1] neg_hi:[0,0,1]
	v_pk_fma_f32 v[12:13], v[34:35], v[30:31], v[12:13]
	v_mov_b32_e32 v25, v15
	v_mov_b32_e32 v29, v13
	v_mov_b32_e32 v12, s17
	v_pk_add_f32 v[4:5], v[4:5], v[28:29] neg_lo:[0,1] neg_hi:[0,1]
	ds_read2_b32 v[28:29], v12 offset1:1
	v_mov_b32_e32 v31, v26
	v_mov_b32_e32 v26, v16
	;; [unrolled: 1-line block ×4, first 2 shown]
	s_waitcnt lgkmcnt(0)
	v_mov_b32_e32 v30, v29
	v_pk_mul_f32 v[24:25], v[32:33], v[24:25]
	v_mov_b32_e32 v17, s18
	scratch_load_dwordx4 v[12:15], off, off offset:72
	v_pk_fma_f32 v[36:37], v[30:31], v[26:27], v[24:25] neg_lo:[0,0,1] neg_hi:[0,0,1]
	v_pk_fma_f32 v[24:25], v[30:31], v[26:27], v[24:25]
	ds_read2_b32 v[30:31], v17 offset1:1
	v_mov_b32_e32 v34, v19
	v_mov_b32_e32 v37, v25
	v_pk_add_f32 v[4:5], v[4:5], v[36:37] neg_lo:[0,1] neg_hi:[0,1]
	v_mov_b32_e32 v37, v32
	s_waitcnt lgkmcnt(0)
	v_mov_b32_e32 v36, v31
	v_mov_b32_e32 v19, v16
	v_pk_mul_f32 v[16:17], v[28:29], v[34:35]
	scratch_load_dwordx4 v[24:27], off, off offset:80
	v_pk_fma_f32 v[34:35], v[36:37], v[18:19], v[16:17] neg_lo:[0,0,1] neg_hi:[0,0,1]
	v_pk_fma_f32 v[16:17], v[36:37], v[18:19], v[16:17]
	s_waitcnt vmcnt(3)
	v_mov_b32_e32 v32, v23
	v_mov_b32_e32 v35, v17
	;; [unrolled: 1-line block ×3, first 2 shown]
	v_pk_add_f32 v[4:5], v[4:5], v[34:35] neg_lo:[0,1] neg_hi:[0,1]
	ds_read2_b32 v[34:35], v16 offset1:1
	scratch_load_dwordx4 v[16:19], off, off offset:88
	v_mov_b32_e32 v33, v21
	v_mov_b32_e32 v37, v28
	;; [unrolled: 1-line block ×3, first 2 shown]
	s_waitcnt lgkmcnt(0)
	v_mov_b32_e32 v36, v35
	v_pk_mul_f32 v[28:29], v[30:31], v[32:33]
	s_waitcnt vmcnt(3)
	v_mov_b32_e32 v21, v9
	v_pk_fma_f32 v[32:33], v[36:37], v[22:23], v[28:29] neg_lo:[0,0,1] neg_hi:[0,0,1]
	v_pk_fma_f32 v[22:23], v[36:37], v[22:23], v[28:29]
	v_mov_b32_e32 v9, s20
	v_mov_b32_e32 v33, v23
	ds_read2_b32 v[22:23], v9 offset1:1
	v_mov_b32_e32 v20, v11
	v_mov_b32_e32 v29, v30
	v_mov_b32_e32 v11, v8
	v_pk_mul_f32 v[20:21], v[34:35], v[20:21]
	s_waitcnt lgkmcnt(0)
	v_mov_b32_e32 v28, v23
	v_pk_fma_f32 v[30:31], v[28:29], v[10:11], v[20:21] neg_lo:[0,0,1] neg_hi:[0,0,1]
	v_pk_fma_f32 v[10:11], v[28:29], v[10:11], v[20:21]
	v_mov_b32_e32 v21, v34
	v_mov_b32_e32 v10, s21
	;; [unrolled: 1-line block ×3, first 2 shown]
	ds_read2_b32 v[10:11], v10 offset1:1
	v_pk_add_f32 v[4:5], v[4:5], v[32:33] neg_lo:[0,1] neg_hi:[0,1]
	s_waitcnt lgkmcnt(0)
	v_mov_b32_e32 v20, v11
	v_pk_add_f32 v[4:5], v[4:5], v[30:31] neg_lo:[0,1] neg_hi:[0,1]
	s_waitcnt vmcnt(2)
	v_mov_b32_e32 v8, v15
	v_mov_b32_e32 v9, v13
	;; [unrolled: 1-line block ×3, first 2 shown]
	v_pk_mul_f32 v[8:9], v[22:23], v[8:9]
	s_waitcnt vmcnt(1)
	v_mov_b32_e32 v12, v27
	v_pk_fma_f32 v[28:29], v[20:21], v[14:15], v[8:9] neg_lo:[0,0,1] neg_hi:[0,0,1]
	v_pk_fma_f32 v[8:9], v[20:21], v[14:15], v[8:9]
	v_mov_b32_e32 v13, v25
	v_mov_b32_e32 v29, v9
	ds_read2_b32 v[8:9], v38 offset0:1 offset1:2
	v_mov_b32_e32 v21, v22
	v_mov_b32_e32 v27, v24
	s_waitcnt vmcnt(0)
	v_mov_b32_e32 v14, v16
	v_mov_b32_e32 v15, v18
	s_waitcnt lgkmcnt(0)
	v_mov_b32_e32 v20, v9
	v_pk_mul_f32 v[12:13], v[10:11], v[12:13]
	v_mov_b32_e32 v11, v39
	v_mov_b32_e32 v16, v19
	v_pk_fma_f32 v[22:23], v[20:21], v[26:27], v[12:13] neg_lo:[0,0,1] neg_hi:[0,0,1]
	v_pk_fma_f32 v[12:13], v[20:21], v[26:27], v[12:13]
	v_pk_mul_f32 v[10:11], v[10:11], v[14:15]
	v_pk_add_f32 v[4:5], v[4:5], v[28:29] neg_lo:[0,1] neg_hi:[0,1]
	v_mov_b32_e32 v23, v13
	v_pk_fma_f32 v[12:13], v[8:9], v[16:17], v[10:11] op_sel:[0,0,1] op_sel_hi:[1,1,0] neg_lo:[1,0,0] neg_hi:[1,0,0]
	v_pk_fma_f32 v[10:11], v[8:9], v[16:17], v[10:11] op_sel:[0,0,1] op_sel_hi:[1,1,0]
	v_pk_add_f32 v[4:5], v[4:5], v[22:23] neg_lo:[0,1] neg_hi:[0,1]
	v_mov_b32_e32 v13, v11
	v_mul_f32_e32 v8, v8, v18
	v_fmac_f32_e32 v8, v39, v19
	v_pk_add_f32 v[4:5], v[4:5], v[12:13] neg_lo:[0,1] neg_hi:[0,1]
	v_mov_b32_e32 v12, s14
	v_sub_f32_e32 v5, v5, v8
	scratch_load_dwordx4 v[8:11], off, off offset:104
	ds_read_b64 v[12:13], v12
	s_add_i32 s14, s13, 0xffffff88
	scratch_load_dword v20, off, off offset:52
	s_waitcnt vmcnt(1) lgkmcnt(0)
	v_mul_f32_e32 v14, v13, v9
	v_mul_f32_e32 v9, v12, v9
	v_fma_f32 v14, v12, v8, -v14
	v_fmac_f32_e32 v9, v13, v8
	v_mov_b32_e32 v8, s14
	v_sub_f32_e32 v4, v4, v14
	ds_read2_b64 v[12:15], v8 offset1:1
	v_sub_f32_e32 v5, v5, v9
	s_add_i32 s14, s13, 0xffffff78
	s_addk_i32 s13, 0xff68
	s_waitcnt lgkmcnt(0)
	v_mul_f32_e32 v8, v15, v11
	v_mul_f32_e32 v9, v14, v11
	v_fma_f32 v8, v14, v10, -v8
	v_fmac_f32_e32 v9, v15, v10
	v_sub_f32_e32 v4, v4, v8
	v_sub_f32_e32 v5, v5, v9
	scratch_load_dwordx4 v[8:11], off, off offset:120
	s_waitcnt vmcnt(0)
	v_mul_f32_e32 v14, v13, v9
	v_mul_f32_e32 v9, v12, v9
	v_fma_f32 v14, v12, v8, -v14
	v_fmac_f32_e32 v9, v13, v8
	v_mov_b32_e32 v8, s14
	v_sub_f32_e32 v4, v4, v14
	ds_read2_b64 v[12:15], v8 offset1:1
	v_sub_f32_e32 v5, v5, v9
	s_waitcnt lgkmcnt(0)
	v_mul_f32_e32 v8, v15, v11
	v_mul_f32_e32 v9, v14, v11
	v_fma_f32 v8, v14, v10, -v8
	v_fmac_f32_e32 v9, v15, v10
	v_sub_f32_e32 v4, v4, v8
	v_sub_f32_e32 v5, v5, v9
	scratch_load_dwordx4 v[8:11], off, off offset:136
	s_waitcnt vmcnt(0)
	v_mul_f32_e32 v14, v13, v9
	v_mul_f32_e32 v9, v12, v9
	v_fma_f32 v14, v12, v8, -v14
	v_fmac_f32_e32 v9, v13, v8
	v_mov_b32_e32 v8, s13
	v_sub_f32_e32 v4, v4, v14
	ds_read2_b64 v[12:15], v8 offset1:1
	v_sub_f32_e32 v5, v5, v9
	s_add_i32 s13, s4, 0xffffea58
	s_waitcnt lgkmcnt(0)
	v_mul_f32_e32 v8, v15, v11
	v_fma_f32 v8, v14, v10, -v8
	v_mul_f32_e32 v9, v14, v11
	v_sub_f32_e32 v4, v4, v8
	v_mul_f32_e32 v8, v13, v3
	v_fmac_f32_e32 v9, v15, v10
	v_fma_f32 v8, v12, v2, -v8
	v_sub_f32_e32 v5, v5, v9
	v_sub_f32_e32 v10, v4, v8
	scratch_load_dwordx2 v[8:9], off, off offset:160
	v_mul_f32_e32 v3, v12, v3
	v_fmac_f32_e32 v3, v13, v2
	v_mov_b32_e32 v2, s13
	v_sub_f32_e32 v11, v5, v3
	ds_read2_b64 v[2:5], v2 offset1:1
	s_waitcnt vmcnt(0) lgkmcnt(0)
	v_mul_f32_e32 v12, v5, v9
	v_fma_f32 v12, v4, v8, -v12
	v_mul_f32_e32 v4, v4, v9
	v_fmac_f32_e32 v4, v5, v8
	v_sub_f32_e32 v5, v11, v4
	v_sub_f32_e32 v8, v10, v12
	v_mul_f32_e32 v4, v3, v5
	v_mul_f32_e32 v5, v2, v5
	v_fma_f32 v4, v2, v8, -v4
	v_fmac_f32_e32 v5, v3, v8
	scratch_store_dwordx2 off, v[4:5], off offset:168
	scratch_load_dwordx4 v[2:5], off, off offset:160
	v_add_u32_e32 v8, s12, v1
	s_add_i32 s12, s11, 0xffffea00
	s_add_i32 s13, s12, s5
	s_add_i32 s14, s13, -4
	v_mov_b32_e32 v12, s13
	ds_read_b32 v12, v12 offset:4
	s_sub_i32 s15, s13, 44
	s_add_i32 s22, s13, 0xffffff98
	v_mov_b32_e32 v36, s22
	ds_read_b32 v37, v36
	s_sub_i32 s16, s13, 52
	s_sub_i32 s17, s13, 60
	s_add_i32 s18, s13, 0xffffffbc
	s_add_i32 s19, s13, 0xffffffb4
	;; [unrolled: 1-line block ×4, first 2 shown]
	s_waitcnt vmcnt(0)
	ds_write_b64 v8, v[4:5]
	scratch_load_dwordx4 v[8:11], off, off
	v_mov_b32_e32 v4, s14
	ds_read2_b32 v[4:5], v4 offset1:1
	s_add_i32 s14, s13, -12
	s_waitcnt vmcnt(0) lgkmcnt(3)
	v_mul_f32_e32 v13, v12, v9
	s_waitcnt lgkmcnt(0)
	v_fma_f32 v13, v5, v8, -v13
	v_mul_f32_e32 v5, v5, v9
	v_fmac_f32_e32 v5, v12, v8
	v_sub_f32_e32 v5, v7, v5
	v_mov_b32_e32 v7, s14
	ds_read2_b32 v[8:9], v7 offset1:1
	v_mul_f32_e32 v7, v4, v11
	v_sub_f32_e32 v6, v6, v13
	s_sub_i32 s14, s13, 20
	s_waitcnt lgkmcnt(0)
	v_fma_f32 v7, v9, v10, -v7
	v_mul_f32_e32 v9, v9, v11
	v_fmac_f32_e32 v9, v4, v10
	v_sub_f32_e32 v12, v6, v7
	v_sub_f32_e32 v9, v5, v9
	scratch_load_dwordx4 v[4:7], off, off offset:16
	v_mov_b32_e32 v10, s14
	ds_read2_b32 v[10:11], v10 offset1:1
	s_sub_i32 s14, s13, 28
	s_waitcnt vmcnt(0)
	v_mul_f32_e32 v13, v8, v5
	s_waitcnt lgkmcnt(0)
	v_fma_f32 v14, v11, v4, -v13
	v_mul_f32_e32 v13, v11, v5
	v_fmac_f32_e32 v13, v8, v4
	v_mov_b32_e32 v4, s14
	ds_read2_b32 v[16:17], v4 offset1:1
	v_mul_f32_e32 v4, v10, v7
	v_sub_f32_e32 v8, v12, v14
	s_sub_i32 s14, s13, 36
	s_waitcnt lgkmcnt(0)
	v_mul_f32_e32 v11, v17, v7
	v_fma_f32 v12, v17, v6, -v4
	v_fmac_f32_e32 v11, v10, v6
	scratch_load_dwordx4 v[4:7], off, off offset:32
	v_pk_add_f32 v[8:9], v[8:9], v[12:13] neg_lo:[0,1] neg_hi:[0,1]
	v_mov_b32_e32 v12, s14
	ds_read2_b32 v[22:23], v12 offset1:1
	v_mov_b32_e32 v31, v16
	s_add_i32 s14, s13, 0xffffff90
	s_waitcnt vmcnt(0)
	v_mul_f32_e32 v10, v16, v5
	s_waitcnt lgkmcnt(0)
	v_fma_f32 v10, v23, v4, -v10
	v_pk_add_f32 v[24:25], v[8:9], v[10:11] neg_lo:[0,1] neg_hi:[0,1]
	v_mov_b32_e32 v8, s15
	ds_read2_b32 v[26:27], v8 offset1:1
	scratch_load_dwordx4 v[8:11], off, off offset:56
	scratch_load_dwordx4 v[12:15], off, off offset:48
	v_mov_b32_e32 v33, v4
	v_mov_b32_e32 v4, v7
	;; [unrolled: 1-line block ×3, first 2 shown]
	s_waitcnt lgkmcnt(0)
	v_mov_b32_e32 v30, v27
	v_mov_b32_e32 v32, v6
	v_mul_f32_e32 v6, v27, v6
	v_pk_mul_f32 v[34:35], v[22:23], v[4:5]
	scratch_load_dwordx4 v[16:19], off, off offset:64
	v_mov_b32_e32 v21, v7
	v_pk_fma_f32 v[4:5], v[22:23], v[4:5], v[6:7] op_sel_hi:[1,1,0] neg_lo:[1,0,0] neg_hi:[1,0,0]
	v_pk_fma_f32 v[6:7], v[30:31], v[32:33], v[34:35]
	v_mov_b32_e32 v33, v22
	v_mov_b32_e32 v5, v7
	v_pk_add_f32 v[24:25], v[24:25], v[4:5] neg_lo:[0,1] neg_hi:[0,1]
	v_mov_b32_e32 v4, s16
	ds_read2_b32 v[30:31], v4 offset1:1
	scratch_load_dwordx4 v[4:7], off, off offset:72
	v_mov_b32_e32 v35, v20
	v_pk_mul_f32 v[20:21], v[26:27], v[20:21]
	scratch_load_dwordx4 v[40:43], off, off offset:128
	scratch_load_dwordx4 v[44:47], off, off offset:72
	s_waitcnt lgkmcnt(0)
	v_mov_b32_e32 v32, v31
	s_waitcnt vmcnt(5)
	v_mov_b32_e32 v34, v9
	s_waitcnt vmcnt(4)
	v_mov_b32_e32 v13, v14
	v_mov_b32_e32 v28, v12
	v_pk_fma_f32 v[22:23], v[32:33], v[12:13], v[20:21] neg_lo:[0,0,1] neg_hi:[0,0,1]
	v_mov_b32_e32 v13, s17
	v_pk_fma_f32 v[20:21], v[32:33], v[28:29], v[20:21]
	ds_read2_b32 v[28:29], v13 offset1:1
	v_mov_b32_e32 v23, v21
	v_pk_add_f32 v[24:25], v[24:25], v[22:23] neg_lo:[0,1] neg_hi:[0,1]
	scratch_load_dwordx4 v[20:23], off, off offset:80
	v_mov_b32_e32 v33, v26
	s_waitcnt lgkmcnt(0)
	v_mov_b32_e32 v32, v29
	v_mov_b32_e32 v15, v12
	;; [unrolled: 1-line block ×3, first 2 shown]
	v_pk_mul_f32 v[12:13], v[30:31], v[34:35]
	v_mov_b32_e32 v9, s18
	v_pk_fma_f32 v[34:35], v[32:33], v[14:15], v[12:13] neg_lo:[0,0,1] neg_hi:[0,0,1]
	v_pk_fma_f32 v[12:13], v[32:33], v[14:15], v[12:13]
	ds_read2_b32 v[32:33], v9 offset1:1
	v_mov_b32_e32 v26, v11
	v_mov_b32_e32 v35, v13
	v_pk_add_f32 v[24:25], v[24:25], v[34:35] neg_lo:[0,1] neg_hi:[0,1]
	v_mov_b32_e32 v35, v30
	s_waitcnt lgkmcnt(0)
	v_mov_b32_e32 v34, v33
	v_mov_b32_e32 v11, v8
	v_pk_mul_f32 v[8:9], v[28:29], v[26:27]
	scratch_load_dwordx4 v[12:15], off, off offset:88
	v_pk_fma_f32 v[26:27], v[34:35], v[10:11], v[8:9] neg_lo:[0,0,1] neg_hi:[0,0,1]
	v_pk_fma_f32 v[8:9], v[34:35], v[10:11], v[8:9]
	s_waitcnt vmcnt(5)
	v_mov_b32_e32 v30, v19
	v_mov_b32_e32 v27, v9
	;; [unrolled: 1-line block ×3, first 2 shown]
	v_pk_add_f32 v[24:25], v[24:25], v[26:27] neg_lo:[0,1] neg_hi:[0,1]
	ds_read2_b32 v[26:27], v8 offset1:1
	scratch_load_dwordx4 v[8:11], off, off offset:96
	v_mov_b32_e32 v31, v17
	v_mov_b32_e32 v35, v28
	;; [unrolled: 1-line block ×3, first 2 shown]
	s_waitcnt lgkmcnt(0)
	v_mov_b32_e32 v34, v27
	v_pk_mul_f32 v[28:29], v[32:33], v[30:31]
	s_waitcnt vmcnt(5)
	v_mov_b32_e32 v17, v5
	v_pk_fma_f32 v[30:31], v[34:35], v[18:19], v[28:29] neg_lo:[0,0,1] neg_hi:[0,0,1]
	v_pk_fma_f32 v[18:19], v[34:35], v[18:19], v[28:29]
	v_mov_b32_e32 v5, s20
	v_mov_b32_e32 v31, v19
	v_pk_add_f32 v[18:19], v[24:25], v[30:31] neg_lo:[0,1] neg_hi:[0,1]
	ds_read2_b32 v[24:25], v5 offset1:1
	v_mov_b32_e32 v16, v7
	v_mov_b32_e32 v29, v32
	;; [unrolled: 1-line block ×3, first 2 shown]
	v_pk_mul_f32 v[16:17], v[26:27], v[16:17]
	s_waitcnt lgkmcnt(0)
	v_mov_b32_e32 v28, v25
	v_pk_fma_f32 v[30:31], v[28:29], v[6:7], v[16:17] neg_lo:[0,0,1] neg_hi:[0,0,1]
	v_pk_fma_f32 v[6:7], v[28:29], v[6:7], v[16:17]
	v_mov_b32_e32 v16, s21
	ds_read2_b32 v[16:17], v16 offset1:1
	v_mov_b32_e32 v31, v7
	v_pk_add_f32 v[6:7], v[18:19], v[30:31] neg_lo:[0,1] neg_hi:[0,1]
	v_mov_b32_e32 v19, v26
	scratch_load_dwordx4 v[28:31], off, off offset:16
	s_waitcnt lgkmcnt(0)
	v_mov_b32_e32 v18, v17
	s_waitcnt vmcnt(3)
	v_mov_b32_e32 v4, v23
	v_mov_b32_e32 v5, v21
	;; [unrolled: 1-line block ×3, first 2 shown]
	v_pk_mul_f32 v[4:5], v[24:25], v[4:5]
	s_waitcnt vmcnt(2)
	v_mov_b32_e32 v20, v15
	v_pk_fma_f32 v[26:27], v[18:19], v[22:23], v[4:5] neg_lo:[0,0,1] neg_hi:[0,0,1]
	v_pk_fma_f32 v[4:5], v[18:19], v[22:23], v[4:5]
	v_mov_b32_e32 v21, v13
	v_mov_b32_e32 v27, v5
	v_pk_add_f32 v[4:5], v[6:7], v[26:27] neg_lo:[0,1] neg_hi:[0,1]
	ds_read2_b32 v[6:7], v36 offset0:1 offset1:2
	v_mov_b32_e32 v23, v24
	v_mov_b32_e32 v15, v12
	v_pk_mul_f32 v[12:13], v[16:17], v[20:21]
	s_waitcnt vmcnt(1)
	v_mov_b32_e32 v18, v8
	s_waitcnt lgkmcnt(0)
	v_mov_b32_e32 v22, v7
	v_mov_b32_e32 v19, v10
	v_pk_fma_f32 v[20:21], v[22:23], v[14:15], v[12:13] neg_lo:[0,0,1] neg_hi:[0,0,1]
	v_pk_fma_f32 v[12:13], v[22:23], v[14:15], v[12:13]
	v_mov_b32_e32 v17, v37
	v_mov_b32_e32 v8, v11
	;; [unrolled: 1-line block ×3, first 2 shown]
	v_pk_mul_f32 v[12:13], v[16:17], v[18:19]
	v_pk_add_f32 v[4:5], v[4:5], v[20:21] neg_lo:[0,1] neg_hi:[0,1]
	v_pk_fma_f32 v[14:15], v[6:7], v[8:9], v[12:13] op_sel:[0,0,1] op_sel_hi:[1,1,0] neg_lo:[1,0,0] neg_hi:[1,0,0]
	v_pk_fma_f32 v[8:9], v[6:7], v[8:9], v[12:13] op_sel:[0,0,1] op_sel_hi:[1,1,0]
	v_mul_f32_e32 v6, v6, v10
	v_mov_b32_e32 v15, v9
	v_fmac_f32_e32 v6, v37, v11
	v_pk_add_f32 v[8:9], v[4:5], v[14:15] neg_lo:[0,1] neg_hi:[0,1]
	scratch_load_dwordx4 v[34:37], off, off offset:144
	v_sub_f32_e32 v9, v9, v6
	scratch_load_dwordx4 v[4:7], off, off offset:112
	v_mov_b32_e32 v10, s14
	ds_read_b64 v[10:11], v10
	s_add_i32 s14, s13, 0xffffff80
	scratch_load_dwordx4 v[20:23], off, off
	scratch_load_dwordx4 v[16:19], off, off offset:40
	s_waitcnt vmcnt(2) lgkmcnt(0)
	v_mul_f32_e32 v12, v11, v5
	v_fma_f32 v12, v10, v4, -v12
	v_mul_f32_e32 v5, v10, v5
	v_fmac_f32_e32 v5, v11, v4
	v_sub_f32_e32 v4, v8, v12
	v_mov_b32_e32 v8, s14
	v_sub_f32_e32 v5, v9, v5
	ds_read2_b64 v[8:11], v8 offset1:1
	s_add_i32 s14, s13, 0xffffff70
	s_addk_i32 s13, 0xff60
	s_waitcnt vmcnt(0)
	v_mov_b32_e32 v65, v18
	s_waitcnt lgkmcnt(0)
	v_mul_f32_e32 v12, v11, v7
	v_mul_f32_e32 v7, v10, v7
	v_fma_f32 v12, v10, v6, -v12
	v_fmac_f32_e32 v7, v11, v6
	v_mul_f32_e32 v6, v9, v41
	v_sub_f32_e32 v4, v4, v12
	v_sub_f32_e32 v5, v5, v7
	v_fma_f32 v6, v8, v40, -v6
	v_mul_f32_e32 v7, v8, v41
	v_fmac_f32_e32 v7, v9, v40
	v_sub_f32_e32 v8, v4, v6
	v_mov_b32_e32 v4, s14
	v_sub_f32_e32 v9, v5, v7
	ds_read2_b64 v[4:7], v4 offset1:1
	s_waitcnt lgkmcnt(0)
	v_mul_f32_e32 v10, v7, v43
	v_fma_f32 v10, v6, v42, -v10
	v_mul_f32_e32 v6, v6, v43
	v_fmac_f32_e32 v6, v7, v42
	v_sub_f32_e32 v7, v8, v10
	v_mul_f32_e32 v8, v5, v35
	v_fma_f32 v8, v4, v34, -v8
	v_mul_f32_e32 v4, v4, v35
	v_sub_f32_e32 v6, v9, v6
	v_fmac_f32_e32 v4, v5, v34
	v_sub_f32_e32 v9, v6, v4
	v_mov_b32_e32 v4, s13
	v_sub_f32_e32 v8, v7, v8
	ds_read2_b64 v[4:7], v4 offset1:1
	s_add_i32 s13, s4, 0xffffe950
	s_waitcnt lgkmcnt(0)
	v_mul_f32_e32 v10, v7, v37
	v_fma_f32 v10, v6, v36, -v10
	v_mul_f32_e32 v6, v6, v37
	v_fmac_f32_e32 v6, v7, v36
	v_sub_f32_e32 v7, v8, v10
	v_mul_f32_e32 v8, v5, v3
	v_mul_f32_e32 v3, v4, v3
	v_sub_f32_e32 v6, v9, v6
	v_fma_f32 v8, v4, v2, -v8
	v_fmac_f32_e32 v3, v5, v2
	v_sub_f32_e32 v8, v7, v8
	v_sub_f32_e32 v9, v6, v3
	scratch_load_dwordx2 v[6:7], off, off offset:168
	v_mov_b32_e32 v2, s13
	ds_read2_b64 v[2:5], v2 offset1:1
	s_waitcnt vmcnt(0) lgkmcnt(0)
	v_mul_f32_e32 v10, v5, v7
	v_fma_f32 v10, v4, v6, -v10
	v_mul_f32_e32 v4, v4, v7
	v_fmac_f32_e32 v4, v5, v6
	v_sub_f32_e32 v4, v9, v4
	v_sub_f32_e32 v5, v8, v10
	v_mul_f32_e32 v6, v3, v4
	v_mul_f32_e32 v39, v2, v4
	v_fma_f32 v38, v2, v5, -v6
	v_fmac_f32_e32 v39, v3, v5
	scratch_store_dwordx2 off, v[38:39], off offset:176
	scratch_load_dwordx4 v[2:5], off, off offset:168
	v_add_u32_e32 v6, s12, v1
	s_add_i32 s12, s11, 0xffffe900
	s_add_i32 s13, s12, s5
	s_add_i32 s14, s13, -4
	v_mov_b32_e32 v8, s13
	ds_read_b32 v8, v8 offset:4
	s_sub_i32 s15, s13, 52
	s_add_i32 s22, s13, 0xffffff90
	v_mov_b32_e32 v68, s22
	ds_read_b32 v69, v68
	s_sub_i32 s16, s13, 60
	s_add_i32 s17, s13, 0xffffffbc
	s_add_i32 s18, s13, 0xffffffb4
	;; [unrolled: 1-line block ×5, first 2 shown]
	s_waitcnt vmcnt(0)
	ds_write_b64 v6, v[4:5]
	scratch_load_dwordx2 v[4:5], off, off
	v_mov_b32_e32 v6, s14
	ds_read2_b32 v[6:7], v6 offset1:1
	s_add_i32 s14, s13, -12
	s_waitcnt vmcnt(0) lgkmcnt(3)
	v_mul_f32_e32 v9, v8, v5
	s_waitcnt lgkmcnt(0)
	v_mul_f32_e32 v5, v7, v5
	v_fma_f32 v9, v7, v4, -v9
	v_fmac_f32_e32 v5, v8, v4
	v_mov_b32_e32 v4, s14
	v_sub_f32_e32 v8, v59, v5
	ds_read2_b32 v[4:5], v4 offset1:1
	v_sub_f32_e32 v7, v58, v9
	v_mul_f32_e32 v9, v6, v23
	s_sub_i32 s14, s13, 20
	s_waitcnt lgkmcnt(0)
	v_fma_f32 v9, v5, v22, -v9
	v_mul_f32_e32 v5, v5, v23
	v_fmac_f32_e32 v5, v6, v22
	scratch_load_dwordx4 v[22:25], off, off offset:8
	v_mov_b32_e32 v6, s14
	v_sub_f32_e32 v9, v7, v9
	ds_read2_b32 v[6:7], v6 offset1:1
	v_sub_f32_e32 v5, v8, v5
	s_sub_i32 s14, s13, 28
	s_waitcnt vmcnt(0)
	v_mul_f32_e32 v8, v4, v25
	s_waitcnt lgkmcnt(0)
	v_fma_f32 v8, v7, v24, -v8
	v_mul_f32_e32 v7, v7, v25
	v_fmac_f32_e32 v7, v4, v24
	v_sub_f32_e32 v5, v5, v7
	v_mov_b32_e32 v7, s14
	v_sub_f32_e32 v4, v9, v8
	ds_read2_b32 v[8:9], v7 offset1:1
	v_mul_f32_e32 v7, v6, v31
	scratch_load_dwordx4 v[24:27], off, off offset:32
	s_sub_i32 s14, s13, 36
	s_waitcnt lgkmcnt(0)
	v_fma_f32 v10, v9, v30, -v7
	v_mul_f32_e32 v7, v9, v31
	v_fmac_f32_e32 v7, v6, v30
	scratch_load_dwordx4 v[30:33], off, off offset:24
	v_mov_b32_e32 v6, s14
	ds_read2_b32 v[14:15], v6 offset1:1
	v_sub_f32_e32 v4, v4, v10
	s_sub_i32 s14, s13, 44
	scratch_load_dwordx4 v[10:13], off, off offset:48
	s_waitcnt lgkmcnt(0)
	v_mov_b32_e32 v59, v14
	s_waitcnt vmcnt(1)
	v_mul_f32_e32 v6, v8, v33
	v_fma_f32 v6, v15, v32, -v6
	v_mul_f32_e32 v9, v15, v33
	v_pk_add_f32 v[4:5], v[4:5], v[6:7] neg_lo:[0,1] neg_hi:[0,1]
	v_mov_b32_e32 v6, s14
	v_fmac_f32_e32 v9, v8, v32
	ds_read2_b32 v[32:33], v6 offset1:1
	v_mul_f32_e32 v8, v14, v27
	v_mov_b32_e32 v15, v26
	v_mov_b32_e32 v14, v18
	s_waitcnt vmcnt(0)
	v_mov_b32_e32 v62, v12
	s_waitcnt lgkmcnt(0)
	v_fma_f32 v8, v33, v26, -v8
	v_pk_add_f32 v[8:9], v[4:5], v[8:9] neg_lo:[0,1] neg_hi:[0,1]
	v_mov_b32_e32 v4, s15
	ds_read2_b32 v[48:49], v4 offset1:1
	scratch_load_dwordx4 v[4:7], off, off offset:64
	v_mov_b32_e32 v26, v19
	v_pk_mul_f32 v[66:67], v[32:33], v[26:27]
	v_mov_b32_e32 v64, v12
	s_waitcnt lgkmcnt(0)
	v_mov_b32_e32 v58, v49
	v_mul_f32_e32 v60, v49, v18
	v_pk_fma_f32 v[26:27], v[32:33], v[26:27], v[60:61] op_sel_hi:[1,1,0] neg_lo:[1,0,0] neg_hi:[1,0,0]
	v_pk_fma_f32 v[14:15], v[58:59], v[14:15], v[66:67]
	v_mov_b32_e32 v18, v13
	v_mov_b32_e32 v27, v15
	;; [unrolled: 1-line block ×3, first 2 shown]
	v_pk_add_f32 v[8:9], v[8:9], v[26:27] neg_lo:[0,1] neg_hi:[0,1]
	ds_read2_b32 v[26:27], v14 offset1:1
	v_mov_b32_e32 v15, v32
	scratch_load_dwordx4 v[58:61], off, off offset:80
	v_mov_b32_e32 v33, v13
	v_pk_mul_f32 v[18:19], v[48:49], v[18:19]
	s_waitcnt lgkmcnt(0)
	v_mov_b32_e32 v14, v27
	v_mov_b32_e32 v13, s17
	;; [unrolled: 1-line block ×3, first 2 shown]
	s_add_i32 s14, s13, 0xffffff88
	s_waitcnt vmcnt(1)
	v_mov_b32_e32 v63, v4
	v_pk_fma_f32 v[62:63], v[14:15], v[62:63], v[18:19] neg_lo:[0,0,1] neg_hi:[0,0,1]
	v_pk_fma_f32 v[14:15], v[14:15], v[64:65], v[18:19]
	ds_read2_b32 v[18:19], v13 offset1:1
	v_mov_b32_e32 v63, v15
	scratch_load_dwordx4 v[12:15], off, off offset:88
	v_mov_b32_e32 v32, v5
	v_pk_add_f32 v[8:9], v[8:9], v[62:63] neg_lo:[0,1] neg_hi:[0,1]
	s_waitcnt lgkmcnt(0)
	v_mov_b32_e32 v62, v19
	v_mov_b32_e32 v63, v48
	;; [unrolled: 1-line block ×3, first 2 shown]
	v_pk_mul_f32 v[32:33], v[26:27], v[32:33]
	v_mov_b32_e32 v67, v5
	v_pk_fma_f32 v[64:65], v[62:63], v[48:49], v[32:33] neg_lo:[0,0,1] neg_hi:[0,0,1]
	v_pk_fma_f32 v[32:33], v[62:63], v[48:49], v[32:33]
	v_mov_b32_e32 v5, s18
	v_mov_b32_e32 v65, v33
	ds_read2_b32 v[32:33], v5 offset1:1
	v_mov_b32_e32 v66, v7
	v_mov_b32_e32 v49, v26
	;; [unrolled: 1-line block ×3, first 2 shown]
	v_pk_mul_f32 v[4:5], v[18:19], v[66:67]
	s_waitcnt lgkmcnt(0)
	v_mov_b32_e32 v48, v33
	v_pk_add_f32 v[8:9], v[8:9], v[64:65] neg_lo:[0,1] neg_hi:[0,1]
	scratch_load_dwordx4 v[62:65], off, off offset:96
	v_pk_fma_f32 v[66:67], v[48:49], v[6:7], v[4:5] neg_lo:[0,0,1] neg_hi:[0,0,1]
	v_pk_fma_f32 v[4:5], v[48:49], v[6:7], v[4:5]
	v_mov_b32_e32 v26, v47
	v_mov_b32_e32 v4, s19
	;; [unrolled: 1-line block ×3, first 2 shown]
	ds_read2_b32 v[48:49], v4 offset1:1
	scratch_load_dwordx4 v[4:7], off, off offset:104
	v_mov_b32_e32 v27, v45
	v_pk_add_f32 v[8:9], v[8:9], v[66:67] neg_lo:[0,1] neg_hi:[0,1]
	v_mov_b32_e32 v67, v18
	s_waitcnt lgkmcnt(0)
	v_mov_b32_e32 v66, v49
	v_mov_b32_e32 v47, v44
	v_pk_mul_f32 v[26:27], v[32:33], v[26:27]
	s_waitcnt vmcnt(3)
	v_mov_b32_e32 v18, v61
	v_pk_fma_f32 v[44:45], v[66:67], v[46:47], v[26:27] neg_lo:[0,0,1] neg_hi:[0,0,1]
	v_pk_fma_f32 v[26:27], v[66:67], v[46:47], v[26:27]
	v_mov_b32_e32 v19, v59
	v_mov_b32_e32 v26, s20
	;; [unrolled: 1-line block ×3, first 2 shown]
	ds_read2_b32 v[26:27], v26 offset1:1
	v_pk_add_f32 v[8:9], v[8:9], v[44:45] neg_lo:[0,1] neg_hi:[0,1]
	v_mov_b32_e32 v45, v32
	v_mov_b32_e32 v61, v58
	v_pk_mul_f32 v[18:19], v[48:49], v[18:19]
	s_waitcnt lgkmcnt(0)
	v_mov_b32_e32 v44, v27
	v_pk_fma_f32 v[46:47], v[44:45], v[60:61], v[18:19] neg_lo:[0,0,1] neg_hi:[0,0,1]
	v_pk_fma_f32 v[18:19], v[44:45], v[60:61], v[18:19]
	v_mov_b32_e32 v45, v48
	v_mov_b32_e32 v47, v19
	v_pk_add_f32 v[8:9], v[8:9], v[46:47] neg_lo:[0,1] neg_hi:[0,1]
	scratch_load_dwordx2 v[60:61], off, off offset:56
	s_waitcnt vmcnt(3)
	v_mov_b32_e32 v33, v13
	v_mov_b32_e32 v13, s21
	ds_read2_b32 v[18:19], v13 offset1:1
	v_mov_b32_e32 v32, v15
	v_mov_b32_e32 v15, v12
	v_pk_mul_f32 v[32:33], v[26:27], v[32:33]
	s_waitcnt lgkmcnt(0)
	v_mov_b32_e32 v44, v19
	v_pk_fma_f32 v[46:47], v[44:45], v[14:15], v[32:33] neg_lo:[0,0,1] neg_hi:[0,0,1]
	v_pk_fma_f32 v[14:15], v[44:45], v[14:15], v[32:33]
	v_mov_b32_e32 v45, v26
	v_mov_b32_e32 v47, v15
	ds_read2_b32 v[14:15], v68 offset0:1 offset1:2
	v_pk_add_f32 v[8:9], v[8:9], v[46:47] neg_lo:[0,1] neg_hi:[0,1]
	s_waitcnt lgkmcnt(0)
	v_mov_b32_e32 v44, v15
	s_waitcnt vmcnt(2)
	v_mov_b32_e32 v12, v65
	v_mov_b32_e32 v13, v63
	;; [unrolled: 1-line block ×3, first 2 shown]
	v_pk_mul_f32 v[12:13], v[18:19], v[12:13]
	v_mov_b32_e32 v19, v69
	v_pk_fma_f32 v[26:27], v[44:45], v[64:65], v[12:13] neg_lo:[0,0,1] neg_hi:[0,0,1]
	v_pk_fma_f32 v[12:13], v[44:45], v[64:65], v[12:13]
	s_waitcnt vmcnt(1)
	v_mov_b32_e32 v32, v4
	v_mov_b32_e32 v33, v6
	;; [unrolled: 1-line block ×4, first 2 shown]
	v_pk_mul_f32 v[12:13], v[18:19], v[32:33]
	v_pk_add_f32 v[8:9], v[8:9], v[26:27] neg_lo:[0,1] neg_hi:[0,1]
	v_pk_fma_f32 v[18:19], v[14:15], v[4:5], v[12:13] op_sel:[0,0,1] op_sel_hi:[1,1,0] neg_lo:[1,0,0] neg_hi:[1,0,0]
	v_pk_fma_f32 v[4:5], v[14:15], v[4:5], v[12:13] op_sel:[0,0,1] op_sel_hi:[1,1,0]
	v_mov_b32_e32 v12, s14
	v_mov_b32_e32 v19, v5
	v_mul_f32_e32 v4, v14, v6
	v_fmac_f32_e32 v4, v69, v7
	v_pk_add_f32 v[8:9], v[8:9], v[18:19] neg_lo:[0,1] neg_hi:[0,1]
	ds_read_b64 v[12:13], v12
	v_sub_f32_e32 v9, v9, v4
	scratch_load_dwordx4 v[4:7], off, off offset:120
	s_add_i32 s14, s13, 0xffffff78
	s_waitcnt vmcnt(1)
	v_mov_b32_e32 v58, v60
	v_mov_b32_e32 v65, v60
	s_waitcnt vmcnt(0) lgkmcnt(0)
	v_mul_f32_e32 v14, v13, v5
	v_fma_f32 v14, v12, v4, -v14
	v_mul_f32_e32 v5, v12, v5
	v_fmac_f32_e32 v5, v13, v4
	v_sub_f32_e32 v4, v8, v14
	v_mov_b32_e32 v8, s14
	ds_read2_b64 v[12:15], v8 offset1:1
	v_sub_f32_e32 v5, v9, v5
	s_add_i32 s14, s13, 0xffffff68
	s_addk_i32 s13, 0xff58
	s_waitcnt lgkmcnt(0)
	v_mul_f32_e32 v8, v15, v7
	v_mul_f32_e32 v7, v14, v7
	v_fmac_f32_e32 v7, v15, v6
	v_fma_f32 v8, v14, v6, -v8
	v_sub_f32_e32 v5, v5, v7
	v_mul_f32_e32 v6, v13, v43
	v_mul_f32_e32 v7, v12, v43
	v_fma_f32 v6, v12, v42, -v6
	v_fmac_f32_e32 v7, v13, v42
	scratch_load_dwordx4 v[12:15], off, off offset:136
	v_sub_f32_e32 v4, v4, v8
	v_sub_f32_e32 v8, v4, v6
	v_mov_b32_e32 v4, s14
	v_sub_f32_e32 v9, v5, v7
	ds_read2_b64 v[4:7], v4 offset1:1
	s_waitcnt vmcnt(0) lgkmcnt(0)
	v_mul_f32_e32 v18, v7, v15
	v_fma_f32 v18, v6, v14, -v18
	v_mul_f32_e32 v6, v6, v15
	v_fmac_f32_e32 v6, v7, v14
	v_sub_f32_e32 v7, v8, v18
	v_mul_f32_e32 v8, v5, v37
	v_fma_f32 v8, v4, v36, -v8
	v_mul_f32_e32 v4, v4, v37
	v_sub_f32_e32 v6, v9, v6
	v_fmac_f32_e32 v4, v5, v36
	v_sub_f32_e32 v8, v7, v8
	v_sub_f32_e32 v9, v6, v4
	scratch_load_dwordx4 v[4:7], off, off offset:152
	v_mov_b32_e32 v14, s13
	ds_read2_b64 v[42:45], v14 offset1:1
	s_add_i32 s13, s4, 0xffffe848
	s_waitcnt vmcnt(0) lgkmcnt(0)
	v_mul_f32_e32 v14, v45, v7
	v_mul_f32_e32 v7, v44, v7
	v_fma_f32 v14, v44, v6, -v14
	v_fmac_f32_e32 v7, v45, v6
	v_sub_f32_e32 v14, v8, v14
	v_sub_f32_e32 v15, v9, v7
	scratch_load_dwordx4 v[6:9], off, off offset:160
	s_waitcnt vmcnt(0)
	v_mul_f32_e32 v18, v43, v9
	v_fma_f32 v18, v42, v8, -v18
	v_mul_f32_e32 v9, v42, v9
	v_fmac_f32_e32 v9, v43, v8
	v_sub_f32_e32 v8, v14, v18
	v_mov_b32_e32 v14, s13
	ds_read2_b64 v[42:45], v14 offset1:1
	v_sub_f32_e32 v9, v15, v9
	s_waitcnt lgkmcnt(0)
	v_mul_f32_e32 v15, v44, v39
	v_mul_f32_e32 v14, v45, v39
	v_fmac_f32_e32 v15, v45, v38
	v_fma_f32 v14, v44, v38, -v14
	v_sub_f32_e32 v9, v9, v15
	v_sub_f32_e32 v8, v8, v14
	v_mul_f32_e32 v14, v43, v9
	v_mul_f32_e32 v33, v42, v9
	v_fma_f32 v32, v42, v8, -v14
	v_fmac_f32_e32 v33, v43, v8
	v_add_u32_e32 v8, s12, v1
	ds_write_b64 v8, v[32:33]
	scratch_load_dwordx2 v[8:9], off, off
	s_add_i32 s12, s11, 0xffffe800
	s_add_i32 s13, s12, s5
	s_add_i32 s14, s13, -4
	v_mov_b32_e32 v14, s14
	v_mov_b32_e32 v18, s13
	ds_read2_b32 v[14:15], v14 offset1:1
	ds_read_b32 v18, v18 offset:4
	s_add_i32 s14, s13, -12
	scratch_load_dwordx4 v[36:39], off, off offset:56
	scratch_load_dwordx4 v[42:45], off, off offset:72
	s_sub_i32 s15, s13, 60
	s_add_i32 s22, s13, 0xffffff88
	v_mov_b32_e32 v70, s22
	ds_read_b32 v71, v70
	s_add_i32 s16, s13, 0xffffffbc
	s_add_i32 s17, s13, 0xffffffb4
	;; [unrolled: 1-line block ×6, first 2 shown]
	s_waitcnt vmcnt(2) lgkmcnt(1)
	v_mul_f32_e32 v19, v18, v9
	v_mul_f32_e32 v9, v15, v9
	v_fmac_f32_e32 v9, v18, v8
	v_fma_f32 v19, v15, v8, -v19
	v_sub_f32_e32 v26, v57, v9
	scratch_load_dwordx2 v[8:9], off, off offset:8
	v_mov_b32_e32 v18, s14
	v_sub_f32_e32 v15, v56, v19
	ds_read2_b32 v[18:19], v18 offset1:1
	s_sub_i32 s14, s13, 20
	s_waitcnt vmcnt(2)
	v_mov_b32_e32 v62, v38
	s_waitcnt vmcnt(1)
	v_mov_b32_e32 v63, v42
	v_mov_b32_e32 v64, v38
	s_waitcnt vmcnt(0)
	v_mul_f32_e32 v27, v14, v9
	s_waitcnt lgkmcnt(0)
	v_mul_f32_e32 v9, v19, v9
	v_fmac_f32_e32 v9, v14, v8
	v_fma_f32 v27, v19, v8, -v27
	v_sub_f32_e32 v26, v26, v9
	scratch_load_dwordx2 v[8:9], off, off offset:16
	v_mov_b32_e32 v14, s14
	v_sub_f32_e32 v19, v15, v27
	ds_read2_b32 v[14:15], v14 offset1:1
	s_sub_i32 s14, s13, 28
	s_waitcnt vmcnt(0)
	v_mul_f32_e32 v27, v18, v9
	s_waitcnt lgkmcnt(0)
	v_mul_f32_e32 v9, v15, v9
	v_fmac_f32_e32 v9, v18, v8
	v_fma_f32 v27, v15, v8, -v27
	v_sub_f32_e32 v26, v26, v9
	scratch_load_dwordx2 v[8:9], off, off offset:24
	v_mov_b32_e32 v18, s14
	v_sub_f32_e32 v15, v19, v27
	ds_read2_b32 v[18:19], v18 offset1:1
	s_sub_i32 s14, s13, 36
	s_waitcnt vmcnt(0)
	v_mul_f32_e32 v27, v14, v9
	s_waitcnt lgkmcnt(0)
	v_fma_f32 v27, v19, v8, -v27
	v_mul_f32_e32 v9, v19, v9
	v_fmac_f32_e32 v9, v14, v8
	v_sub_f32_e32 v8, v15, v27
	scratch_load_dwordx2 v[14:15], off, off offset:32
	v_mov_b32_e32 v19, s14
	v_sub_f32_e32 v9, v26, v9
	ds_read2_b32 v[26:27], v19 offset1:1
	s_sub_i32 s14, s13, 44
	s_waitcnt vmcnt(0)
	v_mul_f32_e32 v19, v18, v15
	s_waitcnt lgkmcnt(0)
	v_fma_f32 v19, v27, v14, -v19
	v_mul_f32_e32 v15, v27, v15
	v_fmac_f32_e32 v15, v18, v14
	v_sub_f32_e32 v8, v8, v19
	scratch_load_dwordx2 v[18:19], off, off offset:40
	v_mov_b32_e32 v14, s14
	ds_read2_b32 v[46:47], v14 offset1:1
	s_sub_i32 s14, s13, 52
	s_waitcnt lgkmcnt(0)
	v_mov_b32_e32 v57, v46
	s_waitcnt vmcnt(0)
	v_mul_f32_e32 v14, v26, v19
	v_mul_f32_e32 v19, v47, v19
	v_fmac_f32_e32 v19, v26, v18
	scratch_load_dwordx2 v[26:27], off, off offset:48
	v_fma_f32 v14, v47, v18, -v14
	v_pk_add_f32 v[8:9], v[8:9], v[14:15] neg_lo:[0,1] neg_hi:[0,1]
	v_mov_b32_e32 v14, s14
	ds_read2_b32 v[14:15], v14 offset1:1
	s_add_i32 s14, s13, 0xffffff80
	s_waitcnt vmcnt(0)
	v_mul_f32_e32 v18, v46, v27
	s_waitcnt lgkmcnt(0)
	v_fma_f32 v18, v15, v26, -v18
	v_pk_add_f32 v[8:9], v[8:9], v[18:19] neg_lo:[0,1] neg_hi:[0,1]
	v_mov_b32_e32 v18, s15
	ds_read2_b32 v[18:19], v18 offset1:1
	scratch_load_dwordx4 v[46:49], off, off offset:80
	v_mov_b32_e32 v59, v26
	v_mov_b32_e32 v26, v61
	v_pk_mul_f32 v[68:69], v[14:15], v[26:27]
	s_waitcnt lgkmcnt(0)
	v_mov_b32_e32 v56, v19
	v_mul_f32_e32 v66, v19, v60
	v_pk_fma_f32 v[26:27], v[14:15], v[26:27], v[66:67] op_sel_hi:[1,1,0] neg_lo:[1,0,0] neg_hi:[1,0,0]
	v_pk_fma_f32 v[56:57], v[56:57], v[58:59], v[68:69]
	v_mov_b32_e32 v60, v39
	v_mov_b32_e32 v27, v57
	;; [unrolled: 1-line block ×3, first 2 shown]
	v_pk_add_f32 v[8:9], v[8:9], v[26:27] neg_lo:[0,1] neg_hi:[0,1]
	ds_read2_b32 v[26:27], v15 offset1:1
	v_pk_mul_f32 v[60:61], v[18:19], v[60:61]
	v_mov_b32_e32 v19, s17
	scratch_load_dwordx4 v[56:59], off, off offset:88
	ds_read2_b32 v[68:69], v19 offset1:1
	s_waitcnt lgkmcnt(1)
	v_mov_b32_e32 v66, v27
	v_mov_b32_e32 v67, v14
	;; [unrolled: 1-line block ×4, first 2 shown]
	v_pk_fma_f32 v[62:63], v[66:67], v[62:63], v[60:61] neg_lo:[0,0,1] neg_hi:[0,0,1]
	v_pk_fma_f32 v[60:61], v[66:67], v[64:65], v[60:61]
	s_waitcnt lgkmcnt(0)
	v_mov_b32_e32 v64, v69
	v_mov_b32_e32 v65, v18
	;; [unrolled: 1-line block ×4, first 2 shown]
	v_pk_mul_f32 v[14:15], v[26:27], v[14:15]
	v_mov_b32_e32 v63, v61
	v_pk_fma_f32 v[66:67], v[64:65], v[18:19], v[14:15] neg_lo:[0,0,1] neg_hi:[0,0,1]
	v_pk_fma_f32 v[14:15], v[64:65], v[18:19], v[14:15]
	v_pk_add_f32 v[8:9], v[8:9], v[62:63] neg_lo:[0,1] neg_hi:[0,1]
	scratch_load_dwordx4 v[60:63], off, off offset:96
	v_mov_b32_e32 v14, s18
	v_mov_b32_e32 v67, v15
	ds_read2_b32 v[14:15], v14 offset1:1
	v_mov_b32_e32 v38, v45
	v_mov_b32_e32 v39, v43
	;; [unrolled: 1-line block ×4, first 2 shown]
	s_waitcnt lgkmcnt(0)
	v_mov_b32_e32 v18, v15
	v_pk_mul_f32 v[38:39], v[68:69], v[38:39]
	v_pk_add_f32 v[8:9], v[8:9], v[66:67] neg_lo:[0,1] neg_hi:[0,1]
	scratch_load_dwordx4 v[64:67], off, off offset:104
	v_pk_fma_f32 v[42:43], v[18:19], v[44:45], v[38:39] neg_lo:[0,0,1] neg_hi:[0,0,1]
	v_pk_fma_f32 v[18:19], v[18:19], v[44:45], v[38:39]
	v_mov_b32_e32 v39, v68
	v_mov_b32_e32 v43, v19
	v_pk_add_f32 v[8:9], v[8:9], v[42:43] neg_lo:[0,1] neg_hi:[0,1]
	scratch_load_dwordx4 v[42:45], off, off offset:112
	v_mov_b32_e32 v18, s19
	ds_read2_b32 v[18:19], v18 offset1:1
	s_waitcnt lgkmcnt(0)
	v_mov_b32_e32 v38, v19
	s_waitcnt vmcnt(4)
	v_mov_b32_e32 v26, v49
	v_mov_b32_e32 v27, v47
	;; [unrolled: 1-line block ×3, first 2 shown]
	v_pk_mul_f32 v[26:27], v[14:15], v[26:27]
	v_mov_b32_e32 v15, s20
	v_pk_fma_f32 v[68:69], v[38:39], v[48:49], v[26:27] neg_lo:[0,0,1] neg_hi:[0,0,1]
	v_pk_fma_f32 v[26:27], v[38:39], v[48:49], v[26:27]
	v_mov_b32_e32 v39, v14
	v_mov_b32_e32 v69, v27
	ds_read2_b32 v[26:27], v15 offset1:1
	v_pk_add_f32 v[8:9], v[8:9], v[68:69] neg_lo:[0,1] neg_hi:[0,1]
	s_waitcnt lgkmcnt(0)
	v_mov_b32_e32 v38, v27
	s_waitcnt vmcnt(3)
	v_mov_b32_e32 v46, v59
	v_mov_b32_e32 v47, v57
	;; [unrolled: 1-line block ×3, first 2 shown]
	v_pk_mul_f32 v[46:47], v[18:19], v[46:47]
	v_mov_b32_e32 v19, s21
	v_pk_fma_f32 v[48:49], v[38:39], v[58:59], v[46:47] neg_lo:[0,0,1] neg_hi:[0,0,1]
	v_pk_fma_f32 v[38:39], v[38:39], v[58:59], v[46:47]
	v_mov_b32_e32 v47, v18
	v_mov_b32_e32 v49, v39
	ds_read2_b32 v[38:39], v19 offset1:1
	v_pk_add_f32 v[8:9], v[8:9], v[48:49] neg_lo:[0,1] neg_hi:[0,1]
	s_waitcnt lgkmcnt(0)
	v_mov_b32_e32 v46, v39
	s_waitcnt vmcnt(2)
	v_mov_b32_e32 v14, v63
	v_mov_b32_e32 v15, v61
	;; [unrolled: 1-line block ×3, first 2 shown]
	v_pk_mul_f32 v[14:15], v[26:27], v[14:15]
	s_waitcnt vmcnt(1)
	v_mov_b32_e32 v18, v67
	v_pk_fma_f32 v[48:49], v[46:47], v[62:63], v[14:15] neg_lo:[0,0,1] neg_hi:[0,0,1]
	v_pk_fma_f32 v[14:15], v[46:47], v[62:63], v[14:15]
	v_mov_b32_e32 v19, v65
	v_mov_b32_e32 v49, v15
	ds_read2_b32 v[14:15], v70 offset0:1 offset1:2
	v_pk_add_f32 v[8:9], v[8:9], v[48:49] neg_lo:[0,1] neg_hi:[0,1]
	v_mov_b32_e32 v49, v26
	v_mov_b32_e32 v67, v64
	v_pk_mul_f32 v[18:19], v[38:39], v[18:19]
	s_waitcnt lgkmcnt(0)
	v_mov_b32_e32 v48, v15
	s_waitcnt vmcnt(0)
	v_mov_b32_e32 v46, v42
	v_mov_b32_e32 v47, v44
	v_pk_fma_f32 v[26:27], v[48:49], v[66:67], v[18:19] neg_lo:[0,0,1] neg_hi:[0,0,1]
	v_pk_fma_f32 v[18:19], v[48:49], v[66:67], v[18:19]
	v_mov_b32_e32 v39, v71
	v_mov_b32_e32 v42, v45
	;; [unrolled: 1-line block ×3, first 2 shown]
	v_pk_mul_f32 v[18:19], v[38:39], v[46:47]
	v_pk_add_f32 v[8:9], v[8:9], v[26:27] neg_lo:[0,1] neg_hi:[0,1]
	v_pk_fma_f32 v[26:27], v[14:15], v[42:43], v[18:19] op_sel:[0,0,1] op_sel_hi:[1,1,0] neg_lo:[1,0,0] neg_hi:[1,0,0]
	v_pk_fma_f32 v[18:19], v[14:15], v[42:43], v[18:19] op_sel:[0,0,1] op_sel_hi:[1,1,0]
	v_mul_f32_e32 v14, v14, v44
	v_mov_b32_e32 v27, v19
	v_fmac_f32_e32 v14, v71, v45
	v_pk_add_f32 v[8:9], v[8:9], v[26:27] neg_lo:[0,1] neg_hi:[0,1]
	scratch_load_dwordx2 v[62:63], off, off offset:64
	v_sub_f32_e32 v9, v9, v14
	v_mov_b32_e32 v14, s14
	ds_read_b64 v[14:15], v14
	s_add_i32 s14, s13, 0xffffff70
	scratch_load_dwordx4 v[44:47], off, off offset:80
	s_waitcnt lgkmcnt(0)
	v_mul_f32_e32 v18, v15, v41
	v_fma_f32 v18, v14, v40, -v18
	v_mul_f32_e32 v14, v14, v41
	v_fmac_f32_e32 v14, v15, v40
	v_sub_f32_e32 v15, v8, v18
	v_sub_f32_e32 v14, v9, v14
	scratch_load_dwordx2 v[8:9], off, off offset:136
	v_mov_b32_e32 v18, s14
	ds_read2_b64 v[38:41], v18 offset1:1
	s_add_i32 s14, s13, 0xffffff60
	s_addk_i32 s13, 0xff50
	s_waitcnt vmcnt(2)
	v_mov_b32_e32 v67, v62
	s_waitcnt vmcnt(1)
	v_mov_b32_e32 v65, v44
	s_waitcnt vmcnt(0) lgkmcnt(0)
	v_mul_f32_e32 v18, v41, v9
	v_mul_f32_e32 v9, v40, v9
	v_fmac_f32_e32 v9, v41, v8
	v_fma_f32 v18, v40, v8, -v18
	v_sub_f32_e32 v14, v14, v9
	scratch_load_dwordx2 v[8:9], off, off offset:144
	v_sub_f32_e32 v15, v15, v18
	s_waitcnt vmcnt(0)
	v_mul_f32_e32 v18, v39, v9
	v_mul_f32_e32 v9, v38, v9
	v_fmac_f32_e32 v9, v39, v8
	v_fma_f32 v18, v38, v8, -v18
	v_sub_f32_e32 v14, v14, v9
	scratch_load_dwordx2 v[8:9], off, off offset:152
	v_sub_f32_e32 v15, v15, v18
	v_mov_b32_e32 v18, s14
	ds_read2_b64 v[38:41], v18 offset1:1
	s_waitcnt vmcnt(0) lgkmcnt(0)
	v_mul_f32_e32 v18, v41, v9
	v_mul_f32_e32 v9, v40, v9
	v_fmac_f32_e32 v9, v41, v8
	v_fma_f32 v18, v40, v8, -v18
	v_sub_f32_e32 v14, v14, v9
	scratch_load_dwordx2 v[8:9], off, off offset:160
	v_sub_f32_e32 v15, v15, v18
	s_waitcnt vmcnt(0)
	v_mul_f32_e32 v18, v39, v9
	v_mul_f32_e32 v9, v38, v9
	v_fmac_f32_e32 v9, v39, v8
	v_fma_f32 v18, v38, v8, -v18
	v_sub_f32_e32 v14, v14, v9
	scratch_load_dwordx2 v[8:9], off, off offset:168
	v_sub_f32_e32 v15, v15, v18
	v_mov_b32_e32 v18, s13
	ds_read2_b64 v[38:41], v18 offset1:1
	s_add_i32 s13, s4, 0xffffe740
	s_waitcnt vmcnt(0) lgkmcnt(0)
	v_mul_f32_e32 v18, v41, v9
	v_mul_f32_e32 v9, v40, v9
	v_fmac_f32_e32 v9, v41, v8
	v_fma_f32 v18, v40, v8, -v18
	v_sub_f32_e32 v14, v14, v9
	scratch_load_dwordx2 v[8:9], off, off offset:176
	v_sub_f32_e32 v15, v15, v18
	s_waitcnt vmcnt(0)
	v_mul_f32_e32 v18, v39, v9
	v_mul_f32_e32 v9, v38, v9
	v_fmac_f32_e32 v9, v39, v8
	v_sub_f32_e32 v9, v14, v9
	v_mov_b32_e32 v14, s13
	v_fma_f32 v18, v38, v8, -v18
	ds_read2_b64 v[38:41], v14 offset1:1
	v_sub_f32_e32 v8, v15, v18
	s_waitcnt lgkmcnt(0)
	v_mul_f32_e32 v15, v40, v33
	v_mul_f32_e32 v14, v41, v33
	v_fmac_f32_e32 v15, v41, v32
	v_fma_f32 v14, v40, v32, -v14
	v_sub_f32_e32 v9, v9, v15
	v_sub_f32_e32 v8, v8, v14
	v_mul_f32_e32 v14, v39, v9
	v_mul_f32_e32 v43, v38, v9
	v_fma_f32 v42, v38, v8, -v14
	v_fmac_f32_e32 v43, v39, v8
	v_add_u32_e32 v8, s12, v1
	ds_write_b64 v8, v[42:43]
	scratch_load_dwordx2 v[8:9], off, off
	s_add_i32 s12, s11, 0xffffe700
	s_add_i32 s13, s12, s5
	s_add_i32 s14, s13, -4
	v_mov_b32_e32 v14, s14
	v_mov_b32_e32 v18, s13
	ds_read2_b32 v[14:15], v14 offset1:1
	ds_read_b32 v18, v18 offset:4
	s_add_i32 s14, s13, -12
	s_add_i32 s15, s13, 0xffffffbc
	s_add_i32 s16, s13, 0xffffffb4
	;; [unrolled: 1-line block ×8, first 2 shown]
	v_mov_b32_e32 v70, s22
	ds_read_b32 v71, v70
	s_waitcnt vmcnt(0) lgkmcnt(1)
	v_mul_f32_e32 v19, v18, v9
	v_mul_f32_e32 v9, v15, v9
	v_fmac_f32_e32 v9, v18, v8
	v_fma_f32 v19, v15, v8, -v19
	v_sub_f32_e32 v26, v55, v9
	scratch_load_dwordx2 v[8:9], off, off offset:8
	v_mov_b32_e32 v18, s14
	v_sub_f32_e32 v15, v54, v19
	ds_read2_b32 v[18:19], v18 offset1:1
	scratch_load_dwordx4 v[54:57], off, off offset:88
	s_sub_i32 s14, s13, 20
	s_waitcnt vmcnt(1)
	v_mul_f32_e32 v27, v14, v9
	s_waitcnt lgkmcnt(0)
	v_mul_f32_e32 v9, v19, v9
	v_fmac_f32_e32 v9, v14, v8
	v_fma_f32 v27, v19, v8, -v27
	v_sub_f32_e32 v26, v26, v9
	scratch_load_dwordx2 v[8:9], off, off offset:16
	v_mov_b32_e32 v14, s14
	v_sub_f32_e32 v19, v15, v27
	ds_read2_b32 v[14:15], v14 offset1:1
	s_sub_i32 s14, s13, 28
	s_waitcnt vmcnt(0)
	v_mul_f32_e32 v27, v18, v9
	s_waitcnt lgkmcnt(0)
	v_mul_f32_e32 v9, v15, v9
	v_fmac_f32_e32 v9, v18, v8
	v_fma_f32 v27, v15, v8, -v27
	v_sub_f32_e32 v26, v26, v9
	scratch_load_dwordx2 v[8:9], off, off offset:24
	v_mov_b32_e32 v18, s14
	v_sub_f32_e32 v15, v19, v27
	ds_read2_b32 v[18:19], v18 offset1:1
	;; [unrolled: 12-line block ×3, first 2 shown]
	s_sub_i32 s14, s13, 44
	s_waitcnt vmcnt(0)
	v_mul_f32_e32 v27, v18, v9
	s_waitcnt lgkmcnt(0)
	v_fma_f32 v27, v15, v8, -v27
	v_mul_f32_e32 v9, v15, v9
	v_fmac_f32_e32 v9, v18, v8
	v_sub_f32_e32 v8, v19, v27
	scratch_load_dwordx2 v[18:19], off, off offset:40
	v_mov_b32_e32 v15, s14
	v_sub_f32_e32 v9, v26, v9
	ds_read2_b32 v[26:27], v15 offset1:1
	s_sub_i32 s14, s13, 52
	s_waitcnt vmcnt(0)
	v_mul_f32_e32 v15, v14, v19
	s_waitcnt lgkmcnt(0)
	v_fma_f32 v38, v27, v18, -v15
	v_mul_f32_e32 v15, v27, v19
	v_fmac_f32_e32 v15, v14, v18
	scratch_load_dwordx2 v[18:19], off, off offset:48
	v_mov_b32_e32 v14, s14
	ds_read2_b32 v[48:49], v14 offset1:1
	v_sub_f32_e32 v8, v8, v38
	scratch_load_dwordx4 v[38:41], off, off offset:64
	s_sub_i32 s14, s13, 60
	s_waitcnt lgkmcnt(0)
	v_mov_b32_e32 v59, v48
	s_waitcnt vmcnt(1)
	v_mul_f32_e32 v14, v26, v19
	v_mul_f32_e32 v19, v49, v19
	v_fmac_f32_e32 v19, v26, v18
	scratch_load_dwordx2 v[26:27], off, off offset:56
	v_fma_f32 v14, v49, v18, -v14
	v_pk_add_f32 v[8:9], v[8:9], v[14:15] neg_lo:[0,1] neg_hi:[0,1]
	v_mov_b32_e32 v14, s14
	ds_read2_b32 v[14:15], v14 offset1:1
	s_waitcnt vmcnt(1)
	v_mov_b32_e32 v64, v40
	v_mov_b32_e32 v66, v40
	s_add_i32 s14, s13, 0xffffff78
	s_waitcnt vmcnt(0)
	v_mul_f32_e32 v18, v48, v27
	s_waitcnt lgkmcnt(0)
	v_fma_f32 v18, v15, v26, -v18
	v_pk_add_f32 v[8:9], v[8:9], v[18:19] neg_lo:[0,1] neg_hi:[0,1]
	v_mov_b32_e32 v18, s15
	ds_read2_b32 v[18:19], v18 offset1:1
	v_mov_b32_e32 v49, v26
	v_mov_b32_e32 v26, v63
	v_mov_b32_e32 v48, v62
	v_pk_mul_f32 v[68:69], v[14:15], v[26:27]
	s_waitcnt lgkmcnt(0)
	v_mov_b32_e32 v58, v19
	v_mul_f32_e32 v60, v19, v62
	v_pk_fma_f32 v[26:27], v[14:15], v[26:27], v[60:61] op_sel_hi:[1,1,0] neg_lo:[1,0,0] neg_hi:[1,0,0]
	v_pk_fma_f32 v[48:49], v[58:59], v[48:49], v[68:69]
	v_mov_b32_e32 v15, s16
	v_mov_b32_e32 v27, v49
	v_pk_add_f32 v[8:9], v[8:9], v[26:27] neg_lo:[0,1] neg_hi:[0,1]
	ds_read2_b32 v[26:27], v15 offset1:1
	v_mov_b32_e32 v62, v41
	v_mov_b32_e32 v49, v14
	v_pk_mul_f32 v[62:63], v[18:19], v[62:63]
	v_mov_b32_e32 v19, s17
	s_waitcnt lgkmcnt(0)
	v_mov_b32_e32 v48, v27
	v_pk_fma_f32 v[64:65], v[48:49], v[64:65], v[62:63] neg_lo:[0,0,1] neg_hi:[0,0,1]
	v_pk_fma_f32 v[48:49], v[48:49], v[66:67], v[62:63]
	scratch_load_dwordx4 v[58:61], off, off offset:96
	v_mov_b32_e32 v65, v49
	ds_read2_b32 v[48:49], v19 offset1:1
	v_mov_b32_e32 v14, v45
	v_mov_b32_e32 v15, v41
	;; [unrolled: 1-line block ×4, first 2 shown]
	s_waitcnt lgkmcnt(0)
	v_mov_b32_e32 v66, v49
	v_mov_b32_e32 v19, v40
	v_pk_mul_f32 v[14:15], v[26:27], v[14:15]
	v_pk_add_f32 v[8:9], v[8:9], v[64:65] neg_lo:[0,1] neg_hi:[0,1]
	v_pk_fma_f32 v[68:69], v[66:67], v[18:19], v[14:15] neg_lo:[0,0,1] neg_hi:[0,0,1]
	v_pk_fma_f32 v[14:15], v[66:67], v[18:19], v[14:15]
	scratch_load_dwordx4 v[62:65], off, off offset:104
	v_mov_b32_e32 v14, s18
	v_mov_b32_e32 v69, v15
	ds_read2_b32 v[14:15], v14 offset1:1
	v_mov_b32_e32 v40, v47
	v_mov_b32_e32 v41, v45
	v_mov_b32_e32 v19, v26
	v_mov_b32_e32 v47, v44
	s_waitcnt lgkmcnt(0)
	v_mov_b32_e32 v18, v15
	v_pk_mul_f32 v[40:41], v[48:49], v[40:41]
	v_pk_add_f32 v[8:9], v[8:9], v[68:69] neg_lo:[0,1] neg_hi:[0,1]
	scratch_load_dwordx4 v[66:69], off, off offset:112
	v_pk_fma_f32 v[44:45], v[18:19], v[46:47], v[40:41] neg_lo:[0,0,1] neg_hi:[0,0,1]
	v_pk_fma_f32 v[18:19], v[18:19], v[46:47], v[40:41]
	v_mov_b32_e32 v26, v57
	v_mov_b32_e32 v45, v19
	v_pk_add_f32 v[8:9], v[8:9], v[44:45] neg_lo:[0,1] neg_hi:[0,1]
	scratch_load_dwordx4 v[44:47], off, off offset:120
	v_mov_b32_e32 v18, s19
	ds_read2_b32 v[18:19], v18 offset1:1
	v_mov_b32_e32 v27, v55
	v_mov_b32_e32 v41, v48
	;; [unrolled: 1-line block ×3, first 2 shown]
	v_pk_mul_f32 v[26:27], v[14:15], v[26:27]
	s_waitcnt lgkmcnt(0)
	v_mov_b32_e32 v40, v19
	v_pk_fma_f32 v[54:55], v[40:41], v[56:57], v[26:27] neg_lo:[0,0,1] neg_hi:[0,0,1]
	v_pk_fma_f32 v[26:27], v[40:41], v[56:57], v[26:27]
	v_mov_b32_e32 v15, s20
	v_mov_b32_e32 v55, v27
	ds_read2_b32 v[26:27], v15 offset1:1
	v_mov_b32_e32 v41, v14
	v_pk_add_f32 v[8:9], v[8:9], v[54:55] neg_lo:[0,1] neg_hi:[0,1]
	scratch_load_dwordx2 v[56:57], off, off offset:64
	s_waitcnt lgkmcnt(0)
	v_mov_b32_e32 v40, v27
	s_waitcnt vmcnt(4)
	v_mov_b32_e32 v48, v61
	v_mov_b32_e32 v49, v59
	;; [unrolled: 1-line block ×3, first 2 shown]
	v_pk_mul_f32 v[48:49], v[18:19], v[48:49]
	v_mov_b32_e32 v19, s21
	v_pk_fma_f32 v[54:55], v[40:41], v[60:61], v[48:49] neg_lo:[0,0,1] neg_hi:[0,0,1]
	v_pk_fma_f32 v[40:41], v[40:41], v[60:61], v[48:49]
	v_mov_b32_e32 v49, v18
	v_mov_b32_e32 v55, v41
	ds_read2_b32 v[40:41], v19 offset1:1
	v_pk_add_f32 v[8:9], v[8:9], v[54:55] neg_lo:[0,1] neg_hi:[0,1]
	scratch_load_dwordx2 v[60:61], off, off offset:72
	s_waitcnt vmcnt(4)
	v_mov_b32_e32 v14, v65
	v_mov_b32_e32 v15, v63
	s_waitcnt lgkmcnt(0)
	v_mov_b32_e32 v48, v41
	v_mov_b32_e32 v65, v62
	v_pk_mul_f32 v[14:15], v[26:27], v[14:15]
	s_waitcnt vmcnt(3)
	v_mov_b32_e32 v18, v69
	v_pk_fma_f32 v[54:55], v[48:49], v[64:65], v[14:15] neg_lo:[0,0,1] neg_hi:[0,0,1]
	v_pk_fma_f32 v[14:15], v[48:49], v[64:65], v[14:15]
	v_mov_b32_e32 v19, v67
	v_mov_b32_e32 v55, v15
	ds_read2_b32 v[14:15], v70 offset0:1 offset1:2
	v_pk_add_f32 v[8:9], v[8:9], v[54:55] neg_lo:[0,1] neg_hi:[0,1]
	v_mov_b32_e32 v55, v26
	v_mov_b32_e32 v69, v66
	v_pk_mul_f32 v[18:19], v[40:41], v[18:19]
	s_waitcnt lgkmcnt(0)
	v_mov_b32_e32 v54, v15
	s_waitcnt vmcnt(2)
	v_mov_b32_e32 v48, v44
	v_mov_b32_e32 v49, v46
	v_pk_fma_f32 v[26:27], v[54:55], v[68:69], v[18:19] neg_lo:[0,0,1] neg_hi:[0,0,1]
	v_pk_fma_f32 v[18:19], v[54:55], v[68:69], v[18:19]
	v_mov_b32_e32 v41, v71
	v_mov_b32_e32 v44, v47
	v_mov_b32_e32 v27, v19
	v_pk_mul_f32 v[18:19], v[40:41], v[48:49]
	v_pk_add_f32 v[8:9], v[8:9], v[26:27] neg_lo:[0,1] neg_hi:[0,1]
	v_pk_fma_f32 v[26:27], v[14:15], v[44:45], v[18:19] op_sel:[0,0,1] op_sel_hi:[1,1,0] neg_lo:[1,0,0] neg_hi:[1,0,0]
	v_pk_fma_f32 v[18:19], v[14:15], v[44:45], v[18:19] op_sel:[0,0,1] op_sel_hi:[1,1,0]
	v_mul_f32_e32 v14, v14, v46
	v_mov_b32_e32 v27, v19
	v_fmac_f32_e32 v14, v71, v47
	v_pk_add_f32 v[8:9], v[8:9], v[26:27] neg_lo:[0,1] neg_hi:[0,1]
	scratch_load_dwordx4 v[44:47], off, off offset:88
	v_sub_f32_e32 v9, v9, v14
	v_mov_b32_e32 v14, s14
	ds_read_b64 v[14:15], v14
	s_add_i32 s14, s13, 0xffffff68
	s_waitcnt lgkmcnt(0)
	v_mul_f32_e32 v18, v15, v13
	v_mul_f32_e32 v13, v14, v13
	v_fma_f32 v18, v14, v12, -v18
	v_fmac_f32_e32 v13, v15, v12
	v_sub_f32_e32 v18, v8, v18
	v_sub_f32_e32 v19, v9, v13
	scratch_load_dwordx2 v[8:9], off, off offset:144
	v_mov_b32_e32 v12, s14
	ds_read2_b64 v[12:15], v12 offset1:1
	s_add_i32 s14, s13, 0xffffff58
	s_addk_i32 s13, 0xff48
	s_waitcnt vmcnt(2)
	v_mov_b32_e32 v65, v60
	s_waitcnt vmcnt(1)
	v_mov_b32_e32 v63, v44
	s_waitcnt vmcnt(0) lgkmcnt(0)
	v_mul_f32_e32 v26, v15, v9
	v_mul_f32_e32 v9, v14, v9
	v_fmac_f32_e32 v9, v15, v8
	v_fma_f32 v26, v14, v8, -v26
	v_sub_f32_e32 v15, v19, v9
	scratch_load_dwordx2 v[8:9], off, off offset:152
	v_sub_f32_e32 v14, v18, v26
	s_waitcnt vmcnt(0)
	v_mul_f32_e32 v18, v13, v9
	v_mul_f32_e32 v9, v12, v9
	v_fmac_f32_e32 v9, v13, v8
	v_fma_f32 v18, v12, v8, -v18
	v_sub_f32_e32 v19, v15, v9
	scratch_load_dwordx2 v[8:9], off, off offset:160
	v_mov_b32_e32 v12, s14
	v_sub_f32_e32 v18, v14, v18
	ds_read2_b64 v[12:15], v12 offset1:1
	s_waitcnt vmcnt(0) lgkmcnt(0)
	v_mul_f32_e32 v26, v15, v9
	v_mul_f32_e32 v9, v14, v9
	v_fmac_f32_e32 v9, v15, v8
	v_fma_f32 v26, v14, v8, -v26
	v_sub_f32_e32 v15, v19, v9
	scratch_load_dwordx2 v[8:9], off, off offset:168
	v_sub_f32_e32 v14, v18, v26
	s_waitcnt vmcnt(0)
	v_mul_f32_e32 v18, v13, v9
	v_mul_f32_e32 v9, v12, v9
	v_fmac_f32_e32 v9, v13, v8
	v_fma_f32 v18, v12, v8, -v18
	v_sub_f32_e32 v19, v15, v9
	scratch_load_dwordx2 v[8:9], off, off offset:176
	v_mov_b32_e32 v12, s13
	v_sub_f32_e32 v18, v14, v18
	ds_read2_b64 v[12:15], v12 offset1:1
	s_add_i32 s13, s4, 0xffffe638
	s_waitcnt vmcnt(0) lgkmcnt(0)
	v_mul_f32_e32 v26, v15, v9
	v_fma_f32 v26, v14, v8, -v26
	v_mul_f32_e32 v9, v14, v9
	v_mul_f32_e32 v14, v13, v33
	v_fmac_f32_e32 v9, v15, v8
	v_fma_f32 v14, v12, v32, -v14
	v_mul_f32_e32 v12, v12, v33
	v_sub_f32_e32 v9, v19, v9
	v_fmac_f32_e32 v12, v13, v32
	v_sub_f32_e32 v8, v18, v26
	v_sub_f32_e32 v9, v9, v12
	v_mov_b32_e32 v12, s13
	v_sub_f32_e32 v8, v8, v14
	ds_read2_b64 v[12:15], v12 offset1:1
	s_waitcnt lgkmcnt(0)
	v_mul_f32_e32 v18, v15, v43
	v_fma_f32 v18, v14, v42, -v18
	v_mul_f32_e32 v14, v14, v43
	v_fmac_f32_e32 v14, v15, v42
	v_sub_f32_e32 v9, v9, v14
	v_sub_f32_e32 v8, v8, v18
	v_mul_f32_e32 v14, v13, v9
	v_mul_f32_e32 v41, v12, v9
	v_fma_f32 v40, v12, v8, -v14
	v_fmac_f32_e32 v41, v13, v8
	v_add_u32_e32 v8, s12, v1
	ds_write_b64 v8, v[40:41]
	scratch_load_dwordx2 v[8:9], off, off
	s_add_i32 s12, s11, 0xffffe600
	s_add_i32 s13, s12, s5
	s_add_i32 s14, s13, -4
	v_mov_b32_e32 v12, s14
	v_mov_b32_e32 v14, s13
	ds_read2_b32 v[12:13], v12 offset1:1
	ds_read_b32 v14, v14 offset:4
	s_add_i32 s14, s13, -12
	s_add_i32 s15, s13, 0xffffffb4
	s_add_i32 s16, s13, 0xffffffac
	;; [unrolled: 1-line block ×8, first 2 shown]
	v_mov_b32_e32 v70, s22
	ds_read_b32 v71, v70
	s_addk_i32 s11, 0xe500
	s_add_i32 s5, s11, s5
	s_waitcnt vmcnt(0) lgkmcnt(1)
	v_mul_f32_e32 v15, v14, v9
	v_mul_f32_e32 v9, v13, v9
	v_fmac_f32_e32 v9, v14, v8
	v_fma_f32 v15, v13, v8, -v15
	v_sub_f32_e32 v18, v53, v9
	scratch_load_dwordx2 v[8:9], off, off offset:8
	v_mov_b32_e32 v14, s14
	v_sub_f32_e32 v13, v52, v15
	ds_read2_b32 v[14:15], v14 offset1:1
	scratch_load_dwordx4 v[52:55], off, off offset:96
	s_sub_i32 s14, s13, 20
	s_waitcnt vmcnt(1)
	v_mul_f32_e32 v19, v12, v9
	s_waitcnt lgkmcnt(0)
	v_mul_f32_e32 v9, v15, v9
	v_fmac_f32_e32 v9, v12, v8
	v_fma_f32 v19, v15, v8, -v19
	v_sub_f32_e32 v18, v18, v9
	scratch_load_dwordx2 v[8:9], off, off offset:16
	v_mov_b32_e32 v12, s14
	v_sub_f32_e32 v15, v13, v19
	ds_read2_b32 v[12:13], v12 offset1:1
	s_sub_i32 s14, s13, 28
	s_waitcnt vmcnt(0)
	v_mul_f32_e32 v19, v14, v9
	s_waitcnt lgkmcnt(0)
	v_mul_f32_e32 v9, v13, v9
	v_fmac_f32_e32 v9, v14, v8
	v_fma_f32 v19, v13, v8, -v19
	v_sub_f32_e32 v18, v18, v9
	scratch_load_dwordx2 v[8:9], off, off offset:24
	v_mov_b32_e32 v14, s14
	v_sub_f32_e32 v13, v15, v19
	ds_read2_b32 v[14:15], v14 offset1:1
	;; [unrolled: 12-line block ×4, first 2 shown]
	s_sub_i32 s14, s13, 52
	s_waitcnt vmcnt(0)
	v_mul_f32_e32 v19, v12, v9
	s_waitcnt lgkmcnt(0)
	v_fma_f32 v19, v15, v8, -v19
	v_mul_f32_e32 v9, v15, v9
	v_fmac_f32_e32 v9, v12, v8
	v_sub_f32_e32 v8, v13, v19
	scratch_load_dwordx2 v[12:13], off, off offset:48
	v_mov_b32_e32 v15, s14
	v_sub_f32_e32 v9, v18, v9
	ds_read2_b32 v[18:19], v15 offset1:1
	s_sub_i32 s14, s13, 60
	s_waitcnt vmcnt(0)
	v_mul_f32_e32 v15, v14, v13
	s_waitcnt lgkmcnt(0)
	v_mul_f32_e32 v27, v19, v13
	v_fma_f32 v15, v19, v12, -v15
	v_fmac_f32_e32 v27, v14, v12
	scratch_load_dwordx2 v[12:13], off, off offset:56
	v_mov_b32_e32 v14, s14
	ds_read2_b32 v[48:49], v14 offset1:1
	v_sub_f32_e32 v8, v8, v15
	s_add_i32 s14, s13, 0xffffffbc
	s_waitcnt lgkmcnt(0)
	v_mov_b32_e32 v59, v48
	s_waitcnt vmcnt(0)
	v_mul_f32_e32 v14, v18, v13
	v_mul_f32_e32 v19, v49, v13
	v_fma_f32 v26, v49, v12, -v14
	v_fmac_f32_e32 v19, v18, v12
	scratch_load_dwordx4 v[12:15], off, off offset:72
	v_pk_add_f32 v[8:9], v[8:9], v[26:27] neg_lo:[0,1] neg_hi:[0,1]
	v_mov_b32_e32 v26, s14
	ds_read2_b32 v[26:27], v26 offset1:1
	v_mul_f32_e32 v18, v48, v57
	v_mov_b32_e32 v49, v56
	v_mov_b32_e32 v48, v60
	s_add_i32 s14, s13, 0xffffff70
	s_waitcnt lgkmcnt(0)
	v_fma_f32 v18, v27, v56, -v18
	v_pk_add_f32 v[8:9], v[8:9], v[18:19] neg_lo:[0,1] neg_hi:[0,1]
	v_mov_b32_e32 v18, s15
	ds_read2_b32 v[18:19], v18 offset1:1
	v_mov_b32_e32 v56, v61
	v_pk_mul_f32 v[68:69], v[26:27], v[56:57]
	s_add_i32 s15, s5, 0xffffff8c
	s_waitcnt lgkmcnt(0)
	v_mov_b32_e32 v58, v19
	v_mul_f32_e32 v66, v19, v60
	v_pk_fma_f32 v[56:57], v[26:27], v[56:57], v[66:67] op_sel_hi:[1,1,0] neg_lo:[1,0,0] neg_hi:[1,0,0]
	v_pk_fma_f32 v[48:49], v[58:59], v[48:49], v[68:69]
	v_mov_b32_e32 v27, s16
	v_mov_b32_e32 v57, v49
	ds_read2_b32 v[48:49], v27 offset1:1
	v_pk_add_f32 v[8:9], v[8:9], v[56:57] neg_lo:[0,1] neg_hi:[0,1]
	scratch_load_dwordx4 v[56:59], off, off offset:104
	v_mov_b32_e32 v67, v26
	v_mov_b32_e32 v26, v45
	s_waitcnt lgkmcnt(0)
	v_mov_b32_e32 v66, v49
	s_add_i32 s16, s5, 0xffffff94
	s_waitcnt vmcnt(1)
	v_mov_b32_e32 v60, v15
	v_mov_b32_e32 v27, v15
	;; [unrolled: 1-line block ×3, first 2 shown]
	ds_read2_b32 v[68:69], v15 offset1:1
	v_mov_b32_e32 v62, v14
	v_mov_b32_e32 v64, v14
	v_pk_mul_f32 v[60:61], v[18:19], v[60:61]
	v_mov_b32_e32 v19, v14
	v_pk_fma_f32 v[62:63], v[66:67], v[62:63], v[60:61] neg_lo:[0,0,1] neg_hi:[0,0,1]
	v_pk_fma_f32 v[60:61], v[66:67], v[64:65], v[60:61]
	s_waitcnt lgkmcnt(0)
	v_mov_b32_e32 v64, v69
	v_mov_b32_e32 v65, v18
	;; [unrolled: 1-line block ×3, first 2 shown]
	v_pk_mul_f32 v[26:27], v[48:49], v[26:27]
	v_mov_b32_e32 v63, v61
	v_pk_fma_f32 v[66:67], v[64:65], v[18:19], v[26:27] neg_lo:[0,0,1] neg_hi:[0,0,1]
	v_pk_fma_f32 v[18:19], v[64:65], v[18:19], v[26:27]
	v_pk_add_f32 v[8:9], v[8:9], v[62:63] neg_lo:[0,1] neg_hi:[0,1]
	scratch_load_dwordx4 v[60:63], off, off offset:112
	v_mov_b32_e32 v18, s18
	v_mov_b32_e32 v67, v19
	ds_read2_b32 v[18:19], v18 offset1:1
	v_mov_b32_e32 v14, v47
	v_mov_b32_e32 v15, v45
	;; [unrolled: 1-line block ×4, first 2 shown]
	s_waitcnt lgkmcnt(0)
	v_mov_b32_e32 v26, v19
	v_pk_mul_f32 v[14:15], v[68:69], v[14:15]
	v_pk_add_f32 v[8:9], v[8:9], v[66:67] neg_lo:[0,1] neg_hi:[0,1]
	scratch_load_dwordx4 v[64:67], off, off offset:120
	v_pk_fma_f32 v[44:45], v[26:27], v[46:47], v[14:15] neg_lo:[0,0,1] neg_hi:[0,0,1]
	v_pk_fma_f32 v[14:15], v[26:27], v[46:47], v[14:15]
	v_mov_b32_e32 v48, v55
	v_mov_b32_e32 v45, v15
	v_pk_add_f32 v[8:9], v[8:9], v[44:45] neg_lo:[0,1] neg_hi:[0,1]
	scratch_load_dwordx4 v[44:47], off, off offset:128
	v_mov_b32_e32 v14, s19
	ds_read2_b32 v[14:15], v14 offset1:1
	v_mov_b32_e32 v49, v53
	v_mov_b32_e32 v27, v68
	;; [unrolled: 1-line block ×3, first 2 shown]
	v_pk_mul_f32 v[48:49], v[18:19], v[48:49]
	s_waitcnt lgkmcnt(0)
	v_mov_b32_e32 v26, v15
	v_pk_fma_f32 v[68:69], v[26:27], v[54:55], v[48:49] neg_lo:[0,0,1] neg_hi:[0,0,1]
	v_pk_fma_f32 v[26:27], v[26:27], v[54:55], v[48:49]
	v_mov_b32_e32 v19, s20
	v_mov_b32_e32 v69, v27
	ds_read2_b32 v[26:27], v19 offset1:1
	s_waitcnt vmcnt(3)
	v_mov_b32_e32 v52, v59
	v_mov_b32_e32 v53, v57
	;; [unrolled: 1-line block ×4, first 2 shown]
	s_waitcnt lgkmcnt(0)
	v_mov_b32_e32 v48, v27
	v_pk_mul_f32 v[52:53], v[14:15], v[52:53]
	v_mov_b32_e32 v15, s21
	v_pk_fma_f32 v[54:55], v[48:49], v[58:59], v[52:53] neg_lo:[0,0,1] neg_hi:[0,0,1]
	v_pk_fma_f32 v[48:49], v[48:49], v[58:59], v[52:53]
	v_pk_add_f32 v[8:9], v[8:9], v[68:69] neg_lo:[0,1] neg_hi:[0,1]
	v_mov_b32_e32 v55, v49
	ds_read2_b32 v[48:49], v15 offset1:1
	v_mov_b32_e32 v53, v14
	v_pk_add_f32 v[8:9], v[8:9], v[54:55] neg_lo:[0,1] neg_hi:[0,1]
	s_add_i32 s19, s5, 0xffffffb4
	s_add_i32 s20, s5, 0xffffffac
	s_waitcnt lgkmcnt(0)
	v_mov_b32_e32 v52, v49
	s_add_i32 s18, s5, 0xffffffa4
	s_add_i32 s17, s5, 0xffffff9c
	s_waitcnt vmcnt(2)
	v_mov_b32_e32 v18, v63
	v_mov_b32_e32 v19, v61
	;; [unrolled: 1-line block ×3, first 2 shown]
	v_pk_mul_f32 v[18:19], v[26:27], v[18:19]
	s_waitcnt vmcnt(1)
	v_mov_b32_e32 v14, v67
	v_pk_fma_f32 v[54:55], v[52:53], v[62:63], v[18:19] neg_lo:[0,0,1] neg_hi:[0,0,1]
	v_pk_fma_f32 v[18:19], v[52:53], v[62:63], v[18:19]
	v_mov_b32_e32 v15, v65
	v_mov_b32_e32 v55, v19
	ds_read2_b32 v[18:19], v70 offset0:1 offset1:2
	v_pk_add_f32 v[8:9], v[8:9], v[54:55] neg_lo:[0,1] neg_hi:[0,1]
	v_mov_b32_e32 v55, v26
	v_mov_b32_e32 v67, v64
	v_pk_mul_f32 v[14:15], v[48:49], v[14:15]
	s_waitcnt lgkmcnt(0)
	v_mov_b32_e32 v54, v19
	s_waitcnt vmcnt(0)
	v_mov_b32_e32 v52, v44
	v_mov_b32_e32 v53, v46
	v_pk_fma_f32 v[26:27], v[54:55], v[66:67], v[14:15] neg_lo:[0,0,1] neg_hi:[0,0,1]
	v_pk_fma_f32 v[14:15], v[54:55], v[66:67], v[14:15]
	v_mov_b32_e32 v49, v71
	v_mov_b32_e32 v44, v47
	;; [unrolled: 1-line block ×3, first 2 shown]
	v_pk_mul_f32 v[14:15], v[48:49], v[52:53]
	v_pk_add_f32 v[8:9], v[8:9], v[26:27] neg_lo:[0,1] neg_hi:[0,1]
	v_pk_fma_f32 v[26:27], v[18:19], v[44:45], v[14:15] op_sel:[0,0,1] op_sel_hi:[1,1,0] neg_lo:[1,0,0] neg_hi:[1,0,0]
	v_pk_fma_f32 v[14:15], v[18:19], v[44:45], v[14:15] op_sel:[0,0,1] op_sel_hi:[1,1,0]
	s_nop 0
	v_mov_b32_e32 v27, v15
	v_mul_f32_e32 v14, v18, v46
	v_fmac_f32_e32 v14, v71, v47
	v_pk_add_f32 v[8:9], v[8:9], v[26:27] neg_lo:[0,1] neg_hi:[0,1]
	s_nop 0
	v_sub_f32_e32 v9, v9, v14
	v_mov_b32_e32 v14, s14
	ds_read_b64 v[14:15], v14
	s_add_i32 s14, s13, 0xffffff60
	s_waitcnt lgkmcnt(0)
	v_mul_f32_e32 v18, v15, v35
	v_fma_f32 v18, v14, v34, -v18
	v_mul_f32_e32 v14, v14, v35
	v_fmac_f32_e32 v14, v15, v34
	v_sub_f32_e32 v15, v8, v18
	v_sub_f32_e32 v14, v9, v14
	scratch_load_dwordx2 v[8:9], off, off offset:152
	v_mov_b32_e32 v18, s14
	ds_read2_b64 v[44:47], v18 offset1:1
	s_add_i32 s14, s13, 0xffffff50
	s_addk_i32 s13, 0xff40
	s_waitcnt vmcnt(0) lgkmcnt(0)
	v_mul_f32_e32 v18, v47, v9
	v_mul_f32_e32 v9, v46, v9
	v_fmac_f32_e32 v9, v47, v8
	v_fma_f32 v18, v46, v8, -v18
	v_sub_f32_e32 v14, v14, v9
	scratch_load_dwordx2 v[8:9], off, off offset:160
	v_sub_f32_e32 v15, v15, v18
	s_waitcnt vmcnt(0)
	v_mul_f32_e32 v18, v45, v9
	v_mul_f32_e32 v9, v44, v9
	v_fmac_f32_e32 v9, v45, v8
	v_fma_f32 v18, v44, v8, -v18
	v_sub_f32_e32 v14, v14, v9
	scratch_load_dwordx2 v[8:9], off, off offset:168
	v_sub_f32_e32 v15, v15, v18
	v_mov_b32_e32 v18, s14
	ds_read2_b64 v[44:47], v18 offset1:1
	s_add_i32 s14, s5, 0xffffff84
	s_waitcnt vmcnt(0) lgkmcnt(0)
	v_mul_f32_e32 v18, v47, v9
	v_mul_f32_e32 v9, v46, v9
	v_fmac_f32_e32 v9, v47, v8
	v_fma_f32 v18, v46, v8, -v18
	v_sub_f32_e32 v14, v14, v9
	scratch_load_dwordx2 v[8:9], off, off offset:176
	v_sub_f32_e32 v15, v15, v18
	s_waitcnt vmcnt(0)
	v_mul_f32_e32 v18, v45, v9
	v_mul_f32_e32 v9, v44, v9
	v_fmac_f32_e32 v9, v45, v8
	v_sub_f32_e32 v9, v14, v9
	v_mov_b32_e32 v14, s13
	v_fma_f32 v18, v44, v8, -v18
	ds_read2_b64 v[44:47], v14 offset1:1
	v_sub_f32_e32 v8, v15, v18
	s_add_i32 s13, s4, 0xffffe530
	s_addk_i32 s4, 0xe428
	s_waitcnt lgkmcnt(0)
	v_mul_f32_e32 v14, v47, v33
	v_fma_f32 v14, v46, v32, -v14
	v_mul_f32_e32 v15, v46, v33
	v_sub_f32_e32 v8, v8, v14
	v_mul_f32_e32 v14, v45, v43
	v_fmac_f32_e32 v15, v47, v32
	v_fma_f32 v14, v44, v42, -v14
	v_sub_f32_e32 v9, v9, v15
	v_mul_f32_e32 v15, v44, v43
	v_sub_f32_e32 v8, v8, v14
	v_mov_b32_e32 v14, s13
	v_fmac_f32_e32 v15, v45, v42
	ds_read2_b64 v[44:47], v14 offset1:1
	v_sub_f32_e32 v9, v9, v15
	s_add_i32 s13, s5, 0xffffff7c
	s_waitcnt lgkmcnt(0)
	v_mul_f32_e32 v15, v46, v41
	v_mul_f32_e32 v14, v47, v41
	v_fmac_f32_e32 v15, v47, v40
	v_fma_f32 v14, v46, v40, -v14
	v_sub_f32_e32 v9, v9, v15
	v_sub_f32_e32 v8, v8, v14
	v_mul_f32_e32 v14, v45, v9
	v_mul_f32_e32 v35, v44, v9
	v_fma_f32 v34, v44, v8, -v14
	v_fmac_f32_e32 v35, v45, v8
	v_add_u32_e32 v8, s12, v1
	s_add_i32 s12, s5, -4
	v_mov_b32_e32 v14, s5
	ds_write_b64 v8, v[34:35]
	v_mov_b32_e32 v8, s12
	ds_read_b32 v14, v14 offset:4
	ds_read2_b32 v[8:9], v8 offset1:1
	s_add_i32 s12, s5, -12
	s_waitcnt lgkmcnt(1)
	v_mul_f32_e32 v15, v14, v21
	s_waitcnt lgkmcnt(0)
	v_fma_f32 v15, v9, v20, -v15
	v_mul_f32_e32 v9, v9, v21
	v_fmac_f32_e32 v9, v14, v20
	v_mov_b32_e32 v14, s12
	v_sub_f32_e32 v18, v50, v15
	ds_read2_b32 v[14:15], v14 offset1:1
	v_mul_f32_e32 v19, v8, v23
	s_sub_i32 s12, s5, 20
	v_sub_f32_e32 v9, v51, v9
	s_waitcnt lgkmcnt(0)
	v_fma_f32 v19, v15, v22, -v19
	v_mul_f32_e32 v15, v15, v23
	v_fmac_f32_e32 v15, v8, v22
	v_mov_b32_e32 v8, s12
	v_sub_f32_e32 v15, v9, v15
	ds_read2_b32 v[8:9], v8 offset1:1
	v_sub_f32_e32 v18, v18, v19
	v_mul_f32_e32 v19, v14, v29
	s_sub_i32 s12, s5, 28
	s_waitcnt lgkmcnt(0)
	v_fma_f32 v19, v9, v28, -v19
	v_mul_f32_e32 v9, v9, v29
	v_fmac_f32_e32 v9, v14, v28
	v_mov_b32_e32 v14, s12
	v_sub_f32_e32 v9, v15, v9
	ds_read2_b32 v[14:15], v14 offset1:1
	v_sub_f32_e32 v18, v18, v19
	v_mul_f32_e32 v19, v8, v31
	s_sub_i32 s12, s5, 36
	;; [unrolled: 10-line block ×4, first 2 shown]
	s_waitcnt lgkmcnt(0)
	v_fma_f32 v19, v15, v16, -v19
	v_mul_f32_e32 v15, v15, v17
	v_fmac_f32_e32 v15, v8, v16
	v_mov_b32_e32 v8, s12
	v_sub_f32_e32 v15, v9, v15
	ds_read2_b32 v[8:9], v8 offset1:1
	v_mul_f32_e32 v17, v14, v11
	s_sub_i32 s12, s5, 60
	v_sub_f32_e32 v16, v18, v19
	s_waitcnt lgkmcnt(0)
	v_fma_f32 v17, v9, v10, -v17
	v_mul_f32_e32 v9, v9, v11
	v_fmac_f32_e32 v9, v14, v10
	v_mov_b32_e32 v10, s12
	ds_read2_b32 v[10:11], v10 offset1:1
	v_sub_f32_e32 v9, v15, v9
	v_mul_f32_e32 v15, v8, v37
	s_add_i32 s12, s5, 0xffffffbc
	v_sub_f32_e32 v14, v16, v17
	s_waitcnt lgkmcnt(0)
	v_fma_f32 v15, v11, v36, -v15
	v_mul_f32_e32 v19, v11, v37
	v_mov_b32_e32 v11, s12
	ds_read2_b32 v[20:21], v11 offset1:1
	v_mul_f32_e32 v11, v10, v39
	v_fmac_f32_e32 v19, v8, v36
	v_sub_f32_e32 v8, v14, v15
	scratch_load_dwordx4 v[14:17], off, off offset:80
	s_waitcnt lgkmcnt(0)
	v_fma_f32 v18, v21, v38, -v11
	v_pk_add_f32 v[8:9], v[8:9], v[18:19] neg_lo:[0,1] neg_hi:[0,1]
	v_mov_b32_e32 v18, s19
	ds_read2_b32 v[22:23], v18 offset1:1
	v_mul_f32_e32 v11, v21, v39
	v_fmac_f32_e32 v11, v10, v38
	v_mul_f32_e32 v10, v20, v13
	v_mov_b32_e32 v39, v12
	s_waitcnt lgkmcnt(0)
	v_fma_f32 v10, v23, v12, -v10
	v_pk_add_f32 v[24:25], v[8:9], v[10:11] neg_lo:[0,1] neg_hi:[0,1]
	v_mov_b32_e32 v8, s20
	ds_read2_b32 v[26:27], v8 offset1:1
	scratch_load_dwordx4 v[8:11], off, off offset:96
	v_mov_b32_e32 v37, v20
	scratch_load_dwordx4 v[18:21], off, off offset:104
	s_add_i32 s12, s5, 0xffffff74
	s_waitcnt lgkmcnt(0)
	v_mov_b32_e32 v36, v27
	s_waitcnt vmcnt(2)
	v_mov_b32_e32 v12, v15
	v_mov_b32_e32 v38, v14
	v_mul_f32_e32 v44, v27, v14
	v_pk_mul_f32 v[46:47], v[22:23], v[12:13]
	v_pk_fma_f32 v[12:13], v[22:23], v[12:13], v[44:45] op_sel_hi:[1,1,0] neg_lo:[1,0,0] neg_hi:[1,0,0]
	v_pk_fma_f32 v[36:37], v[36:37], v[38:39], v[46:47]
	v_mov_b32_e32 v23, s18
	v_mov_b32_e32 v13, v37
	ds_read2_b32 v[36:37], v23 offset1:1
	v_mov_b32_e32 v31, v14
	v_mov_b32_e32 v14, v17
	v_mov_b32_e32 v28, v16
	v_mov_b32_e32 v30, v16
	s_waitcnt vmcnt(1)
	v_mov_b32_e32 v29, v8
	s_waitcnt lgkmcnt(0)
	v_mov_b32_e32 v38, v37
	v_mov_b32_e32 v39, v22
	v_pk_mul_f32 v[14:15], v[26:27], v[14:15]
	v_pk_add_f32 v[12:13], v[24:25], v[12:13] neg_lo:[0,1] neg_hi:[0,1]
	scratch_load_dwordx4 v[22:25], off, off offset:112
	v_pk_fma_f32 v[28:29], v[38:39], v[28:29], v[14:15] neg_lo:[0,0,1] neg_hi:[0,0,1]
	v_pk_fma_f32 v[14:15], v[38:39], v[30:31], v[14:15]
	v_mov_b32_e32 v44, v9
	v_mov_b32_e32 v29, v15
	v_pk_add_f32 v[28:29], v[12:13], v[28:29] neg_lo:[0,1] neg_hi:[0,1]
	v_mov_b32_e32 v12, s17
	ds_read2_b32 v[38:39], v12 offset1:1
	v_mov_b32_e32 v45, v17
	scratch_load_dwordx4 v[12:15], off, off offset:120
	v_mov_b32_e32 v31, v26
	v_mov_b32_e32 v26, v8
	s_waitcnt lgkmcnt(0)
	v_mov_b32_e32 v30, v39
	v_mov_b32_e32 v27, v16
	v_pk_mul_f32 v[16:17], v[36:37], v[44:45]
	v_mov_b32_e32 v47, v9
	v_pk_fma_f32 v[44:45], v[30:31], v[26:27], v[16:17] neg_lo:[0,0,1] neg_hi:[0,0,1]
	v_pk_fma_f32 v[16:17], v[30:31], v[26:27], v[16:17]
	v_mov_b32_e32 v9, s16
	v_mov_b32_e32 v45, v17
	ds_read2_b32 v[16:17], v9 offset1:1
	v_mov_b32_e32 v46, v11
	v_pk_add_f32 v[44:45], v[28:29], v[44:45] neg_lo:[0,1] neg_hi:[0,1]
	v_mov_b32_e32 v49, v36
	v_mov_b32_e32 v11, v8
	s_waitcnt lgkmcnt(0)
	v_mov_b32_e32 v48, v17
	scratch_load_dwordx4 v[26:29], off, off offset:128
	v_pk_mul_f32 v[8:9], v[38:39], v[46:47]
	s_waitcnt vmcnt(3)
	v_mov_b32_e32 v30, v21
	v_pk_fma_f32 v[36:37], v[48:49], v[10:11], v[8:9] neg_lo:[0,0,1] neg_hi:[0,0,1]
	v_pk_fma_f32 v[8:9], v[48:49], v[10:11], v[8:9]
	v_mov_b32_e32 v31, v19
	v_mov_b32_e32 v37, v9
	v_pk_add_f32 v[10:11], v[44:45], v[36:37] neg_lo:[0,1] neg_hi:[0,1]
	scratch_load_dwordx4 v[44:47], off, off offset:136
	v_mov_b32_e32 v8, s15
	ds_read2_b32 v[8:9], v8 offset1:1
	v_mov_b32_e32 v37, v38
	v_mov_b32_e32 v21, v18
	v_pk_mul_f32 v[30:31], v[16:17], v[30:31]
	v_mov_b32_e32 v17, s14
	s_waitcnt lgkmcnt(0)
	v_mov_b32_e32 v36, v9
	v_pk_fma_f32 v[38:39], v[36:37], v[20:21], v[30:31] neg_lo:[0,0,1] neg_hi:[0,0,1]
	v_pk_fma_f32 v[20:21], v[36:37], v[20:21], v[30:31]
	v_mov_b32_e32 v31, v16
	v_mov_b32_e32 v39, v21
	ds_read2_b32 v[20:21], v17 offset1:1
	v_pk_add_f32 v[10:11], v[10:11], v[38:39] neg_lo:[0,1] neg_hi:[0,1]
	s_waitcnt lgkmcnt(0)
	v_mov_b32_e32 v30, v21
	s_waitcnt vmcnt(3)
	v_mov_b32_e32 v18, v25
	v_mov_b32_e32 v19, v23
	;; [unrolled: 1-line block ×3, first 2 shown]
	v_pk_mul_f32 v[18:19], v[8:9], v[18:19]
	v_mov_b32_e32 v9, s13
	v_pk_fma_f32 v[22:23], v[30:31], v[24:25], v[18:19] neg_lo:[0,0,1] neg_hi:[0,0,1]
	v_pk_fma_f32 v[18:19], v[30:31], v[24:25], v[18:19]
	s_waitcnt vmcnt(2)
	v_mov_b32_e32 v16, v15
	v_mov_b32_e32 v23, v19
	ds_read2_b32 v[18:19], v9 offset1:1
	v_mov_b32_e32 v17, v13
	v_pk_add_f32 v[10:11], v[10:11], v[22:23] neg_lo:[0,1] neg_hi:[0,1]
	v_mov_b32_e32 v23, v8
	v_mov_b32_e32 v15, v12
	s_waitcnt lgkmcnt(0)
	v_mov_b32_e32 v22, v19
	v_pk_mul_f32 v[12:13], v[20:21], v[16:17]
	s_waitcnt vmcnt(1)
	v_mov_b32_e32 v8, v29
	v_pk_fma_f32 v[16:17], v[22:23], v[14:15], v[12:13] neg_lo:[0,0,1] neg_hi:[0,0,1]
	v_pk_fma_f32 v[12:13], v[22:23], v[14:15], v[12:13]
	v_mov_b32_e32 v9, v27
	v_mov_b32_e32 v12, s12
	v_mov_b32_e32 v17, v13
	ds_read2_b32 v[12:13], v12 offset1:1
	v_mov_b32_e32 v15, v20
	v_mov_b32_e32 v29, v26
	v_pk_mul_f32 v[8:9], v[18:19], v[8:9]
	v_pk_add_f32 v[10:11], v[10:11], v[16:17] neg_lo:[0,1] neg_hi:[0,1]
	s_waitcnt lgkmcnt(0)
	v_mov_b32_e32 v14, v13
	v_pk_fma_f32 v[20:21], v[14:15], v[28:29], v[8:9] neg_lo:[0,0,1] neg_hi:[0,0,1]
	v_pk_fma_f32 v[8:9], v[14:15], v[28:29], v[8:9]
	s_waitcnt vmcnt(0)
	v_mov_b32_e32 v16, v45
	v_mov_b32_e32 v17, v47
	;; [unrolled: 1-line block ×3, first 2 shown]
	s_add_i32 s12, s5, 0xffffff68
	v_pk_add_f32 v[8:9], v[10:11], v[20:21] neg_lo:[0,1] neg_hi:[0,1]
	v_pk_mul_f32 v[10:11], v[12:13], v[16:17] op_sel:[0,1] op_sel_hi:[1,0]
	v_mov_b32_e32 v13, s12
	ds_read_b32 v14, v13
	ds_read2_b32 v[16:17], v13 offset0:1 offset1:2
	v_mov_b32_e32 v21, v18
	v_mov_b32_e32 v18, v46
	;; [unrolled: 1-line block ×4, first 2 shown]
	s_waitcnt lgkmcnt(0)
	v_mov_b32_e32 v20, v17
	v_pk_fma_f32 v[22:23], v[20:21], v[18:19], v[10:11] neg_lo:[0,0,1] neg_hi:[0,0,1]
	v_pk_fma_f32 v[10:11], v[20:21], v[18:19], v[10:11]
	s_add_i32 s12, s5, 0xffffff58
	v_mov_b32_e32 v23, v11
	v_mov_b32_e32 v10, v5
	;; [unrolled: 1-line block ×3, first 2 shown]
	v_pk_mul_f32 v[10:11], v[14:15], v[10:11]
	v_mov_b32_e32 v46, v4
	v_mul_f32_e32 v5, v16, v5
	v_pk_add_f32 v[8:9], v[8:9], v[22:23] neg_lo:[0,1] neg_hi:[0,1]
	v_pk_fma_f32 v[10:11], v[16:17], v[46:47], v[10:11]
	v_fma_f32 v4, v14, v4, -v5
	v_sub_f32_e32 v4, v8, v4
	v_sub_f32_e32 v5, v9, v11
	v_mov_b32_e32 v8, s12
	v_sub_f32_e32 v5, v5, v10
	ds_read2_b64 v[8:11], v8 offset1:1
	s_add_i32 s12, s5, 0xffffff48
	s_addk_i32 s5, 0xff38
	s_waitcnt lgkmcnt(0)
	v_mul_f32_e32 v12, v11, v7
	v_mul_f32_e32 v7, v10, v7
	v_fma_f32 v12, v10, v6, -v12
	v_fmac_f32_e32 v7, v11, v6
	v_mul_f32_e32 v6, v9, v3
	v_mul_f32_e32 v3, v8, v3
	v_sub_f32_e32 v5, v5, v7
	v_fmac_f32_e32 v3, v9, v2
	v_fma_f32 v6, v8, v2, -v6
	v_sub_f32_e32 v5, v5, v3
	scratch_load_dwordx2 v[2:3], off, off offset:176
	v_sub_f32_e32 v4, v4, v12
	v_sub_f32_e32 v4, v4, v6
	v_mov_b32_e32 v6, s12
	ds_read2_b64 v[6:9], v6 offset1:1
	s_waitcnt vmcnt(0) lgkmcnt(0)
	v_mul_f32_e32 v10, v9, v3
	v_fma_f32 v10, v8, v2, -v10
	v_mul_f32_e32 v3, v8, v3
	v_fmac_f32_e32 v3, v9, v2
	v_sub_f32_e32 v2, v4, v10
	v_mul_f32_e32 v4, v7, v33
	v_sub_f32_e32 v3, v5, v3
	v_fma_f32 v4, v6, v32, -v4
	v_mul_f32_e32 v5, v6, v33
	v_fmac_f32_e32 v5, v7, v32
	v_sub_f32_e32 v6, v2, v4
	v_mov_b32_e32 v2, s5
	v_sub_f32_e32 v7, v3, v5
	ds_read2_b64 v[2:5], v2 offset1:1
	s_waitcnt lgkmcnt(0)
	v_mul_f32_e32 v8, v5, v43
	v_fma_f32 v8, v4, v42, -v8
	v_mul_f32_e32 v4, v4, v43
	v_fmac_f32_e32 v4, v5, v42
	v_sub_f32_e32 v5, v6, v8
	v_mul_f32_e32 v6, v3, v41
	v_fma_f32 v6, v2, v40, -v6
	v_mul_f32_e32 v2, v2, v41
	v_sub_f32_e32 v4, v7, v4
	v_fmac_f32_e32 v2, v3, v40
	v_sub_f32_e32 v7, v4, v2
	v_mov_b32_e32 v2, s4
	v_sub_f32_e32 v6, v5, v6
	ds_read2_b64 v[2:5], v2 offset1:1
	s_waitcnt lgkmcnt(0)
	v_mul_f32_e32 v8, v5, v35
	v_mul_f32_e32 v9, v4, v35
	v_fma_f32 v8, v4, v34, -v8
	v_fmac_f32_e32 v9, v5, v34
	v_sub_f32_e32 v4, v6, v8
	v_sub_f32_e32 v6, v7, v9
	v_pk_mul_f32 v[6:7], v[2:3], v[6:7] op_sel:[1,0] op_sel_hi:[0,0]
	v_pk_fma_f32 v[8:9], v[2:3], v[4:5], v[6:7] neg_lo:[0,0,1] neg_hi:[0,0,1]
	v_pk_fma_f32 v[2:3], v[2:3], v[4:5], v[6:7] op_sel_hi:[1,0,1]
	s_nop 0
	v_mov_b32_e32 v9, v3
	v_add_u32_e32 v2, s11, v1
	ds_write_b64 v2, v[8:9]
.LBB170_35:
	s_cmp_lt_i32 s10, 0
	s_cbranch_scc1 .LBB170_53
; %bb.36:
	s_bitcmp1_b32 s10, 0
	s_cselect_b64 s[4:5], -1, 0
	s_and_b64 vcc, exec, s[4:5]
	s_mov_b32 s4, s10
	s_cbranch_vccnz .LBB170_42
; %bb.37:
	s_lshl_b32 s4, s10, 8
	v_add_u32_e32 v4, s4, v1
	ds_read_b64 v[2:3], v4
	s_cmp_le_i32 s7, s10
	s_waitcnt lgkmcnt(0)
	scratch_store_dwordx2 off, v[2:3], off
	s_cbranch_scc1 .LBB170_41
; %bb.38:
	s_lshl_b32 s5, s28, 3
	v_lshlrev_b32_e32 v5, 3, v0
	s_add_i32 s4, s4, s5
	v_lshl_or_b32 v5, s28, 8, v5
	s_add_i32 s4, s4, -8
	v_add_u32_e32 v5, 0x1f00, v5
	s_mov_b32 s5, s7
.LBB170_39:                             ; =>This Inner Loop Header: Depth=1
	v_mov_b32_e32 v8, s4
	ds_read_b64 v[6:7], v5
	ds_read_b64 v[8:9], v8
	s_add_i32 s5, s5, -1
	s_add_i32 s4, s4, -8
	v_add_u32_e32 v5, 0xffffff00, v5
	s_cmp_gt_i32 s5, s10
	s_waitcnt lgkmcnt(0)
	v_pk_mul_f32 v[10:11], v[8:9], v[6:7] op_sel:[1,1] op_sel_hi:[0,1]
	v_pk_fma_f32 v[12:13], v[8:9], v[6:7], v[10:11] neg_lo:[0,0,1] neg_hi:[0,0,1]
	v_pk_fma_f32 v[6:7], v[8:9], v[6:7], v[10:11] op_sel_hi:[1,0,1]
	s_nop 0
	v_mov_b32_e32 v13, v7
	v_pk_add_f32 v[2:3], v[2:3], v[12:13] neg_lo:[0,1] neg_hi:[0,1]
	s_cbranch_scc1 .LBB170_39
; %bb.40:
	scratch_store_dwordx2 off, v[2:3], off
.LBB170_41:
	s_mul_i32 s4, s10, 0x108
	v_mov_b32_e32 v5, s4
	ds_read_b64 v[6:7], v5
	v_mov_b32_e32 v8, v3
	s_add_i32 s4, s10, -1
	s_waitcnt lgkmcnt(0)
	v_pk_mul_f32 v[8:9], v[6:7], v[8:9] op_sel:[1,0] op_sel_hi:[0,0]
	v_pk_fma_f32 v[10:11], v[6:7], v[2:3], v[8:9] op_sel_hi:[1,0,1] neg_lo:[0,0,1] neg_hi:[0,0,1]
	v_pk_fma_f32 v[2:3], v[6:7], v[2:3], v[8:9] op_sel_hi:[1,0,1]
	s_nop 0
	v_mov_b32_e32 v11, v3
	scratch_store_dwordx2 off, v[10:11], off
	ds_write_b64 v4, v[10:11]
.LBB170_42:
	s_cmp_eq_u32 s10, 0
	s_cbranch_scc1 .LBB170_53
; %bb.43:
	s_lshl_b32 s5, s4, 8
	s_lshl_b32 s10, s28, 3
	v_lshlrev_b32_e32 v2, 3, v0
	s_add_i32 s10, s5, s10
	v_lshl_or_b32 v2, s28, 8, v2
	s_add_i32 s5, s10, -8
	v_add_u32_e32 v7, 0x1f00, v2
	s_addk_i32 s10, 0xfef8
	s_branch .LBB170_45
.LBB170_44:                             ;   in Loop: Header=BB170_45 Depth=1
	s_addk_i32 s11, 0xfef8
	v_mov_b32_e32 v4, v3
	v_mov_b32_e32 v3, s11
	ds_read_b64 v[8:9], v3
	s_add_i32 s11, s4, -2
	s_addk_i32 s5, 0xfe00
	s_addk_i32 s10, 0xfe00
	s_cmp_lt_i32 s4, 2
	s_waitcnt lgkmcnt(0)
	v_pk_mul_f32 v[10:11], v[8:9], v[4:5] op_sel:[1,0] op_sel_hi:[0,0]
	v_pk_fma_f32 v[12:13], v[8:9], v[2:3], v[10:11] op_sel_hi:[1,0,1] neg_lo:[0,0,1] neg_hi:[0,0,1]
	v_pk_fma_f32 v[2:3], v[8:9], v[2:3], v[10:11] op_sel_hi:[1,0,1]
	s_mov_b32 s4, s11
	v_mov_b32_e32 v13, v3
	scratch_store_dwordx2 off, v[12:13], off
	ds_write_b64 v5, v[12:13]
	s_cbranch_scc1 .LBB170_53
.LBB170_45:                             ; =>This Loop Header: Depth=1
                                        ;     Child Loop BB170_47 Depth 2
                                        ;     Child Loop BB170_51 Depth 2
	s_lshl_b32 s12, s4, 8
	v_add_u32_e32 v8, s12, v1
	ds_read_b64 v[4:5], v8
	s_cmp_le_i32 s7, s4
	s_waitcnt lgkmcnt(0)
	scratch_store_dwordx2 off, v[4:5], off
	s_cbranch_scc1 .LBB170_49
; %bb.46:                               ;   in Loop: Header=BB170_45 Depth=1
	v_mov_b32_e32 v2, v7
	s_mov_b32 s11, s5
	s_mov_b32 s13, s7
.LBB170_47:                             ;   Parent Loop BB170_45 Depth=1
                                        ; =>  This Inner Loop Header: Depth=2
	v_mov_b32_e32 v3, s11
	ds_read_b64 v[10:11], v2
	ds_read_b64 v[12:13], v3
	s_add_i32 s13, s13, -1
	s_add_i32 s11, s11, -8
	v_add_u32_e32 v2, 0xffffff00, v2
	s_cmp_gt_i32 s13, s4
	s_waitcnt lgkmcnt(0)
	v_pk_mul_f32 v[14:15], v[12:13], v[10:11] op_sel:[1,1] op_sel_hi:[0,1]
	v_pk_fma_f32 v[16:17], v[12:13], v[10:11], v[14:15] neg_lo:[0,0,1] neg_hi:[0,0,1]
	v_pk_fma_f32 v[10:11], v[12:13], v[10:11], v[14:15] op_sel_hi:[1,0,1]
	s_nop 0
	v_mov_b32_e32 v17, v11
	v_pk_add_f32 v[4:5], v[4:5], v[16:17] neg_lo:[0,1] neg_hi:[0,1]
	s_cbranch_scc1 .LBB170_47
; %bb.48:                               ;   in Loop: Header=BB170_45 Depth=1
	scratch_store_dwordx2 off, v[4:5], off
.LBB170_49:                             ;   in Loop: Header=BB170_45 Depth=1
	s_mul_i32 s11, s4, 0x108
	v_mov_b32_e32 v2, s11
	ds_read_b64 v[10:11], v2
	s_addk_i32 s12, 0xff00
	v_mov_b32_e32 v6, v5
	v_add_u32_e32 v5, s12, v1
	ds_read_b64 v[2:3], v5
	s_waitcnt lgkmcnt(1)
	v_pk_mul_f32 v[12:13], v[10:11], v[6:7] op_sel:[1,0] op_sel_hi:[0,0]
	v_pk_fma_f32 v[14:15], v[10:11], v[4:5], v[12:13] op_sel_hi:[1,0,1] neg_lo:[0,0,1] neg_hi:[0,0,1]
	v_pk_fma_f32 v[10:11], v[10:11], v[4:5], v[12:13] op_sel_hi:[1,0,1]
	s_cmp_le_i32 s28, s4
	v_mov_b32_e32 v15, v11
	ds_write_b64 v8, v[14:15]
	s_waitcnt lgkmcnt(1)
	scratch_store_dwordx2 off, v[2:3], off
	s_cbranch_scc1 .LBB170_44
; %bb.50:                               ;   in Loop: Header=BB170_45 Depth=1
	v_mov_b32_e32 v4, v7
	s_mov_b32 s12, s10
	s_mov_b32 s13, s28
.LBB170_51:                             ;   Parent Loop BB170_45 Depth=1
                                        ; =>  This Inner Loop Header: Depth=2
	v_mov_b32_e32 v6, s12
	ds_read_b64 v[8:9], v4
	ds_read_b64 v[10:11], v6
	s_add_i32 s13, s13, -1
	s_add_i32 s12, s12, -8
	v_add_u32_e32 v4, 0xffffff00, v4
	s_cmp_gt_i32 s13, s4
	s_waitcnt lgkmcnt(0)
	v_pk_mul_f32 v[12:13], v[10:11], v[8:9] op_sel:[1,1] op_sel_hi:[0,1]
	v_pk_fma_f32 v[14:15], v[10:11], v[8:9], v[12:13] neg_lo:[0,0,1] neg_hi:[0,0,1]
	v_pk_fma_f32 v[8:9], v[10:11], v[8:9], v[12:13] op_sel_hi:[1,0,1]
	s_nop 0
	v_mov_b32_e32 v15, v9
	v_pk_add_f32 v[2:3], v[2:3], v[14:15] neg_lo:[0,1] neg_hi:[0,1]
	s_cbranch_scc1 .LBB170_51
; %bb.52:                               ;   in Loop: Header=BB170_45 Depth=1
	scratch_store_dwordx2 off, v[2:3], off
	s_branch .LBB170_44
.LBB170_53:
	s_mov_b64 s[4:5], 0
.LBB170_54:
	s_and_b64 vcc, exec, s[4:5]
	s_cbranch_vccz .LBB170_73
; %bb.55:
	s_cmp_lt_i32 s6, 32
	s_cselect_b64 s[4:5], -1, 0
	s_cmp_gt_i32 s6, 31
	s_mov_b32 s7, 0
	s_cbranch_scc0 .LBB170_57
; %bb.56:
	ds_read2_b64 v[2:5], v1 offset1:32
	v_add_u32_e32 v70, 0x800, v1
	v_add_u32_e32 v120, 0x1000, v1
	;; [unrolled: 1-line block ×3, first 2 shown]
	v_mov_b32_e32 v133, 0
	s_waitcnt lgkmcnt(0)
	scratch_store_dwordx4 off, v[2:5], off
	ds_read2_b64 v[2:5], v1 offset0:64 offset1:96
	s_movk_i32 s6, 0x1f8
	s_mov_b32 s7, 32
	s_waitcnt lgkmcnt(0)
	scratch_store_dwordx4 off, v[2:5], off offset:16
	ds_read2_b64 v[2:5], v1 offset0:128 offset1:160
	s_waitcnt lgkmcnt(0)
	scratch_store_dwordx4 off, v[2:5], off offset:32
	ds_read2_b64 v[2:5], v1 offset0:192 offset1:224
	s_waitcnt lgkmcnt(0)
	scratch_store_dwordx4 off, v[2:5], off offset:48
	ds_read2_b64 v[2:5], v70 offset1:32
	s_waitcnt lgkmcnt(0)
	scratch_store_dwordx4 off, v[2:5], off offset:64
	ds_read2_b64 v[2:5], v70 offset0:64 offset1:96
	s_waitcnt lgkmcnt(0)
	scratch_store_dwordx4 off, v[2:5], off offset:80
	ds_read2_b64 v[2:5], v70 offset0:128 offset1:160
	s_waitcnt lgkmcnt(0)
	scratch_store_dwordx4 off, v[2:5], off offset:96
	ds_read2_b64 v[2:5], v70 offset0:192 offset1:224
	s_waitcnt lgkmcnt(0)
	scratch_store_dwordx4 off, v[2:5], off offset:112
	ds_read2_b64 v[2:5], v120 offset1:32
	s_waitcnt lgkmcnt(0)
	scratch_store_dwordx4 off, v[2:5], off offset:128
	ds_read2_b64 v[2:5], v120 offset0:64 offset1:96
	s_waitcnt lgkmcnt(0)
	scratch_store_dwordx4 off, v[2:5], off offset:144
	ds_read2_b64 v[2:5], v120 offset0:128 offset1:160
	;; [unrolled: 3-line block ×3, first 2 shown]
	s_waitcnt lgkmcnt(0)
	scratch_store_dwordx2 off, v[4:5], off offset:176
	ds_read2_b64 v[38:41], v132 offset1:32
	ds_read2_b64 v[48:51], v132 offset0:64 offset1:96
	ds_read2_b64 v[44:47], v132 offset0:128 offset1:160
	;; [unrolled: 1-line block ×3, first 2 shown]
	scratch_load_dwordx4 v[8:11], off, off
	scratch_load_dwordx4 v[26:29], off, off offset:32
	ds_read_b128 v[12:15], v133
	ds_read_b128 v[22:25], v133 offset:16
	ds_read_b128 v[30:33], v133 offset:32
	;; [unrolled: 1-line block ×4, first 2 shown]
	s_waitcnt vmcnt(1) lgkmcnt(4)
	v_mul_f32_e32 v19, v12, v9
	v_mul_f32_e32 v16, v13, v9
	v_fmac_f32_e32 v19, v13, v8
	v_fma_f32 v18, v12, v8, -v16
	v_mul_f32_e32 v8, v15, v19
	v_mul_f32_e32 v9, v14, v19
	v_fma_f32 v8, v14, v18, -v8
	v_fmac_f32_e32 v9, v15, v18
	v_sub_f32_e32 v12, v10, v8
	v_sub_f32_e32 v13, v11, v9
	ds_read2_b64 v[8:11], v133 offset0:33 offset1:34
	scratch_store_dwordx2 off, v[18:19], off
	s_waitcnt lgkmcnt(0)
	v_mul_f32_e32 v14, v9, v13
	v_mul_f32_e32 v21, v8, v13
	v_fma_f32 v20, v8, v12, -v14
	v_fmac_f32_e32 v21, v9, v12
	scratch_load_dwordx4 v[12:15], off, off offset:16
	v_mul_f32_e32 v8, v23, v19
	v_fma_f32 v8, v22, v18, -v8
	v_mul_f32_e32 v9, v22, v19
	v_fmac_f32_e32 v9, v23, v18
	scratch_store_dwordx2 off, v[20:21], off offset:8
	ds_write2_b64 v1, v[18:19], v[20:21] offset1:32
	s_waitcnt vmcnt(1)
	v_sub_f32_e32 v8, v12, v8
	v_mul_f32_e32 v12, v11, v21
	v_fma_f32 v12, v10, v20, -v12
	v_mul_f32_e32 v10, v10, v21
	v_sub_f32_e32 v9, v13, v9
	v_fmac_f32_e32 v10, v11, v20
	v_sub_f32_e32 v12, v8, v12
	v_sub_f32_e32 v13, v9, v10
	ds_read_b128 v[8:11], v133 offset:528
	s_waitcnt lgkmcnt(0)
	v_mul_f32_e32 v16, v9, v13
	v_mul_f32_e32 v23, v8, v13
	v_fma_f32 v22, v8, v12, -v16
	v_fmac_f32_e32 v23, v9, v12
	v_mul_f32_e32 v8, v25, v19
	v_mul_f32_e32 v9, v24, v19
	v_fma_f32 v8, v24, v18, -v8
	v_fmac_f32_e32 v9, v25, v18
	v_sub_f32_e32 v8, v14, v8
	v_sub_f32_e32 v9, v15, v9
	ds_read2_b64 v[12:15], v133 offset0:35 offset1:36
	scratch_store_dwordx2 off, v[22:23], off offset:16
	s_waitcnt lgkmcnt(0)
	v_mul_f32_e32 v16, v13, v21
	v_fma_f32 v16, v12, v20, -v16
	v_mul_f32_e32 v12, v12, v21
	v_fmac_f32_e32 v12, v13, v20
	v_sub_f32_e32 v9, v9, v12
	v_mul_f32_e32 v12, v11, v23
	v_fma_f32 v12, v10, v22, -v12
	v_mul_f32_e32 v10, v10, v23
	v_sub_f32_e32 v8, v8, v16
	v_fmac_f32_e32 v10, v11, v22
	v_sub_f32_e32 v12, v8, v12
	v_sub_f32_e32 v13, v9, v10
	ds_read2_b64 v[8:11], v133 offset0:99 offset1:100
	s_waitcnt lgkmcnt(0)
	v_mul_f32_e32 v16, v9, v13
	v_fma_f32 v24, v8, v12, -v16
	v_mul_f32_e32 v25, v8, v13
	v_mul_f32_e32 v8, v31, v19
	v_fmac_f32_e32 v25, v9, v12
	v_fma_f32 v8, v30, v18, -v8
	v_mul_f32_e32 v12, v15, v21
	v_mul_f32_e32 v9, v30, v19
	v_sub_f32_e32 v8, v26, v8
	v_fma_f32 v12, v14, v20, -v12
	v_fmac_f32_e32 v9, v31, v18
	v_mul_f32_e32 v13, v14, v21
	v_sub_f32_e32 v8, v8, v12
	v_mul_f32_e32 v12, v35, v23
	v_sub_f32_e32 v9, v27, v9
	v_fmac_f32_e32 v13, v15, v20
	v_fma_f32 v12, v34, v22, -v12
	v_sub_f32_e32 v9, v9, v13
	v_mul_f32_e32 v13, v34, v23
	v_sub_f32_e32 v8, v8, v12
	v_mul_f32_e32 v12, v11, v25
	v_fmac_f32_e32 v13, v35, v22
	v_fma_f32 v12, v10, v24, -v12
	v_mul_f32_e32 v10, v10, v25
	v_sub_f32_e32 v9, v9, v13
	v_fmac_f32_e32 v10, v11, v24
	v_sub_f32_e32 v8, v8, v12
	v_sub_f32_e32 v9, v9, v10
	ds_read_b128 v[10:13], v133 offset:1056
	scratch_store_dwordx2 off, v[24:25], off offset:24
	ds_write2_b64 v1, v[22:23], v[24:25] offset0:64 offset1:96
	s_waitcnt lgkmcnt(1)
	v_mul_f32_e32 v14, v11, v9
	v_fma_f32 v26, v10, v8, -v14
	ds_read2_b64 v[14:17], v133 offset0:37 offset1:38
	v_mul_f32_e32 v27, v10, v9
	v_fmac_f32_e32 v27, v11, v8
	v_mul_f32_e32 v8, v33, v19
	v_mul_f32_e32 v9, v32, v19
	v_fma_f32 v8, v32, v18, -v8
	v_fmac_f32_e32 v9, v33, v18
	s_waitcnt lgkmcnt(0)
	v_mul_f32_e32 v10, v15, v21
	v_mul_f32_e32 v11, v14, v21
	v_sub_f32_e32 v8, v28, v8
	v_sub_f32_e32 v9, v29, v9
	v_fma_f32 v10, v14, v20, -v10
	v_fmac_f32_e32 v11, v15, v20
	v_sub_f32_e32 v8, v8, v10
	v_sub_f32_e32 v9, v9, v11
	v_mul_f32_e32 v10, v37, v23
	v_mul_f32_e32 v11, v36, v23
	v_fma_f32 v10, v36, v22, -v10
	v_fmac_f32_e32 v11, v37, v22
	v_sub_f32_e32 v14, v8, v10
	v_sub_f32_e32 v15, v9, v11
	ds_read2_b64 v[8:11], v133 offset0:101 offset1:102
	ds_read_b128 v[32:35], v133 offset:48
	scratch_store_dwordx2 off, v[26:27], off offset:32
	s_waitcnt lgkmcnt(1)
	v_mul_f32_e32 v28, v9, v25
	v_fma_f32 v28, v8, v24, -v28
	v_mul_f32_e32 v8, v8, v25
	v_fmac_f32_e32 v8, v9, v24
	v_sub_f32_e32 v9, v14, v28
	v_mul_f32_e32 v14, v13, v27
	v_fma_f32 v14, v12, v26, -v14
	v_mul_f32_e32 v12, v12, v27
	v_sub_f32_e32 v8, v15, v8
	v_fmac_f32_e32 v12, v13, v26
	v_sub_f32_e32 v28, v9, v14
	v_sub_f32_e32 v9, v8, v12
	ds_read2_b64 v[12:15], v133 offset0:165 offset1:166
	s_waitcnt lgkmcnt(0)
	v_mul_f32_e32 v8, v13, v9
	v_mul_f32_e32 v9, v12, v9
	v_fma_f32 v8, v12, v28, -v8
	v_fmac_f32_e32 v9, v13, v28
	scratch_load_dwordx4 v[28:31], off, off offset:48
	v_mul_f32_e32 v12, v33, v19
	v_fma_f32 v12, v32, v18, -v12
	v_mul_f32_e32 v13, v32, v19
	v_fmac_f32_e32 v13, v33, v18
	scratch_store_dwordx2 off, v[8:9], off offset:40
	ds_write2_b64 v1, v[26:27], v[8:9] offset0:128 offset1:160
	s_waitcnt vmcnt(1)
	v_sub_f32_e32 v12, v28, v12
	v_mul_f32_e32 v28, v17, v21
	v_fma_f32 v28, v16, v20, -v28
	v_mul_f32_e32 v16, v16, v21
	v_sub_f32_e32 v13, v29, v13
	v_fmac_f32_e32 v16, v17, v20
	v_sub_f32_e32 v13, v13, v16
	v_mul_f32_e32 v16, v53, v23
	v_sub_f32_e32 v12, v12, v28
	v_fma_f32 v16, v52, v22, -v16
	v_mul_f32_e32 v17, v52, v23
	v_sub_f32_e32 v12, v12, v16
	v_mul_f32_e32 v16, v11, v25
	v_fmac_f32_e32 v17, v53, v22
	v_fma_f32 v16, v10, v24, -v16
	v_mul_f32_e32 v10, v10, v25
	v_sub_f32_e32 v13, v13, v17
	v_fmac_f32_e32 v10, v11, v24
	v_sub_f32_e32 v16, v12, v16
	v_sub_f32_e32 v17, v13, v10
	ds_read_b128 v[10:13], v133 offset:1072
	ds_read2_b64 v[22:25], v133 offset0:39 offset1:40
	s_waitcnt lgkmcnt(1)
	v_mul_f32_e32 v20, v11, v27
	v_fma_f32 v20, v10, v26, -v20
	v_mul_f32_e32 v10, v10, v27
	v_fmac_f32_e32 v10, v11, v26
	v_sub_f32_e32 v11, v16, v20
	v_mul_f32_e32 v16, v15, v9
	v_mul_f32_e32 v9, v14, v9
	v_sub_f32_e32 v10, v17, v10
	v_fma_f32 v16, v14, v8, -v16
	v_fmac_f32_e32 v9, v15, v8
	v_sub_f32_e32 v16, v11, v16
	v_sub_f32_e32 v15, v10, v9
	ds_read_b128 v[8:11], v133 offset:1584
	s_waitcnt lgkmcnt(0)
	v_mul_f32_e32 v14, v9, v15
	v_mul_f32_e32 v15, v8, v15
	v_fma_f32 v14, v8, v16, -v14
	v_fmac_f32_e32 v15, v9, v16
	v_mul_f32_e32 v8, v35, v19
	v_mul_f32_e32 v9, v34, v19
	v_fma_f32 v8, v34, v18, -v8
	v_fmac_f32_e32 v9, v35, v18
	scratch_load_dwordx4 v[18:21], off, off offset:8
	v_sub_f32_e32 v9, v31, v9
	v_sub_f32_e32 v8, v30, v8
	scratch_store_dwordx2 off, v[14:15], off offset:48
	scratch_load_dwordx4 v[14:17], off, off offset:40
	s_waitcnt vmcnt(2)
	v_mul_f32_e32 v26, v23, v19
	v_mul_f32_e32 v19, v22, v19
	v_fmac_f32_e32 v19, v23, v18
	v_fma_f32 v26, v22, v18, -v26
	v_sub_f32_e32 v9, v9, v19
	v_mul_f32_e32 v18, v55, v21
	v_mul_f32_e32 v19, v54, v21
	v_sub_f32_e32 v8, v8, v26
	v_fma_f32 v18, v54, v20, -v18
	v_fmac_f32_e32 v19, v55, v20
	v_sub_f32_e32 v8, v8, v18
	v_sub_f32_e32 v9, v9, v19
	scratch_load_dwordx4 v[18:21], off, off offset:24
	ds_read2_b64 v[26:29], v133 offset0:103 offset1:104
	s_waitcnt vmcnt(0) lgkmcnt(0)
	v_mul_f32_e32 v22, v27, v19
	v_mul_f32_e32 v19, v26, v19
	v_fma_f32 v22, v26, v18, -v22
	v_fmac_f32_e32 v19, v27, v18
	v_mul_f32_e32 v18, v13, v21
	v_sub_f32_e32 v8, v8, v22
	v_fma_f32 v18, v12, v20, -v18
	v_mul_f32_e32 v12, v12, v21
	v_sub_f32_e32 v9, v9, v19
	v_fmac_f32_e32 v12, v13, v20
	v_sub_f32_e32 v8, v8, v18
	ds_read2_b64 v[18:21], v133 offset0:167 offset1:168
	v_sub_f32_e32 v9, v9, v12
	s_waitcnt lgkmcnt(0)
	v_mul_f32_e32 v12, v19, v15
	v_fma_f32 v12, v18, v14, -v12
	v_mul_f32_e32 v13, v18, v15
	v_sub_f32_e32 v8, v8, v12
	v_mul_f32_e32 v12, v11, v17
	v_fmac_f32_e32 v13, v19, v14
	v_fma_f32 v12, v10, v16, -v12
	v_mul_f32_e32 v10, v10, v17
	v_sub_f32_e32 v9, v9, v13
	v_fmac_f32_e32 v10, v11, v16
	v_sub_f32_e32 v8, v8, v12
	v_sub_f32_e32 v9, v9, v10
	ds_read2_b64 v[10:13], v133 offset0:231 offset1:232
	s_waitcnt lgkmcnt(0)
	v_mul_f32_e32 v14, v11, v9
	v_mul_f32_e32 v43, v10, v9
	v_fma_f32 v42, v10, v8, -v14
	v_fmac_f32_e32 v43, v11, v8
	scratch_store_dwordx2 off, v[42:43], off offset:56
	scratch_load_dwordx4 v[8:11], off, off offset:48
	s_waitcnt vmcnt(0)
	ds_write2_b64 v1, v[16:17], v[10:11] offset0:192 offset1:224
	scratch_load_dwordx4 v[14:17], off, off offset:64
	scratch_load_dwordx4 v[30:33], off, off
	ds_read_b128 v[34:37], v133 offset:64
	ds_read_b128 v[56:59], v133 offset:1616
	scratch_load_dwordx4 v[52:55], off, off
	s_waitcnt vmcnt(1) lgkmcnt(1)
	v_mul_f32_e32 v18, v35, v31
	v_mul_f32_e32 v19, v34, v31
	v_fma_f32 v18, v34, v30, -v18
	v_fmac_f32_e32 v19, v35, v30
	v_sub_f32_e32 v14, v14, v18
	v_sub_f32_e32 v15, v15, v19
	v_mul_f32_e32 v18, v25, v33
	v_mul_f32_e32 v19, v24, v33
	v_fma_f32 v18, v24, v32, -v18
	v_fmac_f32_e32 v19, v25, v32
	scratch_load_dwordx4 v[22:25], off, off offset:16
	ds_read_b128 v[30:33], v133 offset:576
	v_sub_f32_e32 v14, v14, v18
	v_sub_f32_e32 v15, v15, v19
	s_waitcnt vmcnt(0) lgkmcnt(0)
	v_mul_f32_e32 v18, v31, v23
	v_mul_f32_e32 v19, v30, v23
	v_fma_f32 v18, v30, v22, -v18
	v_fmac_f32_e32 v19, v31, v22
	v_sub_f32_e32 v14, v14, v18
	v_sub_f32_e32 v15, v15, v19
	v_mul_f32_e32 v18, v29, v25
	v_mul_f32_e32 v19, v28, v25
	v_fma_f32 v18, v28, v24, -v18
	v_fmac_f32_e32 v19, v29, v24
	scratch_load_dwordx4 v[22:25], off, off offset:32
	ds_read_b128 v[26:29], v133 offset:1088
	v_sub_f32_e32 v14, v14, v18
	v_sub_f32_e32 v15, v15, v19
	s_waitcnt vmcnt(0) lgkmcnt(0)
	v_mul_f32_e32 v18, v27, v23
	v_mul_f32_e32 v19, v26, v23
	v_fma_f32 v18, v26, v22, -v18
	v_fmac_f32_e32 v19, v27, v22
	v_sub_f32_e32 v14, v14, v18
	v_sub_f32_e32 v15, v15, v19
	v_mul_f32_e32 v18, v21, v25
	v_mul_f32_e32 v19, v20, v25
	v_fma_f32 v18, v20, v24, -v18
	v_fmac_f32_e32 v19, v21, v24
	v_sub_f32_e32 v14, v14, v18
	v_sub_f32_e32 v15, v15, v19
	ds_read_b128 v[18:21], v133 offset:1600
	s_waitcnt lgkmcnt(0)
	v_mul_f32_e32 v22, v19, v9
	v_fma_f32 v22, v18, v8, -v22
	v_mul_f32_e32 v18, v18, v9
	v_fmac_f32_e32 v18, v19, v8
	v_sub_f32_e32 v14, v14, v22
	ds_read_b128 v[22:25], v133 offset:2112
	v_sub_f32_e32 v15, v15, v18
	v_mul_f32_e32 v18, v13, v43
	v_fma_f32 v18, v12, v42, -v18
	v_mul_f32_e32 v12, v12, v43
	v_fmac_f32_e32 v12, v13, v42
	v_sub_f32_e32 v12, v15, v12
	v_sub_f32_e32 v13, v14, v18
	s_waitcnt lgkmcnt(0)
	v_mul_f32_e32 v14, v23, v12
	v_mul_f32_e32 v43, v22, v12
	v_fma_f32 v42, v22, v13, -v14
	v_fmac_f32_e32 v43, v23, v13
	scratch_load_dwordx4 v[12:15], off, off
	s_waitcnt vmcnt(0)
	v_mul_f32_e32 v18, v37, v13
	v_mul_f32_e32 v13, v36, v13
	v_fma_f32 v18, v36, v12, -v18
	v_fmac_f32_e32 v13, v37, v12
	ds_read2_b64 v[34:37], v133 offset0:41 offset1:42
	v_sub_f32_e32 v12, v16, v18
	v_sub_f32_e32 v13, v17, v13
	scratch_store_dword off, v12, off offset:72
	scratch_store_dwordx2 off, v[42:43], off offset:64
	s_waitcnt lgkmcnt(0)
	v_mul_f32_e32 v16, v35, v15
	v_mul_f32_e32 v15, v34, v15
	v_fma_f32 v16, v34, v14, -v16
	v_fmac_f32_e32 v15, v35, v14
	v_sub_f32_e32 v16, v12, v16
	v_sub_f32_e32 v17, v13, v15
	scratch_load_dwordx4 v[12:15], off, off offset:16
	s_waitcnt vmcnt(0)
	v_mul_f32_e32 v18, v33, v13
	v_mul_f32_e32 v13, v32, v13
	v_fma_f32 v18, v32, v12, -v18
	v_fmac_f32_e32 v13, v33, v12
	ds_read2_b64 v[30:33], v133 offset0:105 offset1:106
	v_sub_f32_e32 v12, v16, v18
	v_sub_f32_e32 v13, v17, v13
	s_waitcnt lgkmcnt(0)
	v_mul_f32_e32 v16, v31, v15
	v_mul_f32_e32 v15, v30, v15
	v_fma_f32 v16, v30, v14, -v16
	v_fmac_f32_e32 v15, v31, v14
	v_sub_f32_e32 v16, v12, v16
	v_sub_f32_e32 v17, v13, v15
	scratch_load_dwordx4 v[12:15], off, off offset:32
	s_waitcnt vmcnt(0)
	v_mul_f32_e32 v18, v29, v13
	v_mul_f32_e32 v13, v28, v13
	v_fma_f32 v18, v28, v12, -v18
	v_fmac_f32_e32 v13, v29, v12
	ds_read2_b64 v[26:29], v133 offset0:169 offset1:170
	v_sub_f32_e32 v12, v16, v18
	v_sub_f32_e32 v13, v17, v13
	s_waitcnt lgkmcnt(0)
	v_mul_f32_e32 v16, v27, v15
	v_mul_f32_e32 v15, v26, v15
	v_fma_f32 v16, v26, v14, -v16
	v_fmac_f32_e32 v15, v27, v14
	v_mul_f32_e32 v14, v21, v9
	v_sub_f32_e32 v12, v12, v16
	v_fma_f32 v14, v20, v8, -v14
	v_mul_f32_e32 v9, v20, v9
	v_sub_f32_e32 v13, v13, v15
	v_fmac_f32_e32 v9, v21, v8
	v_sub_f32_e32 v8, v12, v14
	ds_read2_b64 v[14:17], v133 offset0:233 offset1:234
	v_sub_f32_e32 v9, v13, v9
	s_waitcnt lgkmcnt(0)
	v_mul_f32_e32 v12, v15, v11
	v_mul_f32_e32 v11, v14, v11
	v_fma_f32 v12, v14, v10, -v12
	v_fmac_f32_e32 v11, v15, v10
	v_mul_f32_e32 v10, v25, v43
	v_sub_f32_e32 v8, v8, v12
	v_fma_f32 v10, v24, v42, -v10
	v_sub_f32_e32 v8, v8, v10
	v_mov_b32_e32 v10, 0x948
	ds_read2_b64 v[18:21], v10 offset1:1
	v_sub_f32_e32 v9, v9, v11
	v_mul_f32_e32 v11, v24, v43
	v_fmac_f32_e32 v11, v25, v42
	v_sub_f32_e32 v9, v9, v11
	s_waitcnt lgkmcnt(0)
	v_mul_f32_e32 v10, v19, v9
	v_mul_f32_e32 v27, v18, v9
	v_fma_f32 v26, v18, v8, -v10
	v_fmac_f32_e32 v27, v19, v8
	scratch_store_dwordx2 off, v[26:27], off offset:72
	scratch_load_dwordx4 v[22:25], off, off offset:64
	scratch_load_dwordx4 v[8:11], off, off offset:80
	ds_read_b128 v[12:15], v133 offset:80
	v_mov_b32_e32 v18, v52
	v_mov_b32_e32 v19, v54
	s_waitcnt lgkmcnt(0)
	v_pk_mul_f32 v[30:31], v[12:13], v[52:53]
	s_nop 0
	v_sub_f32_e32 v30, v30, v31
	v_mov_b32_e32 v31, v36
	s_waitcnt vmcnt(1)
	ds_write2_b64 v70, v[42:43], v[24:25] offset1:32
	v_mov_b32_e32 v24, v53
	v_mov_b32_e32 v25, v55
	s_waitcnt vmcnt(0)
	v_sub_f32_e32 v8, v8, v30
	v_mov_b32_e32 v30, v13
	v_mov_b32_e32 v13, v37
	v_pk_mul_f32 v[12:13], v[12:13], v[24:25]
	v_mov_b32_e32 v42, v15
	v_pk_fma_f32 v[24:25], v[30:31], v[18:19], v[12:13] neg_lo:[0,0,1] neg_hi:[0,0,1]
	v_pk_fma_f32 v[12:13], v[30:31], v[18:19], v[12:13]
	s_nop 0
	v_pk_mov_b32 v[12:13], v[24:25], v[12:13] op_sel:[1,0]
	s_nop 0
	v_pk_add_f32 v[8:9], v[8:9], v[12:13] neg_lo:[0,1] neg_hi:[0,1]
	v_mul_f32_e32 v12, v37, v54
	v_fmac_f32_e32 v12, v36, v55
	scratch_load_dwordx4 v[34:37], off, off offset:16
	ds_read_b128 v[52:55], v133 offset:592
	v_sub_f32_e32 v12, v9, v12
	scratch_store_dwordx2 off, v[8:9], off offset:80
	s_waitcnt vmcnt(1) lgkmcnt(0)
	v_mul_f32_e32 v9, v53, v35
	v_mul_f32_e32 v13, v52, v35
	v_fma_f32 v9, v52, v34, -v9
	v_fmac_f32_e32 v13, v53, v34
	v_sub_f32_e32 v8, v8, v9
	v_sub_f32_e32 v9, v12, v13
	v_mul_f32_e32 v12, v33, v37
	v_mul_f32_e32 v13, v32, v37
	v_fma_f32 v12, v32, v36, -v12
	v_fmac_f32_e32 v13, v33, v36
	scratch_load_dwordx4 v[30:33], off, off offset:32
	ds_read_b128 v[34:37], v133 offset:1104
	v_sub_f32_e32 v8, v8, v12
	v_sub_f32_e32 v9, v9, v13
	s_waitcnt vmcnt(0) lgkmcnt(0)
	v_mul_f32_e32 v12, v35, v31
	v_mul_f32_e32 v13, v34, v31
	v_fma_f32 v12, v34, v30, -v12
	v_fmac_f32_e32 v13, v35, v30
	v_sub_f32_e32 v8, v8, v12
	v_sub_f32_e32 v9, v9, v13
	v_mul_f32_e32 v12, v29, v33
	v_mul_f32_e32 v13, v28, v33
	v_fma_f32 v12, v28, v32, -v12
	v_fmac_f32_e32 v13, v29, v32
	scratch_load_dwordx4 v[28:31], off, off offset:48
	v_sub_f32_e32 v8, v8, v12
	v_sub_f32_e32 v9, v9, v13
	s_waitcnt vmcnt(0)
	v_mul_f32_e32 v12, v57, v29
	v_mul_f32_e32 v13, v56, v29
	v_fma_f32 v12, v56, v28, -v12
	v_fmac_f32_e32 v13, v57, v28
	v_sub_f32_e32 v8, v8, v12
	v_sub_f32_e32 v9, v9, v13
	v_mul_f32_e32 v12, v17, v31
	v_mul_f32_e32 v13, v16, v31
	v_fma_f32 v12, v16, v30, -v12
	v_fmac_f32_e32 v13, v17, v30
	ds_read_b128 v[28:31], v133 offset:2128
	v_sub_f32_e32 v8, v8, v12
	v_sub_f32_e32 v9, v9, v13
	s_waitcnt lgkmcnt(0)
	v_mul_f32_e32 v12, v29, v23
	v_mul_f32_e32 v13, v28, v23
	v_fma_f32 v12, v28, v22, -v12
	v_fmac_f32_e32 v13, v29, v22
	v_sub_f32_e32 v8, v8, v12
	v_sub_f32_e32 v9, v9, v13
	v_mul_f32_e32 v12, v21, v27
	v_mul_f32_e32 v13, v20, v27
	v_fma_f32 v12, v20, v26, -v12
	v_fmac_f32_e32 v13, v21, v26
	ds_read_b128 v[18:21], v133 offset:2640
	v_sub_f32_e32 v9, v9, v13
	v_sub_f32_e32 v12, v8, v12
	s_waitcnt lgkmcnt(0)
	v_mul_f32_e32 v8, v19, v9
	v_mul_f32_e32 v9, v18, v9
	v_fma_f32 v8, v18, v12, -v8
	v_fmac_f32_e32 v9, v19, v12
	scratch_store_dwordx2 off, v[8:9], off offset:80
	scratch_load_dwordx4 v[26:29], off, off offset:72
	scratch_load_dwordx4 v[22:25], off, off
	scratch_load_dwordx4 v[32:35], off, off offset:8
	s_waitcnt vmcnt(1)
	v_pk_mul_f32 v[16:17], v[14:15], v[22:23]
	s_nop 0
	v_sub_f32_e32 v16, v16, v17
	v_sub_f32_e32 v10, v10, v16
	ds_read2_b64 v[16:19], v133 offset0:43 offset1:44
	v_mov_b32_e32 v13, v24
	v_mov_b32_e32 v24, v23
	;; [unrolled: 1-line block ×3, first 2 shown]
	s_waitcnt vmcnt(0)
	v_mov_b32_e32 v22, v32
	s_waitcnt lgkmcnt(0)
	v_mov_b32_e32 v15, v17
	v_mov_b32_e32 v43, v16
	v_pk_mul_f32 v[14:15], v[14:15], v[24:25]
	v_mov_b32_e32 v32, v33
	v_pk_fma_f32 v[24:25], v[42:43], v[12:13], v[14:15] neg_lo:[0,0,1] neg_hi:[0,0,1]
	v_pk_fma_f32 v[12:13], v[42:43], v[12:13], v[14:15]
	v_mov_b32_e32 v33, v35
	v_pk_mov_b32 v[12:13], v[24:25], v[12:13] op_sel:[1,0]
	v_mov_b32_e32 v23, v34
	v_pk_add_f32 v[10:11], v[10:11], v[12:13] neg_lo:[0,1] neg_hi:[0,1]
	v_mov_b32_e32 v12, v17
	v_mov_b32_e32 v17, v55
	;; [unrolled: 1-line block ×3, first 2 shown]
	v_pk_mul_f32 v[14:15], v[16:17], v[32:33]
	s_nop 0
	v_pk_fma_f32 v[16:17], v[12:13], v[22:23], v[14:15] neg_lo:[0,0,1] neg_hi:[0,0,1]
	v_pk_fma_f32 v[12:13], v[12:13], v[22:23], v[14:15]
	ds_read2_b64 v[22:25], v133 offset0:235 offset1:236
	v_pk_mov_b32 v[12:13], v[16:17], v[12:13] op_sel:[1,0]
	s_nop 0
	v_pk_add_f32 v[14:15], v[10:11], v[12:13] neg_lo:[0,1] neg_hi:[0,1]
	v_mul_f32_e32 v10, v55, v34
	v_fmac_f32_e32 v10, v54, v35
	v_sub_f32_e32 v16, v15, v10
	scratch_load_dwordx4 v[10:13], off, off offset:24
	ds_read2_b64 v[52:55], v133 offset0:107 offset1:108
	ds_read2_b64 v[32:35], v133 offset0:171 offset1:172
	scratch_store_dwordx2 off, v[14:15], off offset:88
	s_waitcnt vmcnt(1) lgkmcnt(1)
	v_mul_f32_e32 v15, v53, v11
	v_fma_f32 v15, v52, v10, -v15
	v_mul_f32_e32 v11, v52, v11
	v_fmac_f32_e32 v11, v53, v10
	v_sub_f32_e32 v10, v14, v15
	v_mul_f32_e32 v14, v37, v13
	v_mul_f32_e32 v13, v36, v13
	v_sub_f32_e32 v11, v16, v11
	v_fma_f32 v14, v36, v12, -v14
	v_fmac_f32_e32 v13, v37, v12
	v_sub_f32_e32 v14, v10, v14
	v_sub_f32_e32 v15, v11, v13
	scratch_load_dwordx4 v[10:13], off, off offset:40
	s_waitcnt vmcnt(0) lgkmcnt(0)
	v_mul_f32_e32 v16, v33, v11
	v_fma_f32 v16, v32, v10, -v16
	v_mul_f32_e32 v11, v32, v11
	v_fmac_f32_e32 v11, v33, v10
	v_sub_f32_e32 v10, v14, v16
	v_mul_f32_e32 v14, v59, v13
	v_mul_f32_e32 v13, v58, v13
	v_sub_f32_e32 v11, v15, v11
	v_fma_f32 v14, v58, v12, -v14
	v_fmac_f32_e32 v13, v59, v12
	v_sub_f32_e32 v14, v10, v14
	v_sub_f32_e32 v15, v11, v13
	scratch_load_dwordx4 v[10:13], off, off offset:56
	s_waitcnt vmcnt(0)
	v_mul_f32_e32 v16, v23, v11
	v_fma_f32 v16, v22, v10, -v16
	v_mul_f32_e32 v11, v22, v11
	v_fmac_f32_e32 v11, v23, v10
	v_sub_f32_e32 v10, v14, v16
	v_mul_f32_e32 v14, v31, v13
	v_mul_f32_e32 v13, v30, v13
	v_fma_f32 v14, v30, v12, -v14
	v_fmac_f32_e32 v13, v31, v12
	v_mov_b32_e32 v12, 0x958
	v_sub_f32_e32 v11, v15, v11
	v_sub_f32_e32 v10, v10, v14
	ds_read2_b64 v[14:17], v12 offset1:1
	v_sub_f32_e32 v11, v11, v13
	s_waitcnt lgkmcnt(0)
	v_mul_f32_e32 v12, v15, v27
	v_fma_f32 v12, v14, v26, -v12
	v_sub_f32_e32 v10, v10, v12
	v_mul_f32_e32 v12, v21, v9
	v_fma_f32 v12, v20, v8, -v12
	v_mul_f32_e32 v9, v20, v9
	v_fmac_f32_e32 v9, v21, v8
	v_sub_f32_e32 v8, v10, v12
	v_mov_b32_e32 v10, 0xb58
	ds_read2_b64 v[20:23], v10 offset1:1
	v_mul_f32_e32 v13, v14, v27
	v_fmac_f32_e32 v13, v15, v26
	v_sub_f32_e32 v11, v11, v13
	v_sub_f32_e32 v9, v11, v9
	s_waitcnt lgkmcnt(0)
	v_mul_f32_e32 v10, v21, v9
	v_mul_f32_e32 v43, v20, v9
	v_fma_f32 v42, v20, v8, -v10
	v_fmac_f32_e32 v43, v21, v8
	scratch_store_dwordx2 off, v[42:43], off offset:88
	scratch_load_dwordx4 v[30:33], off, off offset:80
	scratch_load_dwordx4 v[8:11], off, off offset:96
	ds_read_b128 v[12:15], v133 offset:96
	s_waitcnt vmcnt(1)
	ds_write2_b64 v70, v[28:29], v[32:33] offset0:64 offset1:96
	scratch_load_dwordx4 v[26:29], off, off
	scratch_load_dwordx4 v[56:59], off, off offset:8
	scratch_load_dwordx4 v[60:63], off, off offset:16
	s_waitcnt vmcnt(2)
	v_mov_b32_e32 v20, v26
	v_mov_b32_e32 v21, v28
	v_mov_b32_e32 v28, v27
	s_waitcnt lgkmcnt(1)
	v_pk_mul_f32 v[26:27], v[12:13], v[26:27]
	s_waitcnt vmcnt(1)
	v_mov_b32_e32 v33, v58
	v_sub_f32_e32 v26, v26, v27
	v_sub_f32_e32 v8, v8, v26
	v_mov_b32_e32 v26, v13
	v_mov_b32_e32 v13, v19
	;; [unrolled: 1-line block ×3, first 2 shown]
	v_pk_mul_f32 v[12:13], v[12:13], v[28:29]
	v_mov_b32_e32 v58, v57
	v_pk_fma_f32 v[28:29], v[26:27], v[20:21], v[12:13] neg_lo:[0,0,1] neg_hi:[0,0,1]
	v_pk_fma_f32 v[12:13], v[26:27], v[20:21], v[12:13]
	v_mov_b32_e32 v20, v19
	v_pk_mov_b32 v[12:13], v[28:29], v[12:13] op_sel:[1,0]
	ds_read_b128 v[26:29], v133 offset:608
	v_mov_b32_e32 v32, v56
	v_pk_add_f32 v[8:9], v[8:9], v[12:13] neg_lo:[0,1] neg_hi:[0,1]
	s_waitcnt vmcnt(0)
	v_mov_b32_e32 v36, v61
	v_mov_b32_e32 v37, v63
	s_waitcnt lgkmcnt(0)
	v_mov_b32_e32 v19, v27
	v_mov_b32_e32 v21, v26
	v_pk_mul_f32 v[18:19], v[18:19], v[58:59]
	v_mov_b32_e32 v12, v60
	v_pk_fma_f32 v[52:53], v[20:21], v[32:33], v[18:19] neg_lo:[0,0,1] neg_hi:[0,0,1]
	v_pk_fma_f32 v[18:19], v[20:21], v[32:33], v[18:19]
	v_mov_b32_e32 v13, v62
	v_pk_mov_b32 v[18:19], v[52:53], v[18:19] op_sel:[1,0]
	ds_read_b128 v[56:59], v133 offset:1120
	v_pk_add_f32 v[8:9], v[8:9], v[18:19] neg_lo:[0,1] neg_hi:[0,1]
	v_mov_b32_e32 v18, v27
	v_mov_b32_e32 v27, v55
	;; [unrolled: 1-line block ×3, first 2 shown]
	v_pk_mul_f32 v[20:21], v[26:27], v[36:37]
	s_nop 0
	v_pk_fma_f32 v[26:27], v[18:19], v[12:13], v[20:21] neg_lo:[0,0,1] neg_hi:[0,0,1]
	v_pk_fma_f32 v[12:13], v[18:19], v[12:13], v[20:21]
	scratch_load_dwordx4 v[18:21], off, off offset:32
	v_pk_mov_b32 v[12:13], v[26:27], v[12:13] op_sel:[1,0]
	s_nop 0
	v_pk_add_f32 v[8:9], v[8:9], v[12:13] neg_lo:[0,1] neg_hi:[0,1]
	v_mul_f32_e32 v12, v55, v62
	v_fmac_f32_e32 v12, v54, v63
	v_sub_f32_e32 v12, v9, v12
	scratch_store_dwordx2 off, v[8:9], off offset:96
	s_waitcnt vmcnt(1) lgkmcnt(0)
	v_mul_f32_e32 v9, v57, v19
	v_mul_f32_e32 v13, v56, v19
	v_fma_f32 v9, v56, v18, -v9
	v_fmac_f32_e32 v13, v57, v18
	v_sub_f32_e32 v8, v8, v9
	v_sub_f32_e32 v9, v12, v13
	v_mul_f32_e32 v12, v35, v21
	v_mul_f32_e32 v13, v34, v21
	v_fma_f32 v12, v34, v20, -v12
	v_fmac_f32_e32 v13, v35, v20
	scratch_load_dwordx4 v[18:21], off, off offset:48
	ds_read_b128 v[34:37], v133 offset:1632
	v_sub_f32_e32 v8, v8, v12
	v_sub_f32_e32 v9, v9, v13
	s_waitcnt vmcnt(0) lgkmcnt(0)
	v_mul_f32_e32 v12, v35, v19
	v_mul_f32_e32 v13, v34, v19
	v_fma_f32 v12, v34, v18, -v12
	v_fmac_f32_e32 v13, v35, v18
	v_sub_f32_e32 v8, v8, v12
	v_sub_f32_e32 v9, v9, v13
	v_mul_f32_e32 v12, v25, v21
	v_mul_f32_e32 v13, v24, v21
	v_fma_f32 v12, v24, v20, -v12
	v_fmac_f32_e32 v13, v25, v20
	scratch_load_dwordx4 v[18:21], off, off offset:64
	ds_read_b128 v[32:35], v133 offset:2144
	ds_read_b128 v[24:27], v133 offset:2656
	v_sub_f32_e32 v8, v8, v12
	v_sub_f32_e32 v9, v9, v13
	s_waitcnt vmcnt(0) lgkmcnt(1)
	v_mul_f32_e32 v12, v33, v19
	v_mul_f32_e32 v13, v32, v19
	v_fma_f32 v12, v32, v18, -v12
	v_fmac_f32_e32 v13, v33, v18
	v_sub_f32_e32 v8, v8, v12
	v_sub_f32_e32 v9, v9, v13
	v_mul_f32_e32 v12, v17, v21
	v_mul_f32_e32 v13, v16, v21
	v_fma_f32 v12, v16, v20, -v12
	v_fmac_f32_e32 v13, v17, v20
	v_sub_f32_e32 v8, v8, v12
	v_sub_f32_e32 v9, v9, v13
	s_waitcnt lgkmcnt(0)
	v_mul_f32_e32 v12, v25, v31
	v_mul_f32_e32 v13, v24, v31
	v_fma_f32 v12, v24, v30, -v12
	v_fmac_f32_e32 v13, v25, v30
	v_sub_f32_e32 v8, v8, v12
	v_sub_f32_e32 v9, v9, v13
	v_mul_f32_e32 v12, v23, v43
	v_mul_f32_e32 v13, v22, v43
	v_fma_f32 v12, v22, v42, -v12
	v_fmac_f32_e32 v13, v23, v42
	ds_read_b128 v[22:25], v133 offset:3168
	v_sub_f32_e32 v9, v9, v13
	v_sub_f32_e32 v12, v8, v12
	v_mov_b32_e32 v42, v15
	s_waitcnt lgkmcnt(0)
	v_mul_f32_e32 v8, v23, v9
	v_mul_f32_e32 v9, v22, v9
	v_fma_f32 v8, v22, v12, -v8
	v_fmac_f32_e32 v9, v23, v12
	scratch_store_dwordx2 off, v[8:9], off offset:96
	scratch_load_dwordx4 v[54:57], off, off offset:88
	scratch_load_dwordx4 v[16:19], off, off
	scratch_load_dwordx4 v[30:33], off, off offset:8
	scratch_load_dwordx4 v[60:63], off, off offset:16
	;; [unrolled: 1-line block ×3, first 2 shown]
	ds_read2_b64 v[20:23], v133 offset0:45 offset1:46
	s_waitcnt lgkmcnt(0)
	v_mov_b32_e32 v43, v20
	s_waitcnt vmcnt(3)
	v_mov_b32_e32 v12, v16
	v_mov_b32_e32 v13, v18
	v_mov_b32_e32 v18, v17
	v_pk_mul_f32 v[16:17], v[14:15], v[16:17]
	v_mov_b32_e32 v15, v21
	v_pk_mul_f32 v[14:15], v[14:15], v[18:19]
	v_sub_f32_e32 v16, v16, v17
	s_waitcnt vmcnt(2)
	v_mov_b32_e32 v17, v32
	v_mov_b32_e32 v32, v31
	v_pk_fma_f32 v[18:19], v[42:43], v[12:13], v[14:15] neg_lo:[0,0,1] neg_hi:[0,0,1]
	v_pk_fma_f32 v[12:13], v[42:43], v[12:13], v[14:15]
	v_mov_b32_e32 v14, v21
	v_mov_b32_e32 v21, v29
	v_sub_f32_e32 v10, v10, v16
	v_mov_b32_e32 v16, v30
	v_pk_mov_b32 v[12:13], v[18:19], v[12:13] op_sel:[1,0]
	v_mov_b32_e32 v15, v28
	v_pk_mul_f32 v[18:19], v[20:21], v[32:33]
	v_pk_add_f32 v[10:11], v[10:11], v[12:13] neg_lo:[0,1] neg_hi:[0,1]
	v_pk_fma_f32 v[20:21], v[14:15], v[16:17], v[18:19] neg_lo:[0,0,1] neg_hi:[0,0,1]
	v_pk_fma_f32 v[14:15], v[14:15], v[16:17], v[18:19]
	s_waitcnt vmcnt(1)
	v_mov_b32_e32 v13, v62
	v_pk_mov_b32 v[14:15], v[20:21], v[14:15] op_sel:[1,0]
	ds_read2_b64 v[18:21], v133 offset0:109 offset1:110
	v_mov_b32_e32 v62, v61
	v_mov_b32_e32 v16, v29
	;; [unrolled: 1-line block ×3, first 2 shown]
	v_pk_add_f32 v[10:11], v[10:11], v[14:15] neg_lo:[0,1] neg_hi:[0,1]
	s_waitcnt lgkmcnt(0)
	v_mov_b32_e32 v29, v19
	v_mov_b32_e32 v17, v18
	v_pk_mul_f32 v[28:29], v[28:29], v[62:63]
	s_waitcnt vmcnt(0)
	v_mov_b32_e32 v30, v65
	v_pk_fma_f32 v[32:33], v[16:17], v[12:13], v[28:29] neg_lo:[0,0,1] neg_hi:[0,0,1]
	v_pk_fma_f32 v[12:13], v[16:17], v[12:13], v[28:29]
	v_mov_b32_e32 v31, v67
	v_pk_mov_b32 v[12:13], v[32:33], v[12:13] op_sel:[1,0]
	v_mov_b32_e32 v14, v64
	v_pk_add_f32 v[10:11], v[10:11], v[12:13] neg_lo:[0,1] neg_hi:[0,1]
	v_mov_b32_e32 v12, v19
	v_mov_b32_e32 v19, v59
	v_mov_b32_e32 v15, v66
	v_mov_b32_e32 v13, v58
	v_pk_mul_f32 v[16:17], v[18:19], v[30:31]
	ds_read2_b64 v[30:33], v133 offset0:237 offset1:238
	v_pk_fma_f32 v[18:19], v[12:13], v[14:15], v[16:17] neg_lo:[0,0,1] neg_hi:[0,0,1]
	v_pk_fma_f32 v[12:13], v[12:13], v[14:15], v[16:17]
	s_nop 0
	v_pk_mov_b32 v[12:13], v[18:19], v[12:13] op_sel:[1,0]
	s_nop 0
	v_pk_add_f32 v[14:15], v[10:11], v[12:13] neg_lo:[0,1] neg_hi:[0,1]
	v_mul_f32_e32 v10, v59, v66
	v_fmac_f32_e32 v10, v58, v67
	v_sub_f32_e32 v16, v15, v10
	scratch_load_dwordx4 v[10:13], off, off offset:40
	ds_read2_b64 v[58:61], v133 offset0:173 offset1:174
	scratch_store_dwordx2 off, v[14:15], off offset:104
	s_waitcnt vmcnt(1) lgkmcnt(0)
	v_mul_f32_e32 v15, v59, v11
	v_fma_f32 v15, v58, v10, -v15
	v_mul_f32_e32 v11, v58, v11
	v_fmac_f32_e32 v11, v59, v10
	v_sub_f32_e32 v10, v14, v15
	v_mul_f32_e32 v14, v37, v13
	v_mul_f32_e32 v13, v36, v13
	v_sub_f32_e32 v11, v16, v11
	v_fma_f32 v14, v36, v12, -v14
	v_fmac_f32_e32 v13, v37, v12
	v_sub_f32_e32 v14, v10, v14
	v_sub_f32_e32 v15, v11, v13
	scratch_load_dwordx4 v[10:13], off, off offset:56
	s_waitcnt vmcnt(0)
	v_mul_f32_e32 v16, v31, v11
	v_fma_f32 v16, v30, v10, -v16
	v_mul_f32_e32 v11, v30, v11
	v_fmac_f32_e32 v11, v31, v10
	v_sub_f32_e32 v10, v14, v16
	v_mul_f32_e32 v14, v35, v13
	v_mul_f32_e32 v13, v34, v13
	v_sub_f32_e32 v11, v15, v11
	v_fma_f32 v14, v34, v12, -v14
	v_fmac_f32_e32 v13, v35, v12
	v_sub_f32_e32 v14, v10, v14
	v_sub_f32_e32 v15, v11, v13
	scratch_load_dwordx4 v[10:13], off, off offset:72
	v_mov_b32_e32 v16, 0x968
	ds_read2_b64 v[34:37], v16 offset1:1
	s_waitcnt vmcnt(0) lgkmcnt(0)
	v_mul_f32_e32 v16, v35, v11
	v_fma_f32 v16, v34, v10, -v16
	v_mul_f32_e32 v11, v34, v11
	v_fmac_f32_e32 v11, v35, v10
	v_sub_f32_e32 v10, v14, v16
	v_mul_f32_e32 v14, v27, v13
	v_mul_f32_e32 v13, v26, v13
	v_fma_f32 v14, v26, v12, -v14
	v_fmac_f32_e32 v13, v27, v12
	v_mov_b32_e32 v12, 0xb68
	ds_read2_b64 v[28:31], v12 offset1:1
	v_sub_f32_e32 v10, v10, v14
	v_sub_f32_e32 v11, v15, v11
	;; [unrolled: 1-line block ×3, first 2 shown]
	s_waitcnt lgkmcnt(0)
	v_mul_f32_e32 v12, v29, v55
	v_fma_f32 v12, v28, v54, -v12
	v_sub_f32_e32 v10, v10, v12
	v_mul_f32_e32 v12, v25, v9
	v_fma_f32 v12, v24, v8, -v12
	v_mul_f32_e32 v9, v24, v9
	v_mul_f32_e32 v13, v28, v55
	v_fmac_f32_e32 v9, v25, v8
	v_sub_f32_e32 v8, v10, v12
	v_mov_b32_e32 v10, 0xd68
	v_fmac_f32_e32 v13, v29, v54
	ds_read2_b64 v[52:55], v10 offset1:1
	v_sub_f32_e32 v11, v11, v13
	v_sub_f32_e32 v9, v11, v9
	ds_read_b128 v[12:15], v133 offset:112
	v_mov_b32_e32 v29, v22
	s_waitcnt lgkmcnt(1)
	v_mul_f32_e32 v10, v53, v9
	v_mul_f32_e32 v43, v52, v9
	v_fma_f32 v42, v52, v8, -v10
	v_fmac_f32_e32 v43, v53, v8
	scratch_store_dwordx2 off, v[42:43], off offset:104
	scratch_load_dwordx4 v[24:27], off, off offset:96
	scratch_load_dwordx4 v[8:11], off, off offset:112
	s_waitcnt lgkmcnt(0)
	v_mov_b32_e32 v28, v13
	s_waitcnt vmcnt(1)
	ds_write2_b64 v70, v[56:57], v[26:27] offset0:128 offset1:160
	scratch_load_dwordx4 v[16:19], off, off
	scratch_load_dwordx4 v[56:59], off, off offset:8
	scratch_load_dwordx4 v[62:65], off, off offset:16
	;; [unrolled: 1-line block ×4, first 2 shown]
	s_waitcnt vmcnt(4)
	v_mov_b32_e32 v26, v16
	v_mov_b32_e32 v27, v18
	v_mov_b32_e32 v18, v17
	v_pk_mul_f32 v[16:17], v[12:13], v[16:17]
	v_mov_b32_e32 v13, v23
	v_pk_mul_f32 v[12:13], v[12:13], v[18:19]
	v_sub_f32_e32 v16, v16, v17
	v_pk_fma_f32 v[18:19], v[28:29], v[26:27], v[12:13] neg_lo:[0,0,1] neg_hi:[0,0,1]
	v_pk_fma_f32 v[12:13], v[28:29], v[26:27], v[12:13]
	ds_read_b128 v[26:29], v133 offset:624
	s_waitcnt vmcnt(3)
	v_mov_b32_e32 v17, v58
	v_mov_b32_e32 v58, v57
	v_pk_mov_b32 v[12:13], v[18:19], v[12:13] op_sel:[1,0]
	v_mov_b32_e32 v18, v23
	s_waitcnt lgkmcnt(0)
	v_mov_b32_e32 v23, v27
	v_sub_f32_e32 v8, v8, v16
	v_mov_b32_e32 v16, v56
	v_mov_b32_e32 v19, v26
	v_pk_mul_f32 v[22:23], v[22:23], v[58:59]
	v_pk_add_f32 v[8:9], v[8:9], v[12:13] neg_lo:[0,1] neg_hi:[0,1]
	v_pk_fma_f32 v[34:35], v[18:19], v[16:17], v[22:23] neg_lo:[0,0,1] neg_hi:[0,0,1]
	v_pk_fma_f32 v[16:17], v[18:19], v[16:17], v[22:23]
	s_waitcnt vmcnt(2)
	v_mov_b32_e32 v13, v64
	v_pk_mov_b32 v[16:17], v[34:35], v[16:17] op_sel:[1,0]
	v_mov_b32_e32 v64, v63
	v_pk_add_f32 v[8:9], v[8:9], v[16:17] neg_lo:[0,1] neg_hi:[0,1]
	v_mov_b32_e32 v16, v27
	v_mov_b32_e32 v27, v21
	;; [unrolled: 1-line block ×4, first 2 shown]
	v_pk_mul_f32 v[18:19], v[26:27], v[64:65]
	s_waitcnt vmcnt(1)
	v_mov_b32_e32 v23, v68
	v_pk_fma_f32 v[26:27], v[16:17], v[12:13], v[18:19] neg_lo:[0,0,1] neg_hi:[0,0,1]
	v_pk_fma_f32 v[12:13], v[16:17], v[12:13], v[18:19]
	ds_read_b128 v[16:19], v133 offset:1136
	v_mov_b32_e32 v68, v67
	v_pk_mov_b32 v[12:13], v[26:27], v[12:13] op_sel:[1,0]
	v_mov_b32_e32 v26, v21
	v_mov_b32_e32 v22, v66
	s_waitcnt lgkmcnt(0)
	v_mov_b32_e32 v21, v17
	v_mov_b32_e32 v27, v16
	v_pk_mul_f32 v[20:21], v[20:21], v[68:69]
	v_pk_add_f32 v[8:9], v[8:9], v[12:13] neg_lo:[0,1] neg_hi:[0,1]
	v_pk_fma_f32 v[52:53], v[26:27], v[22:23], v[20:21] neg_lo:[0,0,1] neg_hi:[0,0,1]
	v_pk_fma_f32 v[20:21], v[26:27], v[22:23], v[20:21]
	s_waitcnt vmcnt(0)
	v_mov_b32_e32 v34, v73
	v_pk_mov_b32 v[20:21], v[52:53], v[20:21] op_sel:[1,0]
	v_mov_b32_e32 v35, v75
	v_pk_add_f32 v[8:9], v[8:9], v[20:21] neg_lo:[0,1] neg_hi:[0,1]
	v_mov_b32_e32 v20, v17
	v_mov_b32_e32 v17, v61
	;; [unrolled: 1-line block ×5, first 2 shown]
	v_pk_mul_f32 v[16:17], v[16:17], v[34:35]
	ds_read_b128 v[64:67], v133 offset:1648
	v_pk_fma_f32 v[22:23], v[20:21], v[12:13], v[16:17] neg_lo:[0,0,1] neg_hi:[0,0,1]
	v_pk_fma_f32 v[12:13], v[20:21], v[12:13], v[16:17]
	v_mov_b32_e32 v26, v15
	v_pk_mov_b32 v[12:13], v[22:23], v[12:13] op_sel:[1,0]
	scratch_load_dwordx4 v[20:23], off, off offset:48
	v_pk_add_f32 v[8:9], v[8:9], v[12:13] neg_lo:[0,1] neg_hi:[0,1]
	v_mul_f32_e32 v12, v61, v74
	v_fmac_f32_e32 v12, v60, v75
	v_sub_f32_e32 v12, v9, v12
	scratch_store_dwordx2 off, v[8:9], off offset:112
	ds_read_b128 v[58:61], v133 offset:2160
	s_waitcnt vmcnt(1) lgkmcnt(1)
	v_mul_f32_e32 v9, v65, v21
	v_mul_f32_e32 v13, v64, v21
	v_fma_f32 v9, v64, v20, -v9
	v_fmac_f32_e32 v13, v65, v20
	v_sub_f32_e32 v8, v8, v9
	v_sub_f32_e32 v9, v12, v13
	v_mul_f32_e32 v12, v33, v23
	v_mul_f32_e32 v13, v32, v23
	v_fma_f32 v12, v32, v22, -v12
	v_fmac_f32_e32 v13, v33, v22
	scratch_load_dwordx4 v[20:23], off, off offset:64
	v_sub_f32_e32 v8, v8, v12
	v_sub_f32_e32 v9, v9, v13
	s_waitcnt vmcnt(0) lgkmcnt(0)
	v_mul_f32_e32 v12, v59, v21
	v_mul_f32_e32 v13, v58, v21
	v_fma_f32 v12, v58, v20, -v12
	v_fmac_f32_e32 v13, v59, v20
	v_sub_f32_e32 v8, v8, v12
	v_sub_f32_e32 v9, v9, v13
	v_mul_f32_e32 v12, v37, v23
	v_mul_f32_e32 v13, v36, v23
	v_fma_f32 v12, v36, v22, -v12
	v_fmac_f32_e32 v13, v37, v22
	scratch_load_dwordx4 v[20:23], off, off offset:80
	ds_read_b128 v[56:59], v133 offset:2672
	ds_read_b128 v[34:37], v133 offset:3184
	v_sub_f32_e32 v8, v8, v12
	v_sub_f32_e32 v9, v9, v13
	s_waitcnt vmcnt(0) lgkmcnt(1)
	v_mul_f32_e32 v12, v57, v21
	v_mul_f32_e32 v13, v56, v21
	v_fma_f32 v12, v56, v20, -v12
	v_fmac_f32_e32 v13, v57, v20
	v_sub_f32_e32 v8, v8, v12
	v_sub_f32_e32 v9, v9, v13
	v_mul_f32_e32 v12, v31, v23
	v_mul_f32_e32 v13, v30, v23
	v_fma_f32 v12, v30, v22, -v12
	v_fmac_f32_e32 v13, v31, v22
	v_sub_f32_e32 v8, v8, v12
	v_sub_f32_e32 v9, v9, v13
	s_waitcnt lgkmcnt(0)
	v_mul_f32_e32 v12, v35, v25
	v_mul_f32_e32 v13, v34, v25
	v_fma_f32 v12, v34, v24, -v12
	v_fmac_f32_e32 v13, v35, v24
	ds_read_b128 v[32:35], v133 offset:3696
	v_sub_f32_e32 v9, v9, v13
	v_mul_f32_e32 v13, v54, v43
	v_sub_f32_e32 v8, v8, v12
	v_mul_f32_e32 v12, v55, v43
	v_fmac_f32_e32 v13, v55, v42
	v_fma_f32 v12, v54, v42, -v12
	v_sub_f32_e32 v9, v9, v13
	v_sub_f32_e32 v12, v8, v12
	s_waitcnt lgkmcnt(0)
	v_mul_f32_e32 v8, v33, v9
	v_mul_f32_e32 v9, v32, v9
	v_fma_f32 v8, v32, v12, -v8
	v_fmac_f32_e32 v9, v33, v12
	scratch_store_dwordx2 off, v[8:9], off offset:112
	scratch_load_dwordx4 v[62:65], off, off offset:104
	scratch_load_dwordx4 v[22:25], off, off
	scratch_load_dwordx4 v[30:33], off, off offset:8
	scratch_load_dwordx4 v[52:55], off, off offset:16
	;; [unrolled: 1-line block ×4, first 2 shown]
	s_waitcnt vmcnt(4)
	v_mov_b32_e32 v12, v22
	v_mov_b32_e32 v13, v24
	;; [unrolled: 1-line block ×3, first 2 shown]
	v_pk_mul_f32 v[16:17], v[14:15], v[22:23]
	ds_read2_b64 v[20:23], v133 offset0:47 offset1:48
	v_sub_f32_e32 v16, v16, v17
	v_sub_f32_e32 v10, v10, v16
	s_waitcnt vmcnt(3)
	v_mov_b32_e32 v17, v32
	v_mov_b32_e32 v32, v31
	s_waitcnt lgkmcnt(0)
	v_mov_b32_e32 v15, v21
	v_mov_b32_e32 v27, v20
	v_pk_mul_f32 v[14:15], v[14:15], v[24:25]
	v_mov_b32_e32 v16, v30
	v_pk_fma_f32 v[24:25], v[26:27], v[12:13], v[14:15] neg_lo:[0,0,1] neg_hi:[0,0,1]
	v_pk_fma_f32 v[12:13], v[26:27], v[12:13], v[14:15]
	s_waitcnt vmcnt(2)
	v_mov_b32_e32 v31, v54
	v_pk_mov_b32 v[12:13], v[24:25], v[12:13] op_sel:[1,0]
	v_mov_b32_e32 v24, v21
	v_pk_add_f32 v[14:15], v[10:11], v[12:13] neg_lo:[0,1] neg_hi:[0,1]
	scratch_load_dwordx4 v[10:13], off, off offset:40
	v_mov_b32_e32 v21, v29
	v_mov_b32_e32 v25, v28
	v_pk_mul_f32 v[20:21], v[20:21], v[32:33]
	v_mov_b32_e32 v54, v53
	v_pk_fma_f32 v[26:27], v[24:25], v[16:17], v[20:21] neg_lo:[0,0,1] neg_hi:[0,0,1]
	v_pk_fma_f32 v[16:17], v[24:25], v[16:17], v[20:21]
	v_mov_b32_e32 v20, v29
	v_pk_mov_b32 v[16:17], v[26:27], v[16:17] op_sel:[1,0]
	ds_read2_b64 v[24:27], v133 offset0:111 offset1:112
	v_mov_b32_e32 v30, v52
	v_pk_add_f32 v[14:15], v[14:15], v[16:17] neg_lo:[0,1] neg_hi:[0,1]
	s_waitcnt vmcnt(2)
	v_mov_b32_e32 v17, v74
	v_mov_b32_e32 v74, v73
	s_waitcnt lgkmcnt(0)
	v_mov_b32_e32 v29, v25
	v_mov_b32_e32 v21, v24
	v_pk_mul_f32 v[28:29], v[28:29], v[54:55]
	v_mov_b32_e32 v16, v72
	v_pk_fma_f32 v[32:33], v[20:21], v[30:31], v[28:29] neg_lo:[0,0,1] neg_hi:[0,0,1]
	v_pk_fma_f32 v[20:21], v[20:21], v[30:31], v[28:29]
	v_mov_b32_e32 v28, v25
	v_mov_b32_e32 v25, v19
	;; [unrolled: 1-line block ×3, first 2 shown]
	v_pk_mul_f32 v[24:25], v[24:25], v[74:75]
	v_pk_mov_b32 v[20:21], v[32:33], v[20:21] op_sel:[1,0]
	v_pk_fma_f32 v[30:31], v[28:29], v[16:17], v[24:25] neg_lo:[0,0,1] neg_hi:[0,0,1]
	v_pk_fma_f32 v[16:17], v[28:29], v[16:17], v[24:25]
	v_pk_add_f32 v[14:15], v[14:15], v[20:21] neg_lo:[0,1] neg_hi:[0,1]
	v_pk_mov_b32 v[16:17], v[30:31], v[16:17] op_sel:[1,0]
	s_waitcnt vmcnt(1)
	v_mov_b32_e32 v21, v78
	v_pk_add_f32 v[24:25], v[14:15], v[16:17] neg_lo:[0,1] neg_hi:[0,1]
	ds_read2_b64 v[14:17], v133 offset0:175 offset1:176
	v_mov_b32_e32 v78, v77
	v_mov_b32_e32 v30, v19
	;; [unrolled: 1-line block ×3, first 2 shown]
	s_waitcnt lgkmcnt(0)
	v_mov_b32_e32 v19, v15
	v_mov_b32_e32 v31, v14
	v_pk_mul_f32 v[18:19], v[18:19], v[78:79]
	s_waitcnt vmcnt(0)
	v_mov_b32_e32 v28, v10
	v_mov_b32_e32 v10, v11
	;; [unrolled: 1-line block ×3, first 2 shown]
	v_pk_fma_f32 v[32:33], v[30:31], v[20:21], v[18:19] neg_lo:[0,0,1] neg_hi:[0,0,1]
	v_pk_fma_f32 v[18:19], v[30:31], v[20:21], v[18:19]
	v_mov_b32_e32 v20, v15
	v_mov_b32_e32 v15, v67
	;; [unrolled: 1-line block ×4, first 2 shown]
	v_pk_mul_f32 v[10:11], v[14:15], v[10:11]
	v_pk_mov_b32 v[18:19], v[32:33], v[18:19] op_sel:[1,0]
	v_pk_fma_f32 v[14:15], v[20:21], v[28:29], v[10:11] neg_lo:[0,0,1] neg_hi:[0,0,1]
	v_pk_fma_f32 v[10:11], v[20:21], v[28:29], v[10:11]
	v_pk_add_f32 v[18:19], v[24:25], v[18:19] neg_lo:[0,1] neg_hi:[0,1]
	v_pk_mov_b32 v[10:11], v[14:15], v[10:11] op_sel:[1,0]
	s_nop 0
	v_pk_add_f32 v[14:15], v[18:19], v[10:11] neg_lo:[0,1] neg_hi:[0,1]
	v_mul_f32_e32 v10, v67, v12
	v_fmac_f32_e32 v10, v66, v13
	v_sub_f32_e32 v18, v15, v10
	scratch_load_dwordx4 v[10:13], off, off offset:56
	ds_read2_b64 v[66:69], v133 offset0:239 offset1:240
	scratch_store_dwordx2 off, v[14:15], off offset:120
	s_waitcnt vmcnt(1) lgkmcnt(0)
	v_mul_f32_e32 v15, v67, v11
	v_fma_f32 v15, v66, v10, -v15
	v_mul_f32_e32 v11, v66, v11
	v_fmac_f32_e32 v11, v67, v10
	v_sub_f32_e32 v10, v14, v15
	v_mul_f32_e32 v14, v61, v13
	v_mul_f32_e32 v13, v60, v13
	v_sub_f32_e32 v11, v18, v11
	v_fma_f32 v14, v60, v12, -v14
	v_fmac_f32_e32 v13, v61, v12
	v_sub_f32_e32 v14, v10, v14
	v_sub_f32_e32 v15, v11, v13
	scratch_load_dwordx4 v[10:13], off, off offset:72
	v_mov_b32_e32 v18, 0x978
	ds_read2_b64 v[54:57], v18 offset1:1
	s_waitcnt vmcnt(0) lgkmcnt(0)
	v_mul_f32_e32 v18, v55, v11
	v_fma_f32 v18, v54, v10, -v18
	v_mul_f32_e32 v11, v54, v11
	v_fmac_f32_e32 v11, v55, v10
	v_sub_f32_e32 v10, v14, v18
	v_mul_f32_e32 v14, v59, v13
	v_mul_f32_e32 v13, v58, v13
	v_sub_f32_e32 v11, v15, v11
	v_fma_f32 v14, v58, v12, -v14
	v_fmac_f32_e32 v13, v59, v12
	v_sub_f32_e32 v14, v10, v14
	v_sub_f32_e32 v15, v11, v13
	scratch_load_dwordx4 v[10:13], off, off offset:88
	v_mov_b32_e32 v18, 0xb78
	ds_read2_b64 v[58:61], v18 offset1:1
	s_waitcnt vmcnt(0) lgkmcnt(0)
	v_mul_f32_e32 v18, v59, v11
	v_fma_f32 v18, v58, v10, -v18
	v_mul_f32_e32 v11, v58, v11
	v_fmac_f32_e32 v11, v59, v10
	v_sub_f32_e32 v10, v14, v18
	v_mul_f32_e32 v14, v37, v13
	v_mul_f32_e32 v13, v36, v13
	v_fma_f32 v14, v36, v12, -v14
	v_fmac_f32_e32 v13, v37, v12
	v_mov_b32_e32 v12, 0xd78
	ds_read2_b64 v[30:33], v12 offset1:1
	v_sub_f32_e32 v10, v10, v14
	v_sub_f32_e32 v11, v15, v11
	;; [unrolled: 1-line block ×3, first 2 shown]
	s_waitcnt lgkmcnt(0)
	v_mul_f32_e32 v12, v31, v63
	v_fma_f32 v12, v30, v62, -v12
	v_sub_f32_e32 v10, v10, v12
	v_mul_f32_e32 v12, v35, v9
	v_fma_f32 v12, v34, v8, -v12
	v_mul_f32_e32 v9, v34, v9
	v_fmac_f32_e32 v9, v35, v8
	v_sub_f32_e32 v8, v10, v12
	v_mov_b32_e32 v10, 0xf78
	ds_read2_b64 v[34:37], v10 offset1:1
	v_mul_f32_e32 v13, v30, v63
	v_fmac_f32_e32 v13, v31, v62
	v_sub_f32_e32 v11, v11, v13
	v_sub_f32_e32 v9, v11, v9
	s_waitcnt lgkmcnt(0)
	v_mul_f32_e32 v10, v35, v9
	v_mul_f32_e32 v25, v34, v9
	v_fma_f32 v24, v34, v8, -v10
	v_fmac_f32_e32 v25, v35, v8
	scratch_store_dwordx2 off, v[24:25], off offset:120
	scratch_load_dwordx4 v[52:55], off, off offset:112
	s_waitcnt vmcnt(0)
	ds_write2_b64 v70, v[64:65], v[54:55] offset0:192 offset1:224
	scratch_load_dwordx4 v[8:11], off, off offset:128
	scratch_load_dword v35, off, off offset:4
	ds_read_b128 v[12:15], v133 offset:128
	scratch_load_dwordx4 v[28:31], off, off offset:8
	scratch_load_dwordx4 v[18:21], off, off
	scratch_load_dwordx4 v[62:65], off, off offset:16
	scratch_load_dwordx4 v[70:73], off, off offset:24
	;; [unrolled: 1-line block ×5, first 2 shown]
	s_waitcnt vmcnt(5)
	v_mov_b32_e32 v21, v35
	v_mov_b32_e32 v19, v20
	v_mov_b32_e32 v20, v18
	s_waitcnt lgkmcnt(0)
	v_pk_mul_f32 v[20:21], v[12:13], v[20:21]
	v_mov_b32_e32 v34, v29
	v_sub_f32_e32 v20, v20, v21
	v_sub_f32_e32 v8, v8, v20
	v_mov_b32_e32 v20, v13
	v_mov_b32_e32 v21, v22
	;; [unrolled: 1-line block ×3, first 2 shown]
	v_pk_mul_f32 v[18:19], v[20:21], v[18:19]
	v_mov_b32_e32 v30, v29
	v_mov_b32_e32 v20, v23
	v_mov_b32_e32 v21, v12
	v_pk_fma_f32 v[12:13], v[20:21], v[30:31], v[18:19] op_sel:[0,0,1] op_sel_hi:[1,1,0] neg_lo:[1,0,0] neg_hi:[1,0,0]
	v_pk_fma_f32 v[18:19], v[20:21], v[34:35], v[18:19] op_sel:[0,0,1] op_sel_hi:[1,1,0]
	v_mov_b32_e32 v42, v28
	v_mov_b32_e32 v13, v19
	ds_read_b128 v[18:21], v133 offset:640
	v_mov_b32_e32 v28, v23
	v_pk_add_f32 v[8:9], v[8:9], v[12:13] neg_lo:[0,1] neg_hi:[0,1]
	s_waitcnt vmcnt(4)
	v_mov_b32_e32 v13, v64
	v_mov_b32_e32 v64, v63
	s_waitcnt lgkmcnt(0)
	v_mov_b32_e32 v23, v19
	v_mov_b32_e32 v29, v18
	v_pk_mul_f32 v[22:23], v[22:23], v[30:31]
	v_mov_b32_e32 v12, v62
	v_pk_fma_f32 v[30:31], v[28:29], v[42:43], v[22:23] neg_lo:[0,0,1] neg_hi:[0,0,1]
	v_pk_fma_f32 v[22:23], v[28:29], v[42:43], v[22:23]
	v_mov_b32_e32 v28, v19
	v_mov_b32_e32 v19, v27
	;; [unrolled: 1-line block ×3, first 2 shown]
	v_pk_mul_f32 v[18:19], v[18:19], v[64:65]
	v_pk_mov_b32 v[22:23], v[30:31], v[22:23] op_sel:[1,0]
	v_pk_fma_f32 v[30:31], v[28:29], v[12:13], v[18:19] neg_lo:[0,0,1] neg_hi:[0,0,1]
	v_pk_fma_f32 v[12:13], v[28:29], v[12:13], v[18:19]
	v_pk_add_f32 v[8:9], v[8:9], v[22:23] neg_lo:[0,1] neg_hi:[0,1]
	v_pk_mov_b32 v[12:13], v[30:31], v[12:13] op_sel:[1,0]
	ds_read_b128 v[28:31], v133 offset:1152
	s_waitcnt vmcnt(3)
	v_mov_b32_e32 v23, v72
	v_mov_b32_e32 v72, v71
	;; [unrolled: 1-line block ×4, first 2 shown]
	s_waitcnt lgkmcnt(0)
	v_mov_b32_e32 v27, v29
	v_mov_b32_e32 v19, v28
	v_pk_mul_f32 v[26:27], v[26:27], v[72:73]
	v_pk_add_f32 v[8:9], v[8:9], v[12:13] neg_lo:[0,1] neg_hi:[0,1]
	s_waitcnt vmcnt(2)
	v_mov_b32_e32 v13, v76
	v_mov_b32_e32 v76, v75
	v_pk_fma_f32 v[34:35], v[18:19], v[22:23], v[26:27] neg_lo:[0,0,1] neg_hi:[0,0,1]
	v_pk_fma_f32 v[18:19], v[18:19], v[22:23], v[26:27]
	v_mov_b32_e32 v22, v29
	v_mov_b32_e32 v29, v17
	;; [unrolled: 1-line block ×4, first 2 shown]
	v_pk_mul_f32 v[26:27], v[28:29], v[76:77]
	v_pk_mov_b32 v[18:19], v[34:35], v[18:19] op_sel:[1,0]
	v_pk_fma_f32 v[28:29], v[22:23], v[12:13], v[26:27] neg_lo:[0,0,1] neg_hi:[0,0,1]
	v_pk_fma_f32 v[12:13], v[22:23], v[12:13], v[26:27]
	v_pk_add_f32 v[8:9], v[8:9], v[18:19] neg_lo:[0,1] neg_hi:[0,1]
	v_pk_mov_b32 v[12:13], v[28:29], v[12:13] op_sel:[1,0]
	ds_read_b128 v[26:29], v133 offset:1664
	s_waitcnt vmcnt(1)
	v_mov_b32_e32 v19, v80
	v_mov_b32_e32 v80, v79
	;; [unrolled: 1-line block ×4, first 2 shown]
	s_waitcnt lgkmcnt(0)
	v_mov_b32_e32 v17, v27
	v_mov_b32_e32 v23, v26
	v_pk_mul_f32 v[16:17], v[16:17], v[80:81]
	v_pk_add_f32 v[8:9], v[8:9], v[12:13] neg_lo:[0,1] neg_hi:[0,1]
	v_pk_fma_f32 v[42:43], v[22:23], v[18:19], v[16:17] neg_lo:[0,0,1] neg_hi:[0,0,1]
	v_pk_fma_f32 v[16:17], v[22:23], v[18:19], v[16:17]
	s_waitcnt vmcnt(0)
	v_mov_b32_e32 v34, v83
	v_pk_mov_b32 v[16:17], v[42:43], v[16:17] op_sel:[1,0]
	v_mov_b32_e32 v35, v85
	v_pk_add_f32 v[8:9], v[8:9], v[16:17] neg_lo:[0,1] neg_hi:[0,1]
	v_mov_b32_e32 v16, v27
	v_mov_b32_e32 v27, v69
	;; [unrolled: 1-line block ×5, first 2 shown]
	v_pk_mul_f32 v[18:19], v[26:27], v[34:35]
	ds_read_b128 v[62:65], v133 offset:2176
	v_pk_fma_f32 v[22:23], v[16:17], v[12:13], v[18:19] neg_lo:[0,0,1] neg_hi:[0,0,1]
	v_pk_fma_f32 v[12:13], v[16:17], v[12:13], v[18:19]
	scratch_load_dwordx4 v[16:19], off, off offset:64
	v_pk_mov_b32 v[12:13], v[22:23], v[12:13] op_sel:[1,0]
	v_mov_b32_e32 v43, v14
	v_pk_add_f32 v[8:9], v[8:9], v[12:13] neg_lo:[0,1] neg_hi:[0,1]
	v_mul_f32_e32 v12, v69, v84
	v_fmac_f32_e32 v12, v68, v85
	v_sub_f32_e32 v12, v9, v12
	scratch_store_dwordx2 off, v[8:9], off offset:128
	s_waitcnt vmcnt(1) lgkmcnt(0)
	v_mul_f32_e32 v9, v63, v17
	v_mul_f32_e32 v13, v62, v17
	v_fma_f32 v9, v62, v16, -v9
	v_fmac_f32_e32 v13, v63, v16
	v_sub_f32_e32 v8, v8, v9
	v_sub_f32_e32 v9, v12, v13
	v_mul_f32_e32 v12, v57, v19
	v_mul_f32_e32 v13, v56, v19
	v_fma_f32 v12, v56, v18, -v12
	v_fmac_f32_e32 v13, v57, v18
	scratch_load_dwordx4 v[16:19], off, off offset:80
	ds_read_b128 v[56:59], v133 offset:2688
	v_sub_f32_e32 v8, v8, v12
	v_sub_f32_e32 v9, v9, v13
	s_waitcnt vmcnt(0) lgkmcnt(0)
	v_mul_f32_e32 v12, v57, v17
	v_mul_f32_e32 v13, v56, v17
	v_fma_f32 v12, v56, v16, -v12
	v_fmac_f32_e32 v13, v57, v16
	v_sub_f32_e32 v8, v8, v12
	v_sub_f32_e32 v9, v9, v13
	v_mul_f32_e32 v12, v61, v19
	v_mul_f32_e32 v13, v60, v19
	v_fma_f32 v12, v60, v18, -v12
	v_fmac_f32_e32 v13, v61, v18
	scratch_load_dwordx4 v[16:19], off, off offset:96
	ds_read_b128 v[60:63], v133 offset:3200
	ds_read_b128 v[54:57], v133 offset:3712
	v_sub_f32_e32 v8, v8, v12
	v_sub_f32_e32 v9, v9, v13
	s_waitcnt vmcnt(0) lgkmcnt(1)
	v_mul_f32_e32 v12, v61, v17
	v_mul_f32_e32 v13, v60, v17
	v_fma_f32 v12, v60, v16, -v12
	v_fmac_f32_e32 v13, v61, v16
	v_sub_f32_e32 v8, v8, v12
	v_sub_f32_e32 v9, v9, v13
	v_mul_f32_e32 v12, v33, v19
	v_mul_f32_e32 v13, v32, v19
	v_fma_f32 v12, v32, v18, -v12
	v_fmac_f32_e32 v13, v33, v18
	v_sub_f32_e32 v8, v8, v12
	v_sub_f32_e32 v9, v9, v13
	s_waitcnt lgkmcnt(0)
	v_mul_f32_e32 v12, v55, v53
	v_mul_f32_e32 v13, v54, v53
	v_fma_f32 v12, v54, v52, -v12
	v_fmac_f32_e32 v13, v55, v52
	ds_read_b128 v[52:55], v133 offset:4224
	v_sub_f32_e32 v9, v9, v13
	v_mul_f32_e32 v13, v36, v25
	v_sub_f32_e32 v8, v8, v12
	v_mul_f32_e32 v12, v37, v25
	v_fmac_f32_e32 v13, v37, v24
	v_fma_f32 v12, v36, v24, -v12
	v_sub_f32_e32 v9, v9, v13
	v_sub_f32_e32 v12, v8, v12
	s_waitcnt lgkmcnt(0)
	v_mul_f32_e32 v8, v53, v9
	v_mul_f32_e32 v9, v52, v9
	v_fma_f32 v8, v52, v12, -v8
	v_fmac_f32_e32 v9, v53, v12
	scratch_store_dwordx2 off, v[8:9], off offset:128
	scratch_load_dwordx4 v[34:37], off, off offset:120
	scratch_load_dwordx4 v[22:25], off, off
	scratch_load_dwordx4 v[66:69], off, off offset:16
	scratch_load_dwordx4 v[70:73], off, off offset:24
	;; [unrolled: 1-line block ×3, first 2 shown]
	v_mov_b32_e32 v33, v15
	scratch_load_dwordx4 v[78:81], off, off offset:40
	s_waitcnt vmcnt(4)
	v_pk_mul_f32 v[16:17], v[14:15], v[22:23]
	s_nop 0
	v_sub_f32_e32 v16, v16, v17
	v_sub_f32_e32 v10, v10, v16
	ds_read2_b64 v[16:19], v133 offset0:49 offset1:50
	v_mov_b32_e32 v26, v25
	v_mov_b32_e32 v27, v23
	;; [unrolled: 1-line block ×4, first 2 shown]
	s_waitcnt lgkmcnt(0)
	v_mov_b32_e32 v42, v17
	v_mov_b32_e32 v22, v24
	s_waitcnt vmcnt(3)
	v_mov_b32_e32 v23, v66
	v_mov_b32_e32 v32, v16
	v_pk_mul_f32 v[14:15], v[42:43], v[26:27]
	v_mov_b32_e32 v24, v67
	v_pk_fma_f32 v[26:27], v[16:17], v[22:23], v[14:15] neg_lo:[0,0,1] neg_hi:[0,0,1]
	v_pk_fma_f32 v[12:13], v[32:33], v[12:13], v[14:15]
	v_mov_b32_e32 v14, v21
	v_mov_b32_e32 v27, v13
	;; [unrolled: 1-line block ×4, first 2 shown]
	v_pk_mul_f32 v[12:13], v[12:13], v[22:23]
	v_mov_b32_e32 v15, v16
	v_pk_fma_f32 v[16:17], v[14:15], v[24:25], v[12:13] op_sel:[0,0,1] op_sel_hi:[1,1,0] neg_lo:[1,0,0] neg_hi:[1,0,0]
	v_pk_fma_f32 v[12:13], v[14:15], v[24:25], v[12:13] op_sel:[0,0,1] op_sel_hi:[1,1,0]
	v_pk_add_f32 v[10:11], v[10:11], v[26:27] neg_lo:[0,1] neg_hi:[0,1]
	v_mov_b32_e32 v17, v13
	v_pk_add_f32 v[22:23], v[10:11], v[16:17] neg_lo:[0,1] neg_hi:[0,1]
	scratch_load_dwordx4 v[14:17], off, off offset:48
	ds_read2_b64 v[10:13], v133 offset0:113 offset1:114
	v_mov_b32_e32 v27, v68
	v_mov_b32_e32 v68, v67
	;; [unrolled: 1-line block ×4, first 2 shown]
	s_waitcnt lgkmcnt(0)
	v_mov_b32_e32 v21, v11
	v_pk_mul_f32 v[20:21], v[20:21], v[68:69]
	scratch_load_dwordx4 v[66:69], off, off offset:56
	v_mov_b32_e32 v33, v10
	s_waitcnt vmcnt(4)
	v_mov_b32_e32 v25, v72
	v_mov_b32_e32 v72, v71
	v_pk_fma_f32 v[42:43], v[32:33], v[26:27], v[20:21] neg_lo:[0,0,1] neg_hi:[0,0,1]
	v_pk_fma_f32 v[20:21], v[32:33], v[26:27], v[20:21]
	v_mov_b32_e32 v26, v11
	v_mov_b32_e32 v11, v31
	;; [unrolled: 1-line block ×4, first 2 shown]
	v_pk_mul_f32 v[10:11], v[10:11], v[72:73]
	v_pk_mov_b32 v[20:21], v[42:43], v[20:21] op_sel:[1,0]
	v_pk_fma_f32 v[32:33], v[26:27], v[24:25], v[10:11] neg_lo:[0,0,1] neg_hi:[0,0,1]
	v_pk_fma_f32 v[10:11], v[26:27], v[24:25], v[10:11]
	ds_read2_b64 v[24:27], v133 offset0:177 offset1:178
	v_pk_add_f32 v[20:21], v[22:23], v[20:21] neg_lo:[0,1] neg_hi:[0,1]
	s_waitcnt vmcnt(3)
	v_mov_b32_e32 v23, v76
	v_mov_b32_e32 v76, v75
	v_pk_mov_b32 v[10:11], v[32:33], v[10:11] op_sel:[1,0]
	v_mov_b32_e32 v32, v31
	s_waitcnt lgkmcnt(0)
	v_mov_b32_e32 v31, v25
	v_mov_b32_e32 v22, v74
	;; [unrolled: 1-line block ×3, first 2 shown]
	v_pk_mul_f32 v[30:31], v[30:31], v[76:77]
	v_pk_add_f32 v[10:11], v[20:21], v[10:11] neg_lo:[0,1] neg_hi:[0,1]
	v_pk_fma_f32 v[42:43], v[32:33], v[22:23], v[30:31] neg_lo:[0,0,1] neg_hi:[0,0,1]
	v_pk_fma_f32 v[22:23], v[32:33], v[22:23], v[30:31]
	s_waitcnt vmcnt(2)
	v_mov_b32_e32 v21, v80
	v_pk_mov_b32 v[22:23], v[42:43], v[22:23] op_sel:[1,0]
	v_mov_b32_e32 v80, v79
	v_pk_add_f32 v[10:11], v[10:11], v[22:23] neg_lo:[0,1] neg_hi:[0,1]
	v_mov_b32_e32 v22, v25
	v_mov_b32_e32 v25, v29
	;; [unrolled: 1-line block ×5, first 2 shown]
	s_waitcnt vmcnt(1)
	v_mov_b32_e32 v30, v14
	v_mov_b32_e32 v31, v16
	;; [unrolled: 1-line block ×3, first 2 shown]
	v_pk_mul_f32 v[14:15], v[24:25], v[80:81]
	s_waitcnt vmcnt(0)
	v_mov_b32_e32 v32, v67
	v_pk_fma_f32 v[24:25], v[22:23], v[20:21], v[14:15] neg_lo:[0,0,1] neg_hi:[0,0,1]
	v_pk_fma_f32 v[14:15], v[22:23], v[20:21], v[14:15]
	v_mov_b32_e32 v20, v29
	v_pk_mov_b32 v[14:15], v[24:25], v[14:15] op_sel:[1,0]
	ds_read2_b64 v[22:25], v133 offset0:241 offset1:242
	v_pk_add_f32 v[10:11], v[10:11], v[14:15] neg_lo:[0,1] neg_hi:[0,1]
	v_mov_b32_e32 v33, v69
	v_mov_b32_e32 v14, v66
	;; [unrolled: 1-line block ×3, first 2 shown]
	s_waitcnt lgkmcnt(0)
	v_mov_b32_e32 v29, v23
	v_mov_b32_e32 v21, v22
	v_pk_mul_f32 v[16:17], v[28:29], v[16:17]
	s_nop 0
	v_pk_fma_f32 v[28:29], v[20:21], v[30:31], v[16:17] neg_lo:[0,0,1] neg_hi:[0,0,1]
	v_pk_fma_f32 v[16:17], v[20:21], v[30:31], v[16:17]
	s_nop 0
	v_pk_mov_b32 v[16:17], v[28:29], v[16:17] op_sel:[1,0]
	s_nop 0
	v_pk_add_f32 v[10:11], v[10:11], v[16:17] neg_lo:[0,1] neg_hi:[0,1]
	v_mov_b32_e32 v16, v23
	v_mov_b32_e32 v23, v65
	;; [unrolled: 1-line block ×3, first 2 shown]
	v_pk_mul_f32 v[20:21], v[22:23], v[32:33]
	s_nop 0
	v_pk_fma_f32 v[22:23], v[16:17], v[14:15], v[20:21] neg_lo:[0,0,1] neg_hi:[0,0,1]
	v_pk_fma_f32 v[14:15], v[16:17], v[14:15], v[20:21]
	s_nop 0
	v_pk_mov_b32 v[14:15], v[22:23], v[14:15] op_sel:[1,0]
	s_nop 0
	v_pk_add_f32 v[10:11], v[10:11], v[14:15] neg_lo:[0,1] neg_hi:[0,1]
	v_mul_f32_e32 v14, v65, v68
	v_fmac_f32_e32 v14, v64, v69
	v_sub_f32_e32 v20, v11, v14
	scratch_load_dwordx4 v[14:17], off, off offset:72
	s_nop 0
	scratch_store_dwordx2 off, v[10:11], off offset:136
	v_mov_b32_e32 v11, 0x988
	ds_read2_b64 v[68:71], v11 offset1:1
	s_waitcnt vmcnt(1) lgkmcnt(0)
	v_mul_f32_e32 v11, v69, v15
	v_mul_f32_e32 v15, v68, v15
	v_fma_f32 v11, v68, v14, -v11
	v_fmac_f32_e32 v15, v69, v14
	v_sub_f32_e32 v10, v10, v11
	v_sub_f32_e32 v11, v20, v15
	v_mul_f32_e32 v14, v59, v17
	v_mul_f32_e32 v15, v58, v17
	v_fma_f32 v14, v58, v16, -v14
	v_fmac_f32_e32 v15, v59, v16
	v_sub_f32_e32 v10, v10, v14
	v_sub_f32_e32 v11, v11, v15
	scratch_load_dwordx4 v[14:17], off, off offset:88
	v_mov_b32_e32 v20, 0xb88
	ds_read2_b64 v[58:61], v20 offset1:1
	s_waitcnt vmcnt(0) lgkmcnt(0)
	v_mul_f32_e32 v20, v59, v15
	v_mul_f32_e32 v15, v58, v15
	v_fmac_f32_e32 v15, v59, v14
	v_fma_f32 v20, v58, v14, -v20
	v_sub_f32_e32 v11, v11, v15
	v_mul_f32_e32 v14, v63, v17
	v_mul_f32_e32 v15, v62, v17
	v_sub_f32_e32 v10, v10, v20
	v_fma_f32 v14, v62, v16, -v14
	v_fmac_f32_e32 v15, v63, v16
	v_sub_f32_e32 v10, v10, v14
	v_sub_f32_e32 v11, v11, v15
	scratch_load_dwordx4 v[14:17], off, off offset:104
	v_mov_b32_e32 v20, 0xd88
	ds_read2_b64 v[66:69], v20 offset1:1
	s_waitcnt vmcnt(0) lgkmcnt(0)
	v_mul_f32_e32 v20, v67, v15
	v_mul_f32_e32 v15, v66, v15
	v_fma_f32 v20, v66, v14, -v20
	v_fmac_f32_e32 v15, v67, v14
	v_mul_f32_e32 v14, v57, v17
	v_sub_f32_e32 v10, v10, v20
	v_fma_f32 v14, v56, v16, -v14
	v_sub_f32_e32 v10, v10, v14
	v_mov_b32_e32 v14, 0xf88
	ds_read2_b64 v[30:33], v14 offset1:1
	v_sub_f32_e32 v11, v11, v15
	v_mul_f32_e32 v15, v56, v17
	v_fmac_f32_e32 v15, v57, v16
	v_sub_f32_e32 v11, v11, v15
	s_waitcnt lgkmcnt(0)
	v_mul_f32_e32 v14, v31, v35
	v_fma_f32 v14, v30, v34, -v14
	v_mul_f32_e32 v15, v30, v35
	v_sub_f32_e32 v10, v10, v14
	v_mul_f32_e32 v14, v55, v9
	v_mul_f32_e32 v9, v54, v9
	v_fmac_f32_e32 v15, v31, v34
	v_fma_f32 v14, v54, v8, -v14
	v_fmac_f32_e32 v9, v55, v8
	v_mov_b32_e32 v8, 0x1188
	v_sub_f32_e32 v11, v11, v15
	v_sub_f32_e32 v10, v10, v14
	ds_read2_b64 v[14:17], v8 offset1:1
	v_sub_f32_e32 v9, v11, v9
	v_mov_b32_e32 v66, v19
	s_waitcnt lgkmcnt(0)
	v_mul_f32_e32 v8, v15, v9
	v_mul_f32_e32 v9, v14, v9
	v_fma_f32 v8, v14, v10, -v8
	v_fmac_f32_e32 v9, v15, v10
	scratch_store_dwordx2 off, v[8:9], off offset:136
	scratch_load_dwordx4 v[56:59], off, off offset:128
	s_waitcnt vmcnt(0)
	ds_write2_b64 v120, v[36:37], v[58:59] offset1:32
	scratch_load_dwordx4 v[8:11], off, off offset:144
	scratch_load_dwordx4 v[20:23], off, off
	scratch_load_dword v14, off, off offset:20
	ds_read_b128 v[52:55], v133 offset:144
	scratch_load_dwordx4 v[28:31], off, off offset:24
	scratch_load_dwordx4 v[34:37], off, off offset:16
	;; [unrolled: 1-line block ×4, first 2 shown]
	s_waitcnt vmcnt(2)
	v_mov_b32_e32 v37, v19
	s_waitcnt lgkmcnt(0)
	v_mov_b32_e32 v67, v52
	v_mov_b32_e32 v43, v53
	scratch_load_dwordx4 v[76:79], off, off offset:56
	v_mul_f32_e32 v15, v53, v21
	v_fma_f32 v15, v52, v20, -v15
	v_mov_b32_e32 v59, v20
	v_mov_b32_e32 v20, v23
	v_mov_b32_e32 v58, v22
	v_pk_mul_f32 v[20:21], v[66:67], v[20:21]
	v_sub_f32_e32 v8, v8, v15
	v_mov_b32_e32 v35, v22
	v_mov_b32_e32 v15, v23
	v_pk_fma_f32 v[22:23], v[18:19], v[22:23], v[20:21] neg_lo:[0,0,1] neg_hi:[0,0,1]
	v_pk_fma_f32 v[20:21], v[42:43], v[58:59], v[20:21]
	v_mov_b32_e32 v59, v18
	v_mov_b32_e32 v23, v21
	v_pk_add_f32 v[8:9], v[8:9], v[22:23] neg_lo:[0,1] neg_hi:[0,1]
	ds_read_b128 v[20:23], v133 offset:656
	v_mov_b32_e32 v42, v34
	v_mov_b32_e32 v43, v36
	;; [unrolled: 1-line block ×4, first 2 shown]
	s_waitcnt lgkmcnt(0)
	v_mov_b32_e32 v58, v21
	v_mov_b32_e32 v36, v20
	v_pk_mul_f32 v[14:15], v[58:59], v[14:15]
	s_nop 0
	v_pk_fma_f32 v[18:19], v[20:21], v[42:43], v[14:15] neg_lo:[0,0,1] neg_hi:[0,0,1]
	v_pk_fma_f32 v[14:15], v[36:37], v[34:35], v[14:15]
	scratch_load_dwordx4 v[34:37], off, off offset:48
	v_mov_b32_e32 v19, v15
	v_pk_add_f32 v[8:9], v[8:9], v[18:19] neg_lo:[0,1] neg_hi:[0,1]
	v_mov_b32_e32 v18, v21
	v_mov_b32_e32 v19, v12
	;; [unrolled: 1-line block ×4, first 2 shown]
	v_pk_mul_f32 v[18:19], v[18:19], v[42:43]
	v_mov_b32_e32 v30, v29
	v_mov_b32_e32 v28, v13
	;; [unrolled: 1-line block ×3, first 2 shown]
	v_pk_fma_f32 v[20:21], v[28:29], v[52:53], v[18:19] op_sel:[0,0,1] op_sel_hi:[1,1,0] neg_lo:[1,0,0] neg_hi:[1,0,0]
	v_pk_fma_f32 v[18:19], v[28:29], v[52:53], v[18:19] op_sel:[0,0,1] op_sel_hi:[1,1,0]
	v_mov_b32_e32 v42, v13
	v_mov_b32_e32 v21, v19
	v_pk_add_f32 v[8:9], v[8:9], v[20:21] neg_lo:[0,1] neg_hi:[0,1]
	ds_read_b128 v[18:21], v133 offset:1168
	s_waitcnt vmcnt(3)
	v_mov_b32_e32 v29, v64
	v_mov_b32_e32 v64, v63
	;; [unrolled: 1-line block ×3, first 2 shown]
	s_waitcnt lgkmcnt(0)
	v_mov_b32_e32 v13, v19
	v_mov_b32_e32 v43, v18
	v_pk_mul_f32 v[12:13], v[12:13], v[30:31]
	s_nop 0
	v_pk_fma_f32 v[30:31], v[42:43], v[14:15], v[12:13] neg_lo:[0,0,1] neg_hi:[0,0,1]
	v_pk_fma_f32 v[12:13], v[42:43], v[14:15], v[12:13]
	s_waitcnt vmcnt(2)
	v_mov_b32_e32 v43, v74
	v_pk_mov_b32 v[12:13], v[30:31], v[12:13] op_sel:[1,0]
	v_mov_b32_e32 v30, v19
	v_pk_add_f32 v[8:9], v[8:9], v[12:13] neg_lo:[0,1] neg_hi:[0,1]
	scratch_load_dwordx4 v[12:15], off, off offset:64
	v_mov_b32_e32 v19, v27
	v_mov_b32_e32 v31, v26
	v_pk_mul_f32 v[18:19], v[18:19], v[64:65]
	v_mov_b32_e32 v74, v73
	v_pk_fma_f32 v[52:53], v[30:31], v[28:29], v[18:19] neg_lo:[0,0,1] neg_hi:[0,0,1]
	v_pk_fma_f32 v[18:19], v[30:31], v[28:29], v[18:19]
	ds_read_b128 v[28:31], v133 offset:1680
	v_pk_mov_b32 v[18:19], v[52:53], v[18:19] op_sel:[1,0]
	v_mov_b32_e32 v52, v27
	v_mov_b32_e32 v42, v72
	v_pk_add_f32 v[8:9], v[8:9], v[18:19] neg_lo:[0,1] neg_hi:[0,1]
	s_waitcnt lgkmcnt(0)
	v_mov_b32_e32 v27, v29
	v_mov_b32_e32 v53, v28
	v_pk_mul_f32 v[26:27], v[26:27], v[74:75]
	ds_read_b128 v[64:67], v133 offset:3216
	s_waitcnt vmcnt(1)
	v_mov_b32_e32 v18, v34
	v_mov_b32_e32 v19, v36
	;; [unrolled: 1-line block ×3, first 2 shown]
	v_pk_fma_f32 v[34:35], v[52:53], v[42:43], v[26:27] neg_lo:[0,0,1] neg_hi:[0,0,1]
	v_pk_fma_f32 v[26:27], v[52:53], v[42:43], v[26:27]
	s_nop 0
	v_pk_mov_b32 v[26:27], v[34:35], v[26:27] op_sel:[1,0]
	v_mov_b32_e32 v34, v29
	v_mov_b32_e32 v29, v25
	;; [unrolled: 1-line block ×3, first 2 shown]
	v_pk_mul_f32 v[28:29], v[28:29], v[36:37]
	v_pk_add_f32 v[8:9], v[8:9], v[26:27] neg_lo:[0,1] neg_hi:[0,1]
	v_pk_fma_f32 v[36:37], v[34:35], v[18:19], v[28:29] neg_lo:[0,0,1] neg_hi:[0,0,1]
	v_pk_fma_f32 v[18:19], v[34:35], v[18:19], v[28:29]
	v_mov_b32_e32 v27, v78
	v_pk_mov_b32 v[18:19], v[36:37], v[18:19] op_sel:[1,0]
	ds_read_b128 v[34:37], v133 offset:2192
	v_mov_b32_e32 v78, v77
	v_mov_b32_e32 v28, v25
	v_mov_b32_e32 v26, v76
	v_pk_add_f32 v[8:9], v[8:9], v[18:19] neg_lo:[0,1] neg_hi:[0,1]
	s_waitcnt lgkmcnt(0)
	v_mov_b32_e32 v25, v35
	v_mov_b32_e32 v29, v34
	v_pk_mul_f32 v[24:25], v[24:25], v[78:79]
	s_waitcnt vmcnt(0)
	v_mov_b32_e32 v18, v12
	v_pk_fma_f32 v[42:43], v[28:29], v[26:27], v[24:25] neg_lo:[0,0,1] neg_hi:[0,0,1]
	v_pk_fma_f32 v[24:25], v[28:29], v[26:27], v[24:25]
	v_mov_b32_e32 v12, v13
	v_pk_mov_b32 v[24:25], v[42:43], v[24:25] op_sel:[1,0]
	v_mov_b32_e32 v13, v15
	v_pk_add_f32 v[8:9], v[8:9], v[24:25] neg_lo:[0,1] neg_hi:[0,1]
	v_mov_b32_e32 v24, v35
	v_mov_b32_e32 v35, v71
	;; [unrolled: 1-line block ×4, first 2 shown]
	v_pk_mul_f32 v[12:13], v[34:35], v[12:13]
	v_mov_b32_e32 v42, v23
	v_pk_fma_f32 v[26:27], v[24:25], v[18:19], v[12:13] neg_lo:[0,0,1] neg_hi:[0,0,1]
	v_pk_fma_f32 v[12:13], v[24:25], v[18:19], v[12:13]
	s_nop 0
	v_pk_mov_b32 v[12:13], v[26:27], v[12:13] op_sel:[1,0]
	s_nop 0
	v_pk_add_f32 v[8:9], v[8:9], v[12:13] neg_lo:[0,1] neg_hi:[0,1]
	v_mul_f32_e32 v12, v71, v14
	v_fmac_f32_e32 v12, v70, v15
	v_sub_f32_e32 v18, v9, v12
	scratch_load_dwordx4 v[12:15], off, off offset:80
	ds_read_b128 v[70:73], v133 offset:2704
	scratch_store_dwordx2 off, v[8:9], off offset:144
	s_waitcnt vmcnt(1) lgkmcnt(0)
	v_mul_f32_e32 v9, v71, v13
	v_mul_f32_e32 v13, v70, v13
	v_fma_f32 v9, v70, v12, -v9
	v_fmac_f32_e32 v13, v71, v12
	v_sub_f32_e32 v8, v8, v9
	v_sub_f32_e32 v9, v18, v13
	v_mul_f32_e32 v12, v61, v15
	v_mul_f32_e32 v13, v60, v15
	v_fma_f32 v12, v60, v14, -v12
	v_fmac_f32_e32 v13, v61, v14
	v_sub_f32_e32 v8, v8, v12
	v_sub_f32_e32 v9, v9, v13
	scratch_load_dwordx4 v[12:15], off, off offset:96
	ds_read_b128 v[58:61], v133 offset:3728
	s_waitcnt vmcnt(0)
	v_mul_f32_e32 v18, v65, v13
	v_mul_f32_e32 v13, v64, v13
	v_fmac_f32_e32 v13, v65, v12
	v_fma_f32 v18, v64, v12, -v18
	v_sub_f32_e32 v9, v9, v13
	v_mul_f32_e32 v12, v69, v15
	v_mul_f32_e32 v13, v68, v15
	v_sub_f32_e32 v8, v8, v18
	v_fma_f32 v12, v68, v14, -v12
	v_fmac_f32_e32 v13, v69, v14
	v_sub_f32_e32 v8, v8, v12
	v_sub_f32_e32 v9, v9, v13
	scratch_load_dwordx4 v[12:15], off, off offset:112
	ds_read_b128 v[68:71], v133 offset:4752
	s_waitcnt vmcnt(0) lgkmcnt(1)
	v_mul_f32_e32 v18, v59, v13
	v_mul_f32_e32 v13, v58, v13
	v_fmac_f32_e32 v13, v59, v12
	v_fma_f32 v18, v58, v12, -v18
	v_sub_f32_e32 v9, v9, v13
	v_mul_f32_e32 v12, v33, v15
	v_mul_f32_e32 v13, v32, v15
	v_fma_f32 v12, v32, v14, -v12
	v_fmac_f32_e32 v13, v33, v14
	ds_read_b128 v[32:35], v133 offset:4240
	v_sub_f32_e32 v8, v8, v18
	v_sub_f32_e32 v8, v8, v12
	;; [unrolled: 1-line block ×3, first 2 shown]
	s_waitcnt lgkmcnt(0)
	v_mul_f32_e32 v12, v33, v57
	v_mul_f32_e32 v13, v32, v57
	v_fma_f32 v12, v32, v56, -v12
	v_fmac_f32_e32 v13, v33, v56
	v_sub_f32_e32 v12, v8, v12
	v_sub_f32_e32 v13, v9, v13
	scratch_load_dwordx2 v[8:9], off, off offset:136
	s_waitcnt vmcnt(0)
	v_mul_f32_e32 v14, v17, v9
	v_mul_f32_e32 v9, v16, v9
	v_fmac_f32_e32 v9, v17, v8
	v_fma_f32 v14, v16, v8, -v14
	v_sub_f32_e32 v9, v13, v9
	v_sub_f32_e32 v12, v12, v14
	v_mul_f32_e32 v8, v69, v9
	v_mul_f32_e32 v9, v68, v9
	v_fma_f32 v8, v68, v12, -v8
	v_fmac_f32_e32 v9, v69, v12
	scratch_store_dwordx2 off, v[8:9], off offset:144
	scratch_load_dwordx4 v[62:65], off, off offset:136
	scratch_load_dwordx4 v[12:15], off, off
	scratch_load_dwordx4 v[24:27], off, off offset:16
	scratch_load_dwordx4 v[56:59], off, off offset:40
	;; [unrolled: 1-line block ×4, first 2 shown]
	s_waitcnt vmcnt(4)
	v_mul_f32_e32 v16, v55, v13
	v_mul_f32_e32 v13, v54, v13
	v_fma_f32 v16, v54, v12, -v16
	v_fmac_f32_e32 v13, v55, v12
	scratch_load_dwordx4 v[52:55], off, off offset:32
	v_sub_f32_e32 v10, v10, v16
	ds_read2_b64 v[16:19], v133 offset0:51 offset1:52
	v_mov_b32_e32 v33, v14
	s_waitcnt vmcnt(4)
	v_mov_b32_e32 v28, v26
	v_mov_b32_e32 v29, v24
	;; [unrolled: 1-line block ×3, first 2 shown]
	s_waitcnt lgkmcnt(0)
	v_mul_f32_e32 v12, v17, v15
	v_fma_f32 v12, v16, v14, -v12
	v_mov_b32_e32 v43, v16
	v_mov_b32_e32 v14, v25
	v_pk_add_f32 v[10:11], v[10:11], v[12:13] neg_lo:[0,1] neg_hi:[0,1]
	v_mov_b32_e32 v12, v22
	v_mov_b32_e32 v13, v17
	v_pk_mul_f32 v[14:15], v[42:43], v[14:15]
	v_mov_b32_e32 v24, v27
	v_pk_fma_f32 v[16:17], v[22:23], v[28:29], v[14:15] op_sel:[0,1,0] op_sel_hi:[1,0,1] neg_lo:[0,0,1] neg_hi:[0,0,1]
	v_pk_fma_f32 v[12:13], v[12:13], v[32:33], v[14:15]
	v_mov_b32_e32 v43, v22
	v_mov_b32_e32 v17, v13
	v_pk_add_f32 v[14:15], v[10:11], v[16:17] neg_lo:[0,1] neg_hi:[0,1]
	ds_read2_b64 v[10:13], v133 offset0:115 offset1:116
	v_mov_b32_e32 v16, v26
	v_mov_b32_e32 v33, v23
	s_waitcnt lgkmcnt(0)
	v_mov_b32_e32 v42, v11
	v_mov_b32_e32 v32, v10
	v_pk_mul_f32 v[22:23], v[42:43], v[24:25]
	s_waitcnt vmcnt(0)
	v_mov_b32_e32 v17, v52
	v_pk_fma_f32 v[24:25], v[10:11], v[16:17], v[22:23] neg_lo:[0,0,1] neg_hi:[0,0,1]
	v_pk_fma_f32 v[22:23], v[32:33], v[28:29], v[22:23]
	v_mov_b32_e32 v26, v53
	v_mov_b32_e32 v25, v23
	;; [unrolled: 1-line block ×4, first 2 shown]
	v_pk_add_f32 v[14:15], v[14:15], v[24:25] neg_lo:[0,1] neg_hi:[0,1]
	v_pk_mul_f32 v[16:17], v[22:23], v[16:17]
	scratch_load_dwordx4 v[22:25], off, off offset:56
	v_mov_b32_e32 v32, v21
	v_mov_b32_e32 v33, v10
	v_pk_fma_f32 v[10:11], v[32:33], v[26:27], v[16:17] op_sel:[0,0,1] op_sel_hi:[1,1,0] neg_lo:[1,0,0] neg_hi:[1,0,0]
	v_pk_fma_f32 v[16:17], v[32:33], v[26:27], v[16:17] op_sel:[0,0,1] op_sel_hi:[1,1,0]
	v_mov_b32_e32 v29, v54
	v_mov_b32_e32 v11, v17
	v_pk_add_f32 v[10:11], v[14:15], v[10:11] neg_lo:[0,1] neg_hi:[0,1]
	ds_read2_b64 v[14:17], v133 offset0:179 offset1:180
	v_mov_b32_e32 v54, v53
	v_mov_b32_e32 v28, v52
	;; [unrolled: 1-line block ×4, first 2 shown]
	s_waitcnt lgkmcnt(0)
	v_mov_b32_e32 v21, v15
	v_pk_mul_f32 v[20:21], v[20:21], v[54:55]
	scratch_load_dwordx4 v[52:55], off, off offset:72
	v_mov_b32_e32 v33, v14
	v_pk_fma_f32 v[42:43], v[32:33], v[28:29], v[20:21] neg_lo:[0,0,1] neg_hi:[0,0,1]
	v_pk_fma_f32 v[20:21], v[32:33], v[28:29], v[20:21]
	v_mov_b32_e32 v28, v15
	v_mov_b32_e32 v15, v31
	;; [unrolled: 1-line block ×4, first 2 shown]
	v_pk_mul_f32 v[14:15], v[14:15], v[58:59]
	v_pk_mov_b32 v[20:21], v[42:43], v[20:21] op_sel:[1,0]
	v_pk_fma_f32 v[32:33], v[28:29], v[26:27], v[14:15] neg_lo:[0,0,1] neg_hi:[0,0,1]
	v_pk_fma_f32 v[14:15], v[28:29], v[26:27], v[14:15]
	ds_read2_b64 v[26:29], v133 offset0:243 offset1:244
	v_pk_add_f32 v[10:11], v[10:11], v[20:21] neg_lo:[0,1] neg_hi:[0,1]
	v_mov_b32_e32 v21, v76
	v_mov_b32_e32 v76, v75
	v_pk_mov_b32 v[14:15], v[32:33], v[14:15] op_sel:[1,0]
	v_mov_b32_e32 v32, v31
	s_waitcnt lgkmcnt(0)
	v_mov_b32_e32 v31, v27
	v_mov_b32_e32 v20, v74
	v_pk_add_f32 v[10:11], v[10:11], v[14:15] neg_lo:[0,1] neg_hi:[0,1]
	v_mov_b32_e32 v33, v26
	v_mov_b32_e32 v42, v13
	s_waitcnt vmcnt(1)
	v_mov_b32_e32 v14, v22
	v_mov_b32_e32 v15, v24
	;; [unrolled: 1-line block ×3, first 2 shown]
	v_pk_mul_f32 v[22:23], v[30:31], v[76:77]
	s_nop 0
	v_pk_fma_f32 v[30:31], v[32:33], v[20:21], v[22:23] neg_lo:[0,0,1] neg_hi:[0,0,1]
	v_pk_fma_f32 v[20:21], v[32:33], v[20:21], v[22:23]
	v_mov_b32_e32 v22, v27
	v_mov_b32_e32 v27, v37
	;; [unrolled: 1-line block ×3, first 2 shown]
	v_pk_mul_f32 v[24:25], v[26:27], v[24:25]
	v_pk_mov_b32 v[20:21], v[30:31], v[20:21] op_sel:[1,0]
	v_pk_fma_f32 v[26:27], v[22:23], v[14:15], v[24:25] neg_lo:[0,0,1] neg_hi:[0,0,1]
	v_pk_fma_f32 v[14:15], v[22:23], v[14:15], v[24:25]
	v_pk_add_f32 v[10:11], v[10:11], v[20:21] neg_lo:[0,1] neg_hi:[0,1]
	v_pk_mov_b32 v[14:15], v[26:27], v[14:15] op_sel:[1,0]
	v_mov_b32_e32 v21, v80
	v_pk_add_f32 v[10:11], v[10:11], v[14:15] neg_lo:[0,1] neg_hi:[0,1]
	v_mov_b32_e32 v14, 0x998
	ds_read2_b64 v[30:33], v14 offset1:1
	v_mov_b32_e32 v80, v79
	v_mov_b32_e32 v22, v37
	;; [unrolled: 1-line block ×3, first 2 shown]
	s_waitcnt vmcnt(0)
	v_mov_b32_e32 v24, v53
	s_waitcnt lgkmcnt(0)
	v_mov_b32_e32 v37, v31
	v_mov_b32_e32 v23, v30
	v_pk_mul_f32 v[26:27], v[36:37], v[80:81]
	v_mov_b32_e32 v25, v55
	v_pk_fma_f32 v[36:37], v[22:23], v[20:21], v[26:27] neg_lo:[0,0,1] neg_hi:[0,0,1]
	v_pk_fma_f32 v[20:21], v[22:23], v[20:21], v[26:27]
	v_mov_b32_e32 v14, v52
	v_pk_mov_b32 v[20:21], v[36:37], v[20:21] op_sel:[1,0]
	v_mov_b32_e32 v15, v54
	v_pk_add_f32 v[10:11], v[10:11], v[20:21] neg_lo:[0,1] neg_hi:[0,1]
	v_mov_b32_e32 v20, v31
	v_mov_b32_e32 v31, v73
	;; [unrolled: 1-line block ×3, first 2 shown]
	v_pk_mul_f32 v[22:23], v[30:31], v[24:25]
	s_nop 0
	v_pk_fma_f32 v[24:25], v[20:21], v[14:15], v[22:23] neg_lo:[0,0,1] neg_hi:[0,0,1]
	v_pk_fma_f32 v[14:15], v[20:21], v[14:15], v[22:23]
	scratch_load_dwordx4 v[20:23], off, off offset:88
	v_pk_mov_b32 v[14:15], v[24:25], v[14:15] op_sel:[1,0]
	s_nop 0
	v_pk_add_f32 v[10:11], v[10:11], v[14:15] neg_lo:[0,1] neg_hi:[0,1]
	v_mul_f32_e32 v14, v73, v54
	v_fmac_f32_e32 v14, v72, v55
	v_sub_f32_e32 v14, v11, v14
	scratch_store_dwordx2 off, v[10:11], off offset:152
	v_mov_b32_e32 v11, 0xb98
	ds_read2_b64 v[72:75], v11 offset1:1
	s_waitcnt vmcnt(1) lgkmcnt(0)
	v_mul_f32_e32 v11, v73, v21
	v_mul_f32_e32 v15, v72, v21
	v_fma_f32 v11, v72, v20, -v11
	v_fmac_f32_e32 v15, v73, v20
	v_sub_f32_e32 v10, v10, v11
	v_sub_f32_e32 v11, v14, v15
	v_mul_f32_e32 v14, v67, v23
	v_mul_f32_e32 v15, v66, v23
	v_fma_f32 v14, v66, v22, -v14
	v_fmac_f32_e32 v15, v67, v22
	scratch_load_dwordx4 v[20:23], off, off offset:104
	v_sub_f32_e32 v10, v10, v14
	v_mov_b32_e32 v14, 0xd98
	ds_read2_b64 v[56:59], v14 offset1:1
	v_sub_f32_e32 v11, v11, v15
	s_waitcnt vmcnt(0) lgkmcnt(0)
	v_mul_f32_e32 v14, v57, v21
	v_mul_f32_e32 v15, v56, v21
	v_fma_f32 v14, v56, v20, -v14
	v_fmac_f32_e32 v15, v57, v20
	v_sub_f32_e32 v10, v10, v14
	v_sub_f32_e32 v11, v11, v15
	v_mul_f32_e32 v14, v61, v23
	v_mul_f32_e32 v15, v60, v23
	v_fma_f32 v14, v60, v22, -v14
	v_fmac_f32_e32 v15, v61, v22
	scratch_load_dwordx4 v[20:23], off, off offset:120
	v_sub_f32_e32 v10, v10, v14
	v_mov_b32_e32 v14, 0xf98
	ds_read2_b64 v[66:69], v14 offset1:1
	v_sub_f32_e32 v11, v11, v15
	s_waitcnt vmcnt(0) lgkmcnt(0)
	v_mul_f32_e32 v14, v67, v21
	v_fma_f32 v14, v66, v20, -v14
	v_mul_f32_e32 v15, v66, v21
	v_sub_f32_e32 v10, v10, v14
	v_mul_f32_e32 v14, v35, v23
	v_fmac_f32_e32 v15, v67, v20
	v_fma_f32 v14, v34, v22, -v14
	v_sub_f32_e32 v11, v11, v15
	v_mul_f32_e32 v15, v34, v23
	v_sub_f32_e32 v10, v10, v14
	v_mov_b32_e32 v14, 0x1198
	v_fmac_f32_e32 v15, v35, v22
	ds_read2_b64 v[34:37], v14 offset1:1
	v_sub_f32_e32 v11, v11, v15
	s_waitcnt lgkmcnt(0)
	v_mul_f32_e32 v14, v35, v63
	v_fma_f32 v14, v34, v62, -v14
	v_sub_f32_e32 v10, v10, v14
	v_mul_f32_e32 v14, v71, v9
	v_mul_f32_e32 v9, v70, v9
	v_fma_f32 v14, v70, v8, -v14
	v_fmac_f32_e32 v9, v71, v8
	v_mov_b32_e32 v8, 0x1398
	ds_read2_b64 v[20:23], v8 offset1:1
	v_mul_f32_e32 v15, v34, v63
	v_fmac_f32_e32 v15, v35, v62
	v_sub_f32_e32 v11, v11, v15
	v_sub_f32_e32 v9, v11, v9
	;; [unrolled: 1-line block ×3, first 2 shown]
	s_waitcnt lgkmcnt(0)
	v_mul_f32_e32 v8, v21, v9
	v_mul_f32_e32 v9, v20, v9
	v_fma_f32 v8, v20, v10, -v8
	v_fmac_f32_e32 v9, v21, v10
	scratch_store_dwordx2 off, v[8:9], off offset:152
	scratch_load_dwordx4 v[52:55], off, off offset:144
	s_waitcnt vmcnt(0)
	ds_write2_b64 v120, v[64:65], v[54:55] offset0:64 offset1:96
	scratch_load_dwordx4 v[8:11], off, off offset:160
	scratch_load_dwordx4 v[24:27], off, off
	ds_read_b128 v[64:67], v133 offset:160
	s_waitcnt vmcnt(0) lgkmcnt(0)
	v_mul_f32_e32 v14, v65, v25
	v_fma_f32 v14, v64, v24, -v14
	v_mul_f32_e32 v15, v64, v25
	v_sub_f32_e32 v8, v8, v14
	v_mul_f32_e32 v14, v19, v27
	v_mul_f32_e32 v25, v18, v27
	v_fma_f32 v14, v18, v26, -v14
	v_fmac_f32_e32 v25, v19, v26
	scratch_load_dwordx4 v[18:21], off, off offset:16
	scratch_load_dword v30, off, off offset:36
	v_fmac_f32_e32 v15, v65, v24
	ds_read_b128 v[62:65], v133 offset:672
	v_pk_add_f32 v[8:9], v[8:9], v[14:15] neg_lo:[0,1] neg_hi:[0,1]
	s_waitcnt lgkmcnt(0)
	v_mov_b32_e32 v43, v62
	v_mov_b32_e32 v15, v63
	s_waitcnt vmcnt(1)
	v_mul_f32_e32 v14, v63, v19
	v_fma_f32 v24, v62, v18, -v14
	v_pk_add_f32 v[8:9], v[8:9], v[24:25] neg_lo:[0,1] neg_hi:[0,1]
	scratch_load_dwordx4 v[54:57], off, off offset:40
	scratch_load_dwordx4 v[24:27], off, off offset:32
	v_mov_b32_e32 v35, v18
	v_mov_b32_e32 v18, v21
	;; [unrolled: 1-line block ×4, first 2 shown]
	v_pk_mul_f32 v[18:19], v[42:43], v[18:19]
	s_waitcnt vmcnt(0)
	v_mov_b32_e32 v25, v20
	v_mov_b32_e32 v31, v21
	v_pk_fma_f32 v[20:21], v[12:13], v[20:21], v[18:19] neg_lo:[0,0,1] neg_hi:[0,0,1]
	v_pk_fma_f32 v[14:15], v[14:15], v[34:35], v[18:19]
	v_mov_b32_e32 v43, v12
	v_mov_b32_e32 v21, v15
	v_pk_add_f32 v[8:9], v[8:9], v[20:21] neg_lo:[0,1] neg_hi:[0,1]
	ds_read_b128 v[18:21], v133 offset:1184
	v_mov_b32_e32 v27, v13
	v_mov_b32_e32 v35, v30
	scratch_load_dwordx4 v[70:73], off, off offset:48
	scratch_load_dwordx4 v[76:79], off, off offset:56
	s_waitcnt lgkmcnt(0)
	v_mov_b32_e32 v42, v19
	v_pk_mul_f32 v[12:13], v[42:43], v[30:31]
	scratch_load_dwordx4 v[80:83], off, off offset:72
	ds_read_b128 v[60:63], v133 offset:2208
	v_mov_b32_e32 v34, v55
	v_mov_b32_e32 v14, v24
	;; [unrolled: 1-line block ×4, first 2 shown]
	v_pk_fma_f32 v[30:31], v[18:19], v[14:15], v[12:13] neg_lo:[0,0,1] neg_hi:[0,0,1]
	v_pk_fma_f32 v[12:13], v[26:27], v[24:25], v[12:13]
	v_mov_b32_e32 v26, v17
	v_mov_b32_e32 v31, v13
	;; [unrolled: 1-line block ×4, first 2 shown]
	v_pk_mul_f32 v[24:25], v[12:13], v[14:15]
	v_mov_b32_e32 v27, v18
	v_pk_fma_f32 v[18:19], v[26:27], v[34:35], v[24:25] op_sel:[0,0,1] op_sel_hi:[1,1,0] neg_lo:[1,0,0] neg_hi:[1,0,0]
	v_pk_fma_f32 v[24:25], v[26:27], v[34:35], v[24:25] op_sel:[0,0,1] op_sel_hi:[1,1,0]
	scratch_load_dwordx4 v[12:15], off, off offset:64
	v_mov_b32_e32 v19, v25
	ds_read_b128 v[24:27], v133 offset:1696
	v_pk_add_f32 v[8:9], v[8:9], v[30:31] neg_lo:[0,1] neg_hi:[0,1]
	v_mov_b32_e32 v31, v56
	v_mov_b32_e32 v56, v55
	v_pk_add_f32 v[8:9], v[8:9], v[18:19] neg_lo:[0,1] neg_hi:[0,1]
	v_mov_b32_e32 v18, v17
	s_waitcnt lgkmcnt(0)
	v_mov_b32_e32 v17, v25
	v_mov_b32_e32 v30, v54
	v_mov_b32_e32 v19, v24
	v_pk_mul_f32 v[16:17], v[16:17], v[56:57]
	s_waitcnt vmcnt(3)
	v_mov_b32_e32 v35, v72
	v_pk_fma_f32 v[42:43], v[18:19], v[30:31], v[16:17] neg_lo:[0,0,1] neg_hi:[0,0,1]
	v_pk_fma_f32 v[16:17], v[18:19], v[30:31], v[16:17]
	v_mov_b32_e32 v72, v71
	v_pk_mov_b32 v[16:17], v[42:43], v[16:17] op_sel:[1,0]
	v_mov_b32_e32 v42, v25
	v_pk_add_f32 v[8:9], v[8:9], v[16:17] neg_lo:[0,1] neg_hi:[0,1]
	scratch_load_dwordx4 v[16:19], off, off offset:80
	v_mov_b32_e32 v25, v29
	v_mov_b32_e32 v34, v70
	v_mov_b32_e32 v43, v28
	v_pk_mul_f32 v[24:25], v[24:25], v[72:73]
	s_waitcnt vmcnt(3)
	v_mov_b32_e32 v31, v78
	v_pk_fma_f32 v[54:55], v[42:43], v[34:35], v[24:25] neg_lo:[0,0,1] neg_hi:[0,0,1]
	v_pk_fma_f32 v[24:25], v[42:43], v[34:35], v[24:25]
	v_mov_b32_e32 v78, v77
	v_pk_mov_b32 v[24:25], v[54:55], v[24:25] op_sel:[1,0]
	v_mov_b32_e32 v34, v29
	v_mov_b32_e32 v29, v61
	ds_read_b128 v[54:57], v133 offset:2720
	v_mov_b32_e32 v30, v76
	v_pk_add_f32 v[8:9], v[8:9], v[24:25] neg_lo:[0,1] neg_hi:[0,1]
	v_mov_b32_e32 v35, v60
	v_mov_b32_e32 v42, v21
	s_waitcnt vmcnt(1)
	v_mov_b32_e32 v24, v12
	v_mov_b32_e32 v25, v14
	;; [unrolled: 1-line block ×3, first 2 shown]
	v_pk_mul_f32 v[12:13], v[28:29], v[78:79]
	s_nop 0
	v_pk_fma_f32 v[28:29], v[34:35], v[30:31], v[12:13] neg_lo:[0,0,1] neg_hi:[0,0,1]
	v_pk_fma_f32 v[12:13], v[34:35], v[30:31], v[12:13]
	s_nop 0
	v_pk_mov_b32 v[12:13], v[28:29], v[12:13] op_sel:[1,0]
	v_mov_b32_e32 v28, v61
	v_mov_b32_e32 v61, v33
	;; [unrolled: 1-line block ×3, first 2 shown]
	v_pk_mul_f32 v[14:15], v[60:61], v[14:15]
	v_pk_add_f32 v[8:9], v[8:9], v[12:13] neg_lo:[0,1] neg_hi:[0,1]
	v_mov_b32_e32 v13, v82
	v_mov_b32_e32 v82, v81
	v_pk_fma_f32 v[30:31], v[28:29], v[24:25], v[14:15] neg_lo:[0,0,1] neg_hi:[0,0,1]
	v_pk_fma_f32 v[14:15], v[28:29], v[24:25], v[14:15]
	v_mov_b32_e32 v24, v33
	s_waitcnt lgkmcnt(0)
	v_mov_b32_e32 v33, v55
	v_mov_b32_e32 v12, v80
	;; [unrolled: 1-line block ×3, first 2 shown]
	v_pk_mul_f32 v[28:29], v[32:33], v[82:83]
	v_pk_mov_b32 v[14:15], v[30:31], v[14:15] op_sel:[1,0]
	v_pk_fma_f32 v[30:31], v[24:25], v[12:13], v[28:29] neg_lo:[0,0,1] neg_hi:[0,0,1]
	v_pk_fma_f32 v[12:13], v[24:25], v[12:13], v[28:29]
	v_pk_add_f32 v[8:9], v[8:9], v[14:15] neg_lo:[0,1] neg_hi:[0,1]
	v_pk_mov_b32 v[12:13], v[30:31], v[12:13] op_sel:[1,0]
	s_waitcnt vmcnt(0)
	v_mov_b32_e32 v14, v16
	v_mov_b32_e32 v16, v17
	;; [unrolled: 1-line block ×3, first 2 shown]
	v_pk_add_f32 v[8:9], v[8:9], v[12:13] neg_lo:[0,1] neg_hi:[0,1]
	v_mov_b32_e32 v12, v55
	v_mov_b32_e32 v55, v75
	;; [unrolled: 1-line block ×4, first 2 shown]
	v_pk_mul_f32 v[16:17], v[54:55], v[16:17]
	s_nop 0
	v_pk_fma_f32 v[24:25], v[12:13], v[14:15], v[16:17] neg_lo:[0,0,1] neg_hi:[0,0,1]
	v_pk_fma_f32 v[12:13], v[12:13], v[14:15], v[16:17]
	s_nop 0
	v_pk_mov_b32 v[12:13], v[24:25], v[12:13] op_sel:[1,0]
	s_nop 0
	v_pk_add_f32 v[8:9], v[8:9], v[12:13] neg_lo:[0,1] neg_hi:[0,1]
	v_mul_f32_e32 v12, v75, v18
	v_fmac_f32_e32 v12, v74, v19
	v_sub_f32_e32 v9, v9, v12
	scratch_load_dwordx4 v[12:15], off, off offset:96
	ds_read_b128 v[72:75], v133 offset:3232
	s_waitcnt vmcnt(0) lgkmcnt(0)
	v_mul_f32_e32 v16, v73, v13
	v_mul_f32_e32 v13, v72, v13
	v_fmac_f32_e32 v13, v73, v12
	v_fma_f32 v16, v72, v12, -v16
	v_sub_f32_e32 v9, v9, v13
	v_mul_f32_e32 v12, v59, v15
	v_mul_f32_e32 v13, v58, v15
	v_sub_f32_e32 v8, v8, v16
	v_fma_f32 v12, v58, v14, -v12
	v_fmac_f32_e32 v13, v59, v14
	v_sub_f32_e32 v8, v8, v12
	v_sub_f32_e32 v9, v9, v13
	scratch_load_dwordx4 v[12:15], off, off offset:112
	ds_read_b128 v[70:73], v133 offset:3744
	ds_read_b128 v[58:61], v133 offset:4768
	s_waitcnt vmcnt(0) lgkmcnt(1)
	v_mul_f32_e32 v16, v71, v13
	v_mul_f32_e32 v13, v70, v13
	v_fmac_f32_e32 v13, v71, v12
	v_fma_f32 v16, v70, v12, -v16
	v_sub_f32_e32 v9, v9, v13
	v_mul_f32_e32 v12, v69, v15
	v_mul_f32_e32 v13, v68, v15
	v_sub_f32_e32 v8, v8, v16
	v_fma_f32 v12, v68, v14, -v12
	v_fmac_f32_e32 v13, v69, v14
	v_sub_f32_e32 v8, v8, v12
	v_sub_f32_e32 v9, v9, v13
	scratch_load_dwordx4 v[12:15], off, off offset:128
	ds_read_b128 v[68:71], v133 offset:4256
	s_waitcnt vmcnt(0) lgkmcnt(0)
	v_mul_f32_e32 v16, v69, v13
	v_mul_f32_e32 v13, v68, v13
	v_fmac_f32_e32 v13, v69, v12
	v_fma_f32 v16, v68, v12, -v16
	v_sub_f32_e32 v9, v9, v13
	v_mul_f32_e32 v12, v37, v15
	v_mul_f32_e32 v13, v36, v15
	v_sub_f32_e32 v8, v8, v16
	v_fma_f32 v12, v36, v14, -v12
	v_fmac_f32_e32 v13, v37, v14
	v_sub_f32_e32 v8, v8, v12
	v_sub_f32_e32 v9, v9, v13
	v_mul_f32_e32 v12, v59, v53
	v_mul_f32_e32 v13, v58, v53
	v_fma_f32 v12, v58, v52, -v12
	v_fmac_f32_e32 v13, v59, v52
	v_sub_f32_e32 v12, v8, v12
	v_sub_f32_e32 v13, v9, v13
	scratch_load_dwordx2 v[8:9], off, off offset:152
	ds_read_b128 v[52:55], v133 offset:5280
	s_waitcnt vmcnt(0)
	v_mul_f32_e32 v14, v23, v9
	v_mul_f32_e32 v9, v22, v9
	v_fmac_f32_e32 v9, v23, v8
	v_fma_f32 v14, v22, v8, -v14
	v_sub_f32_e32 v9, v13, v9
	v_sub_f32_e32 v12, v12, v14
	s_waitcnt lgkmcnt(0)
	v_mul_f32_e32 v8, v53, v9
	v_mul_f32_e32 v9, v52, v9
	v_fma_f32 v8, v52, v12, -v8
	v_fmac_f32_e32 v9, v53, v12
	scratch_store_dwordx2 off, v[8:9], off offset:160
	scratch_load_dwordx4 v[30:33], off, off offset:152
	scratch_load_dwordx4 v[12:15], off, off
	ds_read2_b64 v[22:25], v133 offset0:53 offset1:54
	ds_read2_b64 v[34:37], v133 offset0:117 offset1:118
	scratch_load_dwordx4 v[76:79], off, off offset:56
	scratch_load_dwordx4 v[80:83], off, off offset:80
	v_mov_b32_e32 v53, v20
	s_waitcnt lgkmcnt(0)
	v_mov_b32_e32 v43, v34
	s_waitcnt vmcnt(2)
	v_mul_f32_e32 v9, v66, v13
	v_mul_f32_e32 v8, v67, v13
	v_fmac_f32_e32 v9, v67, v12
	v_fma_f32 v8, v66, v12, -v8
	v_sub_f32_e32 v17, v11, v9
	v_mul_f32_e32 v9, v23, v15
	v_sub_f32_e32 v8, v10, v8
	v_fma_f32 v9, v22, v14, -v9
	v_sub_f32_e32 v16, v8, v9
	scratch_load_dwordx4 v[8:11], off, off offset:16
	v_mul_f32_e32 v19, v22, v15
	v_fmac_f32_e32 v19, v23, v14
	s_waitcnt vmcnt(0)
	v_mul_f32_e32 v12, v65, v9
	v_fma_f32 v18, v64, v8, -v12
	scratch_load_dwordx4 v[12:15], off, off offset:32
	v_mul_f32_e32 v9, v64, v9
	v_fmac_f32_e32 v9, v65, v8
	scratch_load_dwordx4 v[64:67], off, off offset:48
	v_mul_f32_e32 v8, v35, v11
	v_pk_add_f32 v[16:17], v[16:17], v[18:19] neg_lo:[0,1] neg_hi:[0,1]
	v_fma_f32 v8, v34, v10, -v8
	v_mov_b32_e32 v19, v10
	v_pk_add_f32 v[8:9], v[16:17], v[8:9] neg_lo:[0,1] neg_hi:[0,1]
	v_mov_b32_e32 v16, v20
	v_mov_b32_e32 v17, v35
	s_waitcnt vmcnt(1)
	v_mov_b32_e32 v10, v13
	v_mov_b32_e32 v18, v12
	v_pk_mul_f32 v[10:11], v[42:43], v[10:11]
	v_mov_b32_e32 v23, v12
	v_mov_b32_e32 v29, v13
	v_pk_fma_f32 v[12:13], v[20:21], v[12:13], v[10:11] neg_lo:[0,0,1] neg_hi:[0,0,1]
	v_pk_fma_f32 v[10:11], v[16:17], v[18:19], v[10:11]
	ds_read2_b64 v[16:19], v133 offset0:181 offset1:182
	v_mov_b32_e32 v13, v11
	v_pk_add_f32 v[8:9], v[8:9], v[12:13] neg_lo:[0,1] neg_hi:[0,1]
	scratch_load_dwordx4 v[10:13], off, off offset:64
	v_mov_b32_e32 v28, v15
	s_waitcnt lgkmcnt(0)
	v_mov_b32_e32 v52, v17
	v_mov_b32_e32 v22, v14
	;; [unrolled: 1-line block ×3, first 2 shown]
	s_waitcnt vmcnt(1)
	v_mov_b32_e32 v35, v64
	v_mov_b32_e32 v42, v16
	v_mov_b32_e32 v43, v21
	v_pk_mul_f32 v[20:21], v[52:53], v[28:29]
	v_mov_b32_e32 v14, v65
	v_pk_fma_f32 v[28:29], v[16:17], v[34:35], v[20:21] neg_lo:[0,0,1] neg_hi:[0,0,1]
	v_pk_fma_f32 v[20:21], v[42:43], v[22:23], v[20:21]
	v_mov_b32_e32 v42, v27
	v_mov_b32_e32 v29, v21
	;; [unrolled: 1-line block ×4, first 2 shown]
	v_pk_mul_f32 v[34:35], v[20:21], v[34:35]
	scratch_load_dwordx4 v[20:23], off, off offset:72
	v_mov_b32_e32 v43, v16
	v_pk_fma_f32 v[16:17], v[42:43], v[14:15], v[34:35] op_sel:[0,0,1] op_sel_hi:[1,1,0] neg_lo:[1,0,0] neg_hi:[1,0,0]
	v_pk_fma_f32 v[14:15], v[42:43], v[14:15], v[34:35] op_sel:[0,0,1] op_sel_hi:[1,1,0]
	v_pk_add_f32 v[8:9], v[8:9], v[28:29] neg_lo:[0,1] neg_hi:[0,1]
	v_mov_b32_e32 v17, v15
	v_pk_add_f32 v[8:9], v[8:9], v[16:17] neg_lo:[0,1] neg_hi:[0,1]
	ds_read2_b64 v[14:17], v133 offset0:245 offset1:246
	v_mov_b32_e32 v29, v66
	v_mov_b32_e32 v66, v65
	;; [unrolled: 1-line block ×4, first 2 shown]
	s_waitcnt lgkmcnt(0)
	v_mov_b32_e32 v27, v15
	v_mov_b32_e32 v43, v14
	v_pk_mul_f32 v[26:27], v[26:27], v[66:67]
	v_mov_b32_e32 v78, v77
	v_pk_fma_f32 v[52:53], v[42:43], v[28:29], v[26:27] neg_lo:[0,0,1] neg_hi:[0,0,1]
	v_pk_fma_f32 v[26:27], v[42:43], v[28:29], v[26:27]
	v_mov_b32_e32 v34, v76
	v_pk_mov_b32 v[26:27], v[52:53], v[26:27] op_sel:[1,0]
	v_mov_b32_e32 v52, v15
	v_pk_add_f32 v[8:9], v[8:9], v[26:27] neg_lo:[0,1] neg_hi:[0,1]
	scratch_load_dwordx4 v[26:29], off, off offset:88
	v_mov_b32_e32 v15, v63
	v_mov_b32_e32 v53, v62
	s_waitcnt vmcnt(2)
	v_mov_b32_e32 v42, v10
	v_mov_b32_e32 v43, v12
	;; [unrolled: 1-line block ×3, first 2 shown]
	v_pk_mul_f32 v[10:11], v[14:15], v[78:79]
	s_nop 0
	v_pk_fma_f32 v[14:15], v[52:53], v[34:35], v[10:11] neg_lo:[0,0,1] neg_hi:[0,0,1]
	v_pk_fma_f32 v[10:11], v[52:53], v[34:35], v[10:11]
	v_mov_b32_e32 v52, v63
	v_pk_mov_b32 v[10:11], v[14:15], v[10:11] op_sel:[1,0]
	s_waitcnt vmcnt(1)
	v_mov_b32_e32 v34, v20
	v_pk_add_f32 v[14:15], v[8:9], v[10:11] neg_lo:[0,1] neg_hi:[0,1]
	v_mov_b32_e32 v8, 0x9a8
	ds_read2_b64 v[8:11], v8 offset1:1
	v_mov_b32_e32 v35, v22
	v_mov_b32_e32 v22, v21
	s_waitcnt lgkmcnt(0)
	v_mov_b32_e32 v63, v9
	v_mov_b32_e32 v53, v8
	v_pk_mul_f32 v[12:13], v[62:63], v[12:13]
	s_nop 0
	v_pk_fma_f32 v[20:21], v[52:53], v[42:43], v[12:13] neg_lo:[0,0,1] neg_hi:[0,0,1]
	v_pk_fma_f32 v[12:13], v[52:53], v[42:43], v[12:13]
	s_nop 0
	v_pk_mov_b32 v[12:13], v[20:21], v[12:13] op_sel:[1,0]
	v_mov_b32_e32 v21, v82
	v_pk_add_f32 v[12:13], v[14:15], v[12:13] neg_lo:[0,1] neg_hi:[0,1]
	v_mov_b32_e32 v14, v9
	v_mov_b32_e32 v9, v57
	;; [unrolled: 1-line block ×3, first 2 shown]
	v_pk_mul_f32 v[8:9], v[8:9], v[22:23]
	v_mov_b32_e32 v82, v81
	v_pk_fma_f32 v[22:23], v[14:15], v[34:35], v[8:9] neg_lo:[0,0,1] neg_hi:[0,0,1]
	v_pk_fma_f32 v[8:9], v[14:15], v[34:35], v[8:9]
	v_mov_b32_e32 v34, v57
	v_pk_mov_b32 v[8:9], v[22:23], v[8:9] op_sel:[1,0]
	v_mov_b32_e32 v20, v80
	v_pk_add_f32 v[8:9], v[12:13], v[8:9] neg_lo:[0,1] neg_hi:[0,1]
	v_mov_b32_e32 v12, 0xba8
	ds_read2_b64 v[12:15], v12 offset1:1
	s_waitcnt vmcnt(0)
	v_mov_b32_e32 v22, v26
	v_mov_b32_e32 v26, v27
	;; [unrolled: 1-line block ×4, first 2 shown]
	s_waitcnt lgkmcnt(0)
	v_mov_b32_e32 v57, v13
	v_mov_b32_e32 v35, v12
	v_pk_mul_f32 v[42:43], v[56:57], v[82:83]
	s_nop 0
	v_pk_fma_f32 v[52:53], v[34:35], v[20:21], v[42:43] neg_lo:[0,0,1] neg_hi:[0,0,1]
	v_pk_fma_f32 v[20:21], v[34:35], v[20:21], v[42:43]
	v_mov_b32_e32 v42, v19
	v_pk_mov_b32 v[20:21], v[52:53], v[20:21] op_sel:[1,0]
	s_nop 0
	v_pk_add_f32 v[8:9], v[8:9], v[20:21] neg_lo:[0,1] neg_hi:[0,1]
	v_mov_b32_e32 v20, v13
	v_mov_b32_e32 v13, v75
	;; [unrolled: 1-line block ×3, first 2 shown]
	v_pk_mul_f32 v[12:13], v[12:13], v[26:27]
	s_nop 0
	v_pk_fma_f32 v[26:27], v[20:21], v[22:23], v[12:13] neg_lo:[0,0,1] neg_hi:[0,0,1]
	v_pk_fma_f32 v[12:13], v[20:21], v[22:23], v[12:13]
	scratch_load_dwordx4 v[20:23], off, off offset:104
	v_pk_mov_b32 v[12:13], v[26:27], v[12:13] op_sel:[1,0]
	s_nop 0
	v_pk_add_f32 v[8:9], v[8:9], v[12:13] neg_lo:[0,1] neg_hi:[0,1]
	v_mul_f32_e32 v12, v75, v28
	v_fmac_f32_e32 v12, v74, v29
	v_sub_f32_e32 v12, v9, v12
	scratch_store_dwordx2 off, v[8:9], off offset:168
	v_mov_b32_e32 v9, 0xda8
	ds_read2_b64 v[64:67], v9 offset1:1
	s_waitcnt vmcnt(1) lgkmcnt(0)
	v_mul_f32_e32 v9, v65, v21
	v_mul_f32_e32 v13, v64, v21
	v_fma_f32 v9, v64, v20, -v9
	v_fmac_f32_e32 v13, v65, v20
	v_sub_f32_e32 v8, v8, v9
	v_sub_f32_e32 v9, v12, v13
	v_mul_f32_e32 v12, v73, v23
	v_mul_f32_e32 v13, v72, v23
	v_fma_f32 v12, v72, v22, -v12
	v_fmac_f32_e32 v13, v73, v22
	scratch_load_dwordx4 v[20:23], off, off offset:120
	v_sub_f32_e32 v8, v8, v12
	v_mov_b32_e32 v12, 0xfa8
	ds_read2_b64 v[56:59], v12 offset1:1
	v_sub_f32_e32 v9, v9, v13
	s_waitcnt vmcnt(0) lgkmcnt(0)
	v_mul_f32_e32 v12, v57, v21
	v_mul_f32_e32 v13, v56, v21
	v_fma_f32 v12, v56, v20, -v12
	v_fmac_f32_e32 v13, v57, v20
	v_sub_f32_e32 v8, v8, v12
	v_sub_f32_e32 v9, v9, v13
	v_mul_f32_e32 v12, v71, v23
	v_mul_f32_e32 v13, v70, v23
	v_fma_f32 v12, v70, v22, -v12
	v_fmac_f32_e32 v13, v71, v22
	scratch_load_dwordx4 v[20:23], off, off offset:136
	v_sub_f32_e32 v8, v8, v12
	v_mov_b32_e32 v12, 0x11a8
	ds_read2_b64 v[68:71], v12 offset1:1
	v_sub_f32_e32 v9, v9, v13
	s_waitcnt vmcnt(0) lgkmcnt(0)
	v_mul_f32_e32 v12, v69, v21
	v_fma_f32 v12, v68, v20, -v12
	v_sub_f32_e32 v8, v8, v12
	v_mul_f32_e32 v12, v61, v23
	v_fma_f32 v12, v60, v22, -v12
	v_sub_f32_e32 v8, v8, v12
	v_mov_b32_e32 v12, 0x13a8
	ds_read2_b64 v[26:29], v12 offset1:1
	v_mul_f32_e32 v13, v68, v21
	v_fmac_f32_e32 v13, v69, v20
	v_sub_f32_e32 v9, v9, v13
	v_mul_f32_e32 v13, v60, v23
	v_fmac_f32_e32 v13, v61, v22
	v_sub_f32_e32 v9, v9, v13
	s_waitcnt lgkmcnt(0)
	v_mul_f32_e32 v12, v27, v31
	v_mul_f32_e32 v13, v26, v31
	v_fma_f32 v12, v26, v30, -v12
	v_fmac_f32_e32 v13, v27, v30
	v_sub_f32_e32 v12, v8, v12
	v_sub_f32_e32 v13, v9, v13
	scratch_load_dwordx2 v[8:9], off, off offset:160
	s_waitcnt vmcnt(0)
	v_mul_f32_e32 v20, v55, v9
	v_mul_f32_e32 v9, v54, v9
	v_fma_f32 v20, v54, v8, -v20
	v_fmac_f32_e32 v9, v55, v8
	v_mov_b32_e32 v8, 0x15a8
	ds_read2_b64 v[52:55], v8 offset1:1
	v_sub_f32_e32 v9, v13, v9
	v_sub_f32_e32 v12, v12, v20
	s_waitcnt lgkmcnt(0)
	v_mul_f32_e32 v8, v53, v9
	v_mul_f32_e32 v9, v52, v9
	v_fma_f32 v8, v52, v12, -v8
	v_fmac_f32_e32 v9, v53, v12
	scratch_store_dwordx2 off, v[8:9], off offset:168
	scratch_load_dwordx4 v[78:81], off, off offset:160
	v_mov_b32_e32 v53, v18
	s_waitcnt vmcnt(0)
	ds_write2_b64 v120, v[32:33], v[80:81] offset0:128 offset1:160
	scratch_load_dwordx2 v[8:9], off, off offset:176
	scratch_load_dwordx4 v[30:33], off, off
	ds_read_b128 v[20:23], v133 offset:176
	s_waitcnt vmcnt(0) lgkmcnt(0)
	v_mul_f32_e32 v12, v21, v31
	v_mul_f32_e32 v13, v20, v31
	v_fma_f32 v12, v20, v30, -v12
	v_fmac_f32_e32 v13, v21, v30
	v_sub_f32_e32 v8, v8, v12
	v_sub_f32_e32 v9, v9, v13
	v_mul_f32_e32 v12, v25, v33
	v_mul_f32_e32 v13, v24, v33
	v_fma_f32 v12, v24, v32, -v12
	v_fmac_f32_e32 v13, v25, v32
	scratch_load_dwordx4 v[30:33], off, off offset:16
	ds_read_b128 v[24:27], v133 offset:688
	v_sub_f32_e32 v8, v8, v12
	v_sub_f32_e32 v9, v9, v13
	s_waitcnt vmcnt(0) lgkmcnt(0)
	v_mul_f32_e32 v12, v25, v31
	v_fma_f32 v12, v24, v30, -v12
	v_mul_f32_e32 v13, v24, v31
	v_sub_f32_e32 v8, v8, v12
	v_mul_f32_e32 v12, v37, v33
	v_mul_f32_e32 v21, v36, v33
	v_fmac_f32_e32 v13, v25, v30
	v_fma_f32 v12, v36, v32, -v12
	v_fmac_f32_e32 v21, v37, v32
	scratch_load_dwordx4 v[30:33], off, off offset:32
	scratch_load_dword v24, off, off offset:52
	ds_read_b128 v[62:65], v133 offset:1200
	scratch_load_dwordx4 v[34:37], off, off offset:56
	scratch_load_dwordx4 v[80:83], off, off offset:48
	v_pk_add_f32 v[8:9], v[8:9], v[12:13] neg_lo:[0,1] neg_hi:[0,1]
	ds_read_b128 v[74:77], v133 offset:1712
	ds_read_b128 v[86:89], v133 offset:2224
	s_waitcnt lgkmcnt(2)
	v_mov_b32_e32 v43, v62
	v_mov_b32_e32 v13, v63
	scratch_load_dwordx4 v[90:93], off, off offset:64
	s_waitcnt lgkmcnt(1)
	v_mov_b32_e32 v52, v75
	ds_read_b128 v[96:99], v133 offset:3248
	ds_read_b128 v[108:111], v133 offset:4784
	;; [unrolled: 1-line block ×4, first 2 shown]
	s_waitcnt vmcnt(4)
	v_mul_f32_e32 v12, v63, v31
	v_fma_f32 v20, v62, v30, -v12
	v_pk_add_f32 v[8:9], v[8:9], v[20:21] neg_lo:[0,1] neg_hi:[0,1]
	v_mov_b32_e32 v21, v30
	v_mov_b32_e32 v30, v33
	;; [unrolled: 1-line block ×4, first 2 shown]
	v_pk_mul_f32 v[30:31], v[42:43], v[30:31]
	s_waitcnt vmcnt(1)
	v_mov_b32_e32 v81, v32
	v_mov_b32_e32 v25, v33
	v_pk_fma_f32 v[32:33], v[18:19], v[32:33], v[30:31] neg_lo:[0,0,1] neg_hi:[0,0,1]
	v_pk_fma_f32 v[12:13], v[12:13], v[20:21], v[30:31]
	v_mov_b32_e32 v20, v74
	v_mov_b32_e32 v33, v13
	v_pk_add_f32 v[8:9], v[8:9], v[32:33] neg_lo:[0,1] neg_hi:[0,1]
	scratch_load_dwordx4 v[30:33], off, off offset:72
	v_mov_b32_e32 v12, v80
	v_mov_b32_e32 v13, v82
	;; [unrolled: 1-line block ×3, first 2 shown]
	v_pk_mul_f32 v[18:19], v[52:53], v[24:25]
	v_mov_b32_e32 v43, v24
	v_pk_fma_f32 v[24:25], v[74:75], v[12:13], v[18:19] neg_lo:[0,0,1] neg_hi:[0,0,1]
	v_pk_fma_f32 v[18:19], v[20:21], v[80:81], v[18:19]
	scratch_load_dwordx4 v[60:63], off, off offset:88
	v_mov_b32_e32 v25, v19
	v_mov_b32_e32 v18, v75
	;; [unrolled: 1-line block ×3, first 2 shown]
	v_pk_mul_f32 v[12:13], v[18:19], v[12:13]
	scratch_load_dwordx4 v[18:21], off, off offset:80
	v_mov_b32_e32 v42, v35
	v_pk_add_f32 v[8:9], v[8:9], v[24:25] neg_lo:[0,1] neg_hi:[0,1]
	v_mov_b32_e32 v24, v34
	v_mov_b32_e32 v25, v36
	;; [unrolled: 1-line block ×5, first 2 shown]
	s_waitcnt lgkmcnt(4)
	v_mov_b32_e32 v17, v87
	v_pk_fma_f32 v[52:53], v[34:35], v[42:43], v[12:13] op_sel:[0,0,1] op_sel_hi:[1,1,0] neg_lo:[1,0,0] neg_hi:[1,0,0]
	v_pk_fma_f32 v[12:13], v[34:35], v[42:43], v[12:13] op_sel:[0,0,1] op_sel_hi:[1,1,0]
	v_mov_b32_e32 v35, v86
	v_pk_mul_f32 v[16:17], v[16:17], v[36:37]
	v_mov_b32_e32 v53, v13
	v_pk_fma_f32 v[36:37], v[34:35], v[24:25], v[16:17] neg_lo:[0,0,1] neg_hi:[0,0,1]
	v_pk_fma_f32 v[16:17], v[34:35], v[24:25], v[16:17]
	v_pk_add_f32 v[8:9], v[8:9], v[52:53] neg_lo:[0,1] neg_hi:[0,1]
	v_pk_mov_b32 v[16:17], v[36:37], v[16:17] op_sel:[1,0]
	scratch_load_dwordx4 v[34:37], off, off offset:96
	s_waitcnt vmcnt(4)
	v_mov_b32_e32 v13, v92
	v_mov_b32_e32 v92, v91
	;; [unrolled: 1-line block ×5, first 2 shown]
	v_pk_add_f32 v[8:9], v[8:9], v[16:17] neg_lo:[0,1] neg_hi:[0,1]
	v_mov_b32_e32 v25, v10
	scratch_load_dwordx4 v[72:75], off, off offset:128
	s_waitcnt vmcnt(4)
	v_mov_b32_e32 v16, v30
	v_mov_b32_e32 v17, v32
	;; [unrolled: 1-line block ×3, first 2 shown]
	v_pk_mul_f32 v[30:31], v[86:87], v[92:93]
	ds_read_b128 v[90:93], v133 offset:2736
	v_pk_fma_f32 v[42:43], v[24:25], v[12:13], v[30:31] neg_lo:[0,0,1] neg_hi:[0,0,1]
	v_pk_fma_f32 v[12:13], v[24:25], v[12:13], v[30:31]
	v_mov_b32_e32 v24, v11
	v_pk_mov_b32 v[12:13], v[42:43], v[12:13] op_sel:[1,0]
	s_waitcnt lgkmcnt(0)
	v_mov_b32_e32 v11, v91
	v_mov_b32_e32 v25, v90
	v_pk_mul_f32 v[10:11], v[10:11], v[32:33]
	v_pk_add_f32 v[8:9], v[8:9], v[12:13] neg_lo:[0,1] neg_hi:[0,1]
	s_waitcnt vmcnt(2)
	v_mov_b32_e32 v12, v18
	v_mov_b32_e32 v13, v20
	v_mov_b32_e32 v20, v19
	v_pk_fma_f32 v[18:19], v[24:25], v[16:17], v[10:11] neg_lo:[0,0,1] neg_hi:[0,0,1]
	v_pk_fma_f32 v[10:11], v[24:25], v[16:17], v[10:11]
	v_mov_b32_e32 v16, v91
	v_mov_b32_e32 v91, v15
	v_pk_mov_b32 v[10:11], v[18:19], v[10:11] op_sel:[1,0]
	v_mov_b32_e32 v17, v14
	v_pk_mul_f32 v[18:19], v[90:91], v[20:21]
	v_pk_add_f32 v[8:9], v[8:9], v[10:11] neg_lo:[0,1] neg_hi:[0,1]
	v_mov_b32_e32 v11, v62
	v_mov_b32_e32 v62, v61
	v_pk_fma_f32 v[20:21], v[16:17], v[12:13], v[18:19] neg_lo:[0,0,1] neg_hi:[0,0,1]
	v_pk_fma_f32 v[12:13], v[16:17], v[12:13], v[18:19]
	v_mov_b32_e32 v16, v15
	v_mov_b32_e32 v15, v97
	;; [unrolled: 1-line block ×4, first 2 shown]
	v_pk_mul_f32 v[14:15], v[14:15], v[62:63]
	v_pk_mov_b32 v[12:13], v[20:21], v[12:13] op_sel:[1,0]
	v_pk_fma_f32 v[20:21], v[16:17], v[10:11], v[14:15] neg_lo:[0,0,1] neg_hi:[0,0,1]
	v_pk_fma_f32 v[10:11], v[16:17], v[10:11], v[14:15]
	v_pk_add_f32 v[8:9], v[8:9], v[12:13] neg_lo:[0,1] neg_hi:[0,1]
	v_pk_mov_b32 v[10:11], v[20:21], v[10:11] op_sel:[1,0]
	s_waitcnt vmcnt(1)
	v_mov_b32_e32 v18, v35
	v_mov_b32_e32 v19, v37
	v_pk_add_f32 v[8:9], v[8:9], v[10:11] neg_lo:[0,1] neg_hi:[0,1]
	v_mov_b32_e32 v10, v97
	v_mov_b32_e32 v97, v67
	;; [unrolled: 1-line block ×5, first 2 shown]
	v_pk_mul_f32 v[14:15], v[96:97], v[18:19]
	scratch_load_dwordx4 v[60:63], off, off offset:144
	v_pk_fma_f32 v[16:17], v[10:11], v[12:13], v[14:15] neg_lo:[0,0,1] neg_hi:[0,0,1]
	v_pk_fma_f32 v[10:11], v[10:11], v[12:13], v[14:15]
	s_nop 0
	v_pk_mov_b32 v[10:11], v[16:17], v[10:11] op_sel:[1,0]
	s_nop 0
	v_pk_add_f32 v[8:9], v[8:9], v[10:11] neg_lo:[0,1] neg_hi:[0,1]
	v_mul_f32_e32 v10, v67, v36
	v_fmac_f32_e32 v10, v66, v37
	v_sub_f32_e32 v9, v9, v10
	scratch_load_dwordx4 v[10:13], off, off offset:112
	ds_read_b128 v[66:69], v133 offset:3760
	s_waitcnt vmcnt(0) lgkmcnt(0)
	v_mul_f32_e32 v14, v67, v11
	v_mul_f32_e32 v15, v66, v11
	v_fma_f32 v14, v66, v10, -v14
	v_fmac_f32_e32 v15, v67, v10
	v_sub_f32_e32 v8, v8, v14
	v_sub_f32_e32 v9, v9, v15
	v_mul_f32_e32 v14, v59, v13
	v_mul_f32_e32 v15, v58, v13
	v_fma_f32 v14, v58, v12, -v14
	v_fmac_f32_e32 v15, v59, v12
	ds_read_b128 v[56:59], v133 offset:4272
	v_sub_f32_e32 v8, v8, v14
	v_sub_f32_e32 v9, v9, v15
	s_waitcnt lgkmcnt(0)
	v_mul_f32_e32 v14, v57, v73
	v_mul_f32_e32 v15, v56, v73
	v_fma_f32 v14, v56, v72, -v14
	v_fmac_f32_e32 v15, v57, v72
	v_sub_f32_e32 v8, v8, v14
	v_sub_f32_e32 v9, v9, v15
	v_mul_f32_e32 v14, v71, v75
	v_mul_f32_e32 v15, v70, v75
	v_fma_f32 v14, v70, v74, -v14
	v_fmac_f32_e32 v15, v71, v74
	v_sub_f32_e32 v8, v8, v14
	v_sub_f32_e32 v9, v9, v15
	;; [unrolled: 6-line block ×5, first 2 shown]
	scratch_load_dwordx2 v[8:9], off, off offset:168
	v_mov_b32_e32 v78, v77
	v_mov_b32_e32 v56, v76
	s_waitcnt vmcnt(0)
	v_mul_f32_e32 v16, v55, v9
	v_mul_f32_e32 v9, v54, v9
	v_fmac_f32_e32 v9, v55, v8
	v_fma_f32 v16, v54, v8, -v16
	v_sub_f32_e32 v9, v15, v9
	v_sub_f32_e32 v8, v14, v16
	v_mul_f32_e32 v14, v117, v9
	v_mul_f32_e32 v43, v116, v9
	v_fma_f32 v42, v116, v8, -v14
	v_fmac_f32_e32 v43, v117, v8
	scratch_store_dwordx2 off, v[42:43], off offset:176
	scratch_load_dwordx4 v[52:55], off, off offset:168
	scratch_load_dwordx2 v[8:9], off, off
	scratch_load_dwordx4 v[34:37], off, off
	scratch_load_dwordx4 v[30:33], off, off offset:24
	ds_read2_b64 v[106:109], v133 offset0:55 offset1:56
	s_waitcnt vmcnt(2)
	v_mul_f32_e32 v14, v23, v9
	v_mul_f32_e32 v9, v22, v9
	v_fma_f32 v14, v22, v8, -v14
	v_fmac_f32_e32 v9, v23, v8
	scratch_load_dwordx4 v[22:25], off, off offset:8
	v_sub_f32_e32 v7, v7, v9
	s_waitcnt vmcnt(2) lgkmcnt(0)
	v_mul_f32_e32 v8, v107, v37
	v_mul_f32_e32 v9, v106, v37
	v_sub_f32_e32 v6, v6, v14
	v_fma_f32 v8, v106, v36, -v8
	v_fmac_f32_e32 v9, v107, v36
	v_sub_f32_e32 v6, v6, v8
	v_sub_f32_e32 v7, v7, v9
	ds_read2_b64 v[104:107], v133 offset0:119 offset1:120
	s_waitcnt vmcnt(0)
	v_mul_f32_e32 v8, v27, v25
	v_mul_f32_e32 v9, v26, v25
	v_fma_f32 v8, v26, v24, -v8
	v_fmac_f32_e32 v9, v27, v24
	scratch_load_dwordx4 v[24:27], off, off offset:16
	v_sub_f32_e32 v6, v6, v8
	v_sub_f32_e32 v7, v7, v9
	s_waitcnt vmcnt(0) lgkmcnt(0)
	v_mul_f32_e32 v8, v105, v27
	v_mul_f32_e32 v9, v104, v27
	v_fma_f32 v8, v104, v26, -v8
	v_fmac_f32_e32 v9, v105, v26
	scratch_load_dwordx4 v[26:29], off, off offset:32
	scratch_load_dwordx4 v[18:21], off, off offset:40
	scratch_load_dwordx4 v[14:17], off, off offset:48
	ds_read2_b64 v[94:97], v133 offset0:183 offset1:184
	ds_read2_b64 v[80:83], v133 offset0:247 offset1:248
	v_sub_f32_e32 v6, v6, v8
	v_mul_f32_e32 v8, v65, v33
	v_fma_f32 v8, v64, v32, -v8
	v_mul_f32_e32 v33, v64, v33
	v_pk_add_f32 v[6:7], v[6:7], v[8:9] neg_lo:[0,1] neg_hi:[0,1]
	v_fmac_f32_e32 v33, v65, v32
	scratch_load_dwordx4 v[64:67], off, off offset:72
	scratch_load_dwordx4 v[100:103], off, off offset:80
	s_waitcnt lgkmcnt(1)
	v_mov_b32_e32 v79, v94
	v_mov_b32_e32 v57, v95
	scratch_load_dwordx4 v[122:125], off, off offset:96
	ds_read_b128 v[126:129], v133 offset:1216
	s_waitcnt vmcnt(5)
	v_mul_f32_e32 v8, v95, v29
	v_fma_f32 v32, v94, v28, -v8
	v_pk_add_f32 v[32:33], v[6:7], v[32:33] neg_lo:[0,1] neg_hi:[0,1]
	scratch_load_dwordx4 v[6:9], off, off offset:64
	v_mov_b32_e32 v71, v28
	s_waitcnt vmcnt(5)
	v_mov_b32_e32 v28, v21
	s_waitcnt vmcnt(4)
	v_mov_b32_e32 v36, v16
	v_mov_b32_e32 v37, v20
	;; [unrolled: 1-line block ×3, first 2 shown]
	v_pk_mul_f32 v[28:29], v[78:79], v[28:29]
	v_mov_b32_e32 v20, v17
	v_pk_fma_f32 v[78:79], v[76:77], v[36:37], v[28:29] op_sel:[0,1,0] op_sel_hi:[1,0,1] neg_lo:[0,0,1] neg_hi:[0,0,1]
	v_pk_fma_f32 v[28:29], v[56:57], v[70:71], v[28:29]
	s_waitcnt lgkmcnt(1)
	v_mov_b32_e32 v70, v81
	v_mov_b32_e32 v79, v29
	;; [unrolled: 1-line block ×3, first 2 shown]
	v_pk_add_f32 v[28:29], v[32:33], v[78:79] neg_lo:[0,1] neg_hi:[0,1]
	v_mov_b32_e32 v32, v16
	v_mov_b32_e32 v56, v80
	;; [unrolled: 1-line block ×3, first 2 shown]
	v_pk_mul_f32 v[20:21], v[70:71], v[20:21]
	scratch_load_dwordx4 v[76:79], off, off offset:88
	s_waitcnt vmcnt(1)
	v_mov_b32_e32 v33, v6
	v_pk_fma_f32 v[70:71], v[80:81], v[32:33], v[20:21] neg_lo:[0,0,1] neg_hi:[0,0,1]
	v_pk_fma_f32 v[20:21], v[56:57], v[36:37], v[20:21]
	v_mov_b32_e32 v36, v81
	v_mov_b32_e32 v71, v21
	;; [unrolled: 1-line block ×4, first 2 shown]
	v_pk_add_f32 v[20:21], v[28:29], v[70:71] neg_lo:[0,1] neg_hi:[0,1]
	v_mov_b32_e32 v28, v6
	v_mov_b32_e32 v29, v8
	v_pk_mul_f32 v[32:33], v[36:37], v[32:33]
	v_mov_b32_e32 v8, v7
	v_mov_b32_e32 v6, v89
	;; [unrolled: 1-line block ×3, first 2 shown]
	v_pk_fma_f32 v[36:37], v[6:7], v[16:17], v[32:33] op_sel:[0,0,1] op_sel_hi:[1,1,0] neg_lo:[1,0,0] neg_hi:[1,0,0]
	v_pk_fma_f32 v[6:7], v[6:7], v[16:17], v[32:33] op_sel:[0,0,1] op_sel_hi:[1,1,0]
	v_mov_b32_e32 v16, 0x9b8
	ds_read2_b64 v[84:87], v16 offset1:1
	v_mov_b32_e32 v37, v7
	v_pk_add_f32 v[6:7], v[20:21], v[36:37] neg_lo:[0,1] neg_hi:[0,1]
	v_mov_b32_e32 v20, v89
	v_mov_b32_e32 v17, v66
	s_waitcnt lgkmcnt(0)
	v_mov_b32_e32 v89, v85
	v_mov_b32_e32 v21, v84
	v_pk_mul_f32 v[8:9], v[88:89], v[8:9]
	v_mov_b32_e32 v66, v65
	v_pk_fma_f32 v[32:33], v[20:21], v[28:29], v[8:9] neg_lo:[0,0,1] neg_hi:[0,0,1]
	v_pk_fma_f32 v[8:9], v[20:21], v[28:29], v[8:9]
	v_mov_b32_e32 v16, v64
	v_pk_mov_b32 v[8:9], v[32:33], v[8:9] op_sel:[1,0]
	v_mov_b32_e32 v32, v85
	v_pk_add_f32 v[20:21], v[6:7], v[8:9] neg_lo:[0,1] neg_hi:[0,1]
	scratch_load_dwordx4 v[6:9], off, off offset:104
	v_mov_b32_e32 v85, v93
	v_mov_b32_e32 v33, v92
	v_pk_mul_f32 v[36:37], v[84:85], v[66:67]
	v_mov_b32_e32 v29, v102
	v_pk_fma_f32 v[56:57], v[32:33], v[16:17], v[36:37] neg_lo:[0,0,1] neg_hi:[0,0,1]
	v_pk_fma_f32 v[16:17], v[32:33], v[16:17], v[36:37]
	v_mov_b32_e32 v102, v101
	v_pk_mov_b32 v[16:17], v[56:57], v[16:17] op_sel:[1,0]
	v_mov_b32_e32 v32, v93
	v_pk_add_f32 v[16:17], v[20:21], v[16:17] neg_lo:[0,1] neg_hi:[0,1]
	v_mov_b32_e32 v20, 0xbb8
	ds_read2_b64 v[88:91], v20 offset1:1
	v_mov_b32_e32 v28, v100
	s_waitcnt vmcnt(1)
	v_mov_b32_e32 v21, v78
	v_mov_b32_e32 v78, v77
	;; [unrolled: 1-line block ×3, first 2 shown]
	s_waitcnt lgkmcnt(0)
	v_mov_b32_e32 v93, v89
	v_mov_b32_e32 v33, v88
	v_pk_mul_f32 v[36:37], v[92:93], v[102:103]
	scratch_load_dwordx4 v[64:67], off, off offset:160
	v_pk_fma_f32 v[56:57], v[32:33], v[28:29], v[36:37] neg_lo:[0,0,1] neg_hi:[0,0,1]
	v_pk_fma_f32 v[28:29], v[32:33], v[28:29], v[36:37]
	v_mov_b32_e32 v32, v89
	v_mov_b32_e32 v89, v99
	;; [unrolled: 1-line block ×3, first 2 shown]
	v_pk_mul_f32 v[36:37], v[88:89], v[78:79]
	v_pk_mov_b32 v[28:29], v[56:57], v[28:29] op_sel:[1,0]
	v_pk_fma_f32 v[56:57], v[32:33], v[20:21], v[36:37] neg_lo:[0,0,1] neg_hi:[0,0,1]
	v_pk_fma_f32 v[20:21], v[32:33], v[20:21], v[36:37]
	v_pk_add_f32 v[16:17], v[16:17], v[28:29] neg_lo:[0,1] neg_hi:[0,1]
	v_pk_mov_b32 v[20:21], v[56:57], v[20:21] op_sel:[1,0]
	v_mov_b32_e32 v29, v124
	v_pk_add_f32 v[16:17], v[16:17], v[20:21] neg_lo:[0,1] neg_hi:[0,1]
	v_mov_b32_e32 v20, 0xdb8
	ds_read2_b64 v[92:95], v20 offset1:1
	v_mov_b32_e32 v124, v123
	v_mov_b32_e32 v32, v99
	;; [unrolled: 1-line block ×3, first 2 shown]
	s_waitcnt lgkmcnt(0)
	v_mov_b32_e32 v99, v93
	v_mov_b32_e32 v33, v92
	v_pk_mul_f32 v[36:37], v[98:99], v[124:125]
	s_waitcnt vmcnt(1)
	v_mov_b32_e32 v20, v6
	v_pk_fma_f32 v[56:57], v[32:33], v[28:29], v[36:37] neg_lo:[0,0,1] neg_hi:[0,0,1]
	v_pk_fma_f32 v[28:29], v[32:33], v[28:29], v[36:37]
	v_mov_b32_e32 v6, v7
	v_pk_mov_b32 v[28:29], v[56:57], v[28:29] op_sel:[1,0]
	v_mov_b32_e32 v7, v9
	v_pk_add_f32 v[16:17], v[16:17], v[28:29] neg_lo:[0,1] neg_hi:[0,1]
	v_mov_b32_e32 v28, v93
	v_mov_b32_e32 v93, v69
	v_mov_b32_e32 v21, v8
	v_mov_b32_e32 v29, v68
	v_pk_mul_f32 v[6:7], v[92:93], v[6:7]
	v_mul_f32_e32 v8, v69, v8
	v_pk_fma_f32 v[32:33], v[28:29], v[20:21], v[6:7] neg_lo:[0,0,1] neg_hi:[0,0,1]
	v_pk_fma_f32 v[6:7], v[28:29], v[20:21], v[6:7]
	v_fmac_f32_e32 v8, v68, v9
	v_pk_mov_b32 v[6:7], v[32:33], v[6:7] op_sel:[1,0]
	scratch_load_dwordx4 v[68:71], off, off offset:136
	v_pk_add_f32 v[6:7], v[16:17], v[6:7] neg_lo:[0,1] neg_hi:[0,1]
	s_nop 0
	v_sub_f32_e32 v7, v7, v8
	v_mov_b32_e32 v8, 0xfb8
	ds_read2_b64 v[98:101], v8 offset1:1
	s_waitcnt lgkmcnt(0)
	v_mul_f32_e32 v8, v99, v13
	v_mul_f32_e32 v9, v98, v13
	v_fma_f32 v8, v98, v12, -v8
	v_fmac_f32_e32 v9, v99, v12
	v_sub_f32_e32 v12, v6, v8
	v_sub_f32_e32 v13, v7, v9
	scratch_load_dwordx4 v[6:9], off, off offset:120
	s_waitcnt vmcnt(0)
	v_mul_f32_e32 v16, v59, v9
	v_mul_f32_e32 v9, v58, v9
	v_fma_f32 v16, v58, v8, -v16
	v_fmac_f32_e32 v9, v59, v8
	scratch_load_dwordx4 v[56:59], off, off offset:152
	v_sub_f32_e32 v8, v12, v16
	v_mov_b32_e32 v12, 0x11b8
	ds_read2_b64 v[102:105], v12 offset1:1
	v_sub_f32_e32 v9, v13, v9
	s_waitcnt lgkmcnt(0)
	v_mul_f32_e32 v12, v103, v75
	v_fma_f32 v12, v102, v74, -v12
	v_sub_f32_e32 v8, v8, v12
	v_mul_f32_e32 v12, v111, v71
	v_fma_f32 v12, v110, v70, -v12
	v_sub_f32_e32 v8, v8, v12
	v_mov_b32_e32 v12, 0x13b8
	ds_read2_b64 v[78:81], v12 offset1:1
	v_mul_f32_e32 v13, v102, v75
	v_fmac_f32_e32 v13, v103, v74
	v_sub_f32_e32 v9, v9, v13
	v_mul_f32_e32 v13, v110, v71
	s_waitcnt lgkmcnt(0)
	v_mul_f32_e32 v12, v79, v63
	v_fma_f32 v12, v78, v62, -v12
	v_sub_f32_e32 v8, v8, v12
	v_fmac_f32_e32 v13, v111, v70
	v_sub_f32_e32 v9, v9, v13
	v_mul_f32_e32 v13, v78, v63
	v_fmac_f32_e32 v13, v79, v62
	v_sub_f32_e32 v9, v9, v13
	ds_read_b128 v[110:113], v133 offset:192
	s_waitcnt vmcnt(0)
	v_mul_f32_e32 v12, v115, v59
	v_fma_f32 v12, v114, v58, -v12
	v_sub_f32_e32 v8, v8, v12
	v_mov_b32_e32 v12, 0x15b8
	ds_read2_b64 v[76:79], v12 offset1:1
	v_mul_f32_e32 v13, v114, v59
	v_fmac_f32_e32 v13, v115, v58
	v_sub_f32_e32 v9, v9, v13
	v_mov_b32_e32 v58, v83
	s_waitcnt lgkmcnt(0)
	v_mul_f32_e32 v12, v77, v67
	v_fma_f32 v12, v76, v66, -v12
	v_sub_f32_e32 v8, v8, v12
	v_mul_f32_e32 v12, v119, v43
	v_fma_f32 v12, v118, v42, -v12
	v_mul_f32_e32 v13, v76, v67
	v_sub_f32_e32 v8, v8, v12
	v_mov_b32_e32 v12, 0x17b8
	v_fmac_f32_e32 v13, v77, v66
	ds_read2_b64 v[74:77], v12 offset1:1
	v_sub_f32_e32 v9, v9, v13
	v_mul_f32_e32 v13, v118, v43
	v_fmac_f32_e32 v13, v119, v42
	v_sub_f32_e32 v9, v9, v13
	s_waitcnt lgkmcnt(0)
	v_mul_f32_e32 v12, v75, v9
	v_mul_f32_e32 v29, v74, v9
	v_fma_f32 v28, v74, v8, -v12
	v_fmac_f32_e32 v29, v75, v8
	scratch_load_dwordx2 v[8:9], off, off
	ds_write2_b64 v120, v[54:55], v[28:29] offset0:192 offset1:224
	ds_read_b128 v[120:123], v133 offset:704
	s_waitcnt vmcnt(0)
	v_mul_f32_e32 v12, v111, v9
	v_mul_f32_e32 v9, v110, v9
	v_fmac_f32_e32 v9, v111, v8
	v_fma_f32 v12, v110, v8, -v12
	v_sub_f32_e32 v13, v39, v9
	scratch_load_dwordx2 v[8:9], off, off offset:8
	v_sub_f32_e32 v12, v38, v12
	s_waitcnt vmcnt(0)
	v_mul_f32_e32 v16, v109, v9
	v_mul_f32_e32 v9, v108, v9
	v_fmac_f32_e32 v9, v109, v8
	v_fma_f32 v16, v108, v8, -v16
	v_sub_f32_e32 v13, v13, v9
	scratch_load_dwordx2 v[8:9], off, off offset:16
	v_sub_f32_e32 v12, v12, v16
	s_waitcnt vmcnt(0) lgkmcnt(0)
	v_mul_f32_e32 v16, v121, v9
	v_mul_f32_e32 v9, v120, v9
	v_fmac_f32_e32 v9, v121, v8
	v_fma_f32 v16, v120, v8, -v16
	v_sub_f32_e32 v13, v13, v9
	scratch_load_dwordx2 v[8:9], off, off offset:24
	v_sub_f32_e32 v12, v12, v16
	s_waitcnt vmcnt(0)
	v_mul_f32_e32 v16, v107, v9
	v_mul_f32_e32 v9, v106, v9
	v_fma_f32 v16, v106, v8, -v16
	v_fmac_f32_e32 v9, v107, v8
	v_sub_f32_e32 v8, v12, v16
	v_sub_f32_e32 v9, v13, v9
	scratch_load_dwordx2 v[12:13], off, off offset:32
	s_waitcnt vmcnt(0)
	v_mul_f32_e32 v16, v127, v13
	v_fma_f32 v16, v126, v12, -v16
	v_sub_f32_e32 v8, v8, v16
	scratch_load_dwordx2 v[16:17], off, off offset:40
	scratch_load_dwordx2 v[20:21], off, off offset:48
	;; [unrolled: 1-line block ×3, first 2 shown]
	scratch_load_dwordx4 v[36:39], off, off offset:56
	scratch_load_dwordx4 v[114:117], off, off offset:72
	;; [unrolled: 1-line block ×3, first 2 shown]
	v_mul_f32_e32 v13, v126, v13
	v_fmac_f32_e32 v13, v127, v12
	ds_read_b128 v[124:127], v133 offset:1728
	ds_read_b128 v[108:111], v133 offset:2240
	scratch_load_dwordx4 v[134:137], off, off offset:88
	scratch_load_dwordx4 v[138:141], off, off offset:104
	s_waitcnt lgkmcnt(1)
	v_mov_b32_e32 v59, v124
	s_waitcnt lgkmcnt(0)
	v_mov_b32_e32 v66, v111
	s_waitcnt vmcnt(6)
	v_mov_b32_e32 v43, v20
	v_mul_f32_e32 v12, v97, v17
	v_fma_f32 v12, v96, v16, -v12
	v_mul_f32_e32 v17, v96, v17
	v_pk_add_f32 v[8:9], v[8:9], v[12:13] neg_lo:[0,1] neg_hi:[0,1]
	v_mul_f32_e32 v12, v125, v21
	v_fmac_f32_e32 v17, v97, v16
	v_fma_f32 v16, v124, v20, -v12
	s_waitcnt vmcnt(5)
	v_mov_b32_e32 v20, v33
	v_pk_add_f32 v[8:9], v[8:9], v[16:17] neg_lo:[0,1] neg_hi:[0,1]
	v_mov_b32_e32 v16, v82
	v_mov_b32_e32 v17, v125
	;; [unrolled: 1-line block ×3, first 2 shown]
	v_pk_mul_f32 v[20:21], v[58:59], v[20:21]
	v_mov_b32_e32 v13, v32
	v_mov_b32_e32 v55, v33
	v_pk_fma_f32 v[32:33], v[82:83], v[32:33], v[20:21] neg_lo:[0,0,1] neg_hi:[0,0,1]
	v_pk_fma_f32 v[16:17], v[16:17], v[42:43], v[20:21]
	s_waitcnt vmcnt(4)
	v_mov_b32_e32 v54, v39
	v_mov_b32_e32 v33, v17
	v_pk_add_f32 v[8:9], v[8:9], v[32:33] neg_lo:[0,1] neg_hi:[0,1]
	v_mov_b32_e32 v21, v83
	v_mov_b32_e32 v32, v109
	;; [unrolled: 1-line block ×3, first 2 shown]
	scratch_load_dwordx4 v[82:85], off, off offset:96
	ds_read_b128 v[96:99], v133 offset:2752
	v_mov_b32_e32 v12, v38
	v_mov_b32_e32 v20, v108
	v_pk_mul_f32 v[32:33], v[32:33], v[54:55]
	v_mov_b32_e32 v16, v38
	s_waitcnt vmcnt(4)
	v_mov_b32_e32 v17, v114
	v_pk_fma_f32 v[12:13], v[20:21], v[12:13], v[32:33]
	v_mov_b32_e32 v20, v109
	v_mov_b32_e32 v21, v86
	;; [unrolled: 1-line block ×3, first 2 shown]
	v_pk_fma_f32 v[42:43], v[108:109], v[16:17], v[32:33] neg_lo:[0,0,1] neg_hi:[0,0,1]
	v_pk_mul_f32 v[16:17], v[20:21], v[16:17]
	v_mov_b32_e32 v20, v87
	v_mov_b32_e32 v21, v108
	;; [unrolled: 1-line block ×3, first 2 shown]
	v_pk_fma_f32 v[32:33], v[20:21], v[38:39], v[16:17] op_sel:[0,0,1] op_sel_hi:[1,1,0] neg_lo:[1,0,0] neg_hi:[1,0,0]
	v_pk_fma_f32 v[16:17], v[20:21], v[38:39], v[16:17] op_sel:[0,0,1] op_sel_hi:[1,1,0]
	v_pk_add_f32 v[8:9], v[8:9], v[42:43] neg_lo:[0,1] neg_hi:[0,1]
	v_mov_b32_e32 v13, v116
	v_mov_b32_e32 v116, v115
	;; [unrolled: 1-line block ×3, first 2 shown]
	s_waitcnt lgkmcnt(0)
	v_mov_b32_e32 v87, v97
	v_pk_add_f32 v[8:9], v[8:9], v[32:33] neg_lo:[0,1] neg_hi:[0,1]
	v_pk_mul_f32 v[32:33], v[86:87], v[116:117]
	scratch_load_dwordx4 v[86:89], off, off offset:112
	ds_read_b128 v[106:109], v133 offset:3264
	v_mov_b32_e32 v12, v114
	v_mov_b32_e32 v21, v96
	s_waitcnt vmcnt(4)
	v_mov_b32_e32 v17, v120
	v_mov_b32_e32 v120, v119
	v_pk_fma_f32 v[38:39], v[20:21], v[12:13], v[32:33] neg_lo:[0,0,1] neg_hi:[0,0,1]
	v_pk_fma_f32 v[12:13], v[20:21], v[12:13], v[32:33]
	v_mov_b32_e32 v20, v97
	v_mov_b32_e32 v97, v91
	;; [unrolled: 1-line block ×3, first 2 shown]
	v_pk_mov_b32 v[12:13], v[38:39], v[12:13] op_sel:[1,0]
	v_mov_b32_e32 v21, v90
	v_pk_mul_f32 v[32:33], v[96:97], v[120:121]
	v_pk_add_f32 v[8:9], v[8:9], v[12:13] neg_lo:[0,1] neg_hi:[0,1]
	s_waitcnt vmcnt(3)
	v_mov_b32_e32 v13, v136
	v_mov_b32_e32 v136, v135
	v_pk_fma_f32 v[38:39], v[20:21], v[16:17], v[32:33] neg_lo:[0,0,1] neg_hi:[0,0,1]
	v_pk_fma_f32 v[16:17], v[20:21], v[16:17], v[32:33]
	v_mov_b32_e32 v20, v91
	s_waitcnt lgkmcnt(0)
	v_mov_b32_e32 v91, v107
	v_pk_mul_f32 v[32:33], v[90:91], v[136:137]
	ds_read_b128 v[90:93], v133 offset:3776
	v_mov_b32_e32 v12, v134
	v_pk_mov_b32 v[16:17], v[38:39], v[16:17] op_sel:[1,0]
	v_mov_b32_e32 v21, v106
	v_pk_add_f32 v[8:9], v[8:9], v[16:17] neg_lo:[0,1] neg_hi:[0,1]
	v_pk_fma_f32 v[38:39], v[20:21], v[12:13], v[32:33] neg_lo:[0,0,1] neg_hi:[0,0,1]
	v_pk_fma_f32 v[12:13], v[20:21], v[12:13], v[32:33]
	v_mov_b32_e32 v20, v107
	v_mov_b32_e32 v107, v95
	v_pk_mov_b32 v[12:13], v[38:39], v[12:13] op_sel:[1,0]
	v_mov_b32_e32 v21, v94
	v_pk_add_f32 v[8:9], v[8:9], v[12:13] neg_lo:[0,1] neg_hi:[0,1]
	s_waitcnt vmcnt(2)
	v_mov_b32_e32 v13, v140
	v_mov_b32_e32 v140, v139
	v_mov_b32_e32 v12, v138
	ds_read_b128 v[114:117], v133 offset:4800
	ds_read_b128 v[118:121], v133 offset:5824
	s_waitcnt vmcnt(1)
	v_mov_b32_e32 v17, v84
	v_mov_b32_e32 v84, v83
	;; [unrolled: 1-line block ×3, first 2 shown]
	v_pk_mul_f32 v[32:33], v[106:107], v[84:85]
	s_nop 0
	v_pk_fma_f32 v[38:39], v[20:21], v[16:17], v[32:33] neg_lo:[0,0,1] neg_hi:[0,0,1]
	v_pk_fma_f32 v[16:17], v[20:21], v[16:17], v[32:33]
	v_mov_b32_e32 v20, v95
	s_waitcnt lgkmcnt(2)
	v_mov_b32_e32 v95, v91
	v_pk_mov_b32 v[16:17], v[38:39], v[16:17] op_sel:[1,0]
	v_mov_b32_e32 v21, v90
	v_pk_mul_f32 v[38:39], v[94:95], v[140:141]
	v_pk_add_f32 v[8:9], v[8:9], v[16:17] neg_lo:[0,1] neg_hi:[0,1]
	v_pk_fma_f32 v[42:43], v[20:21], v[12:13], v[38:39] neg_lo:[0,0,1] neg_hi:[0,0,1]
	v_pk_fma_f32 v[12:13], v[20:21], v[12:13], v[38:39]
	ds_read_b128 v[94:97], v133 offset:4288
	v_pk_mov_b32 v[12:13], v[42:43], v[12:13] op_sel:[1,0]
	s_waitcnt vmcnt(0)
	v_mov_b32_e32 v32, v87
	v_mov_b32_e32 v33, v89
	v_pk_add_f32 v[8:9], v[8:9], v[12:13] neg_lo:[0,1] neg_hi:[0,1]
	v_mov_b32_e32 v12, v91
	v_mov_b32_e32 v91, v101
	;; [unrolled: 1-line block ×5, first 2 shown]
	v_pk_mul_f32 v[20:21], v[90:91], v[32:33]
	s_nop 0
	v_pk_fma_f32 v[32:33], v[12:13], v[16:17], v[20:21] neg_lo:[0,0,1] neg_hi:[0,0,1]
	v_pk_fma_f32 v[12:13], v[12:13], v[16:17], v[20:21]
	s_nop 0
	v_pk_mov_b32 v[12:13], v[32:33], v[12:13] op_sel:[1,0]
	s_nop 0
	v_pk_add_f32 v[8:9], v[8:9], v[12:13] neg_lo:[0,1] neg_hi:[0,1]
	v_mul_f32_e32 v12, v101, v88
	v_fmac_f32_e32 v12, v100, v89
	v_sub_f32_e32 v9, v9, v12
	s_waitcnt lgkmcnt(0)
	v_mul_f32_e32 v12, v95, v73
	v_mul_f32_e32 v13, v94, v73
	v_fma_f32 v12, v94, v72, -v12
	v_fmac_f32_e32 v13, v95, v72
	v_sub_f32_e32 v12, v8, v12
	v_sub_f32_e32 v13, v9, v13
	scratch_load_dwordx2 v[8:9], off, off offset:136
	s_waitcnt vmcnt(0)
	v_mul_f32_e32 v16, v105, v9
	v_mul_f32_e32 v9, v104, v9
	v_fmac_f32_e32 v9, v105, v8
	v_fma_f32 v16, v104, v8, -v16
	v_sub_f32_e32 v13, v13, v9
	scratch_load_dwordx2 v[8:9], off, off offset:144
	v_sub_f32_e32 v12, v12, v16
	ds_read_b128 v[104:107], v133 offset:5312
	s_waitcnt vmcnt(0)
	v_mul_f32_e32 v16, v115, v9
	v_mul_f32_e32 v9, v114, v9
	v_fmac_f32_e32 v9, v115, v8
	v_fma_f32 v16, v114, v8, -v16
	v_sub_f32_e32 v13, v13, v9
	scratch_load_dwordx2 v[8:9], off, off offset:152
	v_sub_f32_e32 v12, v12, v16
	s_waitcnt vmcnt(0)
	v_mul_f32_e32 v16, v81, v9
	v_mul_f32_e32 v9, v80, v9
	v_fmac_f32_e32 v9, v81, v8
	v_fma_f32 v16, v80, v8, -v16
	v_sub_f32_e32 v13, v13, v9
	scratch_load_dwordx2 v[8:9], off, off offset:160
	v_sub_f32_e32 v12, v12, v16
	ds_read_b128 v[80:83], v133 offset:6336
	s_waitcnt vmcnt(0) lgkmcnt(1)
	v_mul_f32_e32 v16, v105, v9
	v_mul_f32_e32 v9, v104, v9
	v_fmac_f32_e32 v9, v105, v8
	v_fma_f32 v16, v104, v8, -v16
	v_sub_f32_e32 v13, v13, v9
	scratch_load_dwordx2 v[8:9], off, off offset:168
	v_sub_f32_e32 v12, v12, v16
	s_waitcnt vmcnt(0)
	v_mul_f32_e32 v16, v79, v9
	v_mul_f32_e32 v9, v78, v9
	v_fmac_f32_e32 v9, v79, v8
	v_fma_f32 v16, v78, v8, -v16
	v_sub_f32_e32 v13, v13, v9
	scratch_load_dwordx2 v[8:9], off, off offset:176
	v_sub_f32_e32 v12, v12, v16
	s_waitcnt vmcnt(0)
	v_mul_f32_e32 v16, v119, v9
	v_mul_f32_e32 v9, v118, v9
	v_fmac_f32_e32 v9, v119, v8
	v_fma_f32 v16, v118, v8, -v16
	v_sub_f32_e32 v9, v13, v9
	v_mul_f32_e32 v13, v76, v29
	v_sub_f32_e32 v8, v12, v16
	v_mul_f32_e32 v12, v77, v29
	v_fmac_f32_e32 v13, v77, v28
	v_fma_f32 v12, v76, v28, -v12
	v_sub_f32_e32 v9, v9, v13
	v_sub_f32_e32 v8, v8, v12
	s_waitcnt lgkmcnt(0)
	v_mul_f32_e32 v12, v81, v9
	v_mul_f32_e32 v33, v80, v9
	v_fma_f32 v32, v80, v8, -v12
	v_fmac_f32_e32 v33, v81, v8
	scratch_load_dwordx2 v[8:9], off, off
	ds_read2_b64 v[78:81], v133 offset0:57 offset1:58
	s_waitcnt vmcnt(0)
	v_mul_f32_e32 v12, v113, v9
	v_mul_f32_e32 v9, v112, v9
	v_fmac_f32_e32 v9, v113, v8
	v_fma_f32 v12, v112, v8, -v12
	v_sub_f32_e32 v13, v41, v9
	scratch_load_dwordx2 v[8:9], off, off offset:8
	v_sub_f32_e32 v12, v40, v12
	ds_read2_b64 v[40:43], v133 offset0:185 offset1:186
	s_waitcnt vmcnt(0) lgkmcnt(1)
	v_mul_f32_e32 v16, v79, v9
	v_mul_f32_e32 v9, v78, v9
	v_fmac_f32_e32 v9, v79, v8
	v_fma_f32 v16, v78, v8, -v16
	v_sub_f32_e32 v13, v13, v9
	scratch_load_dwordx2 v[8:9], off, off offset:16
	v_sub_f32_e32 v12, v12, v16
	ds_read2_b64 v[76:79], v133 offset0:121 offset1:122
	s_waitcnt vmcnt(0)
	v_mul_f32_e32 v16, v123, v9
	v_mul_f32_e32 v9, v122, v9
	v_fmac_f32_e32 v9, v123, v8
	v_fma_f32 v16, v122, v8, -v16
	v_sub_f32_e32 v13, v13, v9
	scratch_load_dwordx2 v[8:9], off, off offset:24
	v_sub_f32_e32 v12, v12, v16
	s_waitcnt vmcnt(0) lgkmcnt(0)
	v_mul_f32_e32 v16, v77, v9
	v_mul_f32_e32 v9, v76, v9
	v_fmac_f32_e32 v9, v77, v8
	v_fma_f32 v16, v76, v8, -v16
	v_sub_f32_e32 v13, v13, v9
	scratch_load_dwordx2 v[8:9], off, off offset:32
	v_sub_f32_e32 v12, v12, v16
	s_waitcnt vmcnt(0)
	v_mul_f32_e32 v16, v129, v9
	v_mul_f32_e32 v9, v128, v9
	v_fma_f32 v16, v128, v8, -v16
	v_fmac_f32_e32 v9, v129, v8
	v_sub_f32_e32 v8, v12, v16
	v_sub_f32_e32 v9, v13, v9
	scratch_load_dwordx2 v[12:13], off, off offset:40
	s_waitcnt vmcnt(0)
	v_mul_f32_e32 v16, v41, v13
	v_fma_f32 v16, v40, v12, -v16
	v_sub_f32_e32 v8, v8, v16
	scratch_load_dwordx2 v[16:17], off, off offset:48
	v_mul_f32_e32 v13, v40, v13
	v_fmac_f32_e32 v13, v41, v12
	scratch_load_dwordx2 v[20:21], off, off offset:56
	scratch_load_dwordx2 v[54:55], off, off offset:64
	scratch_load_dwordx4 v[38:41], off, off offset:64
	scratch_load_dwordx4 v[86:89], off, off offset:80
	scratch_load_dwordx4 v[100:103], off, off offset:88
	ds_read2_b64 v[74:77], v133 offset0:249 offset1:250
	scratch_load_dwordx4 v[112:115], off, off offset:96
	scratch_load_dwordx4 v[122:125], off, off offset:104
	s_waitcnt lgkmcnt(0)
	v_mov_b32_e32 v67, v74
	s_waitcnt vmcnt(7)
	v_mul_f32_e32 v12, v127, v17
	v_fma_f32 v12, v126, v16, -v12
	v_mul_f32_e32 v17, v126, v17
	v_pk_add_f32 v[8:9], v[8:9], v[12:13] neg_lo:[0,1] neg_hi:[0,1]
	s_waitcnt vmcnt(6)
	v_mul_f32_e32 v12, v75, v21
	v_fmac_f32_e32 v17, v127, v16
	v_fma_f32 v16, v74, v20, -v12
	v_mov_b32_e32 v59, v20
	s_waitcnt vmcnt(5)
	v_mov_b32_e32 v20, v55
	v_pk_add_f32 v[8:9], v[8:9], v[16:17] neg_lo:[0,1] neg_hi:[0,1]
	v_mov_b32_e32 v16, v110
	v_mov_b32_e32 v17, v75
	;; [unrolled: 1-line block ×3, first 2 shown]
	v_pk_mul_f32 v[20:21], v[66:67], v[20:21]
	v_mov_b32_e32 v13, v54
	v_pk_fma_f32 v[16:17], v[16:17], v[58:59], v[20:21]
	v_mov_b32_e32 v63, v55
	v_mov_b32_e32 v16, 0x9c8
	ds_read2_b64 v[72:75], v16 offset1:1
	v_pk_fma_f32 v[54:55], v[110:111], v[54:55], v[20:21] neg_lo:[0,0,1] neg_hi:[0,0,1]
	s_waitcnt vmcnt(4)
	v_mov_b32_e32 v62, v41
	v_mov_b32_e32 v55, v17
	v_pk_add_f32 v[8:9], v[8:9], v[54:55] neg_lo:[0,1] neg_hi:[0,1]
	s_waitcnt lgkmcnt(0)
	v_mov_b32_e32 v54, v73
	v_mov_b32_e32 v55, v110
	;; [unrolled: 1-line block ×5, first 2 shown]
	v_pk_mul_f32 v[54:55], v[54:55], v[62:63]
	v_mov_b32_e32 v16, v40
	s_waitcnt vmcnt(3)
	v_mov_b32_e32 v17, v86
	v_pk_fma_f32 v[12:13], v[20:21], v[12:13], v[54:55]
	v_mov_b32_e32 v20, v73
	v_mov_b32_e32 v21, v98
	;; [unrolled: 1-line block ×3, first 2 shown]
	v_pk_fma_f32 v[58:59], v[72:73], v[16:17], v[54:55] neg_lo:[0,0,1] neg_hi:[0,0,1]
	v_pk_mul_f32 v[16:17], v[20:21], v[16:17]
	v_mov_b32_e32 v20, v99
	v_mov_b32_e32 v21, v72
	v_pk_fma_f32 v[54:55], v[20:21], v[40:41], v[16:17] op_sel:[0,0,1] op_sel_hi:[1,1,0] neg_lo:[1,0,0] neg_hi:[1,0,0]
	v_pk_fma_f32 v[16:17], v[20:21], v[40:41], v[16:17] op_sel:[0,0,1] op_sel_hi:[1,1,0]
	v_mov_b32_e32 v59, v13
	v_mov_b32_e32 v16, 0xbc8
	;; [unrolled: 1-line block ×5, first 2 shown]
	ds_read2_b64 v[84:87], v16 offset1:1
	scratch_load_dwordx4 v[70:73], off, off offset:112
	v_mov_b32_e32 v55, v17
	s_waitcnt vmcnt(3)
	v_mov_b32_e32 v16, v100
	v_mov_b32_e32 v17, v102
	s_waitcnt lgkmcnt(0)
	v_mov_b32_e32 v99, v85
	v_mov_b32_e32 v102, v101
	v_pk_mul_f32 v[40:41], v[98:99], v[88:89]
	scratch_load_dwordx4 v[98:101], off, off offset:120
	v_pk_add_f32 v[8:9], v[8:9], v[58:59] neg_lo:[0,1] neg_hi:[0,1]
	v_mov_b32_e32 v21, v84
	v_pk_add_f32 v[8:9], v[8:9], v[54:55] neg_lo:[0,1] neg_hi:[0,1]
	v_pk_fma_f32 v[54:55], v[20:21], v[12:13], v[40:41] neg_lo:[0,0,1] neg_hi:[0,0,1]
	v_pk_fma_f32 v[12:13], v[20:21], v[12:13], v[40:41]
	v_mov_b32_e32 v20, v85
	v_mov_b32_e32 v85, v109
	;; [unrolled: 1-line block ×3, first 2 shown]
	v_pk_mul_f32 v[40:41], v[84:85], v[102:103]
	v_pk_mov_b32 v[12:13], v[54:55], v[12:13] op_sel:[1,0]
	v_pk_fma_f32 v[54:55], v[20:21], v[16:17], v[40:41] neg_lo:[0,0,1] neg_hi:[0,0,1]
	v_pk_fma_f32 v[16:17], v[20:21], v[16:17], v[40:41]
	v_pk_add_f32 v[8:9], v[8:9], v[12:13] neg_lo:[0,1] neg_hi:[0,1]
	v_pk_mov_b32 v[16:17], v[54:55], v[16:17] op_sel:[1,0]
	s_waitcnt vmcnt(3)
	v_mov_b32_e32 v13, v114
	v_pk_add_f32 v[8:9], v[8:9], v[16:17] neg_lo:[0,1] neg_hi:[0,1]
	v_mov_b32_e32 v16, 0xdc8
	ds_read2_b64 v[88:91], v16 offset1:1
	v_mov_b32_e32 v114, v113
	v_mov_b32_e32 v20, v109
	;; [unrolled: 1-line block ×3, first 2 shown]
	s_waitcnt vmcnt(2)
	v_mov_b32_e32 v17, v124
	s_waitcnt lgkmcnt(0)
	v_mov_b32_e32 v109, v89
	v_mov_b32_e32 v21, v88
	v_pk_mul_f32 v[40:41], v[108:109], v[114:115]
	v_mov_b32_e32 v124, v123
	v_pk_fma_f32 v[54:55], v[20:21], v[12:13], v[40:41] neg_lo:[0,0,1] neg_hi:[0,0,1]
	v_pk_fma_f32 v[12:13], v[20:21], v[12:13], v[40:41]
	v_mov_b32_e32 v20, v89
	v_mov_b32_e32 v89, v93
	;; [unrolled: 1-line block ×4, first 2 shown]
	v_pk_mul_f32 v[40:41], v[88:89], v[124:125]
	v_pk_mov_b32 v[12:13], v[54:55], v[12:13] op_sel:[1,0]
	v_pk_fma_f32 v[54:55], v[20:21], v[16:17], v[40:41] neg_lo:[0,0,1] neg_hi:[0,0,1]
	v_pk_fma_f32 v[16:17], v[20:21], v[16:17], v[40:41]
	v_pk_add_f32 v[8:9], v[8:9], v[12:13] neg_lo:[0,1] neg_hi:[0,1]
	v_pk_mov_b32 v[16:17], v[54:55], v[16:17] op_sel:[1,0]
	v_mov_b32_e32 v20, v93
	v_pk_add_f32 v[8:9], v[8:9], v[16:17] neg_lo:[0,1] neg_hi:[0,1]
	v_mov_b32_e32 v16, 0xfc8
	ds_read2_b64 v[102:105], v16 offset1:1
	v_mov_b32_e32 v62, v75
	s_waitcnt lgkmcnt(0)
	v_mov_b32_e32 v93, v103
	v_mov_b32_e32 v21, v102
	s_waitcnt vmcnt(1)
	v_mov_b32_e32 v13, v72
	v_mov_b32_e32 v72, v71
	v_mov_b32_e32 v12, v70
	v_pk_mul_f32 v[54:55], v[92:93], v[72:73]
	ds_read_b128 v[70:73], v133 offset:1232
	v_pk_fma_f32 v[58:59], v[20:21], v[12:13], v[54:55] neg_lo:[0,0,1] neg_hi:[0,0,1]
	v_pk_fma_f32 v[12:13], v[20:21], v[12:13], v[54:55]
	s_waitcnt vmcnt(0)
	v_mov_b32_e32 v40, v99
	v_pk_mov_b32 v[12:13], v[58:59], v[12:13] op_sel:[1,0]
	v_mov_b32_e32 v41, v101
	v_pk_add_f32 v[8:9], v[8:9], v[12:13] neg_lo:[0,1] neg_hi:[0,1]
	v_mov_b32_e32 v12, v103
	v_mov_b32_e32 v103, v97
	v_mov_b32_e32 v16, v98
	v_mov_b32_e32 v17, v100
	v_mov_b32_e32 v13, v96
	v_pk_mul_f32 v[20:21], v[102:103], v[40:41]
	s_nop 0
	v_pk_fma_f32 v[40:41], v[12:13], v[16:17], v[20:21] neg_lo:[0,0,1] neg_hi:[0,0,1]
	v_pk_fma_f32 v[12:13], v[12:13], v[16:17], v[20:21]
	s_nop 0
	v_pk_mov_b32 v[12:13], v[40:41], v[12:13] op_sel:[1,0]
	s_nop 0
	v_pk_add_f32 v[8:9], v[8:9], v[12:13] neg_lo:[0,1] neg_hi:[0,1]
	v_mul_f32_e32 v12, v97, v100
	v_fmac_f32_e32 v12, v96, v101
	v_sub_f32_e32 v9, v9, v12
	v_mov_b32_e32 v12, 0x11c8
	ds_read2_b64 v[108:111], v12 offset1:1
	s_waitcnt lgkmcnt(0)
	v_mul_f32_e32 v12, v109, v69
	v_mul_f32_e32 v13, v108, v69
	v_fma_f32 v12, v108, v68, -v12
	v_fmac_f32_e32 v13, v109, v68
	v_sub_f32_e32 v12, v8, v12
	v_sub_f32_e32 v13, v9, v13
	scratch_load_dwordx2 v[8:9], off, off offset:144
	ds_read_b128 v[66:69], v133 offset:208
	s_waitcnt vmcnt(0)
	v_mul_f32_e32 v16, v117, v9
	v_mul_f32_e32 v9, v116, v9
	v_fmac_f32_e32 v9, v117, v8
	v_fma_f32 v16, v116, v8, -v16
	v_sub_f32_e32 v13, v13, v9
	scratch_load_dwordx2 v[8:9], off, off offset:152
	v_sub_f32_e32 v12, v12, v16
	v_mov_b32_e32 v16, 0x13c8
	ds_read2_b64 v[112:115], v16 offset1:1
	s_waitcnt vmcnt(0) lgkmcnt(0)
	v_mul_f32_e32 v16, v113, v9
	v_mul_f32_e32 v9, v112, v9
	v_fmac_f32_e32 v9, v113, v8
	v_fma_f32 v16, v112, v8, -v16
	v_sub_f32_e32 v13, v13, v9
	scratch_load_dwordx2 v[8:9], off, off offset:160
	v_sub_f32_e32 v12, v12, v16
	s_waitcnt vmcnt(0)
	v_mul_f32_e32 v16, v107, v9
	v_mul_f32_e32 v9, v106, v9
	v_fmac_f32_e32 v9, v107, v8
	v_fma_f32 v16, v106, v8, -v16
	v_sub_f32_e32 v13, v13, v9
	scratch_load_dwordx2 v[8:9], off, off offset:168
	v_sub_f32_e32 v12, v12, v16
	v_mov_b32_e32 v16, 0x15c8
	ds_read2_b64 v[116:119], v16 offset1:1
	ds_read_b128 v[106:109], v133 offset:720
	s_waitcnt vmcnt(0) lgkmcnt(1)
	v_mul_f32_e32 v16, v117, v9
	v_mul_f32_e32 v9, v116, v9
	v_fmac_f32_e32 v9, v117, v8
	v_fma_f32 v16, v116, v8, -v16
	v_sub_f32_e32 v13, v13, v9
	scratch_load_dwordx2 v[8:9], off, off offset:176
	v_sub_f32_e32 v12, v12, v16
	s_waitcnt vmcnt(0)
	v_mul_f32_e32 v16, v121, v9
	v_fma_f32 v16, v120, v8, -v16
	v_mul_f32_e32 v9, v120, v9
	v_fmac_f32_e32 v9, v121, v8
	v_sub_f32_e32 v8, v12, v16
	v_mov_b32_e32 v12, 0x17c8
	ds_read2_b64 v[120:123], v12 offset1:1
	v_sub_f32_e32 v9, v13, v9
	s_waitcnt lgkmcnt(0)
	v_mul_f32_e32 v12, v121, v29
	v_fma_f32 v12, v120, v28, -v12
	v_sub_f32_e32 v8, v8, v12
	v_mul_f32_e32 v12, v83, v33
	v_fma_f32 v12, v82, v32, -v12
	v_sub_f32_e32 v8, v8, v12
	v_mov_b32_e32 v12, 0x19c8
	v_mul_f32_e32 v13, v120, v29
	ds_read2_b64 v[124:127], v12 offset1:1
	v_fmac_f32_e32 v13, v121, v28
	v_sub_f32_e32 v9, v9, v13
	v_mul_f32_e32 v13, v82, v33
	v_fmac_f32_e32 v13, v83, v32
	v_sub_f32_e32 v9, v9, v13
	s_waitcnt lgkmcnt(0)
	v_mul_f32_e32 v12, v125, v9
	v_mul_f32_e32 v129, v124, v9
	v_fma_f32 v128, v124, v8, -v12
	v_fmac_f32_e32 v129, v125, v8
	scratch_load_dwordx2 v[8:9], off, off
	ds_write2_b64 v132, v[32:33], v[128:129] offset1:32
	s_waitcnt vmcnt(0)
	v_mul_f32_e32 v12, v67, v9
	v_mul_f32_e32 v9, v66, v9
	v_fmac_f32_e32 v9, v67, v8
	v_fma_f32 v12, v66, v8, -v12
	v_sub_f32_e32 v13, v49, v9
	scratch_load_dwordx2 v[8:9], off, off offset:8
	v_sub_f32_e32 v12, v48, v12
	s_waitcnt vmcnt(0)
	v_mul_f32_e32 v16, v81, v9
	v_mul_f32_e32 v9, v80, v9
	v_fmac_f32_e32 v9, v81, v8
	v_fma_f32 v16, v80, v8, -v16
	v_sub_f32_e32 v13, v13, v9
	scratch_load_dwordx2 v[8:9], off, off offset:16
	v_sub_f32_e32 v12, v12, v16
	;; [unrolled: 8-line block ×4, first 2 shown]
	ds_read_b128 v[78:81], v133 offset:1744
	s_waitcnt vmcnt(0)
	v_mul_f32_e32 v16, v71, v9
	v_mul_f32_e32 v9, v70, v9
	v_fmac_f32_e32 v9, v71, v8
	v_fma_f32 v16, v70, v8, -v16
	v_sub_f32_e32 v13, v13, v9
	scratch_load_dwordx2 v[8:9], off, off offset:40
	v_sub_f32_e32 v12, v12, v16
	s_waitcnt vmcnt(0)
	v_mul_f32_e32 v16, v43, v9
	v_mul_f32_e32 v9, v42, v9
	v_fma_f32 v16, v42, v8, -v16
	v_fmac_f32_e32 v9, v43, v8
	v_sub_f32_e32 v8, v12, v16
	v_sub_f32_e32 v9, v13, v9
	scratch_load_dwordx2 v[12:13], off, off offset:48
	s_waitcnt vmcnt(0) lgkmcnt(0)
	v_mul_f32_e32 v16, v79, v13
	v_fma_f32 v16, v78, v12, -v16
	v_sub_f32_e32 v8, v8, v16
	scratch_load_dwordx2 v[16:17], off, off offset:56
	scratch_load_dwordx2 v[20:21], off, off offset:64
	;; [unrolled: 1-line block ×3, first 2 shown]
	scratch_load_dwordx4 v[40:43], off, off offset:72
	v_mul_f32_e32 v13, v78, v13
	v_fmac_f32_e32 v13, v79, v12
	ds_read_b128 v[82:85], v133 offset:2256
	ds_read_b128 v[92:95], v133 offset:2768
	scratch_load_dwordx4 v[100:103], off, off offset:96
	scratch_load_dwordx4 v[134:137], off, off offset:104
	;; [unrolled: 1-line block ×3, first 2 shown]
	s_waitcnt lgkmcnt(1)
	v_mov_b32_e32 v63, v82
	ds_read_b128 v[96:99], v133 offset:3280
	s_waitcnt vmcnt(5)
	v_mov_b32_e32 v55, v20
	v_mul_f32_e32 v12, v77, v17
	v_mul_f32_e32 v17, v76, v17
	v_fma_f32 v12, v76, v16, -v12
	v_fmac_f32_e32 v17, v77, v16
	scratch_load_dwordx4 v[76:79], off, off offset:88
	v_pk_add_f32 v[8:9], v[8:9], v[12:13] neg_lo:[0,1] neg_hi:[0,1]
	v_mul_f32_e32 v12, v83, v21
	v_fma_f32 v16, v82, v20, -v12
	s_waitcnt vmcnt(5)
	v_mov_b32_e32 v20, v49
	v_pk_add_f32 v[8:9], v[8:9], v[16:17] neg_lo:[0,1] neg_hi:[0,1]
	v_mov_b32_e32 v16, v74
	v_mov_b32_e32 v17, v83
	;; [unrolled: 1-line block ×3, first 2 shown]
	v_pk_mul_f32 v[20:21], v[62:63], v[20:21]
	v_mov_b32_e32 v13, v48
	v_mov_b32_e32 v59, v49
	v_pk_fma_f32 v[48:49], v[74:75], v[48:49], v[20:21] neg_lo:[0,0,1] neg_hi:[0,0,1]
	v_pk_fma_f32 v[16:17], v[16:17], v[54:55], v[20:21]
	s_waitcnt vmcnt(4)
	v_mov_b32_e32 v58, v43
	v_mov_b32_e32 v49, v17
	v_pk_add_f32 v[8:9], v[8:9], v[48:49] neg_lo:[0,1] neg_hi:[0,1]
	s_waitcnt lgkmcnt(1)
	v_mov_b32_e32 v48, v93
	v_mov_b32_e32 v49, v74
	;; [unrolled: 1-line block ×6, first 2 shown]
	v_pk_mul_f32 v[48:49], v[48:49], v[58:59]
	s_waitcnt vmcnt(0)
	v_mov_b32_e32 v17, v76
	v_pk_fma_f32 v[54:55], v[92:93], v[16:17], v[48:49] neg_lo:[0,0,1] neg_hi:[0,0,1]
	v_pk_fma_f32 v[12:13], v[20:21], v[12:13], v[48:49]
	v_mov_b32_e32 v42, v77
	v_mov_b32_e32 v55, v13
	;; [unrolled: 1-line block ×5, first 2 shown]
	scratch_load_dwordx4 v[74:77], off, off offset:120
	v_mov_b32_e32 v20, v93
	v_mov_b32_e32 v21, v86
	v_pk_mul_f32 v[16:17], v[20:21], v[16:17]
	v_mov_b32_e32 v20, v87
	v_mov_b32_e32 v21, v92
	s_waitcnt lgkmcnt(0)
	v_mov_b32_e32 v87, v97
	v_pk_fma_f32 v[48:49], v[20:21], v[42:43], v[16:17] op_sel:[0,0,1] op_sel_hi:[1,1,0] neg_lo:[1,0,0] neg_hi:[1,0,0]
	v_pk_fma_f32 v[16:17], v[20:21], v[42:43], v[16:17] op_sel:[0,0,1] op_sel_hi:[1,1,0]
	v_pk_mul_f32 v[42:43], v[86:87], v[78:79]
	scratch_load_dwordx4 v[86:89], off, off offset:128
	v_pk_add_f32 v[8:9], v[8:9], v[54:55] neg_lo:[0,1] neg_hi:[0,1]
	v_mov_b32_e32 v49, v17
	v_mov_b32_e32 v21, v96
	v_pk_add_f32 v[8:9], v[8:9], v[48:49] neg_lo:[0,1] neg_hi:[0,1]
	v_mov_b32_e32 v17, v102
	v_mov_b32_e32 v102, v101
	v_pk_fma_f32 v[48:49], v[20:21], v[12:13], v[42:43] neg_lo:[0,0,1] neg_hi:[0,0,1]
	v_pk_fma_f32 v[12:13], v[20:21], v[12:13], v[42:43]
	v_mov_b32_e32 v20, v97
	v_mov_b32_e32 v97, v91
	;; [unrolled: 1-line block ×3, first 2 shown]
	v_pk_mul_f32 v[42:43], v[96:97], v[102:103]
	ds_read_b128 v[100:103], v133 offset:3792
	v_pk_mov_b32 v[12:13], v[48:49], v[12:13] op_sel:[1,0]
	v_mov_b32_e32 v21, v90
	v_pk_add_f32 v[8:9], v[8:9], v[12:13] neg_lo:[0,1] neg_hi:[0,1]
	v_mov_b32_e32 v13, v136
	v_mov_b32_e32 v136, v135
	v_pk_fma_f32 v[48:49], v[20:21], v[16:17], v[42:43] neg_lo:[0,0,1] neg_hi:[0,0,1]
	v_pk_fma_f32 v[16:17], v[20:21], v[16:17], v[42:43]
	v_mov_b32_e32 v20, v91
	s_waitcnt lgkmcnt(0)
	v_mov_b32_e32 v91, v101
	v_pk_mul_f32 v[42:43], v[90:91], v[136:137]
	ds_read_b128 v[90:93], v133 offset:4304
	v_mov_b32_e32 v12, v134
	v_pk_mov_b32 v[16:17], v[48:49], v[16:17] op_sel:[1,0]
	v_mov_b32_e32 v21, v100
	v_pk_add_f32 v[8:9], v[8:9], v[16:17] neg_lo:[0,1] neg_hi:[0,1]
	v_mov_b32_e32 v17, v140
	v_mov_b32_e32 v140, v139
	v_pk_fma_f32 v[48:49], v[20:21], v[12:13], v[42:43] neg_lo:[0,0,1] neg_hi:[0,0,1]
	v_pk_fma_f32 v[12:13], v[20:21], v[12:13], v[42:43]
	v_mov_b32_e32 v20, v101
	v_mov_b32_e32 v101, v105
	;; [unrolled: 1-line block ×3, first 2 shown]
	v_pk_mov_b32 v[12:13], v[48:49], v[12:13] op_sel:[1,0]
	v_mov_b32_e32 v21, v104
	v_pk_mul_f32 v[42:43], v[100:101], v[140:141]
	v_pk_add_f32 v[8:9], v[8:9], v[12:13] neg_lo:[0,1] neg_hi:[0,1]
	v_pk_fma_f32 v[48:49], v[20:21], v[16:17], v[42:43] neg_lo:[0,0,1] neg_hi:[0,0,1]
	v_pk_fma_f32 v[16:17], v[20:21], v[16:17], v[42:43]
	v_mov_b32_e32 v20, v105
	s_waitcnt lgkmcnt(0)
	v_mov_b32_e32 v105, v91
	v_pk_mov_b32 v[16:17], v[48:49], v[16:17] op_sel:[1,0]
	v_mov_b32_e32 v21, v90
	v_pk_add_f32 v[8:9], v[8:9], v[16:17] neg_lo:[0,1] neg_hi:[0,1]
	s_waitcnt vmcnt(1)
	v_mov_b32_e32 v13, v76
	v_mov_b32_e32 v76, v75
	;; [unrolled: 1-line block ×3, first 2 shown]
	v_pk_mul_f32 v[48:49], v[104:105], v[76:77]
	ds_read_b128 v[104:107], v133 offset:4816
	ds_read_b128 v[76:79], v133 offset:6352
	v_pk_fma_f32 v[54:55], v[20:21], v[12:13], v[48:49] neg_lo:[0,0,1] neg_hi:[0,0,1]
	v_pk_fma_f32 v[12:13], v[20:21], v[12:13], v[48:49]
	s_waitcnt vmcnt(0)
	v_mov_b32_e32 v42, v87
	v_pk_mov_b32 v[12:13], v[54:55], v[12:13] op_sel:[1,0]
	v_mov_b32_e32 v43, v89
	v_pk_add_f32 v[8:9], v[8:9], v[12:13] neg_lo:[0,1] neg_hi:[0,1]
	v_mov_b32_e32 v12, v91
	v_mov_b32_e32 v91, v111
	;; [unrolled: 1-line block ×5, first 2 shown]
	v_pk_mul_f32 v[20:21], v[90:91], v[42:43]
	s_nop 0
	v_pk_fma_f32 v[42:43], v[12:13], v[16:17], v[20:21] neg_lo:[0,0,1] neg_hi:[0,0,1]
	v_pk_fma_f32 v[12:13], v[12:13], v[16:17], v[20:21]
	s_nop 0
	v_pk_mov_b32 v[12:13], v[42:43], v[12:13] op_sel:[1,0]
	s_nop 0
	v_pk_add_f32 v[8:9], v[8:9], v[12:13] neg_lo:[0,1] neg_hi:[0,1]
	v_mul_f32_e32 v12, v111, v88
	v_fmac_f32_e32 v12, v110, v89
	v_sub_f32_e32 v9, v9, v12
	s_waitcnt lgkmcnt(1)
	v_mul_f32_e32 v12, v105, v61
	v_mul_f32_e32 v13, v104, v61
	v_fma_f32 v12, v104, v60, -v12
	v_fmac_f32_e32 v13, v105, v60
	v_sub_f32_e32 v12, v8, v12
	v_sub_f32_e32 v13, v9, v13
	scratch_load_dwordx2 v[8:9], off, off offset:152
	ds_read_b128 v[88:91], v133 offset:5328
	ds_read_b128 v[60:63], v133 offset:6864
	s_waitcnt vmcnt(0)
	v_mul_f32_e32 v16, v115, v9
	v_mul_f32_e32 v9, v114, v9
	v_fmac_f32_e32 v9, v115, v8
	v_fma_f32 v16, v114, v8, -v16
	v_sub_f32_e32 v13, v13, v9
	scratch_load_dwordx2 v[8:9], off, off offset:160
	v_sub_f32_e32 v12, v12, v16
	s_waitcnt vmcnt(0) lgkmcnt(1)
	v_mul_f32_e32 v16, v89, v9
	v_mul_f32_e32 v9, v88, v9
	v_fmac_f32_e32 v9, v89, v8
	v_fma_f32 v16, v88, v8, -v16
	v_sub_f32_e32 v13, v13, v9
	scratch_load_dwordx2 v[8:9], off, off offset:168
	v_sub_f32_e32 v12, v12, v16
	ds_read_b128 v[86:89], v133 offset:5840
	s_waitcnt vmcnt(0)
	v_mul_f32_e32 v16, v119, v9
	v_mul_f32_e32 v9, v118, v9
	v_fmac_f32_e32 v9, v119, v8
	v_fma_f32 v16, v118, v8, -v16
	v_sub_f32_e32 v13, v13, v9
	scratch_load_dwordx2 v[8:9], off, off offset:176
	v_sub_f32_e32 v12, v12, v16
	s_waitcnt vmcnt(0) lgkmcnt(0)
	v_mul_f32_e32 v16, v87, v9
	v_mul_f32_e32 v9, v86, v9
	v_fmac_f32_e32 v9, v87, v8
	v_fma_f32 v16, v86, v8, -v16
	v_sub_f32_e32 v9, v13, v9
	v_mul_f32_e32 v13, v122, v29
	v_sub_f32_e32 v8, v12, v16
	v_mul_f32_e32 v12, v123, v29
	v_fmac_f32_e32 v13, v123, v28
	v_fma_f32 v12, v122, v28, -v12
	v_sub_f32_e32 v9, v9, v13
	v_mul_f32_e32 v13, v76, v33
	v_sub_f32_e32 v8, v8, v12
	;; [unrolled: 6-line block ×3, first 2 shown]
	v_mul_f32_e32 v12, v127, v129
	v_fmac_f32_e32 v13, v127, v128
	v_fma_f32 v12, v126, v128, -v12
	v_sub_f32_e32 v9, v9, v13
	v_sub_f32_e32 v8, v8, v12
	v_mul_f32_e32 v12, v61, v9
	v_mul_f32_e32 v131, v60, v9
	v_fma_f32 v130, v60, v8, -v12
	v_fmac_f32_e32 v131, v61, v8
	scratch_load_dwordx2 v[8:9], off, off
	ds_read2_b64 v[58:61], v133 offset0:59 offset1:60
	s_waitcnt vmcnt(0)
	v_mul_f32_e32 v12, v69, v9
	v_mul_f32_e32 v9, v68, v9
	v_fmac_f32_e32 v9, v69, v8
	v_fma_f32 v12, v68, v8, -v12
	v_sub_f32_e32 v13, v51, v9
	scratch_load_dwordx2 v[8:9], off, off offset:8
	v_sub_f32_e32 v12, v50, v12
	ds_read2_b64 v[66:69], v133 offset0:123 offset1:124
	s_waitcnt vmcnt(0) lgkmcnt(1)
	v_mul_f32_e32 v16, v59, v9
	v_mul_f32_e32 v9, v58, v9
	v_fmac_f32_e32 v9, v59, v8
	v_fma_f32 v16, v58, v8, -v16
	v_sub_f32_e32 v13, v13, v9
	scratch_load_dwordx2 v[8:9], off, off offset:16
	v_sub_f32_e32 v12, v12, v16
	s_waitcnt vmcnt(0)
	v_mul_f32_e32 v16, v109, v9
	v_mul_f32_e32 v9, v108, v9
	v_fmac_f32_e32 v9, v109, v8
	v_fma_f32 v16, v108, v8, -v16
	v_sub_f32_e32 v13, v13, v9
	scratch_load_dwordx2 v[8:9], off, off offset:24
	v_sub_f32_e32 v12, v12, v16
	s_waitcnt vmcnt(0) lgkmcnt(0)
	v_mul_f32_e32 v16, v67, v9
	v_mul_f32_e32 v9, v66, v9
	v_fmac_f32_e32 v9, v67, v8
	v_fma_f32 v16, v66, v8, -v16
	v_sub_f32_e32 v13, v13, v9
	scratch_load_dwordx2 v[8:9], off, off offset:32
	v_sub_f32_e32 v12, v12, v16
	v_mov_b32_e32 v66, v95
	s_waitcnt vmcnt(0)
	v_mul_f32_e32 v16, v73, v9
	v_mul_f32_e32 v9, v72, v9
	v_fmac_f32_e32 v9, v73, v8
	v_fma_f32 v16, v72, v8, -v16
	v_sub_f32_e32 v13, v13, v9
	scratch_load_dwordx2 v[8:9], off, off offset:40
	ds_read2_b64 v[70:73], v133 offset0:187 offset1:188
	v_sub_f32_e32 v12, v12, v16
	s_waitcnt vmcnt(0) lgkmcnt(0)
	v_mul_f32_e32 v16, v71, v9
	v_mul_f32_e32 v9, v70, v9
	v_fmac_f32_e32 v9, v71, v8
	v_fma_f32 v16, v70, v8, -v16
	v_sub_f32_e32 v13, v13, v9
	scratch_load_dwordx2 v[8:9], off, off offset:48
	v_sub_f32_e32 v12, v12, v16
	s_waitcnt vmcnt(0)
	v_mul_f32_e32 v16, v81, v9
	v_mul_f32_e32 v9, v80, v9
	v_fma_f32 v16, v80, v8, -v16
	v_fmac_f32_e32 v9, v81, v8
	v_sub_f32_e32 v8, v12, v16
	v_sub_f32_e32 v9, v13, v9
	scratch_load_dwordx2 v[12:13], off, off offset:56
	ds_read2_b64 v[80:83], v133 offset0:251 offset1:252
	s_waitcnt vmcnt(0) lgkmcnt(0)
	v_mul_f32_e32 v16, v81, v13
	v_fma_f32 v16, v80, v12, -v16
	v_sub_f32_e32 v8, v8, v16
	scratch_load_dwordx2 v[16:17], off, off offset:64
	scratch_load_dwordx2 v[20:21], off, off offset:72
	;; [unrolled: 1-line block ×3, first 2 shown]
	scratch_load_dwordx4 v[48:51], off, off offset:80
	scratch_load_dwordx4 v[108:111], off, off offset:96
	;; [unrolled: 1-line block ×3, first 2 shown]
	v_mul_f32_e32 v13, v80, v13
	v_fmac_f32_e32 v13, v81, v12
	scratch_load_dwordx4 v[116:119], off, off offset:112
	scratch_load_dwordx4 v[120:123], off, off offset:120
	;; [unrolled: 1-line block ×3, first 2 shown]
	s_waitcnt vmcnt(7)
	v_mov_b32_e32 v55, v20
	v_mul_f32_e32 v12, v85, v17
	v_fma_f32 v12, v84, v16, -v12
	v_mul_f32_e32 v17, v84, v17
	v_pk_add_f32 v[8:9], v[8:9], v[12:13] neg_lo:[0,1] neg_hi:[0,1]
	v_mov_b32_e32 v12, 0x9d8
	v_fmac_f32_e32 v17, v85, v16
	ds_read2_b64 v[84:87], v12 offset1:1
	s_waitcnt vmcnt(6)
	v_mov_b32_e32 v54, v42
	v_mov_b32_e32 v13, v42
	;; [unrolled: 1-line block ×3, first 2 shown]
	s_waitcnt vmcnt(5)
	v_mov_b32_e32 v58, v51
	s_waitcnt lgkmcnt(0)
	v_mul_f32_e32 v12, v85, v21
	v_fma_f32 v16, v84, v20, -v12
	v_mov_b32_e32 v67, v84
	v_mov_b32_e32 v20, v43
	v_pk_add_f32 v[8:9], v[8:9], v[16:17] neg_lo:[0,1] neg_hi:[0,1]
	v_mov_b32_e32 v16, v94
	v_mov_b32_e32 v17, v85
	v_pk_mul_f32 v[20:21], v[66:67], v[20:21]
	v_mov_b32_e32 v12, v50
	v_pk_fma_f32 v[16:17], v[16:17], v[54:55], v[20:21]
	v_pk_fma_f32 v[42:43], v[94:95], v[42:43], v[20:21] neg_lo:[0,0,1] neg_hi:[0,0,1]
	v_mov_b32_e32 v16, 0xbd8
	ds_read2_b64 v[74:77], v16 offset1:1
	v_mov_b32_e32 v43, v17
	v_pk_add_f32 v[8:9], v[8:9], v[42:43] neg_lo:[0,1] neg_hi:[0,1]
	v_mov_b32_e32 v43, v94
	v_mov_b32_e32 v21, v95
	s_waitcnt lgkmcnt(0)
	v_mov_b32_e32 v42, v75
	v_mov_b32_e32 v20, v74
	v_pk_mul_f32 v[42:43], v[42:43], v[58:59]
	v_mov_b32_e32 v16, v50
	s_waitcnt vmcnt(4)
	v_mov_b32_e32 v17, v108
	v_pk_fma_f32 v[12:13], v[20:21], v[12:13], v[42:43]
	v_mov_b32_e32 v20, v75
	v_mov_b32_e32 v21, v98
	;; [unrolled: 1-line block ×3, first 2 shown]
	v_pk_fma_f32 v[54:55], v[74:75], v[16:17], v[42:43] neg_lo:[0,0,1] neg_hi:[0,0,1]
	v_pk_mul_f32 v[16:17], v[20:21], v[16:17]
	v_mov_b32_e32 v20, v99
	v_mov_b32_e32 v21, v74
	v_pk_fma_f32 v[42:43], v[20:21], v[50:51], v[16:17] op_sel:[0,0,1] op_sel_hi:[1,1,0] neg_lo:[1,0,0] neg_hi:[1,0,0]
	v_pk_fma_f32 v[16:17], v[20:21], v[50:51], v[16:17] op_sel:[0,0,1] op_sel_hi:[1,1,0]
	v_mov_b32_e32 v55, v13
	v_mov_b32_e32 v16, 0xdd8
	ds_read2_b64 v[94:97], v16 offset1:1
	v_pk_add_f32 v[8:9], v[8:9], v[54:55] neg_lo:[0,1] neg_hi:[0,1]
	v_mov_b32_e32 v13, v110
	v_mov_b32_e32 v110, v109
	;; [unrolled: 1-line block ×3, first 2 shown]
	s_waitcnt lgkmcnt(0)
	v_mov_b32_e32 v99, v95
	v_mov_b32_e32 v12, v108
	v_pk_add_f32 v[8:9], v[8:9], v[42:43] neg_lo:[0,1] neg_hi:[0,1]
	v_pk_mul_f32 v[42:43], v[98:99], v[110:111]
	scratch_load_dwordx4 v[108:111], off, off offset:136
	v_mov_b32_e32 v21, v94
	s_waitcnt vmcnt(4)
	v_mov_b32_e32 v17, v114
	v_mov_b32_e32 v114, v113
	v_pk_fma_f32 v[50:51], v[20:21], v[12:13], v[42:43] neg_lo:[0,0,1] neg_hi:[0,0,1]
	v_pk_fma_f32 v[12:13], v[20:21], v[12:13], v[42:43]
	v_mov_b32_e32 v20, v95
	v_mov_b32_e32 v95, v103
	;; [unrolled: 1-line block ×4, first 2 shown]
	v_pk_mul_f32 v[42:43], v[94:95], v[114:115]
	v_pk_mov_b32 v[12:13], v[50:51], v[12:13] op_sel:[1,0]
	v_pk_fma_f32 v[50:51], v[20:21], v[16:17], v[42:43] neg_lo:[0,0,1] neg_hi:[0,0,1]
	v_pk_fma_f32 v[16:17], v[20:21], v[16:17], v[42:43]
	v_pk_add_f32 v[8:9], v[8:9], v[12:13] neg_lo:[0,1] neg_hi:[0,1]
	v_pk_mov_b32 v[16:17], v[50:51], v[16:17] op_sel:[1,0]
	s_waitcnt vmcnt(3)
	v_mov_b32_e32 v13, v118
	v_pk_add_f32 v[8:9], v[8:9], v[16:17] neg_lo:[0,1] neg_hi:[0,1]
	v_mov_b32_e32 v16, 0xfd8
	ds_read2_b64 v[98:101], v16 offset1:1
	v_mov_b32_e32 v118, v117
	v_mov_b32_e32 v20, v103
	;; [unrolled: 1-line block ×3, first 2 shown]
	s_waitcnt vmcnt(2)
	v_mov_b32_e32 v17, v122
	s_waitcnt lgkmcnt(0)
	v_mov_b32_e32 v103, v99
	v_mov_b32_e32 v21, v98
	v_pk_mul_f32 v[42:43], v[102:103], v[118:119]
	v_mov_b32_e32 v122, v121
	v_pk_fma_f32 v[50:51], v[20:21], v[12:13], v[42:43] neg_lo:[0,0,1] neg_hi:[0,0,1]
	v_pk_fma_f32 v[12:13], v[20:21], v[12:13], v[42:43]
	v_mov_b32_e32 v20, v99
	v_mov_b32_e32 v99, v93
	;; [unrolled: 1-line block ×4, first 2 shown]
	v_pk_mul_f32 v[42:43], v[98:99], v[122:123]
	v_pk_mov_b32 v[12:13], v[50:51], v[12:13] op_sel:[1,0]
	v_pk_fma_f32 v[50:51], v[20:21], v[16:17], v[42:43] neg_lo:[0,0,1] neg_hi:[0,0,1]
	v_pk_fma_f32 v[16:17], v[20:21], v[16:17], v[42:43]
	v_pk_add_f32 v[8:9], v[8:9], v[12:13] neg_lo:[0,1] neg_hi:[0,1]
	v_pk_mov_b32 v[16:17], v[50:51], v[16:17] op_sel:[1,0]
	s_waitcnt vmcnt(1)
	v_mov_b32_e32 v13, v126
	v_pk_add_f32 v[8:9], v[8:9], v[16:17] neg_lo:[0,1] neg_hi:[0,1]
	v_mov_b32_e32 v16, 0x11d8
	ds_read2_b64 v[102:105], v16 offset1:1
	v_mov_b32_e32 v126, v125
	v_mov_b32_e32 v20, v93
	v_mov_b32_e32 v12, v124
	s_waitcnt lgkmcnt(0)
	v_mov_b32_e32 v93, v103
	v_mov_b32_e32 v21, v102
	v_pk_mul_f32 v[50:51], v[92:93], v[126:127]
	ds_read_b128 v[92:95], v133 offset:1248
	v_pk_fma_f32 v[54:55], v[20:21], v[12:13], v[50:51] neg_lo:[0,0,1] neg_hi:[0,0,1]
	v_pk_fma_f32 v[12:13], v[20:21], v[12:13], v[50:51]
	s_waitcnt vmcnt(0)
	v_mov_b32_e32 v42, v109
	v_pk_mov_b32 v[12:13], v[54:55], v[12:13] op_sel:[1,0]
	v_mov_b32_e32 v43, v111
	v_pk_add_f32 v[8:9], v[8:9], v[12:13] neg_lo:[0,1] neg_hi:[0,1]
	v_mov_b32_e32 v12, v103
	v_mov_b32_e32 v103, v107
	;; [unrolled: 1-line block ×5, first 2 shown]
	v_pk_mul_f32 v[20:21], v[102:103], v[42:43]
	s_nop 0
	v_pk_fma_f32 v[42:43], v[12:13], v[16:17], v[20:21] neg_lo:[0,0,1] neg_hi:[0,0,1]
	v_pk_fma_f32 v[12:13], v[12:13], v[16:17], v[20:21]
	s_nop 0
	v_pk_mov_b32 v[12:13], v[42:43], v[12:13] op_sel:[1,0]
	s_nop 0
	v_pk_add_f32 v[8:9], v[8:9], v[12:13] neg_lo:[0,1] neg_hi:[0,1]
	v_mul_f32_e32 v12, v107, v110
	v_fmac_f32_e32 v12, v106, v111
	v_sub_f32_e32 v9, v9, v12
	v_mov_b32_e32 v12, 0x13d8
	ds_read2_b64 v[108:111], v12 offset1:1
	s_waitcnt lgkmcnt(0)
	v_mul_f32_e32 v12, v109, v57
	v_mul_f32_e32 v13, v108, v57
	v_fma_f32 v12, v108, v56, -v12
	v_fmac_f32_e32 v13, v109, v56
	v_sub_f32_e32 v12, v8, v12
	v_sub_f32_e32 v13, v9, v13
	scratch_load_dwordx2 v[8:9], off, off offset:160
	ds_read_b128 v[106:109], v133 offset:224
	s_waitcnt vmcnt(0)
	v_mul_f32_e32 v16, v91, v9
	v_mul_f32_e32 v9, v90, v9
	v_fmac_f32_e32 v9, v91, v8
	v_fma_f32 v16, v90, v8, -v16
	v_sub_f32_e32 v13, v13, v9
	scratch_load_dwordx2 v[8:9], off, off offset:168
	v_sub_f32_e32 v12, v12, v16
	v_mov_b32_e32 v16, 0x15d8
	ds_read2_b64 v[112:115], v16 offset1:1
	s_waitcnt vmcnt(0) lgkmcnt(0)
	v_mul_f32_e32 v16, v113, v9
	v_mul_f32_e32 v9, v112, v9
	v_fmac_f32_e32 v9, v113, v8
	v_fma_f32 v16, v112, v8, -v16
	v_sub_f32_e32 v13, v13, v9
	scratch_load_dwordx2 v[8:9], off, off offset:176
	v_sub_f32_e32 v12, v12, v16
	s_waitcnt vmcnt(0)
	v_mul_f32_e32 v16, v89, v9
	v_fma_f32 v16, v88, v8, -v16
	v_mul_f32_e32 v9, v88, v9
	v_fmac_f32_e32 v9, v89, v8
	v_sub_f32_e32 v8, v12, v16
	v_mov_b32_e32 v12, 0x17d8
	ds_read2_b64 v[116:119], v12 offset1:1
	v_sub_f32_e32 v9, v13, v9
	ds_read_b128 v[88:91], v133 offset:736
	s_waitcnt lgkmcnt(1)
	v_mul_f32_e32 v12, v117, v29
	v_fma_f32 v12, v116, v28, -v12
	v_sub_f32_e32 v8, v8, v12
	v_mul_f32_e32 v12, v79, v33
	v_fma_f32 v12, v78, v32, -v12
	v_sub_f32_e32 v8, v8, v12
	v_mov_b32_e32 v12, 0x19d8
	ds_read2_b64 v[120:123], v12 offset1:1
	v_mul_f32_e32 v13, v116, v29
	v_fmac_f32_e32 v13, v117, v28
	v_sub_f32_e32 v9, v9, v13
	v_mul_f32_e32 v13, v78, v33
	s_waitcnt lgkmcnt(0)
	v_mul_f32_e32 v12, v121, v129
	v_fma_f32 v12, v120, v128, -v12
	v_sub_f32_e32 v8, v8, v12
	v_mul_f32_e32 v12, v63, v131
	v_fma_f32 v12, v62, v130, -v12
	v_fmac_f32_e32 v13, v79, v32
	v_sub_f32_e32 v8, v8, v12
	v_mov_b32_e32 v12, 0x1bd8
	v_sub_f32_e32 v9, v9, v13
	v_mul_f32_e32 v13, v120, v129
	ds_read2_b64 v[124:127], v12 offset1:1
	v_fmac_f32_e32 v13, v121, v128
	v_sub_f32_e32 v9, v9, v13
	v_mul_f32_e32 v13, v62, v131
	v_fmac_f32_e32 v13, v63, v130
	v_sub_f32_e32 v9, v9, v13
	s_waitcnt lgkmcnt(0)
	v_mul_f32_e32 v12, v125, v9
	v_mul_f32_e32 v121, v124, v9
	v_fma_f32 v120, v124, v8, -v12
	v_fmac_f32_e32 v121, v125, v8
	scratch_load_dwordx2 v[8:9], off, off
	ds_read_b128 v[78:81], v133 offset:1760
	ds_write2_b64 v132, v[130:131], v[120:121] offset0:64 offset1:96
	v_mov_b32_e32 v62, v77
	s_waitcnt vmcnt(0)
	v_mul_f32_e32 v12, v107, v9
	v_mul_f32_e32 v9, v106, v9
	v_fmac_f32_e32 v9, v107, v8
	v_fma_f32 v12, v106, v8, -v12
	v_sub_f32_e32 v13, v45, v9
	scratch_load_dwordx2 v[8:9], off, off offset:8
	v_sub_f32_e32 v12, v44, v12
	s_waitcnt vmcnt(0)
	v_mul_f32_e32 v16, v61, v9
	v_mul_f32_e32 v9, v60, v9
	v_fmac_f32_e32 v9, v61, v8
	v_fma_f32 v16, v60, v8, -v16
	v_sub_f32_e32 v13, v13, v9
	scratch_load_dwordx2 v[8:9], off, off offset:16
	v_sub_f32_e32 v12, v12, v16
	;; [unrolled: 8-line block ×6, first 2 shown]
	s_waitcnt vmcnt(0) lgkmcnt(1)
	v_mul_f32_e32 v16, v79, v9
	v_mul_f32_e32 v9, v78, v9
	v_fmac_f32_e32 v9, v79, v8
	v_fma_f32 v16, v78, v8, -v16
	v_sub_f32_e32 v13, v13, v9
	scratch_load_dwordx2 v[8:9], off, off offset:56
	v_sub_f32_e32 v12, v12, v16
	s_waitcnt vmcnt(0)
	v_mul_f32_e32 v16, v83, v9
	v_mul_f32_e32 v9, v82, v9
	v_fma_f32 v16, v82, v8, -v16
	v_fmac_f32_e32 v9, v83, v8
	v_sub_f32_e32 v8, v12, v16
	v_sub_f32_e32 v9, v13, v9
	scratch_load_dwordx2 v[12:13], off, off offset:64
	ds_read_b128 v[82:85], v133 offset:2272
	s_waitcnt vmcnt(0) lgkmcnt(0)
	v_mul_f32_e32 v16, v83, v13
	v_fma_f32 v16, v82, v12, -v16
	v_sub_f32_e32 v8, v8, v16
	scratch_load_dwordx2 v[16:17], off, off offset:72
	scratch_load_dwordx2 v[20:21], off, off offset:80
	;; [unrolled: 1-line block ×3, first 2 shown]
	scratch_load_dwordx4 v[42:45], off, off offset:88
	scratch_load_dwordx4 v[58:61], off, off offset:104
	;; [unrolled: 1-line block ×3, first 2 shown]
	v_mul_f32_e32 v13, v82, v13
	v_fmac_f32_e32 v13, v83, v12
	ds_read_b128 v[66:69], v133 offset:3296
	scratch_load_dwordx4 v[134:137], off, off offset:120
	scratch_load_dwordx4 v[138:141], off, off offset:136
	s_waitcnt vmcnt(6)
	v_mov_b32_e32 v55, v20
	v_mul_f32_e32 v12, v87, v17
	v_mul_f32_e32 v17, v86, v17
	v_fma_f32 v12, v86, v16, -v12
	v_fmac_f32_e32 v17, v87, v16
	ds_read_b128 v[86:89], v133 offset:2784
	v_pk_add_f32 v[8:9], v[8:9], v[12:13] neg_lo:[0,1] neg_hi:[0,1]
	s_waitcnt vmcnt(5)
	v_mov_b32_e32 v54, v50
	v_mov_b32_e32 v13, v50
	;; [unrolled: 1-line block ×3, first 2 shown]
	s_waitcnt lgkmcnt(0)
	v_mul_f32_e32 v12, v87, v21
	v_fma_f32 v16, v86, v20, -v12
	v_mov_b32_e32 v63, v86
	v_mov_b32_e32 v20, v51
	v_pk_add_f32 v[8:9], v[8:9], v[16:17] neg_lo:[0,1] neg_hi:[0,1]
	v_mov_b32_e32 v16, v76
	v_mov_b32_e32 v17, v87
	v_pk_mul_f32 v[20:21], v[62:63], v[20:21]
	s_waitcnt vmcnt(4)
	v_mov_b32_e32 v56, v45
	v_pk_fma_f32 v[50:51], v[76:77], v[50:51], v[20:21] neg_lo:[0,0,1] neg_hi:[0,0,1]
	v_pk_fma_f32 v[16:17], v[16:17], v[54:55], v[20:21]
	v_mov_b32_e32 v12, v44
	v_mov_b32_e32 v51, v17
	v_pk_add_f32 v[8:9], v[8:9], v[50:51] neg_lo:[0,1] neg_hi:[0,1]
	v_mov_b32_e32 v50, v67
	v_mov_b32_e32 v51, v76
	;; [unrolled: 1-line block ×3, first 2 shown]
	s_waitcnt vmcnt(3)
	v_mov_b32_e32 v17, v58
	v_mov_b32_e32 v20, v66
	;; [unrolled: 1-line block ×3, first 2 shown]
	v_pk_mul_f32 v[50:51], v[50:51], v[56:57]
	v_mov_b32_e32 v44, v59
	v_pk_fma_f32 v[54:55], v[66:67], v[16:17], v[50:51] neg_lo:[0,0,1] neg_hi:[0,0,1]
	v_pk_fma_f32 v[12:13], v[20:21], v[12:13], v[50:51]
	scratch_load_dwordx4 v[74:77], off, off offset:128
	v_mov_b32_e32 v55, v13
	v_mov_b32_e32 v12, v58
	;; [unrolled: 1-line block ×4, first 2 shown]
	ds_read_b128 v[56:59], v133 offset:3808
	v_mov_b32_e32 v20, v67
	v_mov_b32_e32 v21, v96
	v_pk_mul_f32 v[16:17], v[20:21], v[16:17]
	v_mov_b32_e32 v20, v97
	v_mov_b32_e32 v21, v66
	s_waitcnt lgkmcnt(0)
	v_mov_b32_e32 v97, v57
	v_pk_fma_f32 v[50:51], v[20:21], v[44:45], v[16:17] op_sel:[0,0,1] op_sel_hi:[1,1,0] neg_lo:[1,0,0] neg_hi:[1,0,0]
	v_pk_fma_f32 v[16:17], v[20:21], v[44:45], v[16:17] op_sel:[0,0,1] op_sel_hi:[1,1,0]
	v_pk_mul_f32 v[44:45], v[96:97], v[60:61]
	scratch_load_dwordx4 v[96:99], off, off offset:144
	ds_read_b128 v[60:63], v133 offset:4320
	v_pk_add_f32 v[8:9], v[8:9], v[54:55] neg_lo:[0,1] neg_hi:[0,1]
	v_mov_b32_e32 v51, v17
	v_mov_b32_e32 v21, v56
	v_pk_add_f32 v[8:9], v[8:9], v[50:51] neg_lo:[0,1] neg_hi:[0,1]
	s_waitcnt vmcnt(4)
	v_mov_b32_e32 v17, v72
	v_mov_b32_e32 v72, v71
	v_pk_fma_f32 v[50:51], v[20:21], v[12:13], v[44:45] neg_lo:[0,0,1] neg_hi:[0,0,1]
	v_pk_fma_f32 v[12:13], v[20:21], v[12:13], v[44:45]
	v_mov_b32_e32 v20, v57
	v_mov_b32_e32 v57, v101
	;; [unrolled: 1-line block ×3, first 2 shown]
	v_pk_mov_b32 v[12:13], v[50:51], v[12:13] op_sel:[1,0]
	v_mov_b32_e32 v21, v100
	v_pk_mul_f32 v[44:45], v[56:57], v[72:73]
	ds_read_b128 v[54:57], v133 offset:4832
	v_pk_add_f32 v[8:9], v[8:9], v[12:13] neg_lo:[0,1] neg_hi:[0,1]
	s_waitcnt vmcnt(3)
	v_mov_b32_e32 v13, v136
	v_mov_b32_e32 v136, v135
	v_pk_fma_f32 v[50:51], v[20:21], v[16:17], v[44:45] neg_lo:[0,0,1] neg_hi:[0,0,1]
	v_pk_fma_f32 v[16:17], v[20:21], v[16:17], v[44:45]
	v_mov_b32_e32 v20, v101
	s_waitcnt lgkmcnt(1)
	v_mov_b32_e32 v101, v61
	v_mov_b32_e32 v12, v134
	v_pk_mov_b32 v[16:17], v[50:51], v[16:17] op_sel:[1,0]
	v_mov_b32_e32 v21, v60
	v_pk_mul_f32 v[44:45], v[100:101], v[136:137]
	v_pk_add_f32 v[8:9], v[8:9], v[16:17] neg_lo:[0,1] neg_hi:[0,1]
	v_pk_fma_f32 v[50:51], v[20:21], v[12:13], v[44:45] neg_lo:[0,0,1] neg_hi:[0,0,1]
	v_pk_fma_f32 v[12:13], v[20:21], v[12:13], v[44:45]
	v_mov_b32_e32 v20, v61
	v_mov_b32_e32 v61, v105
	v_pk_mov_b32 v[12:13], v[50:51], v[12:13] op_sel:[1,0]
	v_mov_b32_e32 v21, v104
	v_pk_add_f32 v[8:9], v[8:9], v[12:13] neg_lo:[0,1] neg_hi:[0,1]
	s_waitcnt vmcnt(2)
	v_mov_b32_e32 v13, v140
	v_mov_b32_e32 v140, v139
	;; [unrolled: 1-line block ×3, first 2 shown]
	s_waitcnt vmcnt(1)
	v_mov_b32_e32 v17, v76
	v_mov_b32_e32 v76, v75
	;; [unrolled: 1-line block ×3, first 2 shown]
	v_pk_mul_f32 v[44:45], v[60:61], v[76:77]
	ds_read_b128 v[76:79], v133 offset:5344
	v_pk_fma_f32 v[50:51], v[20:21], v[16:17], v[44:45] neg_lo:[0,0,1] neg_hi:[0,0,1]
	v_pk_fma_f32 v[16:17], v[20:21], v[16:17], v[44:45]
	v_mov_b32_e32 v20, v105
	s_waitcnt lgkmcnt(1)
	v_mov_b32_e32 v105, v55
	v_pk_mov_b32 v[16:17], v[50:51], v[16:17] op_sel:[1,0]
	v_mov_b32_e32 v21, v54
	v_pk_mul_f32 v[50:51], v[104:105], v[140:141]
	v_pk_add_f32 v[8:9], v[8:9], v[16:17] neg_lo:[0,1] neg_hi:[0,1]
	v_pk_fma_f32 v[60:61], v[20:21], v[12:13], v[50:51] neg_lo:[0,0,1] neg_hi:[0,0,1]
	v_pk_fma_f32 v[12:13], v[20:21], v[12:13], v[50:51]
	s_waitcnt vmcnt(0)
	v_mov_b32_e32 v44, v97
	v_pk_mov_b32 v[12:13], v[60:61], v[12:13] op_sel:[1,0]
	v_mov_b32_e32 v45, v99
	v_pk_add_f32 v[8:9], v[8:9], v[12:13] neg_lo:[0,1] neg_hi:[0,1]
	v_mov_b32_e32 v12, v55
	v_mov_b32_e32 v55, v111
	;; [unrolled: 1-line block ×5, first 2 shown]
	v_pk_mul_f32 v[20:21], v[54:55], v[44:45]
	ds_read2_b64 v[102:105], v133 offset0:125 offset1:126
	v_pk_fma_f32 v[44:45], v[12:13], v[16:17], v[20:21] neg_lo:[0,0,1] neg_hi:[0,0,1]
	v_pk_fma_f32 v[12:13], v[12:13], v[16:17], v[20:21]
	v_mov_b32_e32 v60, v69
	v_pk_mov_b32 v[12:13], v[44:45], v[12:13] op_sel:[1,0]
	s_nop 0
	v_pk_add_f32 v[8:9], v[8:9], v[12:13] neg_lo:[0,1] neg_hi:[0,1]
	v_mul_f32_e32 v12, v111, v98
	v_fmac_f32_e32 v12, v110, v99
	v_sub_f32_e32 v9, v9, v12
	s_waitcnt lgkmcnt(1)
	v_mul_f32_e32 v12, v77, v65
	v_mul_f32_e32 v13, v76, v65
	v_fma_f32 v12, v76, v64, -v12
	v_fmac_f32_e32 v13, v77, v64
	v_sub_f32_e32 v12, v8, v12
	v_sub_f32_e32 v13, v9, v13
	scratch_load_dwordx2 v[8:9], off, off offset:168
	ds_read_b128 v[74:77], v133 offset:5856
	ds_read_b128 v[64:67], v133 offset:7392
	s_waitcnt vmcnt(0)
	v_mul_f32_e32 v16, v115, v9
	v_mul_f32_e32 v9, v114, v9
	v_fmac_f32_e32 v9, v115, v8
	v_fma_f32 v16, v114, v8, -v16
	v_sub_f32_e32 v13, v13, v9
	scratch_load_dwordx2 v[8:9], off, off offset:176
	v_sub_f32_e32 v12, v12, v16
	s_waitcnt vmcnt(0) lgkmcnt(1)
	v_mul_f32_e32 v16, v75, v9
	v_mul_f32_e32 v9, v74, v9
	v_fma_f32 v16, v74, v8, -v16
	v_fmac_f32_e32 v9, v75, v8
	ds_read_b128 v[72:75], v133 offset:6368
	v_sub_f32_e32 v8, v12, v16
	v_sub_f32_e32 v9, v13, v9
	v_mul_f32_e32 v12, v119, v29
	v_mul_f32_e32 v13, v118, v29
	v_fma_f32 v12, v118, v28, -v12
	v_fmac_f32_e32 v13, v119, v28
	v_sub_f32_e32 v8, v8, v12
	v_sub_f32_e32 v9, v9, v13
	s_waitcnt lgkmcnt(0)
	v_mul_f32_e32 v12, v73, v33
	v_mul_f32_e32 v13, v72, v33
	v_fma_f32 v12, v72, v32, -v12
	v_fmac_f32_e32 v13, v73, v32
	ds_read_b128 v[70:73], v133 offset:6880
	v_sub_f32_e32 v9, v9, v13
	v_mul_f32_e32 v13, v122, v129
	v_sub_f32_e32 v8, v8, v12
	v_mul_f32_e32 v12, v123, v129
	v_fmac_f32_e32 v13, v123, v128
	v_fma_f32 v12, v122, v128, -v12
	v_sub_f32_e32 v9, v9, v13
	s_waitcnt lgkmcnt(0)
	v_mul_f32_e32 v13, v70, v131
	v_sub_f32_e32 v8, v8, v12
	v_mul_f32_e32 v12, v71, v131
	v_fmac_f32_e32 v13, v71, v130
	v_fma_f32 v12, v70, v130, -v12
	v_sub_f32_e32 v9, v9, v13
	v_mul_f32_e32 v13, v126, v121
	v_sub_f32_e32 v8, v8, v12
	v_mul_f32_e32 v12, v127, v121
	v_fmac_f32_e32 v13, v127, v120
	v_fma_f32 v12, v126, v120, -v12
	v_sub_f32_e32 v9, v9, v13
	v_sub_f32_e32 v8, v8, v12
	v_mul_f32_e32 v12, v65, v9
	v_mul_f32_e32 v119, v64, v9
	v_fma_f32 v118, v64, v8, -v12
	v_fmac_f32_e32 v119, v65, v8
	scratch_load_dwordx2 v[8:9], off, off
	s_waitcnt vmcnt(0)
	v_mul_f32_e32 v12, v109, v9
	v_mul_f32_e32 v9, v108, v9
	v_fmac_f32_e32 v9, v109, v8
	v_fma_f32 v12, v108, v8, -v12
	v_sub_f32_e32 v13, v47, v9
	scratch_load_dwordx2 v[8:9], off, off offset:8
	v_sub_f32_e32 v12, v46, v12
	ds_read2_b64 v[44:47], v133 offset0:61 offset1:62
	ds_read2_b64 v[106:109], v133 offset0:253 offset1:254
	s_waitcnt vmcnt(0) lgkmcnt(1)
	v_mul_f32_e32 v16, v45, v9
	v_mul_f32_e32 v9, v44, v9
	v_fma_f32 v16, v44, v8, -v16
	v_fmac_f32_e32 v9, v45, v8
	v_sub_f32_e32 v8, v12, v16
	v_sub_f32_e32 v9, v13, v9
	scratch_load_dwordx2 v[12:13], off, off offset:16
	s_waitcnt vmcnt(0)
	v_mul_f32_e32 v16, v91, v13
	v_mul_f32_e32 v13, v90, v13
	v_fma_f32 v16, v90, v12, -v16
	v_fmac_f32_e32 v13, v91, v12
	v_sub_f32_e32 v12, v8, v16
	v_sub_f32_e32 v13, v9, v13
	scratch_load_dwordx2 v[8:9], off, off offset:24
	s_waitcnt vmcnt(0)
	v_mul_f32_e32 v16, v103, v9
	v_mul_f32_e32 v9, v102, v9
	v_fmac_f32_e32 v9, v103, v8
	v_fma_f32 v16, v102, v8, -v16
	v_sub_f32_e32 v13, v13, v9
	scratch_load_dwordx2 v[8:9], off, off offset:32
	v_sub_f32_e32 v12, v12, v16
	s_waitcnt vmcnt(0)
	v_mul_f32_e32 v16, v95, v9
	v_mul_f32_e32 v9, v94, v9
	v_fmac_f32_e32 v9, v95, v8
	v_fma_f32 v16, v94, v8, -v16
	v_sub_f32_e32 v13, v13, v9
	scratch_load_dwordx2 v[8:9], off, off offset:40
	ds_read2_b64 v[92:95], v133 offset0:189 offset1:190
	v_sub_f32_e32 v12, v12, v16
	s_waitcnt vmcnt(0) lgkmcnt(0)
	v_mul_f32_e32 v16, v93, v9
	v_mul_f32_e32 v9, v92, v9
	v_fmac_f32_e32 v9, v93, v8
	v_fma_f32 v16, v92, v8, -v16
	v_sub_f32_e32 v13, v13, v9
	scratch_load_dwordx2 v[8:9], off, off offset:48
	v_sub_f32_e32 v12, v12, v16
	s_waitcnt vmcnt(0)
	v_mul_f32_e32 v16, v81, v9
	v_mul_f32_e32 v9, v80, v9
	v_fmac_f32_e32 v9, v81, v8
	v_fma_f32 v16, v80, v8, -v16
	v_sub_f32_e32 v13, v13, v9
	scratch_load_dwordx2 v[8:9], off, off offset:56
	v_sub_f32_e32 v12, v12, v16
	s_waitcnt vmcnt(0)
	;; [unrolled: 8-line block ×3, first 2 shown]
	v_mul_f32_e32 v16, v85, v9
	v_mul_f32_e32 v9, v84, v9
	v_fma_f32 v16, v84, v8, -v16
	v_fmac_f32_e32 v9, v85, v8
	v_sub_f32_e32 v8, v12, v16
	v_sub_f32_e32 v9, v13, v9
	scratch_load_dwordx2 v[12:13], off, off offset:72
	v_mov_b32_e32 v16, 0x9e8
	ds_read2_b64 v[110:113], v16 offset1:1
	s_waitcnt vmcnt(0) lgkmcnt(0)
	v_mul_f32_e32 v16, v111, v13
	v_fma_f32 v16, v110, v12, -v16
	v_sub_f32_e32 v8, v8, v16
	scratch_load_dwordx2 v[16:17], off, off offset:80
	scratch_load_dwordx2 v[20:21], off, off offset:88
	;; [unrolled: 1-line block ×3, first 2 shown]
	scratch_load_dwordx4 v[80:83], off, off offset:96
	scratch_load_dwordx4 v[84:87], off, off offset:112
	v_mul_f32_e32 v13, v110, v13
	v_fmac_f32_e32 v13, v111, v12
	scratch_load_dwordx4 v[122:125], off, off offset:128
	s_waitcnt vmcnt(4)
	v_mov_b32_e32 v51, v20
	v_mul_f32_e32 v12, v89, v17
	v_fma_f32 v12, v88, v16, -v12
	v_pk_add_f32 v[8:9], v[8:9], v[12:13] neg_lo:[0,1] neg_hi:[0,1]
	v_mov_b32_e32 v12, 0xbe8
	v_mul_f32_e32 v17, v88, v17
	ds_read2_b64 v[114:117], v12 offset1:1
	v_fmac_f32_e32 v17, v89, v16
	scratch_load_dwordx4 v[88:91], off, off offset:120
	s_waitcnt vmcnt(4)
	v_mov_b32_e32 v50, v44
	v_mov_b32_e32 v13, v44
	s_waitcnt lgkmcnt(0)
	v_mul_f32_e32 v12, v115, v21
	v_fma_f32 v16, v114, v20, -v12
	v_mov_b32_e32 v61, v114
	v_mov_b32_e32 v20, v45
	v_pk_add_f32 v[8:9], v[8:9], v[16:17] neg_lo:[0,1] neg_hi:[0,1]
	v_mov_b32_e32 v16, v68
	v_mov_b32_e32 v17, v115
	v_pk_mul_f32 v[20:21], v[60:61], v[20:21]
	v_mov_b32_e32 v55, v45
	v_pk_fma_f32 v[16:17], v[16:17], v[50:51], v[20:21]
	v_pk_fma_f32 v[44:45], v[68:69], v[44:45], v[20:21] neg_lo:[0,0,1] neg_hi:[0,0,1]
	v_mov_b32_e32 v16, 0xde8
	ds_read2_b64 v[100:103], v16 offset1:1
	v_mov_b32_e32 v45, v17
	v_pk_add_f32 v[8:9], v[8:9], v[44:45] neg_lo:[0,1] neg_hi:[0,1]
	v_mov_b32_e32 v21, v69
	v_mov_b32_e32 v45, v68
	scratch_load_dwordx4 v[68:71], off, off offset:136
	s_waitcnt vmcnt(4)
	v_mov_b32_e32 v54, v83
	s_waitcnt lgkmcnt(0)
	v_mov_b32_e32 v44, v101
	v_mov_b32_e32 v12, v82
	;; [unrolled: 1-line block ×3, first 2 shown]
	v_pk_mul_f32 v[44:45], v[44:45], v[54:55]
	v_mov_b32_e32 v16, v82
	s_waitcnt vmcnt(3)
	v_mov_b32_e32 v17, v84
	v_pk_fma_f32 v[12:13], v[20:21], v[12:13], v[44:45]
	v_mov_b32_e32 v20, v101
	v_mov_b32_e32 v21, v58
	;; [unrolled: 1-line block ×3, first 2 shown]
	v_pk_fma_f32 v[50:51], v[100:101], v[16:17], v[44:45] neg_lo:[0,0,1] neg_hi:[0,0,1]
	v_pk_mul_f32 v[16:17], v[20:21], v[16:17]
	v_mov_b32_e32 v20, v59
	v_mov_b32_e32 v21, v100
	v_pk_fma_f32 v[44:45], v[20:21], v[82:83], v[16:17] op_sel:[0,0,1] op_sel_hi:[1,1,0] neg_lo:[1,0,0] neg_hi:[1,0,0]
	v_pk_fma_f32 v[16:17], v[20:21], v[82:83], v[16:17] op_sel:[0,0,1] op_sel_hi:[1,1,0]
	v_mov_b32_e32 v51, v13
	v_mov_b32_e32 v16, 0xfe8
	ds_read2_b64 v[98:101], v16 offset1:1
	v_mov_b32_e32 v12, v84
	v_mov_b32_e32 v13, v86
	;; [unrolled: 1-line block ×3, first 2 shown]
	scratch_load_dwordx4 v[82:85], off, off offset:144
	v_pk_add_f32 v[8:9], v[8:9], v[50:51] neg_lo:[0,1] neg_hi:[0,1]
	v_mov_b32_e32 v45, v17
	s_waitcnt lgkmcnt(0)
	v_mov_b32_e32 v59, v99
	v_pk_add_f32 v[8:9], v[8:9], v[44:45] neg_lo:[0,1] neg_hi:[0,1]
	v_pk_mul_f32 v[44:45], v[58:59], v[86:87]
	scratch_load_dwordx4 v[58:61], off, off offset:152
	v_mov_b32_e32 v21, v98
	v_pk_fma_f32 v[50:51], v[20:21], v[12:13], v[44:45] neg_lo:[0,0,1] neg_hi:[0,0,1]
	v_pk_fma_f32 v[12:13], v[20:21], v[12:13], v[44:45]
	v_mov_b32_e32 v20, v99
	v_mov_b32_e32 v99, v63
	v_mov_b32_e32 v21, v62
	v_pk_mov_b32 v[12:13], v[50:51], v[12:13] op_sel:[1,0]
	v_mov_b32_e32 v64, v103
	v_pk_add_f32 v[8:9], v[8:9], v[12:13] neg_lo:[0,1] neg_hi:[0,1]
	s_waitcnt vmcnt(4)
	v_mov_b32_e32 v13, v124
	v_mov_b32_e32 v124, v123
	;; [unrolled: 1-line block ×3, first 2 shown]
	s_waitcnt vmcnt(3)
	v_mov_b32_e32 v17, v90
	v_mov_b32_e32 v90, v89
	;; [unrolled: 1-line block ×3, first 2 shown]
	v_pk_mul_f32 v[44:45], v[98:99], v[90:91]
	s_nop 0
	v_pk_fma_f32 v[50:51], v[20:21], v[16:17], v[44:45] neg_lo:[0,0,1] neg_hi:[0,0,1]
	v_pk_fma_f32 v[16:17], v[20:21], v[16:17], v[44:45]
	v_mov_b32_e32 v20, v63
	v_pk_mov_b32 v[16:17], v[50:51], v[16:17] op_sel:[1,0]
	s_nop 0
	v_pk_add_f32 v[8:9], v[8:9], v[16:17] neg_lo:[0,1] neg_hi:[0,1]
	v_mov_b32_e32 v16, 0x11e8
	ds_read2_b64 v[96:99], v16 offset1:1
	s_waitcnt lgkmcnt(0)
	v_mov_b32_e32 v63, v97
	v_mov_b32_e32 v21, v96
	v_pk_mul_f32 v[44:45], v[62:63], v[124:125]
	s_waitcnt vmcnt(2)
	v_mov_b32_e32 v17, v70
	v_mov_b32_e32 v70, v69
	v_pk_fma_f32 v[50:51], v[20:21], v[12:13], v[44:45] neg_lo:[0,0,1] neg_hi:[0,0,1]
	v_pk_fma_f32 v[12:13], v[20:21], v[12:13], v[44:45]
	v_mov_b32_e32 v20, v97
	v_mov_b32_e32 v97, v57
	;; [unrolled: 1-line block ×4, first 2 shown]
	v_pk_mul_f32 v[44:45], v[96:97], v[70:71]
	v_pk_mov_b32 v[12:13], v[50:51], v[12:13] op_sel:[1,0]
	v_pk_fma_f32 v[50:51], v[20:21], v[16:17], v[44:45] neg_lo:[0,0,1] neg_hi:[0,0,1]
	v_pk_fma_f32 v[16:17], v[20:21], v[16:17], v[44:45]
	v_pk_add_f32 v[8:9], v[8:9], v[12:13] neg_lo:[0,1] neg_hi:[0,1]
	v_pk_mov_b32 v[16:17], v[50:51], v[16:17] op_sel:[1,0]
	v_mov_b32_e32 v20, v57
	v_pk_add_f32 v[8:9], v[8:9], v[16:17] neg_lo:[0,1] neg_hi:[0,1]
	v_mov_b32_e32 v16, 0x13e8
	ds_read2_b64 v[90:93], v16 offset1:1
	s_waitcnt lgkmcnt(0)
	v_mov_b32_e32 v57, v91
	v_mov_b32_e32 v21, v90
	s_waitcnt vmcnt(1)
	v_mov_b32_e32 v13, v84
	v_mov_b32_e32 v84, v83
	;; [unrolled: 1-line block ×3, first 2 shown]
	v_pk_mul_f32 v[50:51], v[56:57], v[84:85]
	s_waitcnt vmcnt(0)
	v_mov_b32_e32 v44, v59
	v_pk_fma_f32 v[54:55], v[20:21], v[12:13], v[50:51] neg_lo:[0,0,1] neg_hi:[0,0,1]
	v_pk_fma_f32 v[12:13], v[20:21], v[12:13], v[50:51]
	v_mov_b32_e32 v45, v61
	v_pk_mov_b32 v[12:13], v[54:55], v[12:13] op_sel:[1,0]
	v_mov_b32_e32 v16, v58
	v_pk_add_f32 v[8:9], v[8:9], v[12:13] neg_lo:[0,1] neg_hi:[0,1]
	v_mov_b32_e32 v12, v91
	v_mov_b32_e32 v91, v79
	;; [unrolled: 1-line block ×4, first 2 shown]
	v_pk_mul_f32 v[20:21], v[90:91], v[44:45]
	ds_read_b128 v[88:91], v133 offset:2288
	v_pk_fma_f32 v[44:45], v[12:13], v[16:17], v[20:21] neg_lo:[0,0,1] neg_hi:[0,0,1]
	v_pk_fma_f32 v[12:13], v[12:13], v[16:17], v[20:21]
	s_nop 0
	v_pk_mov_b32 v[12:13], v[44:45], v[12:13] op_sel:[1,0]
	s_nop 0
	v_pk_add_f32 v[8:9], v[8:9], v[12:13] neg_lo:[0,1] neg_hi:[0,1]
	v_mul_f32_e32 v12, v79, v60
	v_fmac_f32_e32 v12, v78, v61
	v_sub_f32_e32 v9, v9, v12
	v_mov_b32_e32 v12, 0x15e8
	ds_read2_b64 v[84:87], v12 offset1:1
	s_waitcnt lgkmcnt(0)
	v_mul_f32_e32 v12, v85, v53
	v_mul_f32_e32 v13, v84, v53
	v_fma_f32 v12, v84, v52, -v12
	v_fmac_f32_e32 v13, v85, v52
	v_sub_f32_e32 v12, v8, v12
	v_sub_f32_e32 v13, v9, v13
	scratch_load_dwordx2 v[8:9], off, off offset:176
	s_waitcnt vmcnt(0)
	v_mul_f32_e32 v16, v77, v9
	v_fma_f32 v16, v76, v8, -v16
	v_mul_f32_e32 v9, v76, v9
	v_fmac_f32_e32 v9, v77, v8
	v_sub_f32_e32 v8, v12, v16
	v_mov_b32_e32 v12, 0x17e8
	ds_read2_b64 v[56:59], v12 offset1:1
	v_sub_f32_e32 v9, v13, v9
	ds_read_b128 v[76:79], v133 offset:1264
	ds_read_b128 v[82:85], v133 offset:1776
	s_waitcnt lgkmcnt(2)
	v_mul_f32_e32 v12, v57, v29
	v_fma_f32 v12, v56, v28, -v12
	v_sub_f32_e32 v8, v8, v12
	v_mul_f32_e32 v12, v75, v33
	v_fma_f32 v12, v74, v32, -v12
	v_mul_f32_e32 v13, v56, v29
	v_sub_f32_e32 v8, v8, v12
	v_mov_b32_e32 v12, 0x19e8
	v_fmac_f32_e32 v13, v57, v28
	ds_read2_b64 v[54:57], v12 offset1:1
	v_sub_f32_e32 v9, v9, v13
	v_mul_f32_e32 v13, v74, v33
	v_fmac_f32_e32 v13, v75, v32
	v_sub_f32_e32 v9, v9, v13
	s_waitcnt lgkmcnt(0)
	v_mul_f32_e32 v12, v55, v129
	v_fma_f32 v12, v54, v128, -v12
	v_sub_f32_e32 v8, v8, v12
	v_mul_f32_e32 v12, v73, v131
	v_fma_f32 v12, v72, v130, -v12
	v_sub_f32_e32 v8, v8, v12
	v_mov_b32_e32 v12, 0x1be8
	ds_read2_b64 v[60:63], v12 offset1:1
	v_mul_f32_e32 v13, v54, v129
	v_fmac_f32_e32 v13, v55, v128
	v_sub_f32_e32 v9, v9, v13
	v_mul_f32_e32 v13, v72, v131
	s_waitcnt lgkmcnt(0)
	v_mul_f32_e32 v12, v61, v121
	v_fma_f32 v12, v60, v120, -v12
	v_sub_f32_e32 v8, v8, v12
	v_mul_f32_e32 v12, v67, v119
	v_fma_f32 v12, v66, v118, -v12
	v_fmac_f32_e32 v13, v73, v130
	v_sub_f32_e32 v8, v8, v12
	v_mov_b32_e32 v12, 0x1de8
	v_sub_f32_e32 v9, v9, v13
	v_mul_f32_e32 v13, v60, v121
	ds_read2_b64 v[68:71], v12 offset1:1
	v_fmac_f32_e32 v13, v61, v120
	v_sub_f32_e32 v9, v9, v13
	v_mul_f32_e32 v13, v66, v119
	v_fmac_f32_e32 v13, v67, v118
	v_sub_f32_e32 v9, v9, v13
	s_waitcnt lgkmcnt(0)
	v_mul_f32_e32 v12, v69, v9
	v_mul_f32_e32 v123, v68, v9
	v_fma_f32 v122, v68, v8, -v12
	v_fmac_f32_e32 v123, v69, v8
	scratch_load_dwordx2 v[8:9], off, off
	ds_read_b128 v[66:69], v133 offset:240
	ds_read_b128 v[72:75], v133 offset:752
	ds_write2_b64 v132, v[118:119], v[122:123] offset0:128 offset1:160
	v_mov_b32_e32 v54, v102
	s_waitcnt vmcnt(0) lgkmcnt(2)
	v_mul_f32_e32 v12, v67, v9
	v_mul_f32_e32 v9, v66, v9
	v_fma_f32 v12, v66, v8, -v12
	v_fmac_f32_e32 v9, v67, v8
	v_sub_f32_e32 v8, v2, v12
	v_sub_f32_e32 v9, v3, v9
	scratch_load_dwordx2 v[2:3], off, off offset:8
	s_waitcnt vmcnt(0)
	v_mul_f32_e32 v12, v47, v3
	v_mul_f32_e32 v3, v46, v3
	v_fmac_f32_e32 v3, v47, v2
	v_fma_f32 v12, v46, v2, -v12
	v_sub_f32_e32 v9, v9, v3
	scratch_load_dwordx2 v[2:3], off, off offset:16
	v_sub_f32_e32 v8, v8, v12
	s_waitcnt vmcnt(0) lgkmcnt(1)
	v_mul_f32_e32 v12, v73, v3
	v_mul_f32_e32 v3, v72, v3
	v_fmac_f32_e32 v3, v73, v2
	v_fma_f32 v12, v72, v2, -v12
	v_sub_f32_e32 v9, v9, v3
	scratch_load_dwordx2 v[2:3], off, off offset:24
	v_sub_f32_e32 v8, v8, v12
	s_waitcnt vmcnt(0)
	v_mul_f32_e32 v12, v105, v3
	v_mul_f32_e32 v3, v104, v3
	v_fmac_f32_e32 v3, v105, v2
	v_fma_f32 v12, v104, v2, -v12
	v_sub_f32_e32 v9, v9, v3
	scratch_load_dwordx2 v[2:3], off, off offset:32
	v_sub_f32_e32 v8, v8, v12
	s_waitcnt vmcnt(0)
	;; [unrolled: 8-line block ×3, first 2 shown]
	v_mul_f32_e32 v12, v95, v3
	v_mul_f32_e32 v3, v94, v3
	v_fmac_f32_e32 v3, v95, v2
	v_fma_f32 v12, v94, v2, -v12
	v_sub_f32_e32 v9, v9, v3
	scratch_load_dwordx2 v[2:3], off, off offset:48
	v_sub_f32_e32 v8, v8, v12
	ds_read_b128 v[94:97], v133 offset:2800
	s_waitcnt vmcnt(0)
	v_mul_f32_e32 v12, v83, v3
	v_mul_f32_e32 v3, v82, v3
	v_fmac_f32_e32 v3, v83, v2
	v_fma_f32 v12, v82, v2, -v12
	v_sub_f32_e32 v9, v9, v3
	scratch_load_dwordx2 v[2:3], off, off offset:56
	v_sub_f32_e32 v8, v8, v12
	s_waitcnt vmcnt(0)
	v_mul_f32_e32 v12, v109, v3
	v_mul_f32_e32 v3, v108, v3
	v_fmac_f32_e32 v3, v109, v2
	v_fma_f32 v12, v108, v2, -v12
	v_sub_f32_e32 v9, v9, v3
	scratch_load_dwordx2 v[2:3], off, off offset:64
	v_sub_f32_e32 v8, v8, v12
	;; [unrolled: 8-line block ×4, first 2 shown]
	s_waitcnt vmcnt(0) lgkmcnt(0)
	v_mul_f32_e32 v9, v95, v3
	v_mul_f32_e32 v17, v94, v3
	v_fma_f32 v9, v94, v2, -v9
	v_fmac_f32_e32 v17, v95, v2
	scratch_load_dwordx2 v[2:3], off, off offset:88
	v_sub_f32_e32 v12, v8, v9
	s_waitcnt vmcnt(0)
	v_mul_f32_e32 v8, v117, v3
	v_mul_f32_e32 v21, v116, v3
	v_fma_f32 v16, v116, v2, -v8
	v_fmac_f32_e32 v21, v117, v2
	scratch_load_dwordx2 v[2:3], off, off offset:96
	scratch_load_dwordx2 v[8:9], off, off offset:104
	scratch_load_dwordx4 v[108:111], off, off offset:104
	scratch_load_dwordx4 v[50:53], off, off offset:120
	;; [unrolled: 1-line block ×3, first 2 shown]
	ds_read_b128 v[112:115], v133 offset:3312
	ds_read_b128 v[104:107], v133 offset:3824
	v_pk_add_f32 v[12:13], v[12:13], v[16:17] neg_lo:[0,1] neg_hi:[0,1]
	scratch_load_dwordx4 v[124:127], off, off offset:136
	scratch_load_dwordx4 v[134:137], off, off offset:144
	s_waitcnt lgkmcnt(1)
	v_mov_b32_e32 v65, v112
	v_mov_b32_e32 v55, v113
	s_waitcnt vmcnt(6)
	v_mul_f32_e32 v16, v113, v3
	v_fma_f32 v20, v112, v2, -v16
	v_mov_b32_e32 v61, v2
	s_waitcnt vmcnt(5)
	v_mov_b32_e32 v2, v9
	v_mov_b32_e32 v60, v8
	v_pk_mul_f32 v[2:3], v[64:65], v[2:3]
	v_pk_add_f32 v[20:21], v[12:13], v[20:21] neg_lo:[0,1] neg_hi:[0,1]
	v_mov_b32_e32 v13, v8
	v_mov_b32_e32 v17, v9
	v_pk_fma_f32 v[8:9], v[102:103], v[8:9], v[2:3] neg_lo:[0,0,1] neg_hi:[0,0,1]
	v_pk_fma_f32 v[2:3], v[54:55], v[60:61], v[2:3]
	s_waitcnt vmcnt(4)
	v_mov_b32_e32 v16, v111
	v_mov_b32_e32 v9, v3
	s_waitcnt lgkmcnt(0)
	v_mov_b32_e32 v54, v105
	v_mov_b32_e32 v55, v102
	;; [unrolled: 1-line block ×3, first 2 shown]
	v_pk_add_f32 v[2:3], v[20:21], v[8:9] neg_lo:[0,1] neg_hi:[0,1]
	v_mov_b32_e32 v8, v110
	s_waitcnt vmcnt(3)
	v_mov_b32_e32 v9, v50
	v_mov_b32_e32 v20, v104
	;; [unrolled: 1-line block ×3, first 2 shown]
	v_pk_mul_f32 v[16:17], v[54:55], v[16:17]
	v_mov_b32_e32 v110, v51
	v_pk_fma_f32 v[54:55], v[104:105], v[8:9], v[16:17] neg_lo:[0,0,1] neg_hi:[0,0,1]
	v_pk_fma_f32 v[12:13], v[20:21], v[12:13], v[16:17]
	v_mov_b32_e32 v16, v105
	v_mov_b32_e32 v17, v100
	v_pk_mul_f32 v[8:9], v[16:17], v[8:9]
	v_mov_b32_e32 v17, v104
	ds_read_b128 v[102:105], v133 offset:4336
	v_mov_b32_e32 v16, v101
	v_mov_b32_e32 v55, v13
	v_pk_fma_f32 v[20:21], v[16:17], v[110:111], v[8:9] op_sel:[0,0,1] op_sel_hi:[1,1,0] neg_lo:[1,0,0] neg_hi:[1,0,0]
	v_pk_fma_f32 v[8:9], v[16:17], v[110:111], v[8:9] op_sel:[0,0,1] op_sel_hi:[1,1,0]
	v_pk_add_f32 v[2:3], v[2:3], v[54:55] neg_lo:[0,1] neg_hi:[0,1]
	v_mov_b32_e32 v13, v52
	v_mov_b32_e32 v52, v51
	;; [unrolled: 1-line block ×3, first 2 shown]
	scratch_load_dwordx4 v[110:113], off, off offset:152
	s_waitcnt lgkmcnt(0)
	v_mov_b32_e32 v101, v103
	v_mov_b32_e32 v12, v50
	v_pk_add_f32 v[2:3], v[2:3], v[20:21] neg_lo:[0,1] neg_hi:[0,1]
	v_pk_mul_f32 v[20:21], v[100:101], v[52:53]
	scratch_load_dwordx4 v[50:53], off, off offset:160
	ds_read_b128 v[64:67], v133 offset:4848
	v_mov_b32_e32 v17, v102
	s_waitcnt vmcnt(4)
	v_mov_b32_e32 v8, v44
	v_mov_b32_e32 v9, v46
	;; [unrolled: 1-line block ×3, first 2 shown]
	v_pk_fma_f32 v[44:45], v[16:17], v[12:13], v[20:21] neg_lo:[0,0,1] neg_hi:[0,0,1]
	v_pk_fma_f32 v[12:13], v[16:17], v[12:13], v[20:21]
	v_mov_b32_e32 v16, v103
	v_mov_b32_e32 v103, v99
	v_pk_mov_b32 v[12:13], v[44:45], v[12:13] op_sel:[1,0]
	v_mov_b32_e32 v17, v98
	v_pk_mul_f32 v[20:21], v[102:103], v[46:47]
	v_pk_add_f32 v[2:3], v[2:3], v[12:13] neg_lo:[0,1] neg_hi:[0,1]
	s_waitcnt vmcnt(3)
	v_mov_b32_e32 v13, v126
	v_mov_b32_e32 v126, v125
	v_pk_fma_f32 v[44:45], v[16:17], v[8:9], v[20:21] neg_lo:[0,0,1] neg_hi:[0,0,1]
	v_pk_fma_f32 v[8:9], v[16:17], v[8:9], v[20:21]
	v_mov_b32_e32 v16, v99
	s_waitcnt lgkmcnt(0)
	v_mov_b32_e32 v99, v65
	v_mov_b32_e32 v12, v124
	v_pk_mov_b32 v[8:9], v[44:45], v[8:9] op_sel:[1,0]
	v_mov_b32_e32 v17, v64
	v_pk_mul_f32 v[20:21], v[98:99], v[126:127]
	v_pk_add_f32 v[2:3], v[2:3], v[8:9] neg_lo:[0,1] neg_hi:[0,1]
	s_waitcnt vmcnt(2)
	v_mov_b32_e32 v9, v136
	v_mov_b32_e32 v136, v135
	v_pk_fma_f32 v[44:45], v[16:17], v[12:13], v[20:21] neg_lo:[0,0,1] neg_hi:[0,0,1]
	v_pk_fma_f32 v[12:13], v[16:17], v[12:13], v[20:21]
	v_mov_b32_e32 v16, v65
	v_mov_b32_e32 v65, v93
	;; [unrolled: 1-line block ×4, first 2 shown]
	v_pk_mul_f32 v[20:21], v[64:65], v[136:137]
	v_pk_mov_b32 v[12:13], v[44:45], v[12:13] op_sel:[1,0]
	v_pk_fma_f32 v[44:45], v[16:17], v[8:9], v[20:21] neg_lo:[0,0,1] neg_hi:[0,0,1]
	v_pk_fma_f32 v[8:9], v[16:17], v[8:9], v[20:21]
	v_pk_add_f32 v[2:3], v[2:3], v[12:13] neg_lo:[0,1] neg_hi:[0,1]
	v_pk_mov_b32 v[8:9], v[44:45], v[8:9] op_sel:[1,0]
	ds_read_b128 v[44:47], v133 offset:5360
	v_mov_b32_e32 v16, v93
	v_pk_add_f32 v[2:3], v[2:3], v[8:9] neg_lo:[0,1] neg_hi:[0,1]
	s_waitcnt lgkmcnt(0)
	v_mov_b32_e32 v93, v45
	v_mov_b32_e32 v17, v44
	s_waitcnt vmcnt(1)
	v_mov_b32_e32 v13, v112
	v_mov_b32_e32 v112, v111
	;; [unrolled: 1-line block ×3, first 2 shown]
	s_waitcnt vmcnt(0)
	v_mov_b32_e32 v8, v50
	v_mov_b32_e32 v20, v51
	v_pk_mul_f32 v[50:51], v[92:93], v[112:113]
	v_mov_b32_e32 v21, v53
	v_pk_fma_f32 v[54:55], v[16:17], v[12:13], v[50:51] neg_lo:[0,0,1] neg_hi:[0,0,1]
	v_pk_fma_f32 v[12:13], v[16:17], v[12:13], v[50:51]
	v_mov_b32_e32 v9, v52
	v_pk_mov_b32 v[12:13], v[54:55], v[12:13] op_sel:[1,0]
	s_nop 0
	v_pk_add_f32 v[2:3], v[2:3], v[12:13] neg_lo:[0,1] neg_hi:[0,1]
	v_mov_b32_e32 v12, v45
	v_mov_b32_e32 v45, v87
	;; [unrolled: 1-line block ×3, first 2 shown]
	v_pk_mul_f32 v[16:17], v[44:45], v[20:21]
	s_nop 0
	v_pk_fma_f32 v[20:21], v[12:13], v[8:9], v[16:17] neg_lo:[0,0,1] neg_hi:[0,0,1]
	v_pk_fma_f32 v[8:9], v[12:13], v[8:9], v[16:17]
	v_mov_b32_e32 v16, v6
	v_pk_mov_b32 v[8:9], v[20:21], v[8:9] op_sel:[1,0]
	v_mov_b32_e32 v17, v10
	v_pk_add_f32 v[2:3], v[2:3], v[8:9] neg_lo:[0,1] neg_hi:[0,1]
	v_mul_f32_e32 v8, v87, v52
	v_fmac_f32_e32 v8, v86, v53
	v_sub_f32_e32 v3, v3, v8
	scratch_load_dwordx2 v[8:9], off, off offset:176
	ds_read_b128 v[52:55], v133 offset:5872
	s_waitcnt vmcnt(0) lgkmcnt(0)
	v_mul_f32_e32 v12, v53, v9
	v_mul_f32_e32 v9, v52, v9
	v_fmac_f32_e32 v9, v53, v8
	v_fma_f32 v12, v52, v8, -v12
	v_sub_f32_e32 v3, v3, v9
	v_mul_f32_e32 v8, v59, v29
	v_mul_f32_e32 v9, v58, v29
	v_fma_f32 v8, v58, v28, -v8
	v_fmac_f32_e32 v9, v59, v28
	ds_read_b128 v[58:61], v133 offset:6384
	v_sub_f32_e32 v2, v2, v12
	v_sub_f32_e32 v2, v2, v8
	;; [unrolled: 1-line block ×3, first 2 shown]
	ds_read_b128 v[50:53], v133 offset:7920
	s_waitcnt lgkmcnt(1)
	v_mul_f32_e32 v8, v59, v33
	v_mul_f32_e32 v9, v58, v33
	v_fma_f32 v8, v58, v32, -v8
	v_fmac_f32_e32 v9, v59, v32
	v_sub_f32_e32 v2, v2, v8
	v_sub_f32_e32 v3, v3, v9
	v_mul_f32_e32 v8, v57, v129
	v_mul_f32_e32 v9, v56, v129
	v_fma_f32 v8, v56, v128, -v8
	v_fmac_f32_e32 v9, v57, v128
	ds_read_b128 v[56:59], v133 offset:6896
	v_sub_f32_e32 v2, v2, v8
	v_sub_f32_e32 v3, v3, v9
	s_waitcnt lgkmcnt(0)
	v_mul_f32_e32 v8, v57, v131
	v_mul_f32_e32 v9, v56, v131
	v_fma_f32 v8, v56, v130, -v8
	v_fmac_f32_e32 v9, v57, v130
	v_sub_f32_e32 v2, v2, v8
	v_sub_f32_e32 v3, v3, v9
	v_mul_f32_e32 v8, v63, v121
	v_mul_f32_e32 v9, v62, v121
	v_fma_f32 v8, v62, v120, -v8
	v_fmac_f32_e32 v9, v63, v120
	ds_read_b128 v[62:65], v133 offset:7408
	v_sub_f32_e32 v3, v3, v9
	v_sub_f32_e32 v2, v2, v8
	s_waitcnt lgkmcnt(0)
	v_mul_f32_e32 v9, v62, v119
	v_mul_f32_e32 v8, v63, v119
	v_fmac_f32_e32 v9, v63, v118
	v_fma_f32 v8, v62, v118, -v8
	v_sub_f32_e32 v3, v3, v9
	v_mul_f32_e32 v9, v70, v123
	v_sub_f32_e32 v2, v2, v8
	v_mul_f32_e32 v8, v71, v123
	v_fmac_f32_e32 v9, v71, v122
	v_fma_f32 v8, v70, v122, -v8
	v_sub_f32_e32 v3, v3, v9
	v_sub_f32_e32 v2, v2, v8
	v_mul_f32_e32 v8, v51, v3
	v_mul_f32_e32 v45, v50, v3
	v_fma_f32 v44, v50, v2, -v8
	v_fmac_f32_e32 v45, v51, v2
	v_mul_f32_e32 v2, v69, v35
	v_mul_f32_e32 v3, v68, v35
	v_fma_f32 v2, v68, v34, -v2
	v_fmac_f32_e32 v3, v69, v34
	v_sub_f32_e32 v8, v4, v2
	v_sub_f32_e32 v9, v5, v3
	ds_read2_b64 v[2:5], v133 offset0:63 offset1:127
	v_mov_b32_e32 v34, v105
	s_waitcnt lgkmcnt(0)
	v_mul_f32_e32 v12, v3, v23
	v_fma_f32 v12, v2, v22, -v12
	v_mul_f32_e32 v2, v2, v23
	v_fmac_f32_e32 v2, v3, v22
	v_sub_f32_e32 v3, v8, v12
	v_mul_f32_e32 v8, v75, v25
	v_fma_f32 v8, v74, v24, -v8
	v_sub_f32_e32 v2, v9, v2
	v_mul_f32_e32 v9, v74, v25
	v_sub_f32_e32 v3, v3, v8
	v_mul_f32_e32 v8, v5, v31
	v_fmac_f32_e32 v9, v75, v24
	v_fma_f32 v8, v4, v30, -v8
	v_mul_f32_e32 v4, v4, v31
	v_sub_f32_e32 v2, v2, v9
	v_fmac_f32_e32 v4, v5, v30
	v_sub_f32_e32 v2, v2, v4
	v_mul_f32_e32 v4, v79, v27
	v_mul_f32_e32 v5, v78, v27
	v_sub_f32_e32 v3, v3, v8
	v_fma_f32 v4, v78, v26, -v4
	v_fmac_f32_e32 v5, v79, v26
	v_sub_f32_e32 v8, v3, v4
	v_sub_f32_e32 v9, v2, v5
	ds_read2_b64 v[2:5], v133 offset0:191 offset1:255
	scratch_load_dwordx4 v[22:25], off, off offset:128
	v_mov_b32_e32 v26, v107
	v_mov_b32_e32 v31, v106
	s_waitcnt lgkmcnt(0)
	v_mul_f32_e32 v12, v3, v19
	v_fma_f32 v12, v2, v18, -v12
	v_mul_f32_e32 v2, v2, v19
	v_fmac_f32_e32 v2, v3, v18
	v_sub_f32_e32 v3, v8, v12
	v_mul_f32_e32 v8, v85, v15
	v_fma_f32 v8, v84, v14, -v8
	v_sub_f32_e32 v2, v9, v2
	v_mul_f32_e32 v9, v84, v15
	v_sub_f32_e32 v3, v3, v8
	v_mul_f32_e32 v8, v5, v37
	v_fmac_f32_e32 v9, v85, v14
	v_fma_f32 v8, v4, v36, -v8
	v_mul_f32_e32 v4, v4, v37
	v_sub_f32_e32 v2, v2, v9
	v_fmac_f32_e32 v4, v5, v36
	v_sub_f32_e32 v2, v2, v4
	v_mul_f32_e32 v4, v91, v39
	v_mul_f32_e32 v5, v90, v39
	v_sub_f32_e32 v3, v3, v8
	v_fma_f32 v4, v90, v38, -v4
	v_fmac_f32_e32 v5, v91, v38
	v_add_u32_e64 v36, s6, 0
	v_sub_f32_e32 v8, v3, v4
	v_sub_f32_e32 v9, v2, v5
	ds_read2st64_b64 v[2:5], v36 offset0:4 offset1:5
	ds_read2st64_b64 v[18:21], v36 offset0:6 offset1:7
	v_mov_b32_e32 v15, v108
	v_mov_b32_e32 v14, v10
	;; [unrolled: 1-line block ×3, first 2 shown]
	s_waitcnt lgkmcnt(1)
	v_mul_f32_e32 v12, v3, v41
	v_fma_f32 v12, v2, v40, -v12
	v_mul_f32_e32 v2, v2, v41
	v_fmac_f32_e32 v2, v3, v40
	v_sub_f32_e32 v3, v8, v12
	v_sub_f32_e32 v2, v9, v2
	v_mul_f32_e32 v8, v97, v49
	v_mul_f32_e32 v9, v96, v49
	v_fma_f32 v8, v96, v48, -v8
	v_fmac_f32_e32 v9, v97, v48
	v_sub_f32_e32 v8, v3, v8
	v_sub_f32_e32 v3, v2, v9
	v_mul_f32_e32 v2, v5, v43
	v_fma_f32 v2, v4, v42, -v2
	v_mul_f32_e32 v9, v4, v43
	v_mul_f32_e32 v4, v115, v81
	v_fmac_f32_e32 v9, v5, v42
	v_sub_f32_e32 v2, v8, v2
	v_fma_f32 v8, v114, v80, -v4
	v_mul_f32_e32 v5, v114, v81
	s_waitcnt lgkmcnt(0)
	v_mul_f32_e32 v4, v19, v109
	v_fmac_f32_e32 v5, v115, v80
	v_pk_add_f32 v[2:3], v[2:3], v[8:9] neg_lo:[0,1] neg_hi:[0,1]
	v_fma_f32 v4, v18, v108, -v4
	v_pk_add_f32 v[8:9], v[2:3], v[4:5] neg_lo:[0,1] neg_hi:[0,1]
	scratch_load_dwordx4 v[2:5], off, off offset:136
	v_mov_b32_e32 v27, v18
	v_mov_b32_e32 v108, v11
	;; [unrolled: 1-line block ×4, first 2 shown]
	v_pk_mul_f32 v[18:19], v[26:27], v[108:109]
	v_mov_b32_e32 v30, v21
	v_pk_fma_f32 v[26:27], v[106:107], v[16:17], v[18:19] op_sel:[0,1,0] op_sel_hi:[1,0,1] neg_lo:[0,0,1] neg_hi:[0,0,1]
	v_pk_fma_f32 v[12:13], v[12:13], v[14:15], v[18:19]
	v_mov_b32_e32 v18, v6
	v_mov_b32_e32 v27, v13
	v_pk_add_f32 v[8:9], v[8:9], v[26:27] neg_lo:[0,1] neg_hi:[0,1]
	v_mov_b32_e32 v26, v20
	v_mov_b32_e32 v27, v107
	v_pk_mul_f32 v[10:11], v[30:31], v[10:11]
	scratch_load_dwordx4 v[12:15], off, off offset:144
	s_waitcnt vmcnt(2)
	v_mov_b32_e32 v19, v22
	v_pk_fma_f32 v[30:31], v[20:21], v[18:19], v[10:11] neg_lo:[0,0,1] neg_hi:[0,0,1]
	v_pk_fma_f32 v[10:11], v[26:27], v[16:17], v[10:11]
	v_mov_b32_e32 v6, v23
	v_mov_b32_e32 v31, v11
	;; [unrolled: 1-line block ×6, first 2 shown]
	v_pk_mul_f32 v[10:11], v[10:11], v[18:19]
	v_mov_b32_e32 v24, v23
	v_mov_b32_e32 v22, v105
	;; [unrolled: 1-line block ×3, first 2 shown]
	scratch_load_dwordx4 v[16:19], off, off offset:152
	v_pk_fma_f32 v[20:21], v[22:23], v[6:7], v[10:11] op_sel:[0,0,1] op_sel_hi:[1,1,0] neg_lo:[1,0,0] neg_hi:[1,0,0]
	v_pk_fma_f32 v[6:7], v[22:23], v[6:7], v[10:11] op_sel:[0,0,1] op_sel_hi:[1,1,0]
	v_pk_add_f32 v[8:9], v[8:9], v[30:31] neg_lo:[0,1] neg_hi:[0,1]
	v_mov_b32_e32 v21, v7
	v_pk_add_f32 v[30:31], v[8:9], v[20:21] neg_lo:[0,1] neg_hi:[0,1]
	scratch_load_dwordx4 v[6:9], off, off offset:160
	ds_read2st64_b64 v[20:23], v36 offset0:8 offset1:9
	s_waitcnt lgkmcnt(0)
	v_mov_b32_e32 v105, v21
	v_mov_b32_e32 v35, v20
	s_waitcnt vmcnt(3)
	v_mov_b32_e32 v10, v2
	v_mov_b32_e32 v11, v4
	;; [unrolled: 1-line block ×3, first 2 shown]
	v_pk_mul_f32 v[2:3], v[104:105], v[24:25]
	s_nop 0
	v_pk_fma_f32 v[24:25], v[34:35], v[26:27], v[2:3] neg_lo:[0,0,1] neg_hi:[0,0,1]
	v_pk_fma_f32 v[2:3], v[34:35], v[26:27], v[2:3]
	v_mov_b32_e32 v34, v21
	v_pk_mov_b32 v[2:3], v[24:25], v[2:3] op_sel:[1,0]
	scratch_load_dwordx4 v[24:27], off, off offset:168
	v_mov_b32_e32 v21, v67
	v_mov_b32_e32 v35, v66
	v_pk_mul_f32 v[4:5], v[20:21], v[4:5]
	v_pk_add_f32 v[30:31], v[30:31], v[2:3] neg_lo:[0,1] neg_hi:[0,1]
	s_waitcnt vmcnt(3)
	v_mov_b32_e32 v2, v12
	v_mov_b32_e32 v3, v14
	;; [unrolled: 1-line block ×3, first 2 shown]
	v_pk_fma_f32 v[12:13], v[34:35], v[10:11], v[4:5] neg_lo:[0,0,1] neg_hi:[0,0,1]
	v_pk_fma_f32 v[4:5], v[34:35], v[10:11], v[4:5]
	s_waitcnt vmcnt(2)
	v_mov_b32_e32 v10, v16
	v_pk_mov_b32 v[4:5], v[12:13], v[4:5] op_sel:[1,0]
	v_mov_b32_e32 v12, v67
	v_mov_b32_e32 v67, v23
	;; [unrolled: 1-line block ×3, first 2 shown]
	v_pk_mul_f32 v[14:15], v[66:67], v[14:15]
	v_mov_b32_e32 v11, v18
	v_mov_b32_e32 v18, v17
	v_pk_fma_f32 v[16:17], v[12:13], v[2:3], v[14:15] neg_lo:[0,0,1] neg_hi:[0,0,1]
	v_pk_fma_f32 v[2:3], v[12:13], v[2:3], v[14:15]
	v_pk_add_f32 v[4:5], v[30:31], v[4:5] neg_lo:[0,1] neg_hi:[0,1]
	v_pk_mov_b32 v[2:3], v[16:17], v[2:3] op_sel:[1,0]
	v_mov_b32_e32 v12, v23
	v_mov_b32_e32 v23, v47
	v_pk_add_f32 v[4:5], v[4:5], v[2:3] neg_lo:[0,1] neg_hi:[0,1]
	s_waitcnt vmcnt(1)
	v_mov_b32_e32 v2, v6
	v_mov_b32_e32 v3, v8
	v_mov_b32_e32 v13, v46
	v_mov_b32_e32 v8, v7
	v_pk_mul_f32 v[6:7], v[22:23], v[18:19]
	s_waitcnt vmcnt(0)
	v_mov_b32_e32 v16, v25
	v_pk_fma_f32 v[14:15], v[12:13], v[10:11], v[6:7] neg_lo:[0,0,1] neg_hi:[0,0,1]
	v_pk_fma_f32 v[6:7], v[12:13], v[10:11], v[6:7]
	ds_read2st64_b64 v[10:13], v36 offset0:10 offset1:11
	v_pk_mov_b32 v[6:7], v[14:15], v[6:7] op_sel:[1,0]
	v_mov_b32_e32 v14, v47
	v_pk_add_f32 v[4:5], v[4:5], v[6:7] neg_lo:[0,1] neg_hi:[0,1]
	v_mov_b32_e32 v17, v27
	s_waitcnt lgkmcnt(0)
	v_mov_b32_e32 v47, v11
	v_mov_b32_e32 v15, v10
	v_pk_mul_f32 v[8:9], v[46:47], v[8:9]
	v_mov_b32_e32 v6, v24
	v_pk_fma_f32 v[18:19], v[14:15], v[2:3], v[8:9] neg_lo:[0,0,1] neg_hi:[0,0,1]
	v_pk_fma_f32 v[2:3], v[14:15], v[2:3], v[8:9]
	v_mov_b32_e32 v7, v26
	v_pk_mov_b32 v[2:3], v[18:19], v[2:3] op_sel:[1,0]
	s_nop 0
	v_pk_add_f32 v[2:3], v[4:5], v[2:3] neg_lo:[0,1] neg_hi:[0,1]
	v_mov_b32_e32 v4, v11
	v_mov_b32_e32 v11, v55
	;; [unrolled: 1-line block ×3, first 2 shown]
	v_pk_mul_f32 v[8:9], v[10:11], v[16:17]
	s_nop 0
	v_pk_fma_f32 v[10:11], v[4:5], v[6:7], v[8:9] neg_lo:[0,0,1] neg_hi:[0,0,1]
	v_pk_fma_f32 v[4:5], v[4:5], v[6:7], v[8:9]
	v_mov_b32_e32 v6, v27
	v_pk_mov_b32 v[4:5], v[10:11], v[4:5] op_sel:[1,0]
	v_mov_b32_e32 v7, v29
	v_pk_add_f32 v[2:3], v[2:3], v[4:5] neg_lo:[0,1] neg_hi:[0,1]
	v_mov_b32_e32 v4, v54
	v_mov_b32_e32 v5, v12
	v_pk_mul_f32 v[4:5], v[4:5], v[6:7]
	v_mov_b32_e32 v6, v55
	v_mov_b32_e32 v7, v13
	;; [unrolled: 1-line block ×3, first 2 shown]
	v_pk_fma_f32 v[4:5], v[6:7], v[26:27], v[4:5]
	v_mul_f32_e32 v6, v13, v29
	v_sub_f32_e32 v3, v3, v4
	v_fma_f32 v6, v12, v28, -v6
	v_sub_f32_e32 v3, v3, v5
	v_mul_f32_e32 v4, v61, v33
	v_mul_f32_e32 v5, v60, v33
	v_sub_f32_e32 v2, v2, v6
	v_fma_f32 v4, v60, v32, -v4
	v_fmac_f32_e32 v5, v61, v32
	v_sub_f32_e32 v6, v2, v4
	v_sub_f32_e32 v7, v3, v5
	ds_read2st64_b64 v[2:5], v36 offset0:12 offset1:13
	s_waitcnt lgkmcnt(0)
	v_mul_f32_e32 v8, v3, v129
	v_fma_f32 v8, v2, v128, -v8
	v_mul_f32_e32 v2, v2, v129
	v_fmac_f32_e32 v2, v3, v128
	v_sub_f32_e32 v3, v6, v8
	v_mul_f32_e32 v6, v59, v131
	v_fma_f32 v6, v58, v130, -v6
	v_sub_f32_e32 v2, v7, v2
	v_mul_f32_e32 v7, v58, v131
	v_sub_f32_e32 v3, v3, v6
	v_mul_f32_e32 v6, v5, v121
	v_fmac_f32_e32 v7, v59, v130
	v_fma_f32 v6, v4, v120, -v6
	v_mul_f32_e32 v4, v4, v121
	v_sub_f32_e32 v2, v2, v7
	v_fmac_f32_e32 v4, v5, v120
	v_sub_f32_e32 v2, v2, v4
	v_mul_f32_e32 v4, v65, v119
	v_mul_f32_e32 v5, v64, v119
	v_sub_f32_e32 v3, v3, v6
	v_fma_f32 v4, v64, v118, -v4
	v_fmac_f32_e32 v5, v65, v118
	v_sub_f32_e32 v6, v3, v4
	v_sub_f32_e32 v7, v2, v5
	ds_read2st64_b64 v[2:5], v36 offset0:14 offset1:15
	s_waitcnt lgkmcnt(0)
	v_mul_f32_e32 v8, v3, v123
	v_fma_f32 v8, v2, v122, -v8
	v_mul_f32_e32 v2, v2, v123
	v_fmac_f32_e32 v2, v3, v122
	v_sub_f32_e32 v3, v6, v8
	v_sub_f32_e32 v6, v7, v2
	v_mul_f32_e32 v7, v52, v45
	v_mul_f32_e32 v2, v53, v45
	v_fmac_f32_e32 v7, v53, v44
	v_fma_f32 v2, v52, v44, -v2
	v_sub_f32_e32 v6, v6, v7
	v_sub_f32_e32 v2, v3, v2
	v_pk_mul_f32 v[6:7], v[4:5], v[6:7] op_sel:[1,0] op_sel_hi:[0,0]
	v_pk_fma_f32 v[8:9], v[4:5], v[2:3], v[6:7] neg_lo:[0,0,1] neg_hi:[0,0,1]
	v_pk_fma_f32 v[2:3], v[4:5], v[2:3], v[6:7] op_sel_hi:[1,0,1]
	s_nop 0
	v_mov_b32_e32 v9, v3
	ds_write2_b64 v132, v[44:45], v[8:9] offset0:192 offset1:224
.LBB170_57:
	s_cmp_lt_i32 s7, s28
	s_cbranch_scc0 .LBB170_73
; %bb.58:
	s_or_b32 s6, s7, 27
	s_cmp_ge_u32 s6, s28
	s_cbranch_scc1 .LBB170_66
; %bb.59:
	s_lshl_b32 s10, s7, 8
	v_add_u32_e32 v60, s10, v1
	ds_read2_b64 v[6:9], v60 offset1:32
	ds_read2_b64 v[14:17], v60 offset0:64 offset1:96
	ds_read2_b64 v[18:21], v60 offset0:128 offset1:160
	;; [unrolled: 1-line block ×3, first 2 shown]
	v_add_u32_e32 v2, 0x800, v60
	s_waitcnt lgkmcnt(3)
	scratch_store_dwordx4 off, v[6:9], off
	ds_read2_b64 v[26:29], v2 offset1:32
	ds_read2_b64 v[30:33], v2 offset0:64 offset1:96
	s_lshl_b32 s11, s6, 8
	v_add_u32_e32 v110, s11, v1
	s_andn2_b64 vcc, exec, s[4:5]
	s_waitcnt lgkmcnt(4)
	scratch_store_dwordx4 off, v[14:17], off offset:16
	s_waitcnt lgkmcnt(3)
	scratch_store_dwordx4 off, v[18:21], off offset:32
	;; [unrolled: 2-line block ×5, first 2 shown]
	ds_read2_b64 v[34:37], v2 offset0:128 offset1:160
	ds_read2_b64 v[38:41], v2 offset0:192 offset1:224
	v_add_u32_e32 v2, 0x1000, v60
	ds_read2_b64 v[42:45], v2 offset1:32
	ds_read2_b64 v[46:49], v2 offset0:64 offset1:96
	ds_read2_b64 v[50:53], v2 offset0:128 offset1:160
	s_waitcnt lgkmcnt(4)
	scratch_store_dwordx4 off, v[34:37], off offset:96
	s_waitcnt lgkmcnt(3)
	scratch_store_dwordx4 off, v[38:41], off offset:112
	;; [unrolled: 2-line block ×5, first 2 shown]
	ds_read2_b64 v[10:13], v2 offset0:192 offset1:224
	v_add_u32_e32 v2, 0x1800, v60
	ds_read2_b64 v[2:5], v2 offset1:32
	ds_read_b64 v[108:109], v60 offset:6656
	ds_read_b64 v[106:107], v110
	s_waitcnt lgkmcnt(3)
	scratch_store_dwordx2 off, v[10:11], off offset:176
	s_cbranch_vccnz .LBB170_61
; %bb.60:
	scratch_load_dwordx4 v[54:57], off, off
	scratch_load_dwordx2 v[58:59], off, off offset:16
	s_lshl_b32 s5, s7, 3
	s_cbranch_execz .LBB170_62
	s_branch .LBB170_65
.LBB170_61:
                                        ; implicit-def: $vgpr55
                                        ; implicit-def: $vgpr58
	s_lshl_b32 s5, s7, 3
.LBB170_62:
	scratch_load_dwordx2 v[6:7], off, off
	s_waitcnt vmcnt(2)
	v_mov_b32_e32 v54, 0x2000
	v_lshl_or_b32 v56, v0, 3, v54
	s_mov_b32 s4, s5
	s_mov_b32 s11, s7
.LBB170_63:                             ; =>This Inner Loop Header: Depth=1
	ds_read_b64 v[54:55], v56
	v_mov_b32_e32 v57, s4
	ds_read_b128 v[62:65], v57
	ds_read_b128 v[66:69], v57 offset:16
	ds_read_b128 v[70:73], v57 offset:32
	;; [unrolled: 1-line block ×12, first 2 shown]
	s_add_i32 s11, s11, -1
	s_addk_i32 s4, 0x100
	s_waitcnt vmcnt(1) lgkmcnt(12)
	v_pk_mul_f32 v[58:59], v[62:63], v[54:55] op_sel:[0,1]
	v_pk_mul_f32 v[120:121], v[64:65], v[54:55] op_sel:[0,1]
	v_pk_fma_f32 v[166:167], v[62:63], v[54:55], v[58:59] op_sel:[0,0,1] op_sel_hi:[1,1,0] neg_lo:[0,0,1] neg_hi:[0,0,1]
	v_pk_fma_f32 v[58:59], v[62:63], v[54:55], v[58:59] op_sel:[0,0,1] op_sel_hi:[1,0,0]
	v_pk_fma_f32 v[168:169], v[64:65], v[54:55], v[120:121] op_sel:[0,0,1] op_sel_hi:[1,1,0] neg_lo:[0,0,1] neg_hi:[0,0,1]
	v_pk_fma_f32 v[120:121], v[64:65], v[54:55], v[120:121] op_sel:[0,0,1] op_sel_hi:[1,0,0]
	ds_read_b128 v[62:65], v57 offset:208
	s_waitcnt lgkmcnt(12)
	v_pk_mul_f32 v[122:123], v[66:67], v[54:55] op_sel:[0,1]
	v_pk_mul_f32 v[124:125], v[68:69], v[54:55] op_sel:[0,1]
	s_waitcnt lgkmcnt(11)
	v_pk_mul_f32 v[126:127], v[70:71], v[54:55] op_sel:[0,1]
	v_pk_mul_f32 v[128:129], v[72:73], v[54:55] op_sel:[0,1]
	s_waitcnt lgkmcnt(10)
	v_pk_mul_f32 v[130:131], v[74:75], v[54:55] op_sel:[0,1]
	v_pk_mul_f32 v[132:133], v[76:77], v[54:55] op_sel:[0,1]
	s_waitcnt lgkmcnt(9)
	v_pk_mul_f32 v[134:135], v[78:79], v[54:55] op_sel:[0,1]
	v_pk_mul_f32 v[136:137], v[80:81], v[54:55] op_sel:[0,1]
	s_waitcnt lgkmcnt(8)
	v_pk_mul_f32 v[138:139], v[82:83], v[54:55] op_sel:[0,1]
	v_pk_mul_f32 v[140:141], v[84:85], v[54:55] op_sel:[0,1]
	s_waitcnt lgkmcnt(7)
	v_pk_mul_f32 v[142:143], v[86:87], v[54:55] op_sel:[0,1]
	v_pk_mul_f32 v[144:145], v[88:89], v[54:55] op_sel:[0,1]
	s_waitcnt lgkmcnt(6)
	v_pk_mul_f32 v[146:147], v[90:91], v[54:55] op_sel:[0,1]
	v_pk_mul_f32 v[148:149], v[92:93], v[54:55] op_sel:[0,1]
	s_waitcnt lgkmcnt(5)
	v_pk_mul_f32 v[150:151], v[94:95], v[54:55] op_sel:[0,1]
	v_pk_mul_f32 v[152:153], v[96:97], v[54:55] op_sel:[0,1]
	s_waitcnt lgkmcnt(4)
	v_pk_mul_f32 v[154:155], v[98:99], v[54:55] op_sel:[0,1]
	v_pk_mul_f32 v[156:157], v[100:101], v[54:55] op_sel:[0,1]
	s_waitcnt lgkmcnt(3)
	v_pk_mul_f32 v[158:159], v[102:103], v[54:55] op_sel:[0,1]
	v_pk_mul_f32 v[160:161], v[104:105], v[54:55] op_sel:[0,1]
	s_waitcnt lgkmcnt(2)
	v_pk_mul_f32 v[162:163], v[112:113], v[54:55] op_sel:[0,1]
	v_pk_mul_f32 v[164:165], v[114:115], v[54:55] op_sel:[0,1]
	v_pk_fma_f32 v[170:171], v[66:67], v[54:55], v[122:123] op_sel:[0,0,1] op_sel_hi:[1,1,0] neg_lo:[0,0,1] neg_hi:[0,0,1]
	v_pk_fma_f32 v[66:67], v[66:67], v[54:55], v[122:123] op_sel:[0,0,1] op_sel_hi:[1,0,0]
	v_pk_fma_f32 v[122:123], v[68:69], v[54:55], v[124:125] op_sel:[0,0,1] op_sel_hi:[1,1,0] neg_lo:[0,0,1] neg_hi:[0,0,1]
	v_pk_fma_f32 v[68:69], v[68:69], v[54:55], v[124:125] op_sel:[0,0,1] op_sel_hi:[1,0,0]
	;; [unrolled: 2-line block ×22, first 2 shown]
	s_waitcnt lgkmcnt(1)
	v_pk_mul_f32 v[164:165], v[116:117], v[54:55] op_sel:[0,1]
	v_mov_b32_e32 v167, v59
	v_pk_fma_f32 v[172:173], v[116:117], v[54:55], v[164:165] op_sel:[0,0,1] op_sel_hi:[1,1,0] neg_lo:[0,0,1] neg_hi:[0,0,1]
	v_pk_fma_f32 v[116:117], v[116:117], v[54:55], v[164:165] op_sel:[0,0,1] op_sel_hi:[1,0,0]
	v_pk_mul_f32 v[164:165], v[118:119], v[54:55] op_sel:[0,1]
	v_mov_b32_e32 v169, v121
	v_pk_fma_f32 v[174:175], v[118:119], v[54:55], v[164:165] op_sel:[0,0,1] op_sel_hi:[1,1,0] neg_lo:[0,0,1] neg_hi:[0,0,1]
	v_pk_fma_f32 v[118:119], v[118:119], v[54:55], v[164:165] op_sel:[0,0,1] op_sel_hi:[1,0,0]
	s_waitcnt lgkmcnt(0)
	v_pk_mul_f32 v[164:165], v[62:63], v[54:55] op_sel:[0,1]
	v_mov_b32_e32 v171, v67
	v_pk_fma_f32 v[176:177], v[62:63], v[54:55], v[164:165] op_sel:[0,0,1] op_sel_hi:[1,1,0] neg_lo:[0,0,1] neg_hi:[0,0,1]
	v_pk_fma_f32 v[62:63], v[62:63], v[54:55], v[164:165] op_sel:[0,0,1] op_sel_hi:[1,0,0]
	v_pk_mul_f32 v[164:165], v[64:65], v[54:55] op_sel:[0,1]
	v_mov_b32_e32 v123, v69
	v_pk_fma_f32 v[178:179], v[64:65], v[54:55], v[164:165] op_sel:[0,0,1] op_sel_hi:[1,1,0] neg_lo:[0,0,1] neg_hi:[0,0,1]
	v_pk_fma_f32 v[54:55], v[64:65], v[54:55], v[164:165] op_sel:[0,0,1] op_sel_hi:[1,0,0]
	v_mov_b32_e32 v125, v71
	v_mov_b32_e32 v127, v73
	;; [unrolled: 1-line block ×24, first 2 shown]
	v_add_u32_e32 v56, 0x100, v56
	s_cmp_lg_u32 s11, 0
	s_waitcnt vmcnt(0)
	v_pk_add_f32 v[6:7], v[6:7], v[166:167] neg_lo:[0,1] neg_hi:[0,1]
	v_pk_add_f32 v[8:9], v[8:9], v[168:169] neg_lo:[0,1] neg_hi:[0,1]
	;; [unrolled: 1-line block ×28, first 2 shown]
	s_cbranch_scc1 .LBB170_63
; %bb.64:
	v_mov_b32_e32 v55, v7
	v_mov_b32_e32 v54, v6
	v_mov_b32_e32 v56, v8
	v_mov_b32_e32 v57, v9
	v_mov_b32_e32 v58, v14
	v_mov_b32_e32 v59, v15
	scratch_store_dwordx4 off, v[6:9], off
	scratch_store_dwordx4 off, v[14:17], off offset:16
	scratch_store_dwordx4 off, v[18:21], off offset:32
	;; [unrolled: 1-line block ×10, first 2 shown]
	scratch_store_dwordx2 off, v[10:11], off offset:176
.LBB170_65:
	s_mul_i32 s11, s7, 0x108
	v_mov_b32_e32 v6, s11
	ds_read_b128 v[6:9], v6
	s_add_i32 s11, s5, s10
	v_mov_b32_e32 v122, s11
	ds_read2_b64 v[16:19], v122 offset0:33 offset1:34
	s_or_b32 s11, s10, 0x100
	s_waitcnt vmcnt(1) lgkmcnt(1)
	v_mul_f32_e32 v15, v6, v55
	v_mul_f32_e32 v10, v7, v55
	v_fmac_f32_e32 v15, v7, v54
	v_fma_f32 v14, v6, v54, -v10
	v_mul_f32_e32 v7, v8, v15
	v_mul_f32_e32 v6, v9, v15
	v_fmac_f32_e32 v7, v9, v14
	v_fma_f32 v6, v8, v14, -v6
	v_sub_f32_e32 v7, v57, v7
	v_sub_f32_e32 v6, v56, v6
	s_waitcnt lgkmcnt(0)
	v_mul_f32_e32 v8, v17, v7
	v_mul_f32_e32 v11, v16, v7
	v_fma_f32 v10, v16, v6, -v8
	v_fmac_f32_e32 v11, v17, v6
	v_add_u32_e32 v6, s11, v1
	scratch_store_dwordx2 off, v[14:15], off
	ds_write_b64 v60, v[14:15]
	scratch_store_dwordx2 off, v[10:11], off offset:8
	ds_write_b64 v6, v[10:11]
	ds_read_b128 v[20:23], v122 offset:16
	ds_read_b128 v[6:9], v122 offset:32
	s_or_b32 s12, s10, 0x200
	s_add_i32 s11, s5, s11
	v_mov_b32_e32 v116, s11
	s_waitcnt lgkmcnt(1)
	v_mul_f32_e32 v16, v21, v15
	v_fma_f32 v16, v20, v14, -v16
	v_mul_f32_e32 v17, v20, v15
	v_mul_f32_e32 v20, v19, v11
	v_fmac_f32_e32 v17, v21, v14
	v_fma_f32 v20, v18, v10, -v20
	v_mul_f32_e32 v18, v18, v11
	s_waitcnt vmcnt(2)
	v_sub_f32_e32 v16, v58, v16
	v_sub_f32_e32 v17, v59, v17
	v_fmac_f32_e32 v18, v19, v10
	v_sub_f32_e32 v24, v16, v20
	v_sub_f32_e32 v17, v17, v18
	ds_read_b128 v[18:21], v122 offset:528
	s_add_i32 s11, s5, s12
	v_mov_b32_e32 v123, s11
	ds_read2_b64 v[32:35], v116 offset0:5 offset1:6
	s_or_b32 s4, s7, 28
	s_waitcnt lgkmcnt(1)
	v_mul_f32_e32 v16, v19, v17
	v_mul_f32_e32 v17, v18, v17
	v_fma_f32 v16, v18, v24, -v16
	v_fmac_f32_e32 v17, v19, v24
	scratch_load_dwordx4 v[24:27], off, off offset:24
	v_add_u32_e32 v18, s12, v1
	ds_write_b64 v18, v[16:17]
	v_mul_f32_e32 v18, v23, v15
	v_mul_f32_e32 v19, v22, v15
	v_fma_f32 v18, v22, v14, -v18
	v_fmac_f32_e32 v19, v23, v14
	s_or_b32 s12, s10, 0x300
	s_add_i32 s11, s5, s12
	v_mov_b32_e32 v118, s11
	scratch_store_dwordx2 off, v[16:17], off offset:16
	s_waitcnt vmcnt(1)
	v_sub_f32_e32 v18, v24, v18
	v_sub_f32_e32 v19, v25, v19
	ds_read2_b64 v[22:25], v116 offset0:3 offset1:4
	s_waitcnt lgkmcnt(0)
	v_mul_f32_e32 v28, v23, v11
	v_fma_f32 v28, v22, v10, -v28
	v_mul_f32_e32 v22, v22, v11
	v_fmac_f32_e32 v22, v23, v10
	v_sub_f32_e32 v19, v19, v22
	v_mul_f32_e32 v22, v21, v17
	v_fma_f32 v22, v20, v16, -v22
	v_mul_f32_e32 v20, v20, v17
	v_sub_f32_e32 v18, v18, v28
	v_fmac_f32_e32 v20, v21, v16
	v_sub_f32_e32 v28, v18, v22
	v_sub_f32_e32 v19, v19, v20
	ds_read2_b64 v[20:23], v122 offset0:99 offset1:100
	s_waitcnt lgkmcnt(0)
	v_mul_f32_e32 v18, v21, v19
	v_mul_f32_e32 v19, v20, v19
	v_fma_f32 v18, v20, v28, -v18
	v_fmac_f32_e32 v19, v21, v28
	scratch_load_dwordx4 v[28:31], off, off offset:40
	v_add_u32_e32 v20, s12, v1
	ds_write_b64 v20, v[18:19]
	v_mul_f32_e32 v20, v7, v15
	v_fma_f32 v20, v6, v14, -v20
	v_mul_f32_e32 v6, v6, v15
	v_fmac_f32_e32 v6, v7, v14
	v_sub_f32_e32 v7, v26, v20
	v_mul_f32_e32 v20, v25, v11
	v_mul_f32_e32 v21, v24, v11
	v_sub_f32_e32 v6, v27, v6
	v_fma_f32 v20, v24, v10, -v20
	v_fmac_f32_e32 v21, v25, v10
	ds_read_b128 v[24:27], v123 offset:32
	v_sub_f32_e32 v7, v7, v20
	v_sub_f32_e32 v6, v6, v21
	s_or_b32 s12, s10, 0x400
	scratch_store_dwordx2 off, v[18:19], off offset:24
	s_waitcnt lgkmcnt(0)
	v_mul_f32_e32 v20, v25, v17
	v_mul_f32_e32 v21, v24, v17
	v_fma_f32 v20, v24, v16, -v20
	v_fmac_f32_e32 v21, v25, v16
	v_sub_f32_e32 v7, v7, v20
	v_sub_f32_e32 v6, v6, v21
	v_mul_f32_e32 v20, v23, v19
	v_mul_f32_e32 v21, v22, v19
	v_fma_f32 v20, v22, v18, -v20
	v_fmac_f32_e32 v21, v23, v18
	v_sub_f32_e32 v24, v7, v20
	v_sub_f32_e32 v7, v6, v21
	ds_read_b128 v[20:23], v122 offset:1056
	s_add_i32 s11, s5, s12
	v_mov_b32_e32 v124, s11
	s_waitcnt lgkmcnt(0)
	v_mul_f32_e32 v6, v21, v7
	v_mul_f32_e32 v7, v20, v7
	v_fma_f32 v6, v20, v24, -v6
	v_fmac_f32_e32 v7, v21, v24
	v_add_u32_e32 v20, s12, v1
	ds_write_b64 v20, v[6:7]
	v_mul_f32_e32 v20, v9, v15
	v_fma_f32 v20, v8, v14, -v20
	v_mul_f32_e32 v8, v8, v15
	v_fmac_f32_e32 v8, v9, v14
	v_mul_f32_e32 v14, v33, v11
	v_mul_f32_e32 v11, v32, v11
	v_fmac_f32_e32 v11, v33, v10
	v_fma_f32 v14, v32, v10, -v14
	v_mul_f32_e32 v10, v27, v17
	v_fma_f32 v10, v26, v16, -v10
	scratch_store_dwordx2 off, v[6:7], off offset:32
	s_or_b32 s12, s10, 0x500
	s_or_b32 s10, s10, 0x600
	s_add_i32 s11, s5, s12
	v_mov_b32_e32 v119, s11
	s_or_b32 s11, s7, 7
	s_waitcnt vmcnt(2)
	v_sub_f32_e32 v8, v29, v8
	v_sub_f32_e32 v9, v28, v20
	;; [unrolled: 1-line block ×3, first 2 shown]
	v_mul_f32_e32 v11, v26, v17
	v_sub_f32_e32 v9, v9, v14
	v_fmac_f32_e32 v11, v27, v16
	v_sub_f32_e32 v14, v9, v10
	v_sub_f32_e32 v15, v8, v11
	ds_read2_b64 v[8:11], v118 offset0:5 offset1:6
	ds_read_b128 v[26:29], v123 offset:48
	s_waitcnt lgkmcnt(1)
	v_mul_f32_e32 v16, v9, v19
	v_fma_f32 v16, v8, v18, -v16
	v_mul_f32_e32 v8, v8, v19
	v_fmac_f32_e32 v8, v9, v18
	v_sub_f32_e32 v9, v14, v16
	v_mul_f32_e32 v14, v23, v7
	v_fma_f32 v14, v22, v6, -v14
	v_sub_f32_e32 v8, v15, v8
	v_sub_f32_e32 v9, v9, v14
	ds_read2_b64 v[14:17], v122 offset0:165 offset1:166
	v_mul_f32_e32 v7, v22, v7
	v_fmac_f32_e32 v7, v23, v6
	v_sub_f32_e32 v7, v8, v7
	scratch_load_dwordx4 v[18:21], off, off
	s_waitcnt lgkmcnt(0)
	v_mul_f32_e32 v6, v15, v7
	v_mul_f32_e32 v7, v14, v7
	v_fma_f32 v6, v14, v9, -v6
	v_fmac_f32_e32 v7, v15, v9
	scratch_store_dwordx2 off, v[6:7], off offset:40
	scratch_load_dwordx4 v[6:9], off, off offset:32
	ds_read_b128 v[22:25], v122 offset:48
	v_add_u32_e32 v14, s12, v1
	s_mul_i32 s12, s11, 0x108
	s_lshl_b32 s11, s11, 8
	s_waitcnt vmcnt(2) lgkmcnt(0)
	v_mul_f32_e32 v15, v22, v19
	v_fmac_f32_e32 v15, v23, v18
	v_sub_f32_e32 v15, v31, v15
	s_waitcnt vmcnt(0)
	ds_write_b64 v14, v[8:9]
	v_mul_f32_e32 v14, v23, v19
	v_fma_f32 v14, v22, v18, -v14
	v_mul_f32_e32 v18, v35, v21
	v_mul_f32_e32 v19, v34, v21
	v_sub_f32_e32 v14, v30, v14
	v_fma_f32 v18, v34, v20, -v18
	v_fmac_f32_e32 v19, v35, v20
	v_sub_f32_e32 v14, v14, v18
	v_sub_f32_e32 v15, v15, v19
	scratch_load_dwordx4 v[18:21], off, off offset:16
	s_waitcnt vmcnt(0)
	v_mul_f32_e32 v22, v27, v19
	v_mul_f32_e32 v19, v26, v19
	v_fma_f32 v22, v26, v18, -v22
	v_fmac_f32_e32 v19, v27, v18
	v_mul_f32_e32 v18, v11, v21
	v_sub_f32_e32 v14, v14, v22
	v_fma_f32 v18, v10, v20, -v18
	v_mul_f32_e32 v10, v10, v21
	v_sub_f32_e32 v15, v15, v19
	v_fmac_f32_e32 v10, v11, v20
	v_sub_f32_e32 v11, v14, v18
	ds_read_b128 v[18:21], v124 offset:48
	v_sub_f32_e32 v10, v15, v10
	s_waitcnt lgkmcnt(0)
	v_mul_f32_e32 v14, v19, v7
	v_mul_f32_e32 v15, v18, v7
	v_fma_f32 v14, v18, v6, -v14
	v_fmac_f32_e32 v15, v19, v6
	v_sub_f32_e32 v11, v11, v14
	v_sub_f32_e32 v10, v10, v15
	v_mul_f32_e32 v14, v17, v9
	v_mul_f32_e32 v15, v16, v9
	v_fma_f32 v14, v16, v8, -v14
	v_fmac_f32_e32 v15, v17, v8
	v_sub_f32_e32 v18, v11, v14
	v_sub_f32_e32 v11, v10, v15
	ds_read_b128 v[14:17], v122 offset:1584
	s_waitcnt lgkmcnt(0)
	v_mul_f32_e32 v10, v15, v11
	v_mul_f32_e32 v11, v14, v11
	v_fma_f32 v10, v14, v18, -v10
	v_fmac_f32_e32 v11, v15, v18
	v_add_u32_e32 v14, s10, v1
	scratch_store_dwordx2 off, v[10:11], off offset:48
	ds_write_b64 v14, v[10:11]
	scratch_load_dwordx4 v[30:33], off, off offset:56
	scratch_load_dwordx4 v[34:37], off, off
	s_add_i32 s10, s5, s10
	v_mov_b32_e32 v126, s10
	s_add_i32 s10, s5, s11
	v_mov_b32_e32 v120, s10
	s_waitcnt vmcnt(0)
	v_mul_f32_e32 v14, v25, v35
	v_mul_f32_e32 v15, v24, v35
	v_fma_f32 v14, v24, v34, -v14
	v_fmac_f32_e32 v15, v25, v34
	ds_read2_b64 v[22:25], v116 offset0:7 offset1:8
	v_sub_f32_e32 v14, v30, v14
	v_sub_f32_e32 v15, v31, v15
	s_waitcnt lgkmcnt(0)
	v_mul_f32_e32 v18, v23, v37
	v_mul_f32_e32 v19, v22, v37
	v_fma_f32 v18, v22, v36, -v18
	v_fmac_f32_e32 v19, v23, v36
	scratch_load_dwordx4 v[34:37], off, off offset:16
	v_sub_f32_e32 v14, v14, v18
	v_sub_f32_e32 v15, v15, v19
	s_waitcnt vmcnt(0)
	v_mul_f32_e32 v18, v29, v35
	v_mul_f32_e32 v19, v28, v35
	v_fma_f32 v18, v28, v34, -v18
	v_fmac_f32_e32 v19, v29, v34
	ds_read2_b64 v[26:29], v118 offset0:7 offset1:8
	v_sub_f32_e32 v14, v14, v18
	v_sub_f32_e32 v15, v15, v19
	s_waitcnt lgkmcnt(0)
	v_mul_f32_e32 v18, v27, v37
	v_fma_f32 v18, v26, v36, -v18
	v_mul_f32_e32 v19, v26, v37
	v_sub_f32_e32 v14, v14, v18
	v_mul_f32_e32 v18, v21, v7
	v_fmac_f32_e32 v19, v27, v36
	v_fma_f32 v18, v20, v6, -v18
	v_mul_f32_e32 v7, v20, v7
	v_sub_f32_e32 v15, v15, v19
	v_fmac_f32_e32 v7, v21, v6
	v_sub_f32_e32 v6, v14, v18
	ds_read2_b64 v[18:21], v119 offset0:7 offset1:8
	v_sub_f32_e32 v7, v15, v7
	ds_read_b128 v[34:37], v122 offset:64
	s_waitcnt lgkmcnt(1)
	v_mul_f32_e32 v14, v19, v9
	v_mul_f32_e32 v9, v18, v9
	v_fma_f32 v14, v18, v8, -v14
	v_fmac_f32_e32 v9, v19, v8
	v_mul_f32_e32 v8, v17, v11
	v_sub_f32_e32 v6, v6, v14
	v_sub_f32_e32 v7, v7, v9
	v_fma_f32 v8, v16, v10, -v8
	v_mul_f32_e32 v9, v16, v11
	v_fmac_f32_e32 v9, v17, v10
	v_sub_f32_e32 v6, v6, v8
	v_mov_b32_e32 v8, s12
	v_sub_f32_e32 v7, v7, v9
	ds_read2_b64 v[8:11], v8 offset1:1
	s_waitcnt lgkmcnt(0)
	v_mul_f32_e32 v14, v9, v7
	v_mul_f32_e32 v31, v8, v7
	v_fma_f32 v30, v8, v6, -v14
	v_fmac_f32_e32 v31, v9, v6
	scratch_store_dwordx2 off, v[30:31], off offset:56
	scratch_load_dwordx4 v[6:9], off, off offset:48
	v_add_u32_e32 v14, s11, v1
	s_or_b32 s11, s7, 8
	s_mul_i32 s12, s11, 0x108
	s_lshl_b32 s11, s11, 8
	s_add_i32 s10, s5, s11
	v_mov_b32_e32 v125, s10
	s_waitcnt vmcnt(0)
	ds_write_b64 v14, v[8:9]
	scratch_load_dwordx4 v[14:17], off, off
	s_waitcnt vmcnt(0)
	v_mul_f32_e32 v18, v35, v15
	v_fma_f32 v18, v34, v14, -v18
	v_mul_f32_e32 v15, v34, v15
	v_fmac_f32_e32 v15, v35, v14
	v_sub_f32_e32 v14, v32, v18
	v_mul_f32_e32 v18, v25, v17
	v_mul_f32_e32 v17, v24, v17
	v_sub_f32_e32 v15, v33, v15
	v_fma_f32 v18, v24, v16, -v18
	v_fmac_f32_e32 v17, v25, v16
	v_sub_f32_e32 v18, v14, v18
	v_sub_f32_e32 v19, v15, v17
	scratch_load_dwordx4 v[14:17], off, off offset:16
	ds_read_b128 v[22:25], v123 offset:64
	s_waitcnt vmcnt(0) lgkmcnt(0)
	v_mul_f32_e32 v26, v23, v15
	v_fma_f32 v26, v22, v14, -v26
	v_mul_f32_e32 v15, v22, v15
	v_fmac_f32_e32 v15, v23, v14
	v_sub_f32_e32 v14, v18, v26
	v_mul_f32_e32 v18, v29, v17
	v_mul_f32_e32 v17, v28, v17
	v_sub_f32_e32 v15, v19, v15
	v_fma_f32 v18, v28, v16, -v18
	v_fmac_f32_e32 v17, v29, v16
	v_sub_f32_e32 v18, v14, v18
	v_sub_f32_e32 v19, v15, v17
	scratch_load_dwordx4 v[14:17], off, off offset:32
	ds_read_b128 v[26:29], v124 offset:64
	s_waitcnt vmcnt(0) lgkmcnt(0)
	v_mul_f32_e32 v22, v27, v15
	v_fma_f32 v22, v26, v14, -v22
	v_mul_f32_e32 v15, v26, v15
	v_fmac_f32_e32 v15, v27, v14
	v_sub_f32_e32 v14, v18, v22
	v_mul_f32_e32 v18, v21, v17
	v_mul_f32_e32 v17, v20, v17
	v_sub_f32_e32 v15, v19, v15
	v_fma_f32 v18, v20, v16, -v18
	v_fmac_f32_e32 v17, v21, v16
	v_sub_f32_e32 v14, v14, v18
	v_sub_f32_e32 v15, v15, v17
	ds_read_b128 v[16:19], v126 offset:64
	s_waitcnt lgkmcnt(0)
	v_mul_f32_e32 v20, v17, v7
	v_fma_f32 v20, v16, v6, -v20
	v_mul_f32_e32 v16, v16, v7
	v_fmac_f32_e32 v16, v17, v6
	v_sub_f32_e32 v15, v15, v16
	v_mul_f32_e32 v16, v11, v31
	v_fma_f32 v16, v10, v30, -v16
	v_mul_f32_e32 v10, v10, v31
	v_fmac_f32_e32 v10, v11, v30
	v_sub_f32_e32 v11, v15, v10
	v_mov_b32_e32 v10, s12
	v_sub_f32_e32 v14, v14, v20
	ds_read_b128 v[20:23], v10
	v_sub_f32_e32 v14, v14, v16
	s_waitcnt lgkmcnt(0)
	v_mul_f32_e32 v10, v21, v11
	v_mul_f32_e32 v11, v20, v11
	v_fma_f32 v10, v20, v14, -v10
	v_fmac_f32_e32 v11, v21, v14
	v_add_u32_e32 v14, s11, v1
	scratch_store_dwordx2 off, v[10:11], off offset:64
	ds_write_b64 v14, v[10:11]
	scratch_load_dwordx4 v[14:17], off, off offset:72
	scratch_load_dwordx4 v[30:33], off, off
	s_or_b32 s11, s7, 9
	s_mul_i32 s12, s11, 0x108
	s_lshl_b32 s11, s11, 8
	s_add_i32 s10, s5, s11
	v_mov_b32_e32 v111, s10
	s_waitcnt vmcnt(0)
	v_mul_f32_e32 v20, v37, v31
	v_mul_f32_e32 v21, v36, v31
	v_fma_f32 v20, v36, v30, -v20
	v_fmac_f32_e32 v21, v37, v30
	ds_read2_b64 v[34:37], v116 offset0:9 offset1:10
	v_sub_f32_e32 v14, v14, v20
	v_sub_f32_e32 v15, v15, v21
	scratch_store_dword off, v14, off offset:72
	s_waitcnt lgkmcnt(0)
	v_mul_f32_e32 v20, v35, v33
	v_mul_f32_e32 v21, v34, v33
	v_fma_f32 v20, v34, v32, -v20
	v_fmac_f32_e32 v21, v35, v32
	scratch_load_dwordx4 v[30:33], off, off offset:16
	v_sub_f32_e32 v14, v14, v20
	v_sub_f32_e32 v15, v15, v21
	s_waitcnt vmcnt(0)
	v_mul_f32_e32 v20, v25, v31
	v_mul_f32_e32 v21, v24, v31
	v_fma_f32 v20, v24, v30, -v20
	v_fmac_f32_e32 v21, v25, v30
	ds_read2_b64 v[24:27], v118 offset0:9 offset1:10
	v_sub_f32_e32 v14, v14, v20
	v_sub_f32_e32 v15, v15, v21
	s_waitcnt lgkmcnt(0)
	v_mul_f32_e32 v20, v25, v33
	v_mul_f32_e32 v21, v24, v33
	v_fma_f32 v20, v24, v32, -v20
	v_fmac_f32_e32 v21, v25, v32
	scratch_load_dwordx4 v[32:35], off, off offset:32
	v_sub_f32_e32 v14, v14, v20
	v_sub_f32_e32 v15, v15, v21
	s_waitcnt vmcnt(0)
	v_mul_f32_e32 v20, v29, v33
	v_mul_f32_e32 v21, v28, v33
	v_fma_f32 v20, v28, v32, -v20
	v_fmac_f32_e32 v21, v29, v32
	ds_read2_b64 v[30:33], v119 offset0:9 offset1:10
	v_sub_f32_e32 v14, v14, v20
	v_sub_f32_e32 v15, v15, v21
	s_waitcnt lgkmcnt(0)
	v_mul_f32_e32 v20, v31, v35
	v_fma_f32 v20, v30, v34, -v20
	v_mul_f32_e32 v21, v30, v35
	v_sub_f32_e32 v14, v14, v20
	v_mul_f32_e32 v20, v19, v7
	v_fmac_f32_e32 v21, v31, v34
	v_fma_f32 v20, v18, v6, -v20
	v_mul_f32_e32 v7, v18, v7
	v_sub_f32_e32 v15, v15, v21
	v_fmac_f32_e32 v7, v19, v6
	v_sub_f32_e32 v6, v14, v20
	ds_read2_b64 v[18:21], v120 offset0:9 offset1:10
	v_sub_f32_e32 v7, v15, v7
	scratch_load_dwordx4 v[28:31], off, off
	s_waitcnt lgkmcnt(0)
	v_mul_f32_e32 v14, v19, v9
	v_mul_f32_e32 v9, v18, v9
	v_fma_f32 v14, v18, v8, -v14
	v_fmac_f32_e32 v9, v19, v8
	v_mul_f32_e32 v8, v23, v11
	v_sub_f32_e32 v6, v6, v14
	v_fma_f32 v8, v22, v10, -v8
	v_sub_f32_e32 v7, v7, v9
	v_mul_f32_e32 v9, v22, v11
	v_sub_f32_e32 v6, v6, v8
	v_mov_b32_e32 v8, s12
	v_fmac_f32_e32 v9, v23, v10
	ds_read2_b64 v[22:25], v8 offset1:1
	v_sub_f32_e32 v7, v7, v9
	v_add_u32_e32 v10, s11, v1
	s_or_b32 s11, s7, 10
	s_mul_i32 s12, s11, 0x108
	s_waitcnt lgkmcnt(0)
	v_mul_f32_e32 v8, v23, v7
	v_mul_f32_e32 v19, v22, v7
	v_fma_f32 v18, v22, v6, -v8
	v_fmac_f32_e32 v19, v23, v6
	scratch_store_dwordx2 off, v[18:19], off offset:72
	scratch_load_dwordx4 v[6:9], off, off offset:64
	s_lshl_b32 s11, s11, 8
	s_add_i32 s10, s5, s11
	v_mov_b32_e32 v127, s10
	s_waitcnt vmcnt(2)
	v_mov_b32_e32 v14, v28
	v_mov_b32_e32 v22, v29
	;; [unrolled: 1-line block ×4, first 2 shown]
	s_waitcnt vmcnt(0)
	ds_write_b64 v10, v[8:9]
	ds_read_b128 v[8:11], v122 offset:80
	s_waitcnt lgkmcnt(0)
	v_pk_mul_f32 v[28:29], v[8:9], v[28:29]
	s_nop 0
	v_sub_f32_e32 v28, v28, v29
	v_sub_f32_e32 v16, v16, v28
	v_mov_b32_e32 v28, v9
	v_mov_b32_e32 v9, v37
	;; [unrolled: 1-line block ×3, first 2 shown]
	v_pk_mul_f32 v[8:9], v[8:9], v[22:23]
	s_nop 0
	v_pk_fma_f32 v[22:23], v[28:29], v[14:15], v[8:9] neg_lo:[0,0,1] neg_hi:[0,0,1]
	v_pk_fma_f32 v[8:9], v[28:29], v[14:15], v[8:9]
	v_mul_f32_e32 v14, v37, v30
	v_pk_mov_b32 v[8:9], v[22:23], v[8:9] op_sel:[1,0]
	v_fmac_f32_e32 v14, v36, v31
	v_pk_add_f32 v[8:9], v[16:17], v[8:9] neg_lo:[0,1] neg_hi:[0,1]
	ds_read_b128 v[34:37], v123 offset:80
	ds_read_b128 v[28:31], v124 offset:80
	v_sub_f32_e32 v22, v9, v14
	scratch_load_dwordx4 v[14:17], off, off offset:16
	s_nop 0
	scratch_store_dwordx2 off, v[8:9], off offset:80
	s_waitcnt vmcnt(1) lgkmcnt(1)
	v_mul_f32_e32 v9, v35, v15
	v_mul_f32_e32 v15, v34, v15
	v_fma_f32 v9, v34, v14, -v9
	v_fmac_f32_e32 v15, v35, v14
	v_sub_f32_e32 v8, v8, v9
	v_sub_f32_e32 v9, v22, v15
	v_mul_f32_e32 v14, v27, v17
	v_mul_f32_e32 v15, v26, v17
	v_fma_f32 v14, v26, v16, -v14
	v_fmac_f32_e32 v15, v27, v16
	v_sub_f32_e32 v8, v8, v14
	v_sub_f32_e32 v9, v9, v15
	scratch_load_dwordx4 v[14:17], off, off offset:32
	s_waitcnt vmcnt(0) lgkmcnt(0)
	v_mul_f32_e32 v22, v29, v15
	v_mul_f32_e32 v15, v28, v15
	v_fmac_f32_e32 v15, v29, v14
	v_fma_f32 v22, v28, v14, -v22
	v_sub_f32_e32 v9, v9, v15
	v_mul_f32_e32 v14, v33, v17
	v_mul_f32_e32 v15, v32, v17
	v_sub_f32_e32 v8, v8, v22
	v_fma_f32 v14, v32, v16, -v14
	v_fmac_f32_e32 v15, v33, v16
	v_sub_f32_e32 v8, v8, v14
	v_sub_f32_e32 v9, v9, v15
	scratch_load_dwordx4 v[14:17], off, off offset:48
	ds_read_b128 v[32:35], v126 offset:80
	s_waitcnt vmcnt(0) lgkmcnt(0)
	v_mul_f32_e32 v22, v33, v15
	v_mul_f32_e32 v15, v32, v15
	v_fmac_f32_e32 v15, v33, v14
	v_fma_f32 v22, v32, v14, -v22
	v_sub_f32_e32 v9, v9, v15
	v_mul_f32_e32 v14, v21, v17
	v_mul_f32_e32 v15, v20, v17
	v_sub_f32_e32 v8, v8, v22
	v_fma_f32 v14, v20, v16, -v14
	v_fmac_f32_e32 v15, v21, v16
	v_sub_f32_e32 v8, v8, v14
	v_sub_f32_e32 v9, v9, v15
	ds_read_b128 v[14:17], v125 offset:80
	v_mov_b32_e32 v32, v11
	s_waitcnt lgkmcnt(0)
	v_mul_f32_e32 v20, v15, v7
	v_fma_f32 v20, v14, v6, -v20
	v_mul_f32_e32 v7, v14, v7
	v_fmac_f32_e32 v7, v15, v6
	v_sub_f32_e32 v6, v8, v20
	v_mul_f32_e32 v8, v25, v19
	v_fma_f32 v8, v24, v18, -v8
	v_sub_f32_e32 v7, v9, v7
	v_mul_f32_e32 v9, v24, v19
	v_sub_f32_e32 v6, v6, v8
	v_mov_b32_e32 v8, s12
	v_fmac_f32_e32 v9, v25, v18
	ds_read_b128 v[18:21], v8
	v_sub_f32_e32 v7, v7, v9
	s_waitcnt lgkmcnt(0)
	v_mul_f32_e32 v8, v19, v7
	v_mul_f32_e32 v15, v18, v7
	v_fma_f32 v14, v18, v6, -v8
	v_fmac_f32_e32 v15, v19, v6
	scratch_store_dwordx2 off, v[14:15], off offset:80
	scratch_load_dwordx4 v[26:29], off, off offset:72
	v_add_u32_e32 v6, s11, v1
	s_or_b32 s11, s7, 11
	s_mul_i32 s12, s11, 0x108
	s_lshl_b32 s11, s11, 8
	s_add_i32 s10, s5, s11
	v_mov_b32_e32 v112, s10
	s_waitcnt vmcnt(0)
	ds_write_b64 v6, v[28:29]
	scratch_load_dwordx4 v[6:9], off, off offset:88
	scratch_load_dwordx4 v[38:41], off, off
	scratch_load_dwordx4 v[42:45], off, off offset:8
	s_waitcnt vmcnt(1)
	v_pk_mul_f32 v[22:23], v[10:11], v[38:39]
	s_nop 0
	v_sub_f32_e32 v22, v22, v23
	v_sub_f32_e32 v6, v6, v22
	ds_read2_b64 v[22:25], v116 offset0:11 offset1:12
	v_mov_b32_e32 v19, v40
	v_mov_b32_e32 v40, v39
	;; [unrolled: 1-line block ×3, first 2 shown]
	s_waitcnt vmcnt(0)
	v_mov_b32_e32 v38, v43
	s_waitcnt lgkmcnt(0)
	v_mov_b32_e32 v11, v23
	v_mov_b32_e32 v33, v22
	v_pk_mul_f32 v[10:11], v[10:11], v[40:41]
	v_mov_b32_e32 v39, v45
	v_pk_fma_f32 v[40:41], v[32:33], v[18:19], v[10:11] neg_lo:[0,0,1] neg_hi:[0,0,1]
	v_pk_fma_f32 v[10:11], v[32:33], v[18:19], v[10:11]
	v_mov_b32_e32 v28, v42
	v_pk_mov_b32 v[10:11], v[40:41], v[10:11] op_sel:[1,0]
	v_mov_b32_e32 v29, v44
	v_pk_add_f32 v[6:7], v[6:7], v[10:11] neg_lo:[0,1] neg_hi:[0,1]
	v_mov_b32_e32 v10, v23
	v_mov_b32_e32 v23, v37
	;; [unrolled: 1-line block ×3, first 2 shown]
	v_pk_mul_f32 v[18:19], v[22:23], v[38:39]
	ds_read2_b64 v[38:41], v118 offset0:11 offset1:12
	v_pk_fma_f32 v[22:23], v[10:11], v[28:29], v[18:19] neg_lo:[0,0,1] neg_hi:[0,0,1]
	v_pk_fma_f32 v[10:11], v[10:11], v[28:29], v[18:19]
	s_nop 0
	v_pk_mov_b32 v[10:11], v[22:23], v[10:11] op_sel:[1,0]
	s_nop 0
	v_pk_add_f32 v[6:7], v[6:7], v[10:11] neg_lo:[0,1] neg_hi:[0,1]
	v_mul_f32_e32 v10, v37, v44
	v_fmac_f32_e32 v10, v36, v45
	scratch_load_dwordx4 v[42:45], off, off offset:24
	v_sub_f32_e32 v10, v7, v10
	scratch_store_dwordx2 off, v[6:7], off offset:88
	s_waitcnt vmcnt(1) lgkmcnt(0)
	v_mul_f32_e32 v7, v39, v43
	v_mul_f32_e32 v11, v38, v43
	v_fma_f32 v7, v38, v42, -v7
	v_fmac_f32_e32 v11, v39, v42
	v_sub_f32_e32 v6, v6, v7
	v_sub_f32_e32 v7, v10, v11
	v_mul_f32_e32 v10, v31, v45
	v_mul_f32_e32 v11, v30, v45
	v_fma_f32 v10, v30, v44, -v10
	v_fmac_f32_e32 v11, v31, v44
	scratch_load_dwordx4 v[28:31], off, off offset:40
	ds_read2_b64 v[36:39], v119 offset0:11 offset1:12
	v_sub_f32_e32 v6, v6, v10
	v_sub_f32_e32 v7, v7, v11
	s_waitcnt vmcnt(0) lgkmcnt(0)
	v_mul_f32_e32 v10, v37, v29
	v_mul_f32_e32 v11, v36, v29
	v_fma_f32 v10, v36, v28, -v10
	v_fmac_f32_e32 v11, v37, v28
	v_sub_f32_e32 v6, v6, v10
	v_sub_f32_e32 v7, v7, v11
	v_mul_f32_e32 v10, v35, v31
	v_mul_f32_e32 v11, v34, v31
	v_fma_f32 v10, v34, v30, -v10
	v_fmac_f32_e32 v11, v35, v30
	scratch_load_dwordx4 v[28:31], off, off offset:56
	ds_read2_b64 v[34:37], v120 offset0:11 offset1:12
	v_sub_f32_e32 v6, v6, v10
	v_sub_f32_e32 v7, v7, v11
	s_waitcnt vmcnt(0) lgkmcnt(0)
	v_mul_f32_e32 v10, v35, v29
	v_mul_f32_e32 v11, v34, v29
	v_fma_f32 v10, v34, v28, -v10
	v_fmac_f32_e32 v11, v35, v28
	v_sub_f32_e32 v6, v6, v10
	v_sub_f32_e32 v7, v7, v11
	v_mul_f32_e32 v10, v17, v31
	v_mul_f32_e32 v11, v16, v31
	v_fma_f32 v10, v16, v30, -v10
	v_fmac_f32_e32 v11, v17, v30
	ds_read2_b64 v[16:19], v111 offset0:11 offset1:12
	v_sub_f32_e32 v6, v6, v10
	v_sub_f32_e32 v7, v7, v11
	s_waitcnt lgkmcnt(0)
	v_mul_f32_e32 v10, v17, v27
	v_fma_f32 v10, v16, v26, -v10
	v_sub_f32_e32 v6, v6, v10
	v_mul_f32_e32 v10, v21, v15
	v_fma_f32 v10, v20, v14, -v10
	v_sub_f32_e32 v10, v6, v10
	v_mov_b32_e32 v6, s12
	ds_read2_b64 v[28:31], v6 offset1:1
	v_mul_f32_e32 v11, v16, v27
	v_fmac_f32_e32 v11, v17, v26
	v_sub_f32_e32 v7, v7, v11
	v_mul_f32_e32 v11, v20, v15
	v_fmac_f32_e32 v11, v21, v14
	v_sub_f32_e32 v7, v7, v11
	s_waitcnt lgkmcnt(0)
	v_mul_f32_e32 v6, v29, v7
	v_mul_f32_e32 v7, v28, v7
	v_fma_f32 v6, v28, v10, -v6
	v_fmac_f32_e32 v7, v29, v10
	scratch_store_dwordx2 off, v[6:7], off offset:88
	scratch_load_dwordx4 v[32:35], off, off offset:80
	v_add_u32_e32 v10, s11, v1
	ds_read_b128 v[14:17], v122 offset:96
	s_or_b32 s11, s7, 12
	s_mul_i32 s12, s11, 0x108
	s_lshl_b32 s11, s11, 8
	s_add_i32 s10, s5, s11
	v_mov_b32_e32 v128, s10
	s_waitcnt vmcnt(0)
	ds_write_b64 v10, v[34:35]
	scratch_load_dwordx4 v[20:23], off, off
	scratch_load_dwordx4 v[26:29], off, off offset:8
	scratch_load_dwordx4 v[42:45], off, off offset:16
	s_waitcnt vmcnt(2)
	v_mov_b32_e32 v10, v20
	v_mov_b32_e32 v11, v22
	;; [unrolled: 1-line block ×3, first 2 shown]
	s_waitcnt lgkmcnt(1)
	v_pk_mul_f32 v[20:21], v[14:15], v[20:21]
	s_waitcnt vmcnt(1)
	v_mov_b32_e32 v35, v28
	v_sub_f32_e32 v20, v20, v21
	v_sub_f32_e32 v8, v8, v20
	v_mov_b32_e32 v20, v15
	v_mov_b32_e32 v15, v25
	;; [unrolled: 1-line block ×3, first 2 shown]
	v_pk_mul_f32 v[14:15], v[14:15], v[22:23]
	v_mov_b32_e32 v28, v27
	v_pk_fma_f32 v[22:23], v[20:21], v[10:11], v[14:15] neg_lo:[0,0,1] neg_hi:[0,0,1]
	v_pk_fma_f32 v[10:11], v[20:21], v[10:11], v[14:15]
	v_mov_b32_e32 v14, v25
	v_pk_mov_b32 v[10:11], v[22:23], v[10:11] op_sel:[1,0]
	ds_read_b128 v[20:23], v123 offset:96
	v_mov_b32_e32 v34, v26
	v_pk_add_f32 v[8:9], v[8:9], v[10:11] neg_lo:[0,1] neg_hi:[0,1]
	s_waitcnt vmcnt(0)
	v_mov_b32_e32 v26, v43
	v_mov_b32_e32 v27, v45
	s_waitcnt lgkmcnt(0)
	v_mov_b32_e32 v25, v21
	v_mov_b32_e32 v15, v20
	v_pk_mul_f32 v[24:25], v[24:25], v[28:29]
	v_mov_b32_e32 v10, v42
	v_pk_fma_f32 v[28:29], v[14:15], v[34:35], v[24:25] neg_lo:[0,0,1] neg_hi:[0,0,1]
	v_pk_fma_f32 v[14:15], v[14:15], v[34:35], v[24:25]
	v_mov_b32_e32 v11, v44
	v_pk_mov_b32 v[14:15], v[28:29], v[14:15] op_sel:[1,0]
	s_nop 0
	v_pk_add_f32 v[8:9], v[8:9], v[14:15] neg_lo:[0,1] neg_hi:[0,1]
	v_mov_b32_e32 v14, v21
	v_mov_b32_e32 v21, v41
	;; [unrolled: 1-line block ×3, first 2 shown]
	v_pk_mul_f32 v[20:21], v[20:21], v[26:27]
	ds_read_b128 v[26:29], v126 offset:96
	v_pk_fma_f32 v[24:25], v[14:15], v[10:11], v[20:21] neg_lo:[0,0,1] neg_hi:[0,0,1]
	v_pk_fma_f32 v[10:11], v[14:15], v[10:11], v[20:21]
	s_nop 0
	v_pk_mov_b32 v[10:11], v[24:25], v[10:11] op_sel:[1,0]
	s_nop 0
	v_pk_add_f32 v[14:15], v[8:9], v[10:11] neg_lo:[0,1] neg_hi:[0,1]
	v_mul_f32_e32 v8, v41, v44
	v_fmac_f32_e32 v8, v40, v45
	v_sub_f32_e32 v20, v15, v8
	scratch_load_dwordx4 v[8:11], off, off offset:32
	ds_read_b128 v[40:43], v124 offset:96
	scratch_store_dwordx2 off, v[14:15], off offset:96
	s_waitcnt vmcnt(1) lgkmcnt(0)
	v_mul_f32_e32 v15, v41, v9
	v_fma_f32 v15, v40, v8, -v15
	v_mul_f32_e32 v9, v40, v9
	v_fmac_f32_e32 v9, v41, v8
	v_sub_f32_e32 v8, v14, v15
	v_mul_f32_e32 v14, v39, v11
	v_mul_f32_e32 v11, v38, v11
	v_sub_f32_e32 v9, v20, v9
	v_fma_f32 v14, v38, v10, -v14
	v_fmac_f32_e32 v11, v39, v10
	v_sub_f32_e32 v14, v8, v14
	v_sub_f32_e32 v15, v9, v11
	scratch_load_dwordx4 v[8:11], off, off offset:48
	s_waitcnt vmcnt(0)
	v_mul_f32_e32 v20, v27, v9
	v_fma_f32 v20, v26, v8, -v20
	v_mul_f32_e32 v9, v26, v9
	v_fmac_f32_e32 v9, v27, v8
	v_sub_f32_e32 v8, v14, v20
	v_mul_f32_e32 v14, v37, v11
	v_mul_f32_e32 v11, v36, v11
	v_sub_f32_e32 v9, v15, v9
	v_fma_f32 v14, v36, v10, -v14
	v_fmac_f32_e32 v11, v37, v10
	v_sub_f32_e32 v14, v8, v14
	v_sub_f32_e32 v15, v9, v11
	scratch_load_dwordx4 v[8:11], off, off offset:64
	ds_read_b128 v[34:37], v125 offset:96
	ds_read_b128 v[24:27], v127 offset:96
	s_waitcnt vmcnt(0) lgkmcnt(1)
	v_mul_f32_e32 v20, v35, v9
	v_fma_f32 v20, v34, v8, -v20
	v_mul_f32_e32 v9, v34, v9
	v_fmac_f32_e32 v9, v35, v8
	v_sub_f32_e32 v8, v14, v20
	v_mul_f32_e32 v14, v19, v11
	v_mul_f32_e32 v11, v18, v11
	v_fma_f32 v14, v18, v10, -v14
	v_fmac_f32_e32 v11, v19, v10
	s_waitcnt lgkmcnt(0)
	v_mul_f32_e32 v10, v25, v33
	v_sub_f32_e32 v8, v8, v14
	v_fma_f32 v10, v24, v32, -v10
	v_sub_f32_e32 v8, v8, v10
	v_mul_f32_e32 v10, v31, v7
	v_sub_f32_e32 v9, v15, v9
	v_fma_f32 v10, v30, v6, -v10
	v_mul_f32_e32 v7, v30, v7
	v_sub_f32_e32 v9, v9, v11
	v_mul_f32_e32 v11, v24, v33
	v_fmac_f32_e32 v7, v31, v6
	v_sub_f32_e32 v6, v8, v10
	v_mov_b32_e32 v8, s12
	v_fmac_f32_e32 v11, v25, v32
	ds_read_b128 v[32:35], v8
	v_sub_f32_e32 v9, v9, v11
	v_sub_f32_e32 v7, v9, v7
	v_add_u32_e32 v10, s11, v1
	s_or_b32 s11, s7, 13
	s_waitcnt lgkmcnt(0)
	v_mul_f32_e32 v8, v33, v7
	v_mul_f32_e32 v45, v32, v7
	v_fma_f32 v44, v32, v6, -v8
	v_fmac_f32_e32 v45, v33, v6
	scratch_store_dwordx2 off, v[44:45], off offset:96
	scratch_load_dwordx4 v[6:9], off, off offset:88
	s_mul_i32 s12, s11, 0x108
	s_lshl_b32 s11, s11, 8
	s_add_i32 s10, s5, s11
	v_mov_b32_e32 v113, s10
	s_waitcnt vmcnt(0)
	ds_write_b64 v10, v[8:9]
	scratch_load_dwordx4 v[8:11], off, off offset:104
	scratch_load_dwordx4 v[30:33], off, off
	scratch_load_dwordx4 v[38:41], off, off offset:8
	scratch_load_dwordx4 v[46:49], off, off offset:16
	;; [unrolled: 1-line block ×3, first 2 shown]
	s_waitcnt vmcnt(3)
	v_pk_mul_f32 v[18:19], v[16:17], v[30:31]
	s_nop 0
	v_sub_f32_e32 v18, v18, v19
	v_sub_f32_e32 v8, v8, v18
	ds_read2_b64 v[18:21], v116 offset0:13 offset1:14
	v_mov_b32_e32 v14, v30
	v_mov_b32_e32 v15, v32
	;; [unrolled: 1-line block ×4, first 2 shown]
	s_waitcnt lgkmcnt(0)
	v_mov_b32_e32 v17, v19
	v_mov_b32_e32 v31, v18
	v_pk_mul_f32 v[16:17], v[16:17], v[32:33]
	s_waitcnt vmcnt(2)
	v_mov_b32_e32 v25, v40
	v_pk_fma_f32 v[32:33], v[30:31], v[14:15], v[16:17] neg_lo:[0,0,1] neg_hi:[0,0,1]
	v_pk_fma_f32 v[14:15], v[30:31], v[14:15], v[16:17]
	v_mov_b32_e32 v40, v39
	v_pk_mov_b32 v[14:15], v[32:33], v[14:15] op_sel:[1,0]
	v_mov_b32_e32 v24, v38
	v_pk_add_f32 v[8:9], v[8:9], v[14:15] neg_lo:[0,1] neg_hi:[0,1]
	v_mov_b32_e32 v14, v19
	v_mov_b32_e32 v19, v23
	v_mov_b32_e32 v15, v22
	v_pk_mul_f32 v[16:17], v[18:19], v[40:41]
	s_waitcnt vmcnt(1)
	v_mov_b32_e32 v31, v48
	v_pk_fma_f32 v[18:19], v[14:15], v[24:25], v[16:17] neg_lo:[0,0,1] neg_hi:[0,0,1]
	v_pk_fma_f32 v[14:15], v[14:15], v[24:25], v[16:17]
	v_mov_b32_e32 v48, v47
	v_pk_mov_b32 v[14:15], v[18:19], v[14:15] op_sel:[1,0]
	v_mov_b32_e32 v24, v23
	v_pk_add_f32 v[8:9], v[8:9], v[14:15] neg_lo:[0,1] neg_hi:[0,1]
	ds_read2_b64 v[14:17], v118 offset0:13 offset1:14
	v_mov_b32_e32 v30, v46
	s_waitcnt vmcnt(0)
	v_mov_b32_e32 v32, v51
	v_mov_b32_e32 v33, v53
	;; [unrolled: 1-line block ×3, first 2 shown]
	s_waitcnt lgkmcnt(0)
	v_mov_b32_e32 v23, v15
	v_mov_b32_e32 v25, v14
	v_pk_mul_f32 v[22:23], v[22:23], v[48:49]
	v_mov_b32_e32 v19, v52
	v_pk_fma_f32 v[38:39], v[24:25], v[30:31], v[22:23] neg_lo:[0,0,1] neg_hi:[0,0,1]
	v_pk_fma_f32 v[22:23], v[24:25], v[30:31], v[22:23]
	s_nop 0
	v_pk_mov_b32 v[22:23], v[38:39], v[22:23] op_sel:[1,0]
	ds_read2_b64 v[38:41], v119 offset0:13 offset1:14
	v_pk_add_f32 v[8:9], v[8:9], v[22:23] neg_lo:[0,1] neg_hi:[0,1]
	v_mov_b32_e32 v22, v15
	v_mov_b32_e32 v15, v43
	;; [unrolled: 1-line block ×3, first 2 shown]
	v_pk_mul_f32 v[14:15], v[14:15], v[32:33]
	ds_read2_b64 v[30:33], v120 offset0:13 offset1:14
	v_pk_fma_f32 v[24:25], v[22:23], v[18:19], v[14:15] neg_lo:[0,0,1] neg_hi:[0,0,1]
	v_pk_fma_f32 v[14:15], v[22:23], v[18:19], v[14:15]
	s_nop 0
	v_pk_mov_b32 v[14:15], v[24:25], v[14:15] op_sel:[1,0]
	scratch_load_dwordx4 v[22:25], off, off offset:40
	v_pk_add_f32 v[8:9], v[8:9], v[14:15] neg_lo:[0,1] neg_hi:[0,1]
	v_mul_f32_e32 v14, v43, v52
	v_fmac_f32_e32 v14, v42, v53
	v_sub_f32_e32 v14, v9, v14
	scratch_store_dwordx2 off, v[8:9], off offset:104
	s_waitcnt vmcnt(1) lgkmcnt(1)
	v_mul_f32_e32 v9, v39, v23
	v_mul_f32_e32 v15, v38, v23
	v_fma_f32 v9, v38, v22, -v9
	v_fmac_f32_e32 v15, v39, v22
	v_sub_f32_e32 v8, v8, v9
	v_sub_f32_e32 v9, v14, v15
	v_mul_f32_e32 v14, v29, v25
	v_mul_f32_e32 v15, v28, v25
	v_fma_f32 v14, v28, v24, -v14
	v_fmac_f32_e32 v15, v29, v24
	scratch_load_dwordx4 v[22:25], off, off offset:56
	v_sub_f32_e32 v8, v8, v14
	v_sub_f32_e32 v9, v9, v15
	s_waitcnt vmcnt(0) lgkmcnt(0)
	v_mul_f32_e32 v14, v31, v23
	v_mul_f32_e32 v15, v30, v23
	v_fma_f32 v14, v30, v22, -v14
	v_fmac_f32_e32 v15, v31, v22
	v_sub_f32_e32 v8, v8, v14
	v_sub_f32_e32 v9, v9, v15
	v_mul_f32_e32 v14, v37, v25
	v_mul_f32_e32 v15, v36, v25
	v_fma_f32 v14, v36, v24, -v14
	v_fmac_f32_e32 v15, v37, v24
	scratch_load_dwordx4 v[22:25], off, off offset:72
	ds_read2_b64 v[36:39], v111 offset0:13 offset1:14
	v_sub_f32_e32 v8, v8, v14
	v_sub_f32_e32 v9, v9, v15
	s_waitcnt vmcnt(0) lgkmcnt(0)
	v_mul_f32_e32 v14, v37, v23
	v_mul_f32_e32 v15, v36, v23
	v_fma_f32 v14, v36, v22, -v14
	v_fmac_f32_e32 v15, v37, v22
	v_sub_f32_e32 v8, v8, v14
	v_sub_f32_e32 v9, v9, v15
	v_mul_f32_e32 v14, v27, v25
	v_mul_f32_e32 v15, v26, v25
	v_fma_f32 v14, v26, v24, -v14
	v_fmac_f32_e32 v15, v27, v24
	ds_read2_b64 v[24:27], v112 offset0:13 offset1:14
	v_sub_f32_e32 v8, v8, v14
	v_sub_f32_e32 v9, v9, v15
	s_waitcnt lgkmcnt(0)
	v_mul_f32_e32 v14, v25, v7
	v_fma_f32 v14, v24, v6, -v14
	v_mul_f32_e32 v7, v24, v7
	v_fmac_f32_e32 v7, v25, v6
	v_sub_f32_e32 v6, v8, v14
	v_mul_f32_e32 v8, v35, v45
	v_fma_f32 v8, v34, v44, -v8
	v_sub_f32_e32 v7, v9, v7
	v_mul_f32_e32 v9, v34, v45
	v_sub_f32_e32 v6, v6, v8
	v_mov_b32_e32 v8, s12
	v_fmac_f32_e32 v9, v35, v44
	ds_read2_b64 v[34:37], v8 offset1:1
	v_sub_f32_e32 v7, v7, v9
	s_waitcnt lgkmcnt(0)
	v_mul_f32_e32 v8, v35, v7
	v_mul_f32_e32 v15, v34, v7
	v_fma_f32 v14, v34, v6, -v8
	v_fmac_f32_e32 v15, v35, v6
	scratch_store_dwordx2 off, v[14:15], off offset:104
	scratch_load_dwordx4 v[28:31], off, off offset:96
	v_add_u32_e32 v6, s11, v1
	s_or_b32 s11, s7, 14
	s_mul_i32 s12, s11, 0x108
	s_lshl_b32 s11, s11, 8
	s_add_i32 s10, s5, s11
	v_mov_b32_e32 v129, s10
	s_waitcnt vmcnt(0)
	ds_write_b64 v6, v[30:31]
	ds_read_b128 v[6:9], v122 offset:112
	scratch_load_dwordx4 v[22:25], off, off
	scratch_load_dwordx4 v[42:45], off, off offset:8
	scratch_load_dwordx4 v[46:49], off, off offset:16
	;; [unrolled: 1-line block ×4, first 2 shown]
	s_waitcnt vmcnt(4)
	v_mov_b32_e32 v18, v22
	v_mov_b32_e32 v19, v24
	;; [unrolled: 1-line block ×3, first 2 shown]
	s_waitcnt lgkmcnt(0)
	v_pk_mul_f32 v[22:23], v[6:7], v[22:23]
	s_waitcnt vmcnt(3)
	v_mov_b32_e32 v31, v44
	v_sub_f32_e32 v22, v22, v23
	v_sub_f32_e32 v10, v10, v22
	v_mov_b32_e32 v22, v7
	v_mov_b32_e32 v7, v21
	v_mov_b32_e32 v23, v20
	v_pk_mul_f32 v[6:7], v[6:7], v[24:25]
	v_mov_b32_e32 v44, v43
	v_pk_fma_f32 v[24:25], v[22:23], v[18:19], v[6:7] neg_lo:[0,0,1] neg_hi:[0,0,1]
	v_pk_fma_f32 v[6:7], v[22:23], v[18:19], v[6:7]
	v_mov_b32_e32 v18, v21
	v_pk_mov_b32 v[6:7], v[24:25], v[6:7] op_sel:[1,0]
	ds_read_b128 v[22:25], v123 offset:112
	v_mov_b32_e32 v30, v42
	v_pk_add_f32 v[6:7], v[10:11], v[6:7] neg_lo:[0,1] neg_hi:[0,1]
	s_waitcnt vmcnt(2)
	v_mov_b32_e32 v11, v48
	v_mov_b32_e32 v48, v47
	s_waitcnt lgkmcnt(0)
	v_mov_b32_e32 v21, v23
	v_mov_b32_e32 v19, v22
	v_pk_mul_f32 v[20:21], v[20:21], v[44:45]
	v_mov_b32_e32 v10, v46
	v_pk_fma_f32 v[34:35], v[18:19], v[30:31], v[20:21] neg_lo:[0,0,1] neg_hi:[0,0,1]
	v_pk_fma_f32 v[18:19], v[18:19], v[30:31], v[20:21]
	v_mov_b32_e32 v20, v23
	v_mov_b32_e32 v23, v17
	;; [unrolled: 1-line block ×3, first 2 shown]
	v_pk_mul_f32 v[22:23], v[22:23], v[48:49]
	v_pk_mov_b32 v[18:19], v[34:35], v[18:19] op_sel:[1,0]
	v_pk_fma_f32 v[30:31], v[20:21], v[10:11], v[22:23] neg_lo:[0,0,1] neg_hi:[0,0,1]
	v_pk_fma_f32 v[10:11], v[20:21], v[10:11], v[22:23]
	ds_read_b128 v[20:23], v124 offset:112
	v_pk_add_f32 v[6:7], v[6:7], v[18:19] neg_lo:[0,1] neg_hi:[0,1]
	s_waitcnt vmcnt(1)
	v_mov_b32_e32 v19, v52
	v_mov_b32_e32 v52, v51
	v_pk_mov_b32 v[10:11], v[30:31], v[10:11] op_sel:[1,0]
	v_mov_b32_e32 v30, v17
	s_waitcnt lgkmcnt(0)
	v_mov_b32_e32 v17, v21
	v_mov_b32_e32 v18, v50
	;; [unrolled: 1-line block ×3, first 2 shown]
	v_pk_mul_f32 v[16:17], v[16:17], v[52:53]
	v_pk_add_f32 v[6:7], v[6:7], v[10:11] neg_lo:[0,1] neg_hi:[0,1]
	v_pk_fma_f32 v[42:43], v[30:31], v[18:19], v[16:17] neg_lo:[0,0,1] neg_hi:[0,0,1]
	v_pk_fma_f32 v[16:17], v[30:31], v[18:19], v[16:17]
	s_waitcnt vmcnt(0)
	v_mov_b32_e32 v34, v55
	v_pk_mov_b32 v[16:17], v[42:43], v[16:17] op_sel:[1,0]
	v_mov_b32_e32 v35, v57
	v_pk_add_f32 v[6:7], v[6:7], v[16:17] neg_lo:[0,1] neg_hi:[0,1]
	v_mov_b32_e32 v16, v21
	v_mov_b32_e32 v21, v41
	;; [unrolled: 1-line block ×5, first 2 shown]
	v_pk_mul_f32 v[18:19], v[20:21], v[34:35]
	s_nop 0
	v_pk_fma_f32 v[20:21], v[16:17], v[10:11], v[18:19] neg_lo:[0,0,1] neg_hi:[0,0,1]
	v_pk_fma_f32 v[10:11], v[16:17], v[10:11], v[18:19]
	scratch_load_dwordx4 v[16:19], off, off offset:48
	v_pk_mov_b32 v[10:11], v[20:21], v[10:11] op_sel:[1,0]
	s_nop 0
	v_pk_add_f32 v[6:7], v[6:7], v[10:11] neg_lo:[0,1] neg_hi:[0,1]
	v_mul_f32_e32 v10, v41, v56
	v_fmac_f32_e32 v10, v40, v57
	ds_read_b128 v[40:43], v126 offset:112
	v_sub_f32_e32 v10, v7, v10
	scratch_store_dwordx2 off, v[6:7], off offset:112
	s_waitcnt vmcnt(1) lgkmcnt(0)
	v_mul_f32_e32 v7, v41, v17
	v_mul_f32_e32 v11, v40, v17
	v_fma_f32 v7, v40, v16, -v7
	v_fmac_f32_e32 v11, v41, v16
	v_sub_f32_e32 v6, v6, v7
	v_sub_f32_e32 v7, v10, v11
	v_mul_f32_e32 v10, v33, v19
	v_mul_f32_e32 v11, v32, v19
	v_fma_f32 v10, v32, v18, -v10
	v_fmac_f32_e32 v11, v33, v18
	scratch_load_dwordx4 v[16:19], off, off offset:64
	ds_read_b128 v[32:35], v125 offset:112
	v_sub_f32_e32 v6, v6, v10
	v_sub_f32_e32 v7, v7, v11
	s_waitcnt vmcnt(0) lgkmcnt(0)
	v_mul_f32_e32 v10, v33, v17
	v_mul_f32_e32 v11, v32, v17
	v_fma_f32 v10, v32, v16, -v10
	v_fmac_f32_e32 v11, v33, v16
	v_sub_f32_e32 v6, v6, v10
	v_sub_f32_e32 v7, v7, v11
	v_mul_f32_e32 v10, v39, v19
	v_mul_f32_e32 v11, v38, v19
	v_fma_f32 v10, v38, v18, -v10
	v_fmac_f32_e32 v11, v39, v18
	scratch_load_dwordx4 v[16:19], off, off offset:80
	ds_read_b128 v[38:41], v127 offset:112
	ds_read_b128 v[30:33], v128 offset:112
	v_sub_f32_e32 v6, v6, v10
	v_sub_f32_e32 v7, v7, v11
	s_waitcnt vmcnt(0) lgkmcnt(1)
	v_mul_f32_e32 v10, v39, v17
	v_fma_f32 v10, v38, v16, -v10
	v_mul_f32_e32 v11, v38, v17
	v_sub_f32_e32 v6, v6, v10
	v_mul_f32_e32 v10, v27, v19
	v_fmac_f32_e32 v11, v39, v16
	v_fma_f32 v10, v26, v18, -v10
	v_sub_f32_e32 v7, v7, v11
	v_mul_f32_e32 v11, v26, v19
	v_sub_f32_e32 v6, v6, v10
	s_waitcnt lgkmcnt(0)
	v_mul_f32_e32 v10, v31, v29
	v_fmac_f32_e32 v11, v27, v18
	v_fma_f32 v10, v30, v28, -v10
	v_sub_f32_e32 v7, v7, v11
	v_mul_f32_e32 v11, v30, v29
	v_sub_f32_e32 v6, v6, v10
	v_mul_f32_e32 v10, v37, v15
	v_fmac_f32_e32 v11, v31, v28
	v_fma_f32 v10, v36, v14, -v10
	v_sub_f32_e32 v7, v7, v11
	v_mul_f32_e32 v11, v36, v15
	v_sub_f32_e32 v10, v6, v10
	v_mov_b32_e32 v6, s12
	v_fmac_f32_e32 v11, v37, v14
	ds_read_b128 v[36:39], v6
	v_sub_f32_e32 v7, v7, v11
	v_mov_b32_e32 v30, v9
	s_waitcnt lgkmcnt(0)
	v_mul_f32_e32 v6, v37, v7
	v_mul_f32_e32 v7, v36, v7
	v_fma_f32 v6, v36, v10, -v6
	v_fmac_f32_e32 v7, v37, v10
	scratch_store_dwordx2 off, v[6:7], off offset:112
	scratch_load_dwordx4 v[44:47], off, off offset:104
	v_add_u32_e32 v10, s11, v1
	s_or_b32 s11, s7, 15
	s_mul_i32 s12, s11, 0x108
	s_lshl_b32 s11, s11, 8
	s_add_i32 s10, s5, s11
	v_mov_b32_e32 v114, s10
	s_waitcnt vmcnt(0)
	ds_write_b64 v10, v[46:47]
	scratch_load_dwordx4 v[14:17], off, off offset:120
	scratch_load_dwordx4 v[26:29], off, off
	scratch_load_dwordx4 v[46:49], off, off offset:8
	scratch_load_dwordx4 v[50:53], off, off offset:16
	;; [unrolled: 1-line block ×4, first 2 shown]
	s_waitcnt vmcnt(4)
	v_pk_mul_f32 v[18:19], v[8:9], v[26:27]
	s_nop 0
	v_sub_f32_e32 v18, v18, v19
	v_sub_f32_e32 v14, v14, v18
	ds_read2_b64 v[18:21], v116 offset0:15 offset1:16
	v_mov_b32_e32 v11, v28
	v_mov_b32_e32 v28, v27
	v_mov_b32_e32 v10, v26
	s_waitcnt vmcnt(3)
	v_mov_b32_e32 v27, v48
	s_waitcnt lgkmcnt(0)
	v_mov_b32_e32 v9, v19
	v_mov_b32_e32 v31, v18
	v_pk_mul_f32 v[8:9], v[8:9], v[28:29]
	v_mov_b32_e32 v48, v47
	v_pk_fma_f32 v[28:29], v[30:31], v[10:11], v[8:9] neg_lo:[0,0,1] neg_hi:[0,0,1]
	v_pk_fma_f32 v[8:9], v[30:31], v[10:11], v[8:9]
	v_mov_b32_e32 v26, v46
	v_pk_mov_b32 v[8:9], v[28:29], v[8:9] op_sel:[1,0]
	v_mov_b32_e32 v28, v19
	v_pk_add_f32 v[14:15], v[14:15], v[8:9] neg_lo:[0,1] neg_hi:[0,1]
	scratch_load_dwordx4 v[8:11], off, off offset:40
	v_mov_b32_e32 v19, v25
	v_mov_b32_e32 v29, v24
	v_pk_mul_f32 v[18:19], v[18:19], v[48:49]
	s_waitcnt vmcnt(3)
	v_mov_b32_e32 v37, v52
	v_pk_fma_f32 v[30:31], v[28:29], v[26:27], v[18:19] neg_lo:[0,0,1] neg_hi:[0,0,1]
	v_pk_fma_f32 v[18:19], v[28:29], v[26:27], v[18:19]
	v_mov_b32_e32 v52, v51
	v_pk_mov_b32 v[18:19], v[30:31], v[18:19] op_sel:[1,0]
	ds_read2_b64 v[28:31], v118 offset0:15 offset1:16
	v_mov_b32_e32 v26, v25
	v_mov_b32_e32 v36, v50
	v_pk_add_f32 v[14:15], v[14:15], v[18:19] neg_lo:[0,1] neg_hi:[0,1]
	s_waitcnt vmcnt(2)
	v_mov_b32_e32 v19, v56
	s_waitcnt lgkmcnt(0)
	v_mov_b32_e32 v25, v29
	v_mov_b32_e32 v27, v28
	v_pk_mul_f32 v[24:25], v[24:25], v[52:53]
	v_mov_b32_e32 v56, v55
	v_pk_fma_f32 v[46:47], v[26:27], v[36:37], v[24:25] neg_lo:[0,0,1] neg_hi:[0,0,1]
	v_pk_fma_f32 v[24:25], v[26:27], v[36:37], v[24:25]
	v_mov_b32_e32 v26, v29
	v_mov_b32_e32 v29, v23
	;; [unrolled: 1-line block ×4, first 2 shown]
	v_pk_mul_f32 v[28:29], v[28:29], v[56:57]
	v_pk_mov_b32 v[24:25], v[46:47], v[24:25] op_sel:[1,0]
	v_pk_fma_f32 v[36:37], v[26:27], v[18:19], v[28:29] neg_lo:[0,0,1] neg_hi:[0,0,1]
	v_pk_fma_f32 v[18:19], v[26:27], v[18:19], v[28:29]
	ds_read2_b64 v[26:29], v119 offset0:15 offset1:16
	v_pk_add_f32 v[14:15], v[14:15], v[24:25] neg_lo:[0,1] neg_hi:[0,1]
	s_waitcnt vmcnt(1)
	v_mov_b32_e32 v25, v60
	v_mov_b32_e32 v60, v59
	v_pk_mov_b32 v[18:19], v[36:37], v[18:19] op_sel:[1,0]
	v_mov_b32_e32 v36, v23
	s_waitcnt lgkmcnt(0)
	v_mov_b32_e32 v23, v27
	v_mov_b32_e32 v24, v58
	;; [unrolled: 1-line block ×3, first 2 shown]
	v_pk_mul_f32 v[22:23], v[22:23], v[60:61]
	v_pk_add_f32 v[14:15], v[14:15], v[18:19] neg_lo:[0,1] neg_hi:[0,1]
	v_pk_fma_f32 v[46:47], v[36:37], v[24:25], v[22:23] neg_lo:[0,0,1] neg_hi:[0,0,1]
	v_pk_fma_f32 v[22:23], v[36:37], v[24:25], v[22:23]
	s_waitcnt vmcnt(0)
	v_mov_b32_e32 v18, v8
	v_pk_mov_b32 v[22:23], v[46:47], v[22:23] op_sel:[1,0]
	v_mov_b32_e32 v8, v9
	v_mov_b32_e32 v9, v11
	v_pk_add_f32 v[14:15], v[14:15], v[22:23] neg_lo:[0,1] neg_hi:[0,1]
	v_mov_b32_e32 v22, v27
	v_mov_b32_e32 v27, v43
	;; [unrolled: 1-line block ×4, first 2 shown]
	v_pk_mul_f32 v[8:9], v[26:27], v[8:9]
	ds_read2_b64 v[46:49], v120 offset0:15 offset1:16
	v_pk_fma_f32 v[24:25], v[22:23], v[18:19], v[8:9] neg_lo:[0,0,1] neg_hi:[0,0,1]
	v_pk_fma_f32 v[8:9], v[22:23], v[18:19], v[8:9]
	s_nop 0
	v_pk_mov_b32 v[8:9], v[24:25], v[8:9] op_sel:[1,0]
	s_nop 0
	v_pk_add_f32 v[14:15], v[14:15], v[8:9] neg_lo:[0,1] neg_hi:[0,1]
	v_mul_f32_e32 v8, v43, v10
	v_fmac_f32_e32 v8, v42, v11
	v_sub_f32_e32 v18, v15, v8
	scratch_load_dwordx4 v[8:11], off, off offset:56
	s_nop 0
	scratch_store_dwordx2 off, v[14:15], off offset:120
	s_waitcnt vmcnt(1) lgkmcnt(0)
	v_mul_f32_e32 v15, v47, v9
	v_fma_f32 v15, v46, v8, -v15
	v_mul_f32_e32 v9, v46, v9
	v_fmac_f32_e32 v9, v47, v8
	v_sub_f32_e32 v8, v14, v15
	v_mul_f32_e32 v14, v35, v11
	v_mul_f32_e32 v11, v34, v11
	v_sub_f32_e32 v9, v18, v9
	v_fma_f32 v14, v34, v10, -v14
	v_fmac_f32_e32 v11, v35, v10
	v_sub_f32_e32 v14, v8, v14
	v_sub_f32_e32 v15, v9, v11
	scratch_load_dwordx4 v[8:11], off, off offset:72
	ds_read2_b64 v[34:37], v111 offset0:15 offset1:16
	s_waitcnt vmcnt(0) lgkmcnt(0)
	v_mul_f32_e32 v18, v35, v9
	v_fma_f32 v18, v34, v8, -v18
	v_mul_f32_e32 v9, v34, v9
	v_fmac_f32_e32 v9, v35, v8
	v_sub_f32_e32 v8, v14, v18
	v_mul_f32_e32 v14, v41, v11
	v_mul_f32_e32 v11, v40, v11
	v_sub_f32_e32 v9, v15, v9
	v_fma_f32 v14, v40, v10, -v14
	v_fmac_f32_e32 v11, v41, v10
	v_sub_f32_e32 v14, v8, v14
	v_sub_f32_e32 v15, v9, v11
	scratch_load_dwordx4 v[8:11], off, off offset:88
	ds_read2_b64 v[40:43], v112 offset0:15 offset1:16
	s_waitcnt vmcnt(0) lgkmcnt(0)
	v_mul_f32_e32 v18, v41, v9
	v_fma_f32 v18, v40, v8, -v18
	v_mul_f32_e32 v9, v40, v9
	v_fmac_f32_e32 v9, v41, v8
	v_sub_f32_e32 v8, v14, v18
	v_mul_f32_e32 v14, v33, v11
	v_mul_f32_e32 v11, v32, v11
	v_fma_f32 v14, v32, v10, -v14
	v_fmac_f32_e32 v11, v33, v10
	ds_read2_b64 v[32:35], v113 offset0:15 offset1:16
	v_sub_f32_e32 v8, v8, v14
	v_sub_f32_e32 v9, v15, v9
	;; [unrolled: 1-line block ×3, first 2 shown]
	scratch_load_dword v15, off, off offset:4
	s_waitcnt lgkmcnt(0)
	v_mul_f32_e32 v10, v33, v45
	v_fma_f32 v10, v32, v44, -v10
	v_sub_f32_e32 v8, v8, v10
	v_mul_f32_e32 v10, v39, v7
	v_fma_f32 v10, v38, v6, -v10
	v_mul_f32_e32 v7, v38, v7
	v_fmac_f32_e32 v7, v39, v6
	v_sub_f32_e32 v6, v8, v10
	v_mov_b32_e32 v8, s12
	ds_read2_b64 v[38:41], v8 offset1:1
	v_mul_f32_e32 v11, v32, v45
	v_fmac_f32_e32 v11, v33, v44
	v_sub_f32_e32 v9, v9, v11
	v_sub_f32_e32 v7, v9, v7
	s_waitcnt lgkmcnt(0)
	v_mul_f32_e32 v8, v39, v7
	v_mul_f32_e32 v19, v38, v7
	v_fma_f32 v18, v38, v6, -v8
	v_fmac_f32_e32 v19, v39, v6
	scratch_store_dwordx2 off, v[18:19], off offset:120
	scratch_load_dwordx4 v[6:9], off, off offset:112
	v_add_u32_e32 v10, s11, v1
	v_mov_b32_e32 v33, v20
	s_or_b32 s11, s7, 16
	s_mul_i32 s12, s11, 0x108
	s_lshl_b32 s11, s11, 8
	s_add_i32 s10, s5, s11
	v_mov_b32_e32 v130, s10
	s_waitcnt vmcnt(2)
	v_mov_b32_e32 v27, v15
	s_waitcnt vmcnt(0)
	ds_write_b64 v10, v[8:9]
	ds_read_b128 v[8:11], v122 offset:128
	scratch_load_dwordx4 v[22:25], off, off offset:8
	scratch_load_dwordx4 v[44:47], off, off
	scratch_load_dwordx4 v[50:53], off, off offset:16
	scratch_load_dwordx4 v[54:57], off, off offset:24
	;; [unrolled: 1-line block ×4, first 2 shown]
	s_waitcnt lgkmcnt(0)
	v_mov_b32_e32 v32, v9
	s_waitcnt vmcnt(5)
	v_mov_b32_e32 v14, v23
	s_waitcnt vmcnt(4)
	v_mov_b32_e32 v45, v46
	v_mov_b32_e32 v26, v44
	v_pk_mul_f32 v[32:33], v[32:33], v[44:45]
	scratch_load_dwordx4 v[44:47], off, off offset:32
	v_pk_mul_f32 v[26:27], v[8:9], v[26:27]
	s_nop 0
	v_sub_f32_e32 v26, v26, v27
	v_sub_f32_e32 v16, v16, v26
	v_mov_b32_e32 v26, v22
	v_mov_b32_e32 v27, v24
	;; [unrolled: 1-line block ×5, first 2 shown]
	v_pk_fma_f32 v[8:9], v[22:23], v[24:25], v[32:33] op_sel:[0,0,1] op_sel_hi:[1,1,0] neg_lo:[1,0,0] neg_hi:[1,0,0]
	v_pk_fma_f32 v[14:15], v[22:23], v[14:15], v[32:33] op_sel:[0,0,1] op_sel_hi:[1,1,0]
	v_mov_b32_e32 v32, v21
	v_mov_b32_e32 v9, v15
	v_pk_add_f32 v[8:9], v[16:17], v[8:9] neg_lo:[0,1] neg_hi:[0,1]
	ds_read_b128 v[14:17], v123 offset:128
	s_waitcnt vmcnt(4)
	v_mov_b32_e32 v23, v52
	v_mov_b32_e32 v52, v51
	;; [unrolled: 1-line block ×3, first 2 shown]
	s_waitcnt lgkmcnt(0)
	v_mov_b32_e32 v21, v15
	v_mov_b32_e32 v33, v14
	v_pk_mul_f32 v[20:21], v[20:21], v[24:25]
	s_nop 0
	v_pk_fma_f32 v[24:25], v[32:33], v[26:27], v[20:21] neg_lo:[0,0,1] neg_hi:[0,0,1]
	v_pk_fma_f32 v[20:21], v[32:33], v[26:27], v[20:21]
	s_nop 0
	v_pk_mov_b32 v[20:21], v[24:25], v[20:21] op_sel:[1,0]
	v_mov_b32_e32 v24, v15
	v_mov_b32_e32 v15, v31
	;; [unrolled: 1-line block ×3, first 2 shown]
	v_pk_mul_f32 v[14:15], v[14:15], v[52:53]
	v_pk_add_f32 v[8:9], v[8:9], v[20:21] neg_lo:[0,1] neg_hi:[0,1]
	v_pk_fma_f32 v[26:27], v[24:25], v[22:23], v[14:15] neg_lo:[0,0,1] neg_hi:[0,0,1]
	v_pk_fma_f32 v[14:15], v[24:25], v[22:23], v[14:15]
	s_waitcnt vmcnt(3)
	v_mov_b32_e32 v21, v56
	v_pk_mov_b32 v[14:15], v[26:27], v[14:15] op_sel:[1,0]
	ds_read_b128 v[24:27], v124 offset:128
	v_mov_b32_e32 v56, v55
	v_mov_b32_e32 v22, v31
	;; [unrolled: 1-line block ×3, first 2 shown]
	v_pk_add_f32 v[8:9], v[8:9], v[14:15] neg_lo:[0,1] neg_hi:[0,1]
	s_waitcnt lgkmcnt(0)
	v_mov_b32_e32 v31, v25
	v_mov_b32_e32 v23, v24
	v_pk_mul_f32 v[30:31], v[30:31], v[56:57]
	s_waitcnt vmcnt(0)
	v_mov_b32_e32 v15, v46
	v_mov_b32_e32 v46, v45
	v_pk_fma_f32 v[32:33], v[22:23], v[20:21], v[30:31] neg_lo:[0,0,1] neg_hi:[0,0,1]
	v_pk_fma_f32 v[20:21], v[22:23], v[20:21], v[30:31]
	v_mov_b32_e32 v22, v25
	v_mov_b32_e32 v25, v29
	;; [unrolled: 1-line block ×4, first 2 shown]
	v_pk_mul_f32 v[24:25], v[24:25], v[46:47]
	v_pk_mov_b32 v[20:21], v[32:33], v[20:21] op_sel:[1,0]
	v_pk_fma_f32 v[30:31], v[22:23], v[14:15], v[24:25] neg_lo:[0,0,1] neg_hi:[0,0,1]
	v_pk_fma_f32 v[14:15], v[22:23], v[14:15], v[24:25]
	ds_read_b128 v[22:25], v126 offset:128
	v_pk_add_f32 v[8:9], v[8:9], v[20:21] neg_lo:[0,1] neg_hi:[0,1]
	v_mov_b32_e32 v21, v60
	v_mov_b32_e32 v60, v59
	v_pk_mov_b32 v[14:15], v[30:31], v[14:15] op_sel:[1,0]
	v_mov_b32_e32 v30, v29
	s_waitcnt lgkmcnt(0)
	v_mov_b32_e32 v29, v23
	v_mov_b32_e32 v20, v58
	;; [unrolled: 1-line block ×3, first 2 shown]
	v_pk_mul_f32 v[28:29], v[28:29], v[60:61]
	v_pk_add_f32 v[8:9], v[8:9], v[14:15] neg_lo:[0,1] neg_hi:[0,1]
	v_pk_fma_f32 v[38:39], v[30:31], v[20:21], v[28:29] neg_lo:[0,0,1] neg_hi:[0,0,1]
	v_pk_fma_f32 v[20:21], v[30:31], v[20:21], v[28:29]
	v_mov_b32_e32 v32, v63
	v_pk_mov_b32 v[20:21], v[38:39], v[20:21] op_sel:[1,0]
	v_mov_b32_e32 v33, v65
	v_pk_add_f32 v[8:9], v[8:9], v[20:21] neg_lo:[0,1] neg_hi:[0,1]
	v_mov_b32_e32 v20, v23
	v_mov_b32_e32 v23, v49
	;; [unrolled: 1-line block ×5, first 2 shown]
	v_pk_mul_f32 v[22:23], v[22:23], v[32:33]
	ds_read_b128 v[30:33], v127 offset:128
	v_pk_fma_f32 v[28:29], v[20:21], v[14:15], v[22:23] neg_lo:[0,0,1] neg_hi:[0,0,1]
	v_pk_fma_f32 v[14:15], v[20:21], v[14:15], v[22:23]
	scratch_load_dwordx4 v[20:23], off, off offset:64
	v_pk_mov_b32 v[14:15], v[28:29], v[14:15] op_sel:[1,0]
	s_nop 0
	v_pk_add_f32 v[8:9], v[8:9], v[14:15] neg_lo:[0,1] neg_hi:[0,1]
	v_mul_f32_e32 v14, v49, v64
	v_fmac_f32_e32 v14, v48, v65
	ds_read_b128 v[46:49], v125 offset:128
	v_sub_f32_e32 v14, v9, v14
	scratch_store_dwordx2 off, v[8:9], off offset:128
	s_waitcnt vmcnt(1) lgkmcnt(0)
	v_mul_f32_e32 v9, v47, v21
	v_mul_f32_e32 v15, v46, v21
	v_fma_f32 v9, v46, v20, -v9
	v_fmac_f32_e32 v15, v47, v20
	v_sub_f32_e32 v8, v8, v9
	v_sub_f32_e32 v9, v14, v15
	v_mul_f32_e32 v14, v37, v23
	v_mul_f32_e32 v15, v36, v23
	v_fma_f32 v14, v36, v22, -v14
	v_fmac_f32_e32 v15, v37, v22
	scratch_load_dwordx4 v[20:23], off, off offset:80
	v_sub_f32_e32 v8, v8, v14
	v_sub_f32_e32 v9, v9, v15
	ds_read_b128 v[36:39], v128 offset:128
	s_waitcnt vmcnt(0)
	v_mul_f32_e32 v14, v31, v21
	v_mul_f32_e32 v15, v30, v21
	v_fma_f32 v14, v30, v20, -v14
	v_fmac_f32_e32 v15, v31, v20
	v_sub_f32_e32 v8, v8, v14
	v_sub_f32_e32 v9, v9, v15
	v_mul_f32_e32 v14, v43, v23
	v_mul_f32_e32 v15, v42, v23
	v_fma_f32 v14, v42, v22, -v14
	v_fmac_f32_e32 v15, v43, v22
	scratch_load_dwordx4 v[20:23], off, off offset:96
	ds_read_b128 v[28:31], v129 offset:128
	v_sub_f32_e32 v8, v8, v14
	v_sub_f32_e32 v9, v9, v15
	s_waitcnt vmcnt(0) lgkmcnt(1)
	v_mul_f32_e32 v14, v37, v21
	v_fma_f32 v14, v36, v20, -v14
	v_sub_f32_e32 v8, v8, v14
	v_mul_f32_e32 v14, v35, v23
	v_fma_f32 v14, v34, v22, -v14
	v_sub_f32_e32 v8, v8, v14
	s_waitcnt lgkmcnt(0)
	v_mul_f32_e32 v14, v29, v7
	v_fma_f32 v14, v28, v6, -v14
	v_mul_f32_e32 v7, v28, v7
	v_mul_f32_e32 v15, v36, v21
	v_fmac_f32_e32 v7, v29, v6
	v_sub_f32_e32 v6, v8, v14
	v_mul_f32_e32 v8, v41, v19
	v_fmac_f32_e32 v15, v37, v20
	v_fma_f32 v8, v40, v18, -v8
	v_sub_f32_e32 v9, v9, v15
	v_mul_f32_e32 v15, v34, v23
	v_sub_f32_e32 v6, v6, v8
	v_mov_b32_e32 v8, s12
	v_fmac_f32_e32 v15, v35, v22
	ds_read_b128 v[34:37], v8
	v_sub_f32_e32 v9, v9, v15
	v_sub_f32_e32 v7, v9, v7
	v_mul_f32_e32 v9, v40, v19
	v_fmac_f32_e32 v9, v41, v18
	v_sub_f32_e32 v7, v7, v9
	s_waitcnt lgkmcnt(0)
	v_mul_f32_e32 v8, v35, v7
	v_mul_f32_e32 v51, v34, v7
	v_fma_f32 v50, v34, v6, -v8
	v_fmac_f32_e32 v51, v35, v6
	scratch_store_dwordx2 off, v[50:51], off offset:128
	scratch_load_dwordx4 v[44:47], off, off offset:120
	v_add_u32_e32 v6, s11, v1
	v_mov_b32_e32 v35, v11
	s_or_b32 s11, s7, 17
	s_mul_i32 s12, s11, 0x108
	s_lshl_b32 s11, s11, 8
	s_add_i32 s10, s5, s11
	v_mov_b32_e32 v115, s10
	s_waitcnt vmcnt(0)
	ds_write_b64 v6, v[46:47]
	scratch_load_dwordx4 v[6:9], off, off offset:136
	scratch_load_dwordx4 v[40:43], off, off
	scratch_load_dwordx4 v[52:55], off, off offset:16
	scratch_load_dwordx4 v[56:59], off, off offset:24
	;; [unrolled: 1-line block ×4, first 2 shown]
	s_waitcnt vmcnt(4)
	v_pk_mul_f32 v[20:21], v[10:11], v[40:41]
	s_nop 0
	v_sub_f32_e32 v20, v20, v21
	v_sub_f32_e32 v6, v6, v20
	ds_read2_b64 v[20:23], v116 offset0:17 offset1:18
	v_mov_b32_e32 v15, v40
	v_mov_b32_e32 v18, v43
	;; [unrolled: 1-line block ×4, first 2 shown]
	s_waitcnt lgkmcnt(0)
	v_mov_b32_e32 v40, v21
	v_mov_b32_e32 v14, v42
	;; [unrolled: 1-line block ×3, first 2 shown]
	s_waitcnt vmcnt(3)
	v_mov_b32_e32 v29, v52
	v_mov_b32_e32 v34, v20
	v_pk_mul_f32 v[10:11], v[40:41], v[18:19]
	v_mov_b32_e32 v42, v53
	v_pk_fma_f32 v[18:19], v[20:21], v[28:29], v[10:11] neg_lo:[0,0,1] neg_hi:[0,0,1]
	v_pk_fma_f32 v[10:11], v[34:35], v[14:15], v[10:11]
	v_mov_b32_e32 v14, v21
	v_mov_b32_e32 v19, v11
	v_mov_b32_e32 v15, v16
	v_pk_add_f32 v[6:7], v[6:7], v[18:19] neg_lo:[0,1] neg_hi:[0,1]
	v_pk_mul_f32 v[14:15], v[14:15], v[28:29]
	v_mov_b32_e32 v18, v17
	v_mov_b32_e32 v19, v20
	v_pk_fma_f32 v[20:21], v[18:19], v[42:43], v[14:15] op_sel:[0,0,1] op_sel_hi:[1,1,0] neg_lo:[1,0,0] neg_hi:[1,0,0]
	v_pk_fma_f32 v[14:15], v[18:19], v[42:43], v[14:15] op_sel:[0,0,1] op_sel_hi:[1,1,0]
	scratch_load_dwordx4 v[40:43], off, off offset:48
	v_mov_b32_e32 v21, v15
	v_pk_add_f32 v[6:7], v[6:7], v[20:21] neg_lo:[0,1] neg_hi:[0,1]
	ds_read2_b64 v[18:21], v118 offset0:17 offset1:18
	v_mov_b32_e32 v11, v54
	v_mov_b32_e32 v54, v53
	v_mov_b32_e32 v28, v17
	v_mov_b32_e32 v10, v52
	s_waitcnt lgkmcnt(0)
	v_mov_b32_e32 v17, v19
	v_pk_mul_f32 v[16:17], v[16:17], v[54:55]
	scratch_load_dwordx4 v[52:55], off, off offset:56
	v_mov_b32_e32 v29, v18
	s_waitcnt vmcnt(4)
	v_mov_b32_e32 v15, v58
	v_mov_b32_e32 v58, v57
	v_pk_fma_f32 v[34:35], v[28:29], v[10:11], v[16:17] neg_lo:[0,0,1] neg_hi:[0,0,1]
	v_pk_fma_f32 v[10:11], v[28:29], v[10:11], v[16:17]
	v_mov_b32_e32 v16, v19
	v_mov_b32_e32 v19, v27
	v_mov_b32_e32 v14, v56
	v_mov_b32_e32 v17, v26
	v_pk_mul_f32 v[18:19], v[18:19], v[58:59]
	v_pk_mov_b32 v[10:11], v[34:35], v[10:11] op_sel:[1,0]
	v_pk_fma_f32 v[28:29], v[16:17], v[14:15], v[18:19] neg_lo:[0,0,1] neg_hi:[0,0,1]
	v_pk_fma_f32 v[14:15], v[16:17], v[14:15], v[18:19]
	ds_read2_b64 v[16:19], v119 offset0:17 offset1:18
	v_pk_add_f32 v[6:7], v[6:7], v[10:11] neg_lo:[0,1] neg_hi:[0,1]
	s_waitcnt vmcnt(3)
	v_mov_b32_e32 v11, v62
	v_mov_b32_e32 v62, v61
	v_pk_mov_b32 v[14:15], v[28:29], v[14:15] op_sel:[1,0]
	v_mov_b32_e32 v28, v27
	s_waitcnt lgkmcnt(0)
	v_mov_b32_e32 v27, v17
	v_mov_b32_e32 v10, v60
	;; [unrolled: 1-line block ×3, first 2 shown]
	v_pk_mul_f32 v[26:27], v[26:27], v[62:63]
	v_pk_add_f32 v[6:7], v[6:7], v[14:15] neg_lo:[0,1] neg_hi:[0,1]
	s_waitcnt vmcnt(2)
	v_mov_b32_e32 v15, v66
	v_mov_b32_e32 v66, v65
	v_pk_fma_f32 v[34:35], v[28:29], v[10:11], v[26:27] neg_lo:[0,0,1] neg_hi:[0,0,1]
	v_pk_fma_f32 v[10:11], v[28:29], v[10:11], v[26:27]
	v_mov_b32_e32 v26, v17
	v_mov_b32_e32 v17, v25
	;; [unrolled: 1-line block ×4, first 2 shown]
	v_pk_mul_f32 v[16:17], v[16:17], v[66:67]
	v_pk_mov_b32 v[10:11], v[34:35], v[10:11] op_sel:[1,0]
	v_pk_fma_f32 v[28:29], v[26:27], v[14:15], v[16:17] neg_lo:[0,0,1] neg_hi:[0,0,1]
	v_pk_fma_f32 v[14:15], v[26:27], v[14:15], v[16:17]
	v_pk_add_f32 v[6:7], v[6:7], v[10:11] neg_lo:[0,1] neg_hi:[0,1]
	v_pk_mov_b32 v[14:15], v[28:29], v[14:15] op_sel:[1,0]
	v_mov_b32_e32 v28, v25
	v_pk_add_f32 v[6:7], v[6:7], v[14:15] neg_lo:[0,1] neg_hi:[0,1]
	ds_read2_b64 v[14:17], v120 offset0:17 offset1:18
	s_waitcnt lgkmcnt(0)
	v_mov_b32_e32 v25, v15
	v_mov_b32_e32 v29, v14
	s_waitcnt vmcnt(1)
	v_mov_b32_e32 v11, v42
	v_mov_b32_e32 v42, v41
	;; [unrolled: 1-line block ×3, first 2 shown]
	v_pk_mul_f32 v[24:25], v[24:25], v[42:43]
	s_waitcnt vmcnt(0)
	v_mov_b32_e32 v34, v53
	v_pk_fma_f32 v[40:41], v[28:29], v[10:11], v[24:25] neg_lo:[0,0,1] neg_hi:[0,0,1]
	v_pk_fma_f32 v[10:11], v[28:29], v[10:11], v[24:25]
	v_mov_b32_e32 v35, v55
	v_pk_mov_b32 v[10:11], v[40:41], v[10:11] op_sel:[1,0]
	v_mov_b32_e32 v26, v52
	v_pk_add_f32 v[6:7], v[6:7], v[10:11] neg_lo:[0,1] neg_hi:[0,1]
	v_mov_b32_e32 v10, v15
	v_mov_b32_e32 v15, v49
	;; [unrolled: 1-line block ×4, first 2 shown]
	v_pk_mul_f32 v[14:15], v[14:15], v[34:35]
	ds_read2_b64 v[40:43], v111 offset0:17 offset1:18
	v_pk_fma_f32 v[24:25], v[10:11], v[26:27], v[14:15] neg_lo:[0,0,1] neg_hi:[0,0,1]
	v_pk_fma_f32 v[10:11], v[10:11], v[26:27], v[14:15]
	s_nop 0
	v_pk_mov_b32 v[10:11], v[24:25], v[10:11] op_sel:[1,0]
	scratch_load_dwordx4 v[24:27], off, off offset:72
	v_pk_add_f32 v[6:7], v[6:7], v[10:11] neg_lo:[0,1] neg_hi:[0,1]
	v_mul_f32_e32 v10, v49, v54
	v_fmac_f32_e32 v10, v48, v55
	v_sub_f32_e32 v10, v7, v10
	scratch_store_dwordx2 off, v[6:7], off offset:136
	s_waitcnt vmcnt(1) lgkmcnt(0)
	v_mul_f32_e32 v7, v41, v25
	v_mul_f32_e32 v11, v40, v25
	v_fma_f32 v7, v40, v24, -v7
	v_fmac_f32_e32 v11, v41, v24
	v_sub_f32_e32 v6, v6, v7
	v_sub_f32_e32 v7, v10, v11
	v_mul_f32_e32 v10, v33, v27
	v_mul_f32_e32 v11, v32, v27
	v_fma_f32 v10, v32, v26, -v10
	v_fmac_f32_e32 v11, v33, v26
	scratch_load_dwordx4 v[24:27], off, off offset:88
	ds_read2_b64 v[32:35], v112 offset0:17 offset1:18
	v_sub_f32_e32 v6, v6, v10
	v_sub_f32_e32 v7, v7, v11
	s_waitcnt vmcnt(0) lgkmcnt(0)
	v_mul_f32_e32 v10, v33, v25
	v_mul_f32_e32 v11, v32, v25
	v_fma_f32 v10, v32, v24, -v10
	v_fmac_f32_e32 v11, v33, v24
	v_sub_f32_e32 v6, v6, v10
	v_sub_f32_e32 v7, v7, v11
	v_mul_f32_e32 v10, v39, v27
	v_mul_f32_e32 v11, v38, v27
	v_fma_f32 v10, v38, v26, -v10
	v_fmac_f32_e32 v11, v39, v26
	scratch_load_dwordx4 v[24:27], off, off offset:104
	ds_read2_b64 v[38:41], v113 offset0:17 offset1:18
	v_sub_f32_e32 v6, v6, v10
	v_sub_f32_e32 v7, v7, v11
	s_waitcnt vmcnt(0) lgkmcnt(0)
	v_mul_f32_e32 v10, v39, v25
	v_mul_f32_e32 v11, v38, v25
	v_fma_f32 v10, v38, v24, -v10
	v_fmac_f32_e32 v11, v39, v24
	v_sub_f32_e32 v6, v6, v10
	v_sub_f32_e32 v7, v7, v11
	v_mul_f32_e32 v10, v31, v27
	v_mul_f32_e32 v11, v30, v27
	v_fma_f32 v10, v30, v26, -v10
	v_fmac_f32_e32 v11, v31, v26
	ds_read2_b64 v[26:29], v114 offset0:17 offset1:18
	v_sub_f32_e32 v6, v6, v10
	v_sub_f32_e32 v7, v7, v11
	s_waitcnt lgkmcnt(0)
	v_mul_f32_e32 v10, v27, v45
	v_fma_f32 v10, v26, v44, -v10
	v_sub_f32_e32 v6, v6, v10
	v_mul_f32_e32 v10, v37, v51
	v_fma_f32 v10, v36, v50, -v10
	v_sub_f32_e32 v6, v6, v10
	v_mov_b32_e32 v10, s12
	ds_read2_b64 v[30:33], v10 offset1:1
	v_mul_f32_e32 v11, v26, v45
	v_fmac_f32_e32 v11, v27, v44
	v_sub_f32_e32 v7, v7, v11
	v_mul_f32_e32 v11, v36, v51
	v_fmac_f32_e32 v11, v37, v50
	v_sub_f32_e32 v7, v7, v11
	s_waitcnt lgkmcnt(0)
	v_mul_f32_e32 v10, v31, v7
	v_mul_f32_e32 v11, v30, v7
	v_fma_f32 v10, v30, v6, -v10
	v_fmac_f32_e32 v11, v31, v6
	scratch_store_dwordx2 off, v[10:11], off offset:136
	scratch_load_dwordx4 v[36:39], off, off offset:128
	v_add_u32_e32 v6, s11, v1
	s_or_b32 s11, s7, 18
	s_mul_i32 s12, s11, 0x108
	s_lshl_b32 s11, s11, 8
	s_add_i32 s10, s5, s11
	v_mov_b32_e32 v131, s10
	s_waitcnt vmcnt(0)
	ds_write_b64 v6, v[38:39]
	scratch_load_dwordx4 v[44:47], off, off
	scratch_load_dword v14, off, off offset:20
	ds_read_b128 v[24:27], v122 offset:144
	scratch_load_dwordx4 v[48:51], off, off offset:24
	scratch_load_dwordx4 v[52:55], off, off offset:16
	v_mov_b32_e32 v38, v23
	scratch_load_dwordx4 v[56:59], off, off offset:32
	s_waitcnt vmcnt(1)
	v_mov_b32_e32 v55, v22
	s_waitcnt lgkmcnt(0)
	v_mov_b32_e32 v39, v24
	v_mov_b32_e32 v7, v25
	v_mul_f32_e32 v6, v25, v45
	v_fma_f32 v6, v24, v44, -v6
	v_mov_b32_e32 v31, v44
	v_mov_b32_e32 v44, v47
	v_sub_f32_e32 v8, v8, v6
	v_mov_b32_e32 v6, v22
	v_mov_b32_e32 v30, v46
	v_pk_mul_f32 v[24:25], v[38:39], v[44:45]
	v_mov_b32_e32 v53, v46
	v_pk_fma_f32 v[38:39], v[22:23], v[46:47], v[24:25] neg_lo:[0,0,1] neg_hi:[0,0,1]
	v_pk_fma_f32 v[6:7], v[6:7], v[30:31], v[24:25]
	v_mov_b32_e32 v15, v47
	v_mov_b32_e32 v39, v7
	v_pk_add_f32 v[24:25], v[8:9], v[38:39] neg_lo:[0,1] neg_hi:[0,1]
	ds_read_b128 v[6:9], v123 offset:144
	v_mov_b32_e32 v31, v54
	scratch_load_dwordx4 v[44:47], off, off offset:40
	v_mov_b32_e32 v30, v52
	v_mov_b32_e32 v39, v23
	s_waitcnt lgkmcnt(0)
	v_mov_b32_e32 v54, v7
	v_mov_b32_e32 v38, v6
	;; [unrolled: 1-line block ×3, first 2 shown]
	v_pk_mul_f32 v[14:15], v[54:55], v[14:15]
	v_mov_b32_e32 v60, v49
	v_pk_fma_f32 v[22:23], v[6:7], v[30:31], v[14:15] neg_lo:[0,0,1] neg_hi:[0,0,1]
	v_pk_fma_f32 v[14:15], v[38:39], v[52:53], v[14:15]
	scratch_load_dwordx4 v[52:55], off, off offset:48
	v_mov_b32_e32 v23, v15
	v_pk_add_f32 v[14:15], v[24:25], v[22:23] neg_lo:[0,1] neg_hi:[0,1]
	v_mov_b32_e32 v22, v7
	v_mov_b32_e32 v23, v20
	v_pk_mul_f32 v[22:23], v[22:23], v[30:31]
	v_mov_b32_e32 v24, v21
	v_mov_b32_e32 v25, v6
	v_pk_fma_f32 v[6:7], v[24:25], v[60:61], v[22:23] op_sel:[0,0,1] op_sel_hi:[1,1,0] neg_lo:[1,0,0] neg_hi:[1,0,0]
	v_pk_fma_f32 v[22:23], v[24:25], v[60:61], v[22:23] op_sel:[0,0,1] op_sel_hi:[1,1,0]
	scratch_load_dwordx4 v[60:63], off, off offset:56
	v_mov_b32_e32 v7, v23
	ds_read_b128 v[22:25], v124 offset:144
	v_mov_b32_e32 v39, v50
	v_mov_b32_e32 v50, v49
	;; [unrolled: 1-line block ×4, first 2 shown]
	s_waitcnt lgkmcnt(0)
	v_mov_b32_e32 v21, v23
	v_mov_b32_e32 v31, v22
	v_pk_mul_f32 v[20:21], v[20:21], v[50:51]
	v_pk_add_f32 v[6:7], v[14:15], v[6:7] neg_lo:[0,1] neg_hi:[0,1]
	v_pk_fma_f32 v[48:49], v[30:31], v[38:39], v[20:21] neg_lo:[0,0,1] neg_hi:[0,0,1]
	v_pk_fma_f32 v[20:21], v[30:31], v[38:39], v[20:21]
	s_waitcnt vmcnt(3)
	v_mov_b32_e32 v15, v58
	v_pk_mov_b32 v[20:21], v[48:49], v[20:21] op_sel:[1,0]
	scratch_load_dwordx4 v[48:51], off, off offset:64
	v_mov_b32_e32 v58, v57
	v_pk_add_f32 v[6:7], v[6:7], v[20:21] neg_lo:[0,1] neg_hi:[0,1]
	v_mov_b32_e32 v20, v23
	v_mov_b32_e32 v23, v19
	;; [unrolled: 1-line block ×4, first 2 shown]
	v_pk_mul_f32 v[22:23], v[22:23], v[58:59]
	s_waitcnt vmcnt(3)
	v_mov_b32_e32 v31, v46
	v_pk_fma_f32 v[38:39], v[20:21], v[14:15], v[22:23] neg_lo:[0,0,1] neg_hi:[0,0,1]
	v_pk_fma_f32 v[14:15], v[20:21], v[14:15], v[22:23]
	ds_read_b128 v[20:23], v126 offset:144
	v_mov_b32_e32 v46, v45
	v_pk_mov_b32 v[14:15], v[38:39], v[14:15] op_sel:[1,0]
	v_mov_b32_e32 v38, v19
	v_mov_b32_e32 v30, v44
	s_waitcnt lgkmcnt(0)
	v_mov_b32_e32 v19, v21
	v_mov_b32_e32 v39, v20
	v_pk_mul_f32 v[18:19], v[18:19], v[46:47]
	v_pk_add_f32 v[6:7], v[6:7], v[14:15] neg_lo:[0,1] neg_hi:[0,1]
	v_pk_fma_f32 v[44:45], v[38:39], v[30:31], v[18:19] neg_lo:[0,0,1] neg_hi:[0,0,1]
	v_pk_fma_f32 v[18:19], v[38:39], v[30:31], v[18:19]
	s_waitcnt vmcnt(2)
	v_mov_b32_e32 v15, v54
	v_pk_mov_b32 v[18:19], v[44:45], v[18:19] op_sel:[1,0]
	v_mov_b32_e32 v54, v53
	v_pk_add_f32 v[6:7], v[6:7], v[18:19] neg_lo:[0,1] neg_hi:[0,1]
	v_mov_b32_e32 v18, v21
	v_mov_b32_e32 v21, v17
	;; [unrolled: 1-line block ×4, first 2 shown]
	v_pk_mul_f32 v[20:21], v[20:21], v[54:55]
	s_waitcnt vmcnt(1)
	v_mov_b32_e32 v31, v62
	v_pk_fma_f32 v[38:39], v[18:19], v[14:15], v[20:21] neg_lo:[0,0,1] neg_hi:[0,0,1]
	v_pk_fma_f32 v[14:15], v[18:19], v[14:15], v[20:21]
	ds_read_b128 v[18:21], v125 offset:144
	v_mov_b32_e32 v62, v61
	v_pk_mov_b32 v[14:15], v[38:39], v[14:15] op_sel:[1,0]
	v_mov_b32_e32 v38, v17
	v_mov_b32_e32 v30, v60
	s_waitcnt lgkmcnt(0)
	v_mov_b32_e32 v17, v19
	v_mov_b32_e32 v39, v18
	v_pk_mul_f32 v[16:17], v[16:17], v[62:63]
	v_pk_add_f32 v[6:7], v[6:7], v[14:15] neg_lo:[0,1] neg_hi:[0,1]
	v_pk_fma_f32 v[46:47], v[38:39], v[30:31], v[16:17] neg_lo:[0,0,1] neg_hi:[0,0,1]
	v_pk_fma_f32 v[16:17], v[38:39], v[30:31], v[16:17]
	s_waitcnt vmcnt(0)
	v_mov_b32_e32 v44, v49
	v_pk_mov_b32 v[16:17], v[46:47], v[16:17] op_sel:[1,0]
	v_mov_b32_e32 v45, v51
	v_pk_add_f32 v[6:7], v[6:7], v[16:17] neg_lo:[0,1] neg_hi:[0,1]
	v_mov_b32_e32 v16, v19
	v_mov_b32_e32 v19, v43
	;; [unrolled: 1-line block ×5, first 2 shown]
	v_pk_mul_f32 v[18:19], v[18:19], v[44:45]
	ds_read_b128 v[44:47], v127 offset:144
	v_pk_fma_f32 v[30:31], v[16:17], v[14:15], v[18:19] neg_lo:[0,0,1] neg_hi:[0,0,1]
	v_pk_fma_f32 v[14:15], v[16:17], v[14:15], v[18:19]
	s_nop 0
	v_pk_mov_b32 v[14:15], v[30:31], v[14:15] op_sel:[1,0]
	s_nop 0
	v_pk_add_f32 v[6:7], v[6:7], v[14:15] neg_lo:[0,1] neg_hi:[0,1]
	v_mul_f32_e32 v14, v43, v50
	v_fmac_f32_e32 v14, v42, v51
	v_sub_f32_e32 v18, v7, v14
	scratch_load_dwordx4 v[14:17], off, off offset:80
	s_nop 0
	scratch_store_dwordx2 off, v[6:7], off offset:144
	s_waitcnt vmcnt(1) lgkmcnt(0)
	v_mul_f32_e32 v7, v45, v15
	v_mul_f32_e32 v15, v44, v15
	v_fma_f32 v7, v44, v14, -v7
	v_fmac_f32_e32 v15, v45, v14
	v_sub_f32_e32 v6, v6, v7
	v_sub_f32_e32 v7, v18, v15
	v_mul_f32_e32 v14, v35, v17
	v_mul_f32_e32 v15, v34, v17
	v_fma_f32 v14, v34, v16, -v14
	v_fmac_f32_e32 v15, v35, v16
	v_sub_f32_e32 v6, v6, v14
	v_sub_f32_e32 v7, v7, v15
	scratch_load_dwordx4 v[14:17], off, off offset:96
	ds_read_b128 v[42:45], v128 offset:144
	s_waitcnt vmcnt(0) lgkmcnt(0)
	v_mul_f32_e32 v18, v43, v15
	v_mul_f32_e32 v15, v42, v15
	v_fmac_f32_e32 v15, v43, v14
	v_fma_f32 v18, v42, v14, -v18
	v_sub_f32_e32 v7, v7, v15
	v_mul_f32_e32 v14, v41, v17
	v_mul_f32_e32 v15, v40, v17
	v_sub_f32_e32 v6, v6, v18
	v_fma_f32 v14, v40, v16, -v14
	v_fmac_f32_e32 v15, v41, v16
	v_sub_f32_e32 v6, v6, v14
	v_sub_f32_e32 v7, v7, v15
	scratch_load_dwordx4 v[14:17], off, off offset:112
	ds_read_b128 v[38:41], v129 offset:144
	v_mov_b32_e32 v43, v8
	s_waitcnt vmcnt(0) lgkmcnt(0)
	v_mul_f32_e32 v18, v39, v15
	v_mul_f32_e32 v15, v38, v15
	v_fmac_f32_e32 v15, v39, v14
	v_fma_f32 v18, v38, v14, -v18
	v_sub_f32_e32 v7, v7, v15
	v_mul_f32_e32 v14, v29, v17
	v_mul_f32_e32 v15, v28, v17
	v_fma_f32 v14, v28, v16, -v14
	v_fmac_f32_e32 v15, v29, v16
	ds_read_b128 v[28:31], v130 offset:144
	v_sub_f32_e32 v6, v6, v18
	v_sub_f32_e32 v6, v6, v14
	;; [unrolled: 1-line block ×3, first 2 shown]
	v_mov_b32_e32 v39, v9
	s_waitcnt lgkmcnt(0)
	v_mul_f32_e32 v14, v29, v37
	v_fma_f32 v14, v28, v36, -v14
	v_sub_f32_e32 v6, v6, v14
	v_mul_f32_e32 v14, v33, v11
	v_fma_f32 v14, v32, v10, -v14
	v_mul_f32_e32 v11, v32, v11
	v_fmac_f32_e32 v11, v33, v10
	v_sub_f32_e32 v10, v6, v14
	v_mov_b32_e32 v6, s12
	ds_read_b128 v[16:19], v6
	v_mul_f32_e32 v15, v28, v37
	v_fmac_f32_e32 v15, v29, v36
	v_sub_f32_e32 v7, v7, v15
	v_sub_f32_e32 v7, v7, v11
	s_waitcnt lgkmcnt(0)
	v_mul_f32_e32 v6, v17, v7
	v_mul_f32_e32 v7, v16, v7
	v_fma_f32 v6, v16, v10, -v6
	v_fmac_f32_e32 v7, v17, v10
	scratch_store_dwordx2 off, v[6:7], off offset:144
	scratch_load_dwordx4 v[32:35], off, off offset:136
	v_add_u32_e32 v6, s11, v1
	v_mov_b32_e32 v28, v9
	s_or_b32 s11, s7, 19
	s_mul_i32 s12, s11, 0x108
	s_lshl_b32 s11, s11, 8
	s_add_i32 s10, s5, s11
	v_mov_b32_e32 v117, s10
	s_waitcnt vmcnt(0)
	ds_write_b64 v6, v[34:35]
	scratch_load_dwordx4 v[14:17], off, off offset:152
	scratch_load_dwordx4 v[34:37], off, off
	scratch_load_dwordx4 v[48:51], off, off offset:16
	scratch_load_dwordx4 v[56:59], off, off offset:32
	ds_read2_b64 v[52:55], v116 offset0:19 offset1:20
	scratch_load_dwordx4 v[60:63], off, off offset:40
	scratch_load_dwordx4 v[64:67], off, off offset:56
	;; [unrolled: 1-line block ×3, first 2 shown]
	s_waitcnt lgkmcnt(0)
	v_mov_b32_e32 v29, v52
	s_waitcnt vmcnt(5)
	v_mul_f32_e32 v6, v27, v35
	v_fma_f32 v6, v26, v34, -v6
	v_mul_f32_e32 v7, v26, v35
	v_sub_f32_e32 v14, v14, v6
	v_mul_f32_e32 v6, v53, v37
	v_fmac_f32_e32 v7, v27, v34
	v_fma_f32 v6, v52, v36, -v6
	v_mov_b32_e32 v27, v36
	s_waitcnt vmcnt(4)
	v_mov_b32_e32 v36, v49
	v_pk_add_f32 v[6:7], v[14:15], v[6:7] neg_lo:[0,1] neg_hi:[0,1]
	v_mov_b32_e32 v10, v50
	v_mov_b32_e32 v11, v48
	;; [unrolled: 1-line block ×5, first 2 shown]
	v_pk_mul_f32 v[28:29], v[28:29], v[36:37]
	v_mov_b32_e32 v48, v51
	v_pk_fma_f32 v[34:35], v[8:9], v[10:11], v[28:29] op_sel:[0,1,0] op_sel_hi:[1,0,1] neg_lo:[0,0,1] neg_hi:[0,0,1]
	v_pk_fma_f32 v[14:15], v[14:15], v[26:27], v[28:29]
	ds_read2_b64 v[26:29], v118 offset0:19 offset1:20
	v_mov_b32_e32 v35, v15
	v_pk_add_f32 v[6:7], v[6:7], v[34:35] neg_lo:[0,1] neg_hi:[0,1]
	scratch_load_dwordx4 v[34:37], off, off offset:48
	v_mov_b32_e32 v14, v50
	s_waitcnt lgkmcnt(0)
	v_mov_b32_e32 v42, v27
	s_waitcnt vmcnt(4)
	v_mov_b32_e32 v15, v56
	v_mov_b32_e32 v38, v26
	v_pk_mul_f32 v[8:9], v[42:43], v[48:49]
	v_mov_b32_e32 v50, v57
	v_pk_fma_f32 v[42:43], v[26:27], v[14:15], v[8:9] neg_lo:[0,0,1] neg_hi:[0,0,1]
	v_pk_fma_f32 v[8:9], v[38:39], v[10:11], v[8:9]
	v_mov_b32_e32 v11, v58
	v_mov_b32_e32 v43, v9
	;; [unrolled: 1-line block ×4, first 2 shown]
	v_pk_mul_f32 v[8:9], v[8:9], v[14:15]
	v_mov_b32_e32 v14, v25
	v_mov_b32_e32 v15, v26
	v_pk_fma_f32 v[26:27], v[14:15], v[50:51], v[8:9] op_sel:[0,0,1] op_sel_hi:[1,1,0] neg_lo:[1,0,0] neg_hi:[1,0,0]
	v_pk_fma_f32 v[8:9], v[14:15], v[50:51], v[8:9] op_sel:[0,0,1] op_sel_hi:[1,1,0]
	v_pk_add_f32 v[6:7], v[6:7], v[42:43] neg_lo:[0,1] neg_hi:[0,1]
	v_mov_b32_e32 v27, v9
	v_pk_add_f32 v[14:15], v[6:7], v[26:27] neg_lo:[0,1] neg_hi:[0,1]
	ds_read2_b64 v[6:9], v119 offset0:19 offset1:20
	v_mov_b32_e32 v58, v57
	v_mov_b32_e32 v38, v25
	;; [unrolled: 1-line block ×3, first 2 shown]
	s_waitcnt vmcnt(3)
	v_mov_b32_e32 v27, v62
	s_waitcnt lgkmcnt(0)
	v_mov_b32_e32 v25, v7
	v_mov_b32_e32 v39, v6
	v_pk_mul_f32 v[24:25], v[24:25], v[58:59]
	v_mov_b32_e32 v62, v61
	v_pk_fma_f32 v[42:43], v[38:39], v[10:11], v[24:25] neg_lo:[0,0,1] neg_hi:[0,0,1]
	v_pk_fma_f32 v[10:11], v[38:39], v[10:11], v[24:25]
	v_mov_b32_e32 v24, v7
	v_mov_b32_e32 v7, v23
	;; [unrolled: 1-line block ×3, first 2 shown]
	v_pk_mov_b32 v[10:11], v[42:43], v[10:11] op_sel:[1,0]
	v_mov_b32_e32 v25, v22
	v_pk_mul_f32 v[6:7], v[6:7], v[62:63]
	v_pk_add_f32 v[10:11], v[14:15], v[10:11] neg_lo:[0,1] neg_hi:[0,1]
	scratch_load_dwordx4 v[56:59], off, off offset:72
	ds_read2_b64 v[50:53], v111 offset0:19 offset1:20
	s_waitcnt vmcnt(1)
	v_mov_b32_e32 v14, v34
	v_mov_b32_e32 v15, v36
	;; [unrolled: 1-line block ×3, first 2 shown]
	v_pk_fma_f32 v[34:35], v[24:25], v[26:27], v[6:7] neg_lo:[0,0,1] neg_hi:[0,0,1]
	v_pk_fma_f32 v[6:7], v[24:25], v[26:27], v[6:7]
	ds_read2_b64 v[24:27], v120 offset0:19 offset1:20
	v_pk_mov_b32 v[6:7], v[34:35], v[6:7] op_sel:[1,0]
	v_mov_b32_e32 v34, v23
	v_pk_add_f32 v[6:7], v[10:11], v[6:7] neg_lo:[0,1] neg_hi:[0,1]
	v_mov_b32_e32 v11, v66
	s_waitcnt lgkmcnt(0)
	v_mov_b32_e32 v23, v25
	v_mov_b32_e32 v35, v24
	v_pk_mul_f32 v[22:23], v[22:23], v[36:37]
	v_mov_b32_e32 v66, v65
	v_pk_fma_f32 v[36:37], v[34:35], v[14:15], v[22:23] neg_lo:[0,0,1] neg_hi:[0,0,1]
	v_pk_fma_f32 v[14:15], v[34:35], v[14:15], v[22:23]
	v_mov_b32_e32 v22, v25
	v_mov_b32_e32 v25, v21
	;; [unrolled: 1-line block ×3, first 2 shown]
	v_pk_mov_b32 v[14:15], v[36:37], v[14:15] op_sel:[1,0]
	v_mov_b32_e32 v23, v20
	v_pk_mul_f32 v[24:25], v[24:25], v[66:67]
	v_pk_add_f32 v[6:7], v[6:7], v[14:15] neg_lo:[0,1] neg_hi:[0,1]
	v_mov_b32_e32 v15, v70
	v_mov_b32_e32 v70, v69
	v_pk_fma_f32 v[34:35], v[22:23], v[10:11], v[24:25] neg_lo:[0,0,1] neg_hi:[0,0,1]
	v_pk_fma_f32 v[10:11], v[22:23], v[10:11], v[24:25]
	v_mov_b32_e32 v22, v21
	v_mov_b32_e32 v21, v51
	;; [unrolled: 1-line block ×4, first 2 shown]
	v_pk_mul_f32 v[20:21], v[20:21], v[70:71]
	v_pk_mov_b32 v[10:11], v[34:35], v[10:11] op_sel:[1,0]
	v_pk_fma_f32 v[34:35], v[22:23], v[14:15], v[20:21] neg_lo:[0,0,1] neg_hi:[0,0,1]
	v_pk_fma_f32 v[14:15], v[22:23], v[14:15], v[20:21]
	v_pk_add_f32 v[6:7], v[6:7], v[10:11] neg_lo:[0,1] neg_hi:[0,1]
	v_pk_mov_b32 v[14:15], v[34:35], v[14:15] op_sel:[1,0]
	scratch_load_dwordx4 v[34:37], off, off offset:88
	v_pk_add_f32 v[6:7], v[6:7], v[14:15] neg_lo:[0,1] neg_hi:[0,1]
	s_waitcnt vmcnt(1)
	v_mov_b32_e32 v24, v57
	v_mov_b32_e32 v25, v59
	;; [unrolled: 1-line block ×7, first 2 shown]
	v_pk_mul_f32 v[20:21], v[50:51], v[24:25]
	s_nop 0
	v_pk_fma_f32 v[22:23], v[14:15], v[10:11], v[20:21] neg_lo:[0,0,1] neg_hi:[0,0,1]
	v_pk_fma_f32 v[10:11], v[14:15], v[10:11], v[20:21]
	s_nop 0
	v_pk_mov_b32 v[10:11], v[22:23], v[10:11] op_sel:[1,0]
	ds_read2_b64 v[20:23], v112 offset0:19 offset1:20
	v_pk_add_f32 v[6:7], v[6:7], v[10:11] neg_lo:[0,1] neg_hi:[0,1]
	v_mul_f32_e32 v10, v47, v58
	v_fmac_f32_e32 v10, v46, v59
	v_sub_f32_e32 v10, v7, v10
	scratch_store_dwordx2 off, v[6:7], off offset:152
	ds_read2_b64 v[56:59], v115 offset0:19 offset1:20
	s_waitcnt vmcnt(1) lgkmcnt(1)
	v_mul_f32_e32 v7, v21, v35
	v_mul_f32_e32 v11, v20, v35
	v_fma_f32 v7, v20, v34, -v7
	v_fmac_f32_e32 v11, v21, v34
	v_sub_f32_e32 v6, v6, v7
	v_sub_f32_e32 v7, v10, v11
	v_mul_f32_e32 v10, v45, v37
	v_mul_f32_e32 v11, v44, v37
	v_fma_f32 v10, v44, v36, -v10
	v_fmac_f32_e32 v11, v45, v36
	scratch_load_dwordx4 v[34:37], off, off offset:104
	ds_read2_b64 v[42:45], v113 offset0:19 offset1:20
	v_sub_f32_e32 v6, v6, v10
	v_sub_f32_e32 v7, v7, v11
	s_waitcnt vmcnt(0) lgkmcnt(0)
	v_mul_f32_e32 v10, v43, v35
	v_mul_f32_e32 v11, v42, v35
	v_fma_f32 v10, v42, v34, -v10
	v_fmac_f32_e32 v11, v43, v34
	v_sub_f32_e32 v6, v6, v10
	v_sub_f32_e32 v7, v7, v11
	v_mul_f32_e32 v10, v41, v37
	v_mul_f32_e32 v11, v40, v37
	v_fma_f32 v10, v40, v36, -v10
	v_fmac_f32_e32 v11, v41, v36
	scratch_load_dwordx4 v[34:37], off, off offset:120
	ds_read2_b64 v[38:41], v114 offset0:19 offset1:20
	v_sub_f32_e32 v6, v6, v10
	v_sub_f32_e32 v7, v7, v11
	v_mov_b32_e32 v42, v29
	s_waitcnt vmcnt(0) lgkmcnt(0)
	v_mul_f32_e32 v10, v39, v35
	v_mul_f32_e32 v11, v38, v35
	v_fma_f32 v10, v38, v34, -v10
	v_fmac_f32_e32 v11, v39, v34
	v_sub_f32_e32 v6, v6, v10
	v_sub_f32_e32 v7, v7, v11
	v_mul_f32_e32 v10, v31, v37
	v_mul_f32_e32 v11, v30, v37
	v_fma_f32 v10, v30, v36, -v10
	v_fmac_f32_e32 v11, v31, v36
	v_sub_f32_e32 v6, v6, v10
	v_sub_f32_e32 v7, v7, v11
	;; [unrolled: 6-line block ×3, first 2 shown]
	scratch_load_dwordx2 v[6:7], off, off offset:144
	scratch_load_dwordx4 v[30:33], off, off
	ds_read_b128 v[36:39], v122 offset:160
	s_waitcnt vmcnt(1)
	v_mul_f32_e32 v14, v19, v7
	v_mul_f32_e32 v7, v18, v7
	v_fma_f32 v14, v18, v6, -v14
	v_fmac_f32_e32 v7, v19, v6
	v_mov_b32_e32 v6, s12
	ds_read2_b64 v[18:21], v6 offset1:1
	v_sub_f32_e32 v7, v11, v7
	v_sub_f32_e32 v10, v10, v14
	s_waitcnt vmcnt(0)
	v_mul_f32_e32 v11, v54, v33
	v_fmac_f32_e32 v11, v55, v32
	s_waitcnt lgkmcnt(0)
	v_mul_f32_e32 v6, v19, v7
	v_mul_f32_e32 v7, v18, v7
	v_fma_f32 v6, v18, v10, -v6
	v_fmac_f32_e32 v7, v19, v10
	scratch_store_dwordx2 off, v[6:7], off offset:152
	scratch_load_dwordx4 v[46:49], off, off offset:144
	v_add_u32_e32 v6, s11, v1
	v_mul_f32_e32 v7, v36, v31
	v_fmac_f32_e32 v7, v37, v30
	s_or_b32 s11, s7, 20
	s_mul_i32 s12, s11, 0x108
	s_lshl_b32 s11, s11, 8
	s_add_i32 s10, s5, s11
	v_mov_b32_e32 v132, s10
	s_waitcnt vmcnt(0)
	ds_write_b64 v6, v[48:49]
	v_mul_f32_e32 v6, v37, v31
	v_fma_f32 v6, v36, v30, -v6
	v_sub_f32_e32 v16, v16, v6
	v_mul_f32_e32 v6, v55, v33
	v_fma_f32 v6, v54, v32, -v6
	scratch_load_dwordx4 v[30:33], off, off offset:16
	scratch_load_dword v24, off, off offset:36
	v_pk_add_f32 v[6:7], v[16:17], v[6:7] neg_lo:[0,1] neg_hi:[0,1]
	ds_read_b128 v[16:19], v123 offset:160
	scratch_load_dwordx4 v[34:37], off, off offset:40
	scratch_load_dwordx4 v[54:57], off, off offset:32
	ds_read_b128 v[48:51], v124 offset:160
	scratch_load_dwordx4 v[60:63], off, off offset:48
	scratch_load_dwordx4 v[64:67], off, off offset:72
	s_waitcnt lgkmcnt(1)
	v_mov_b32_e32 v43, v16
	s_waitcnt vmcnt(5)
	v_mul_f32_e32 v10, v17, v31
	v_fma_f32 v10, v16, v30, -v10
	v_mov_b32_e32 v15, v30
	v_mov_b32_e32 v30, v33
	v_pk_add_f32 v[6:7], v[6:7], v[10:11] neg_lo:[0,1] neg_hi:[0,1]
	v_mov_b32_e32 v10, v28
	v_mov_b32_e32 v11, v17
	;; [unrolled: 1-line block ×3, first 2 shown]
	v_pk_mul_f32 v[16:17], v[42:43], v[30:31]
	v_mov_b32_e32 v25, v33
	v_pk_fma_f32 v[30:31], v[28:29], v[32:33], v[16:17] neg_lo:[0,0,1] neg_hi:[0,0,1]
	v_pk_fma_f32 v[10:11], v[10:11], v[14:15], v[16:17]
	scratch_load_dwordx4 v[14:17], off, off offset:56
	v_mov_b32_e32 v31, v11
	s_waitcnt lgkmcnt(0)
	v_mov_b32_e32 v42, v49
	v_mov_b32_e32 v43, v28
	s_waitcnt vmcnt(3)
	v_mov_b32_e32 v55, v32
	v_pk_add_f32 v[6:7], v[6:7], v[30:31] neg_lo:[0,1] neg_hi:[0,1]
	v_mov_b32_e32 v10, v54
	v_mov_b32_e32 v11, v56
	;; [unrolled: 1-line block ×5, first 2 shown]
	v_pk_mul_f32 v[24:25], v[42:43], v[24:25]
	v_mov_b32_e32 v32, v35
	v_pk_fma_f32 v[28:29], v[48:49], v[10:11], v[24:25] neg_lo:[0,0,1] neg_hi:[0,0,1]
	v_pk_fma_f32 v[24:25], v[30:31], v[54:55], v[24:25]
	scratch_load_dwordx4 v[54:57], off, off offset:64
	v_mov_b32_e32 v29, v25
	v_pk_add_f32 v[6:7], v[6:7], v[28:29] neg_lo:[0,1] neg_hi:[0,1]
	v_mov_b32_e32 v28, v49
	v_mov_b32_e32 v29, v8
	v_pk_mul_f32 v[10:11], v[28:29], v[10:11]
	v_mov_b32_e32 v28, v9
	v_mov_b32_e32 v29, v48
	v_pk_fma_f32 v[30:31], v[28:29], v[32:33], v[10:11] op_sel:[0,0,1] op_sel_hi:[1,1,0] neg_lo:[1,0,0] neg_hi:[1,0,0]
	v_pk_fma_f32 v[10:11], v[28:29], v[32:33], v[10:11] op_sel:[0,0,1] op_sel_hi:[1,1,0]
	v_mov_b32_e32 v25, v36
	v_mov_b32_e32 v31, v11
	v_pk_add_f32 v[6:7], v[6:7], v[30:31] neg_lo:[0,1] neg_hi:[0,1]
	ds_read_b128 v[30:33], v126 offset:160
	v_mov_b32_e32 v36, v35
	v_mov_b32_e32 v24, v34
	s_waitcnt vmcnt(3)
	v_mov_b32_e32 v11, v62
	v_mov_b32_e32 v62, v61
	s_waitcnt lgkmcnt(0)
	v_mov_b32_e32 v9, v31
	v_mov_b32_e32 v29, v30
	v_pk_mul_f32 v[8:9], v[8:9], v[36:37]
	v_mov_b32_e32 v10, v60
	v_pk_fma_f32 v[34:35], v[28:29], v[24:25], v[8:9] neg_lo:[0,0,1] neg_hi:[0,0,1]
	v_pk_fma_f32 v[8:9], v[28:29], v[24:25], v[8:9]
	s_waitcnt vmcnt(1)
	v_mov_b32_e32 v28, v14
	v_pk_mov_b32 v[8:9], v[34:35], v[8:9] op_sel:[1,0]
	v_mov_b32_e32 v34, v31
	v_pk_add_f32 v[24:25], v[6:7], v[8:9] neg_lo:[0,1] neg_hi:[0,1]
	scratch_load_dwordx4 v[6:9], off, off offset:80
	v_mov_b32_e32 v31, v27
	v_mov_b32_e32 v29, v16
	;; [unrolled: 1-line block ×4, first 2 shown]
	v_pk_mul_f32 v[14:15], v[30:31], v[62:63]
	s_nop 0
	v_pk_fma_f32 v[30:31], v[34:35], v[10:11], v[14:15] neg_lo:[0,0,1] neg_hi:[0,0,1]
	v_pk_fma_f32 v[10:11], v[34:35], v[10:11], v[14:15]
	ds_read_b128 v[34:37], v125 offset:160
	v_pk_mov_b32 v[10:11], v[30:31], v[10:11] op_sel:[1,0]
	s_waitcnt vmcnt(1)
	v_mov_b32_e32 v15, v56
	v_pk_add_f32 v[10:11], v[24:25], v[10:11] neg_lo:[0,1] neg_hi:[0,1]
	v_mov_b32_e32 v24, v27
	s_waitcnt lgkmcnt(0)
	v_mov_b32_e32 v27, v35
	v_mov_b32_e32 v25, v34
	v_pk_mul_f32 v[16:17], v[26:27], v[16:17]
	v_mov_b32_e32 v56, v55
	v_pk_fma_f32 v[26:27], v[24:25], v[28:29], v[16:17] neg_lo:[0,0,1] neg_hi:[0,0,1]
	v_pk_fma_f32 v[16:17], v[24:25], v[28:29], v[16:17]
	v_mov_b32_e32 v24, v35
	v_mov_b32_e32 v35, v53
	;; [unrolled: 1-line block ×3, first 2 shown]
	v_pk_mov_b32 v[16:17], v[26:27], v[16:17] op_sel:[1,0]
	v_mov_b32_e32 v25, v52
	v_pk_mul_f32 v[26:27], v[34:35], v[56:57]
	v_pk_add_f32 v[10:11], v[10:11], v[16:17] neg_lo:[0,1] neg_hi:[0,1]
	v_pk_fma_f32 v[28:29], v[24:25], v[14:15], v[26:27] neg_lo:[0,0,1] neg_hi:[0,0,1]
	v_pk_fma_f32 v[14:15], v[24:25], v[14:15], v[26:27]
	ds_read_b128 v[24:27], v127 offset:160
	v_mov_b32_e32 v17, v66
	v_mov_b32_e32 v66, v65
	v_pk_mov_b32 v[14:15], v[28:29], v[14:15] op_sel:[1,0]
	v_mov_b32_e32 v28, v53
	s_waitcnt lgkmcnt(0)
	v_mov_b32_e32 v53, v25
	v_mov_b32_e32 v16, v64
	;; [unrolled: 1-line block ×3, first 2 shown]
	v_pk_mul_f32 v[30:31], v[52:53], v[66:67]
	v_pk_add_f32 v[10:11], v[10:11], v[14:15] neg_lo:[0,1] neg_hi:[0,1]
	v_pk_fma_f32 v[34:35], v[28:29], v[16:17], v[30:31] neg_lo:[0,0,1] neg_hi:[0,0,1]
	v_pk_fma_f32 v[16:17], v[28:29], v[16:17], v[30:31]
	ds_read_b128 v[28:31], v128 offset:160
	v_pk_mov_b32 v[16:17], v[34:35], v[16:17] op_sel:[1,0]
	s_waitcnt vmcnt(0)
	v_mov_b32_e32 v14, v6
	v_mov_b32_e32 v6, v7
	;; [unrolled: 1-line block ×3, first 2 shown]
	v_pk_add_f32 v[10:11], v[10:11], v[16:17] neg_lo:[0,1] neg_hi:[0,1]
	v_mov_b32_e32 v16, v25
	v_mov_b32_e32 v25, v23
	;; [unrolled: 1-line block ×4, first 2 shown]
	v_pk_mul_f32 v[6:7], v[24:25], v[6:7]
	s_nop 0
	v_pk_fma_f32 v[24:25], v[16:17], v[14:15], v[6:7] neg_lo:[0,0,1] neg_hi:[0,0,1]
	v_pk_fma_f32 v[6:7], v[16:17], v[14:15], v[6:7]
	s_nop 0
	v_pk_mov_b32 v[6:7], v[24:25], v[6:7] op_sel:[1,0]
	s_nop 0
	v_pk_add_f32 v[10:11], v[10:11], v[6:7] neg_lo:[0,1] neg_hi:[0,1]
	v_mul_f32_e32 v6, v23, v8
	v_fmac_f32_e32 v6, v22, v9
	v_sub_f32_e32 v14, v11, v6
	scratch_load_dwordx4 v[6:9], off, off offset:96
	ds_read_b128 v[22:25], v129 offset:160
	scratch_store_dwordx2 off, v[10:11], off offset:160
	s_waitcnt vmcnt(1) lgkmcnt(1)
	v_mul_f32_e32 v11, v29, v7
	v_fma_f32 v11, v28, v6, -v11
	v_mul_f32_e32 v7, v28, v7
	v_fmac_f32_e32 v7, v29, v6
	v_sub_f32_e32 v6, v10, v11
	v_mul_f32_e32 v10, v45, v9
	v_mul_f32_e32 v9, v44, v9
	v_sub_f32_e32 v7, v14, v7
	v_fma_f32 v10, v44, v8, -v10
	v_fmac_f32_e32 v9, v45, v8
	v_sub_f32_e32 v10, v6, v10
	v_sub_f32_e32 v11, v7, v9
	scratch_load_dwordx4 v[6:9], off, off offset:112
	v_mov_b32_e32 v28, v51
	s_waitcnt vmcnt(0) lgkmcnt(0)
	v_mul_f32_e32 v14, v23, v7
	v_fma_f32 v14, v22, v6, -v14
	v_mul_f32_e32 v7, v22, v7
	v_fmac_f32_e32 v7, v23, v6
	v_sub_f32_e32 v6, v10, v14
	scratch_load_dwordx4 v[14:17], off, off offset:128
	v_mul_f32_e32 v10, v41, v9
	v_mul_f32_e32 v9, v40, v9
	v_sub_f32_e32 v7, v11, v7
	v_fma_f32 v10, v40, v8, -v10
	v_fmac_f32_e32 v9, v41, v8
	v_sub_f32_e32 v6, v6, v10
	v_sub_f32_e32 v7, v7, v9
	ds_read_b128 v[8:11], v130 offset:160
	s_waitcnt vmcnt(0) lgkmcnt(0)
	v_mul_f32_e32 v22, v9, v15
	v_fma_f32 v22, v8, v14, -v22
	v_mul_f32_e32 v8, v8, v15
	v_fmac_f32_e32 v8, v9, v14
	v_sub_f32_e32 v7, v7, v8
	v_mul_f32_e32 v8, v59, v17
	v_mul_f32_e32 v9, v58, v17
	v_sub_f32_e32 v6, v6, v22
	v_fma_f32 v8, v58, v16, -v8
	v_fmac_f32_e32 v9, v59, v16
	v_sub_f32_e32 v14, v6, v8
	v_sub_f32_e32 v15, v7, v9
	ds_read_b128 v[6:9], v131 offset:160
	s_waitcnt lgkmcnt(0)
	v_mul_f32_e32 v16, v7, v47
	v_fma_f32 v16, v6, v46, -v16
	v_mul_f32_e32 v6, v6, v47
	v_fmac_f32_e32 v6, v7, v46
	v_sub_f32_e32 v15, v15, v6
	scratch_load_dwordx2 v[6:7], off, off offset:152
	v_sub_f32_e32 v14, v14, v16
	s_waitcnt vmcnt(0)
	v_mul_f32_e32 v16, v21, v7
	v_mul_f32_e32 v7, v20, v7
	v_fma_f32 v16, v20, v6, -v16
	v_fmac_f32_e32 v7, v21, v6
	v_mov_b32_e32 v6, s12
	ds_read_b128 v[20:23], v6
	v_sub_f32_e32 v7, v15, v7
	v_sub_f32_e32 v14, v14, v16
	s_waitcnt lgkmcnt(0)
	v_mul_f32_e32 v6, v21, v7
	v_mul_f32_e32 v7, v20, v7
	v_fma_f32 v6, v20, v14, -v6
	v_fmac_f32_e32 v7, v21, v14
	scratch_store_dwordx2 off, v[6:7], off offset:160
	scratch_load_dwordx4 v[44:47], off, off offset:152
	v_add_u32_e32 v6, s11, v1
	s_or_b32 s11, s7, 21
	s_mul_i32 s12, s11, 0x108
	s_lshl_b32 s11, s11, 8
	s_add_i32 s10, s5, s11
	v_mov_b32_e32 v121, s10
	s_waitcnt vmcnt(0)
	ds_write_b64 v6, v[46:47]
	scratch_load_dwordx4 v[14:17], off, off offset:168
	scratch_load_dwordx4 v[40:43], off, off
	scratch_load_dwordx4 v[52:55], off, off offset:16
	scratch_load_dwordx4 v[56:59], off, off offset:32
	;; [unrolled: 1-line block ×4, first 2 shown]
	ds_read2_b64 v[46:49], v116 offset0:21 offset1:22
	scratch_load_dwordx4 v[68:71], off, off offset:72
	s_waitcnt vmcnt(5)
	v_mul_f32_e32 v6, v39, v41
	v_mul_f32_e32 v7, v38, v41
	v_fma_f32 v6, v38, v40, -v6
	v_fmac_f32_e32 v7, v39, v40
	v_sub_f32_e32 v6, v14, v6
	v_sub_f32_e32 v7, v15, v7
	s_waitcnt lgkmcnt(0)
	v_mul_f32_e32 v14, v47, v43
	v_mul_f32_e32 v15, v46, v43
	v_fma_f32 v14, v46, v42, -v14
	v_fmac_f32_e32 v15, v47, v42
	ds_read2_b64 v[40:43], v118 offset0:21 offset1:22
	v_sub_f32_e32 v6, v6, v14
	s_waitcnt vmcnt(4)
	v_mul_f32_e32 v14, v19, v53
	v_fma_f32 v14, v18, v52, -v14
	v_mul_f32_e32 v21, v18, v53
	v_pk_add_f32 v[6:7], v[6:7], v[14:15] neg_lo:[0,1] neg_hi:[0,1]
	s_waitcnt lgkmcnt(0)
	v_mul_f32_e32 v14, v41, v55
	v_fmac_f32_e32 v21, v19, v52
	v_fma_f32 v20, v40, v54, -v14
	v_pk_add_f32 v[6:7], v[6:7], v[20:21] neg_lo:[0,1] neg_hi:[0,1]
	v_mov_b32_e32 v21, v54
	v_mov_b32_e32 v29, v40
	s_waitcnt vmcnt(3)
	v_mov_b32_e32 v54, v57
	v_mov_b32_e32 v14, v58
	;; [unrolled: 1-line block ×6, first 2 shown]
	v_pk_mul_f32 v[28:29], v[28:29], v[54:55]
	v_mov_b32_e32 v56, v59
	v_pk_fma_f32 v[34:35], v[50:51], v[14:15], v[28:29] op_sel:[0,1,0] op_sel_hi:[1,0,1] neg_lo:[0,0,1] neg_hi:[0,0,1]
	v_pk_fma_f32 v[18:19], v[18:19], v[20:21], v[28:29]
	v_mov_b32_e32 v39, v50
	v_mov_b32_e32 v35, v19
	ds_read2_b64 v[18:21], v119 offset0:21 offset1:22
	v_pk_add_f32 v[6:7], v[6:7], v[34:35] neg_lo:[0,1] neg_hi:[0,1]
	v_mov_b32_e32 v28, v58
	s_waitcnt vmcnt(2)
	v_mov_b32_e32 v29, v60
	v_mov_b32_e32 v35, v51
	s_waitcnt lgkmcnt(0)
	v_mov_b32_e32 v38, v19
	v_mov_b32_e32 v34, v18
	scratch_load_dwordx4 v[52:55], off, off offset:64
	v_pk_mul_f32 v[38:39], v[38:39], v[56:57]
	v_mov_b32_e32 v58, v61
	v_pk_fma_f32 v[40:41], v[18:19], v[28:29], v[38:39] neg_lo:[0,0,1] neg_hi:[0,0,1]
	v_pk_fma_f32 v[14:15], v[34:35], v[14:15], v[38:39]
	v_mov_b32_e32 v34, v19
	v_mov_b32_e32 v41, v15
	v_pk_add_f32 v[6:7], v[6:7], v[40:41] neg_lo:[0,1] neg_hi:[0,1]
	v_mov_b32_e32 v35, v32
	ds_read2_b64 v[38:41], v120 offset0:21 offset1:22
	v_pk_mul_f32 v[28:29], v[34:35], v[28:29]
	v_mov_b32_e32 v34, v33
	v_mov_b32_e32 v35, v18
	v_pk_fma_f32 v[18:19], v[34:35], v[58:59], v[28:29] op_sel:[0,0,1] op_sel_hi:[1,1,0] neg_lo:[1,0,0] neg_hi:[1,0,0]
	v_pk_fma_f32 v[28:29], v[34:35], v[58:59], v[28:29] op_sel:[0,0,1] op_sel_hi:[1,1,0]
	scratch_load_dwordx4 v[56:59], off, off offset:80
	v_mov_b32_e32 v15, v62
	v_mov_b32_e32 v62, v61
	;; [unrolled: 1-line block ×3, first 2 shown]
	s_waitcnt lgkmcnt(0)
	v_mov_b32_e32 v33, v39
	v_mov_b32_e32 v14, v60
	v_pk_mul_f32 v[32:33], v[32:33], v[62:63]
	scratch_load_dwordx4 v[60:63], off, off offset:88
	v_mov_b32_e32 v19, v29
	v_mov_b32_e32 v29, v38
	v_pk_add_f32 v[6:7], v[6:7], v[18:19] neg_lo:[0,1] neg_hi:[0,1]
	s_waitcnt vmcnt(4)
	v_mov_b32_e32 v19, v66
	v_mov_b32_e32 v66, v65
	v_pk_fma_f32 v[34:35], v[28:29], v[14:15], v[32:33] neg_lo:[0,0,1] neg_hi:[0,0,1]
	v_pk_fma_f32 v[14:15], v[28:29], v[14:15], v[32:33]
	v_mov_b32_e32 v28, v39
	v_mov_b32_e32 v39, v37
	;; [unrolled: 1-line block ×4, first 2 shown]
	v_pk_mul_f32 v[32:33], v[38:39], v[66:67]
	v_pk_mov_b32 v[14:15], v[34:35], v[14:15] op_sel:[1,0]
	v_pk_fma_f32 v[34:35], v[28:29], v[18:19], v[32:33] neg_lo:[0,0,1] neg_hi:[0,0,1]
	v_pk_fma_f32 v[18:19], v[28:29], v[18:19], v[32:33]
	v_pk_add_f32 v[6:7], v[6:7], v[14:15] neg_lo:[0,1] neg_hi:[0,1]
	v_pk_mov_b32 v[18:19], v[34:35], v[18:19] op_sel:[1,0]
	ds_read2_b64 v[32:35], v111 offset0:21 offset1:22
	v_mov_b32_e32 v28, v37
	v_pk_add_f32 v[6:7], v[6:7], v[18:19] neg_lo:[0,1] neg_hi:[0,1]
	s_waitcnt vmcnt(3)
	v_mov_b32_e32 v19, v70
	v_mov_b32_e32 v70, v69
	s_waitcnt lgkmcnt(0)
	v_mov_b32_e32 v37, v33
	v_mov_b32_e32 v29, v32
	;; [unrolled: 1-line block ×3, first 2 shown]
	s_waitcnt vmcnt(2)
	v_mov_b32_e32 v14, v52
	v_mov_b32_e32 v15, v54
	;; [unrolled: 1-line block ×3, first 2 shown]
	ds_read2_b64 v[50:53], v112 offset0:21 offset1:22
	v_pk_mul_f32 v[36:37], v[36:37], v[54:55]
	s_nop 0
	v_pk_fma_f32 v[38:39], v[28:29], v[14:15], v[36:37] neg_lo:[0,0,1] neg_hi:[0,0,1]
	v_pk_fma_f32 v[14:15], v[28:29], v[14:15], v[36:37]
	v_mov_b32_e32 v28, v33
	v_mov_b32_e32 v33, v27
	v_pk_mov_b32 v[14:15], v[38:39], v[14:15] op_sel:[1,0]
	v_mov_b32_e32 v29, v26
	v_pk_mul_f32 v[32:33], v[32:33], v[70:71]
	v_pk_add_f32 v[6:7], v[6:7], v[14:15] neg_lo:[0,1] neg_hi:[0,1]
	v_pk_fma_f32 v[36:37], v[28:29], v[18:19], v[32:33] neg_lo:[0,0,1] neg_hi:[0,0,1]
	s_waitcnt vmcnt(1)
	v_mov_b32_e32 v15, v58
	v_mov_b32_e32 v58, v57
	v_pk_fma_f32 v[18:19], v[28:29], v[18:19], v[32:33]
	v_mov_b32_e32 v28, v27
	s_waitcnt lgkmcnt(0)
	v_mov_b32_e32 v27, v51
	v_mov_b32_e32 v14, v56
	;; [unrolled: 1-line block ×3, first 2 shown]
	v_pk_mul_f32 v[26:27], v[26:27], v[58:59]
	v_pk_mov_b32 v[18:19], v[36:37], v[18:19] op_sel:[1,0]
	v_pk_fma_f32 v[36:37], v[28:29], v[14:15], v[26:27] neg_lo:[0,0,1] neg_hi:[0,0,1]
	v_pk_fma_f32 v[14:15], v[28:29], v[14:15], v[26:27]
	v_pk_add_f32 v[6:7], v[6:7], v[18:19] neg_lo:[0,1] neg_hi:[0,1]
	v_pk_mov_b32 v[14:15], v[36:37], v[14:15] op_sel:[1,0]
	s_waitcnt vmcnt(0)
	v_mov_b32_e32 v32, v61
	v_mov_b32_e32 v33, v63
	v_pk_add_f32 v[6:7], v[6:7], v[14:15] neg_lo:[0,1] neg_hi:[0,1]
	v_mov_b32_e32 v14, v51
	v_mov_b32_e32 v51, v31
	;; [unrolled: 1-line block ×5, first 2 shown]
	v_pk_mul_f32 v[26:27], v[50:51], v[32:33]
	ds_read2_b64 v[54:57], v113 offset0:21 offset1:22
	v_pk_fma_f32 v[28:29], v[14:15], v[18:19], v[26:27] neg_lo:[0,0,1] neg_hi:[0,0,1]
	v_pk_fma_f32 v[14:15], v[14:15], v[18:19], v[26:27]
	s_nop 0
	v_pk_mov_b32 v[14:15], v[28:29], v[14:15] op_sel:[1,0]
	scratch_load_dwordx4 v[26:29], off, off offset:104
	v_pk_add_f32 v[6:7], v[6:7], v[14:15] neg_lo:[0,1] neg_hi:[0,1]
	v_mul_f32_e32 v14, v31, v62
	v_fmac_f32_e32 v14, v30, v63
	v_sub_f32_e32 v14, v7, v14
	scratch_store_dwordx2 off, v[6:7], off offset:168
	ds_read2_b64 v[30:33], v114 offset0:21 offset1:22
	s_waitcnt vmcnt(1) lgkmcnt(1)
	v_mul_f32_e32 v7, v55, v27
	v_mul_f32_e32 v15, v54, v27
	v_fma_f32 v7, v54, v26, -v7
	v_fmac_f32_e32 v15, v55, v26
	v_sub_f32_e32 v6, v6, v7
	v_sub_f32_e32 v7, v14, v15
	v_mul_f32_e32 v14, v25, v29
	v_mul_f32_e32 v15, v24, v29
	v_fma_f32 v14, v24, v28, -v14
	v_fmac_f32_e32 v15, v25, v28
	scratch_load_dwordx4 v[24:27], off, off offset:120
	v_sub_f32_e32 v6, v6, v14
	v_sub_f32_e32 v7, v7, v15
	s_waitcnt vmcnt(0) lgkmcnt(0)
	v_mul_f32_e32 v14, v31, v25
	v_fma_f32 v14, v30, v24, -v14
	v_sub_f32_e32 v6, v6, v14
	v_mul_f32_e32 v14, v11, v27
	v_mul_f32_e32 v15, v30, v25
	v_fma_f32 v14, v10, v26, -v14
	v_mul_f32_e32 v10, v10, v27
	v_fmac_f32_e32 v15, v31, v24
	v_fmac_f32_e32 v10, v11, v26
	scratch_load_dwordx4 v[24:27], off, off offset:136
	ds_read2_b64 v[28:31], v115 offset0:21 offset1:22
	v_sub_f32_e32 v7, v7, v15
	v_sub_f32_e32 v7, v7, v10
	;; [unrolled: 1-line block ×3, first 2 shown]
	s_waitcnt vmcnt(0) lgkmcnt(0)
	v_mul_f32_e32 v10, v29, v25
	v_fma_f32 v10, v28, v24, -v10
	v_mul_f32_e32 v11, v28, v25
	v_sub_f32_e32 v6, v6, v10
	v_mul_f32_e32 v10, v9, v27
	v_fmac_f32_e32 v11, v29, v24
	v_fma_f32 v10, v8, v26, -v10
	v_mul_f32_e32 v8, v8, v27
	v_sub_f32_e32 v7, v7, v11
	v_fmac_f32_e32 v8, v9, v26
	v_sub_f32_e32 v10, v6, v10
	v_sub_f32_e32 v11, v7, v8
	ds_read2_b64 v[6:9], v117 offset0:21 offset1:22
	scratch_load_dwordx4 v[26:29], off, off
	s_waitcnt lgkmcnt(0)
	v_mul_f32_e32 v14, v7, v45
	v_fma_f32 v14, v6, v44, -v14
	v_mul_f32_e32 v6, v6, v45
	v_fmac_f32_e32 v6, v7, v44
	v_sub_f32_e32 v11, v11, v6
	scratch_load_dwordx2 v[6:7], off, off offset:160
	v_sub_f32_e32 v10, v10, v14
	s_waitcnt vmcnt(0)
	v_mul_f32_e32 v14, v23, v7
	v_mul_f32_e32 v7, v22, v7
	v_fma_f32 v14, v22, v6, -v14
	v_fmac_f32_e32 v7, v23, v6
	v_mov_b32_e32 v6, s12
	ds_read2_b64 v[44:47], v6 offset1:1
	v_sub_f32_e32 v7, v11, v7
	v_sub_f32_e32 v10, v10, v14
	ds_read_b128 v[22:25], v122 offset:176
	v_mul_f32_e32 v11, v48, v29
	s_waitcnt lgkmcnt(1)
	v_mul_f32_e32 v6, v45, v7
	v_mul_f32_e32 v7, v44, v7
	v_fma_f32 v6, v44, v10, -v6
	v_fmac_f32_e32 v7, v45, v10
	scratch_store_dwordx2 off, v[6:7], off offset:168
	scratch_load_dwordx4 v[58:61], off, off offset:160
	v_add_u32_e32 v6, s11, v1
	s_waitcnt lgkmcnt(0)
	v_mul_f32_e32 v7, v22, v27
	v_fmac_f32_e32 v7, v23, v26
	v_sub_f32_e32 v7, v17, v7
	v_mul_f32_e32 v10, v49, v29
	v_fma_f32 v10, v48, v28, -v10
	v_fmac_f32_e32 v11, v49, v28
	v_sub_f32_e32 v7, v7, v11
	s_or_b32 s11, s7, 22
	s_mul_i32 s12, s11, 0x108
	s_lshl_b32 s11, s11, 8
	s_add_i32 s10, s5, s11
	s_waitcnt vmcnt(0)
	ds_write_b64 v6, v[60:61]
	v_mul_f32_e32 v6, v23, v27
	v_fma_f32 v6, v22, v26, -v6
	v_sub_f32_e32 v6, v16, v6
	scratch_load_dwordx4 v[14:17], off, off offset:16
	ds_read_b128 v[26:29], v123 offset:176
	v_sub_f32_e32 v6, v6, v10
	s_waitcnt vmcnt(0) lgkmcnt(0)
	v_mul_f32_e32 v10, v27, v15
	v_fma_f32 v10, v26, v14, -v10
	v_mul_f32_e32 v11, v26, v15
	v_sub_f32_e32 v6, v6, v10
	v_mul_f32_e32 v10, v43, v17
	v_mul_f32_e32 v19, v42, v17
	v_fmac_f32_e32 v11, v27, v14
	v_fma_f32 v10, v42, v16, -v10
	v_fmac_f32_e32 v19, v43, v16
	scratch_load_dwordx4 v[14:17], off, off offset:32
	scratch_load_dword v22, off, off offset:52
	ds_read_b128 v[36:39], v124 offset:176
	scratch_load_dwordx4 v[42:45], off, off offset:56
	scratch_load_dwordx4 v[48:51], off, off offset:48
	v_pk_add_f32 v[6:7], v[6:7], v[10:11] neg_lo:[0,1] neg_hi:[0,1]
	v_mov_b32_e32 v26, v21
	ds_read_b128 v[60:63], v126 offset:176
	ds_read_b128 v[74:77], v129 offset:176
	s_waitcnt lgkmcnt(2)
	v_mov_b32_e32 v27, v36
	v_mov_b32_e32 v11, v37
	scratch_load_dwordx4 v[68:71], off, off offset:64
	ds_read_b128 v[64:67], v125 offset:176
	ds_read_b128 v[84:87], v131 offset:176
	;; [unrolled: 1-line block ×3, first 2 shown]
	s_waitcnt vmcnt(4)
	v_mul_f32_e32 v10, v37, v15
	v_fma_f32 v18, v36, v14, -v10
	v_pk_add_f32 v[6:7], v[6:7], v[18:19] neg_lo:[0,1] neg_hi:[0,1]
	v_mov_b32_e32 v19, v14
	v_mov_b32_e32 v14, v17
	;; [unrolled: 1-line block ×4, first 2 shown]
	v_pk_mul_f32 v[14:15], v[26:27], v[14:15]
	s_waitcnt vmcnt(1)
	v_mov_b32_e32 v49, v16
	v_mov_b32_e32 v23, v17
	v_pk_fma_f32 v[16:17], v[20:21], v[16:17], v[14:15] neg_lo:[0,0,1] neg_hi:[0,0,1]
	v_pk_fma_f32 v[10:11], v[10:11], v[18:19], v[14:15]
	s_waitcnt lgkmcnt(4)
	v_mov_b32_e32 v36, v61
	v_mov_b32_e32 v17, v11
	v_pk_add_f32 v[6:7], v[6:7], v[16:17] neg_lo:[0,1] neg_hi:[0,1]
	scratch_load_dwordx4 v[14:17], off, off offset:72
	v_mov_b32_e32 v37, v20
	v_mov_b32_e32 v10, v48
	v_mov_b32_e32 v11, v50
	v_mov_b32_e32 v18, v60
	v_mov_b32_e32 v19, v21
	v_pk_mul_f32 v[20:21], v[36:37], v[22:23]
	v_mov_b32_e32 v27, v22
	v_pk_fma_f32 v[22:23], v[60:61], v[10:11], v[20:21] neg_lo:[0,0,1] neg_hi:[0,0,1]
	v_pk_fma_f32 v[18:19], v[18:19], v[48:49], v[20:21]
	v_mov_b32_e32 v26, v43
	v_mov_b32_e32 v23, v19
	;; [unrolled: 1-line block ×4, first 2 shown]
	v_pk_mul_f32 v[10:11], v[18:19], v[10:11]
	scratch_load_dwordx4 v[18:21], off, off offset:80
	v_mov_b32_e32 v36, v41
	v_mov_b32_e32 v37, v60
	scratch_load_dwordx4 v[48:51], off, off offset:88
	v_pk_add_f32 v[6:7], v[6:7], v[22:23] neg_lo:[0,1] neg_hi:[0,1]
	v_mov_b32_e32 v22, v42
	v_mov_b32_e32 v23, v44
	;; [unrolled: 1-line block ×3, first 2 shown]
	v_pk_fma_f32 v[42:43], v[36:37], v[26:27], v[10:11] op_sel:[0,0,1] op_sel_hi:[1,1,0] neg_lo:[1,0,0] neg_hi:[1,0,0]
	v_pk_fma_f32 v[10:11], v[36:37], v[26:27], v[10:11] op_sel:[0,0,1] op_sel_hi:[1,1,0]
	v_mov_b32_e32 v26, v41
	s_waitcnt lgkmcnt(2)
	v_mov_b32_e32 v41, v65
	v_mov_b32_e32 v27, v64
	v_pk_mul_f32 v[36:37], v[40:41], v[44:45]
	v_mov_b32_e32 v43, v11
	v_pk_fma_f32 v[40:41], v[26:27], v[22:23], v[36:37] neg_lo:[0,0,1] neg_hi:[0,0,1]
	v_pk_fma_f32 v[22:23], v[26:27], v[22:23], v[36:37]
	v_pk_add_f32 v[6:7], v[6:7], v[42:43] neg_lo:[0,1] neg_hi:[0,1]
	v_pk_mov_b32 v[22:23], v[40:41], v[22:23] op_sel:[1,0]
	scratch_load_dwordx4 v[40:43], off, off offset:96
	s_waitcnt vmcnt(4)
	v_mov_b32_e32 v11, v70
	v_mov_b32_e32 v70, v69
	;; [unrolled: 1-line block ×4, first 2 shown]
	v_pk_add_f32 v[6:7], v[6:7], v[22:23] neg_lo:[0,1] neg_hi:[0,1]
	v_mov_b32_e32 v10, v68
	v_mov_b32_e32 v27, v34
	s_waitcnt vmcnt(3)
	v_mov_b32_e32 v22, v14
	v_mov_b32_e32 v23, v16
	;; [unrolled: 1-line block ×3, first 2 shown]
	v_pk_mul_f32 v[14:15], v[64:65], v[70:71]
	ds_read_b128 v[70:73], v127 offset:176
	v_pk_fma_f32 v[36:37], v[26:27], v[10:11], v[14:15] neg_lo:[0,0,1] neg_hi:[0,0,1]
	v_pk_fma_f32 v[10:11], v[26:27], v[10:11], v[14:15]
	v_mov_b32_e32 v14, v35
	v_pk_mov_b32 v[10:11], v[36:37], v[10:11] op_sel:[1,0]
	s_waitcnt lgkmcnt(0)
	v_mov_b32_e32 v35, v71
	v_mov_b32_e32 v15, v70
	v_pk_mul_f32 v[16:17], v[34:35], v[16:17]
	v_pk_add_f32 v[6:7], v[6:7], v[10:11] neg_lo:[0,1] neg_hi:[0,1]
	s_waitcnt vmcnt(2)
	v_mov_b32_e32 v10, v18
	v_mov_b32_e32 v11, v20
	v_mov_b32_e32 v20, v19
	v_pk_fma_f32 v[18:19], v[14:15], v[22:23], v[16:17] neg_lo:[0,0,1] neg_hi:[0,0,1]
	v_pk_fma_f32 v[14:15], v[14:15], v[22:23], v[16:17]
	v_mov_b32_e32 v16, v71
	v_mov_b32_e32 v71, v53
	v_pk_mov_b32 v[14:15], v[18:19], v[14:15] op_sel:[1,0]
	v_pk_mul_f32 v[18:19], v[70:71], v[20:21]
	ds_read_b128 v[68:71], v128 offset:176
	v_mov_b32_e32 v17, v52
	v_pk_add_f32 v[6:7], v[6:7], v[14:15] neg_lo:[0,1] neg_hi:[0,1]
	s_waitcnt vmcnt(1)
	v_mov_b32_e32 v15, v50
	v_mov_b32_e32 v50, v49
	v_pk_fma_f32 v[20:21], v[16:17], v[10:11], v[18:19] neg_lo:[0,0,1] neg_hi:[0,0,1]
	v_pk_fma_f32 v[10:11], v[16:17], v[10:11], v[18:19]
	v_mov_b32_e32 v16, v53
	s_waitcnt lgkmcnt(0)
	v_mov_b32_e32 v53, v69
	v_mov_b32_e32 v14, v48
	v_pk_mov_b32 v[10:11], v[20:21], v[10:11] op_sel:[1,0]
	v_mov_b32_e32 v17, v68
	v_pk_mul_f32 v[20:21], v[52:53], v[50:51]
	v_pk_add_f32 v[6:7], v[6:7], v[10:11] neg_lo:[0,1] neg_hi:[0,1]
	v_pk_fma_f32 v[22:23], v[16:17], v[14:15], v[20:21] neg_lo:[0,0,1] neg_hi:[0,0,1]
	v_pk_fma_f32 v[14:15], v[16:17], v[14:15], v[20:21]
	s_waitcnt vmcnt(0)
	v_mov_b32_e32 v18, v41
	v_pk_mov_b32 v[14:15], v[22:23], v[14:15] op_sel:[1,0]
	v_mov_b32_e32 v19, v43
	v_pk_add_f32 v[6:7], v[6:7], v[14:15] neg_lo:[0,1] neg_hi:[0,1]
	v_mov_b32_e32 v14, v69
	v_mov_b32_e32 v69, v57
	;; [unrolled: 1-line block ×5, first 2 shown]
	v_pk_mul_f32 v[16:17], v[68:69], v[18:19]
	scratch_load_dwordx4 v[48:51], off, off
	v_pk_fma_f32 v[18:19], v[14:15], v[10:11], v[16:17] neg_lo:[0,0,1] neg_hi:[0,0,1]
	v_pk_fma_f32 v[10:11], v[14:15], v[10:11], v[16:17]
	scratch_load_dwordx4 v[14:17], off, off offset:112
	v_pk_mov_b32 v[10:11], v[18:19], v[10:11] op_sel:[1,0]
	v_mov_b32_e32 v20, v62
	v_pk_add_f32 v[6:7], v[6:7], v[10:11] neg_lo:[0,1] neg_hi:[0,1]
	v_mul_f32_e32 v10, v57, v42
	v_fmac_f32_e32 v10, v56, v43
	v_sub_f32_e32 v7, v7, v10
	s_waitcnt vmcnt(0)
	v_mul_f32_e32 v10, v75, v15
	v_mul_f32_e32 v11, v74, v15
	v_fma_f32 v10, v74, v14, -v10
	v_fmac_f32_e32 v11, v75, v14
	v_sub_f32_e32 v6, v6, v10
	v_sub_f32_e32 v7, v7, v11
	v_mul_f32_e32 v10, v33, v17
	v_mul_f32_e32 v11, v32, v17
	v_fma_f32 v10, v32, v16, -v10
	v_fmac_f32_e32 v11, v33, v16
	scratch_load_dwordx4 v[16:19], off, off offset:128
	ds_read_b128 v[32:35], v130 offset:176
	v_sub_f32_e32 v6, v6, v10
	v_sub_f32_e32 v7, v7, v11
	v_add_u32_e32 v14, s11, v1
	s_or_b32 s11, s7, 23
	s_waitcnt vmcnt(0) lgkmcnt(0)
	v_mul_f32_e32 v10, v33, v17
	v_mul_f32_e32 v11, v32, v17
	v_fma_f32 v10, v32, v16, -v10
	v_fmac_f32_e32 v11, v33, v16
	v_sub_f32_e32 v6, v6, v10
	v_sub_f32_e32 v7, v7, v11
	v_mul_f32_e32 v10, v31, v19
	v_mul_f32_e32 v11, v30, v19
	v_fma_f32 v10, v30, v18, -v10
	v_fmac_f32_e32 v11, v31, v18
	scratch_load_dwordx4 v[30:33], off, off offset:144
	v_sub_f32_e32 v6, v6, v10
	v_sub_f32_e32 v7, v7, v11
	s_waitcnt vmcnt(0)
	v_mul_f32_e32 v10, v85, v31
	v_fma_f32 v10, v84, v30, -v10
	v_mul_f32_e32 v11, v84, v31
	v_sub_f32_e32 v6, v6, v10
	v_mul_f32_e32 v10, v9, v33
	v_fmac_f32_e32 v11, v85, v30
	v_fma_f32 v10, v8, v32, -v10
	v_mul_f32_e32 v8, v8, v33
	v_sub_f32_e32 v7, v7, v11
	v_fmac_f32_e32 v8, v9, v32
	v_sub_f32_e32 v7, v7, v8
	v_mul_f32_e32 v8, v89, v59
	v_mul_f32_e32 v9, v88, v59
	v_sub_f32_e32 v6, v6, v10
	v_fma_f32 v8, v88, v58, -v8
	v_fmac_f32_e32 v9, v89, v58
	v_sub_f32_e32 v8, v6, v8
	v_sub_f32_e32 v9, v7, v9
	scratch_load_dwordx2 v[6:7], off, off offset:168
	ds_read2_b64 v[82:85], v116 offset0:23 offset1:24
	scratch_load_dwordx4 v[56:59], off, off offset:16
	s_waitcnt vmcnt(1)
	v_mul_f32_e32 v10, v47, v7
	v_mul_f32_e32 v7, v46, v7
	v_fma_f32 v10, v46, v6, -v10
	v_fmac_f32_e32 v7, v47, v6
	v_mov_b32_e32 v6, s12
	ds_read_b128 v[92:95], v6
	v_sub_f32_e32 v7, v9, v7
	v_sub_f32_e32 v8, v8, v10
	s_mul_i32 s12, s11, 0x108
	s_lshl_b32 s11, s11, 8
	s_waitcnt lgkmcnt(0)
	v_mul_f32_e32 v6, v93, v7
	v_mul_f32_e32 v7, v92, v7
	v_fma_f32 v6, v92, v8, -v6
	v_fmac_f32_e32 v7, v93, v8
	scratch_store_dwordx2 off, v[6:7], off offset:176
	scratch_load_dwordx4 v[8:11], off, off offset:168
	s_waitcnt vmcnt(0)
	ds_write_b64 v14, v[10:11]
	scratch_load_dwordx2 v[10:11], off, off
	s_waitcnt vmcnt(0)
	v_mul_f32_e32 v14, v25, v11
	v_mul_f32_e32 v11, v24, v11
	v_fma_f32 v14, v24, v10, -v14
	v_fmac_f32_e32 v11, v25, v10
	v_sub_f32_e32 v10, v12, v14
	v_sub_f32_e32 v11, v13, v11
	v_mul_f32_e32 v12, v83, v51
	v_mul_f32_e32 v13, v82, v51
	v_fma_f32 v12, v82, v50, -v12
	v_fmac_f32_e32 v13, v83, v50
	scratch_load_dwordx4 v[50:53], off, off offset:8
	ds_read2_b64 v[80:83], v118 offset0:23 offset1:24
	v_sub_f32_e32 v10, v10, v12
	v_sub_f32_e32 v11, v11, v13
	s_waitcnt vmcnt(0)
	v_mul_f32_e32 v12, v29, v53
	v_mul_f32_e32 v13, v28, v53
	v_fma_f32 v12, v28, v52, -v12
	v_fmac_f32_e32 v13, v29, v52
	v_sub_f32_e32 v10, v10, v12
	v_sub_f32_e32 v11, v11, v13
	s_waitcnt lgkmcnt(0)
	v_mul_f32_e32 v12, v81, v59
	v_mul_f32_e32 v13, v80, v59
	v_fma_f32 v12, v80, v58, -v12
	v_fmac_f32_e32 v13, v81, v58
	scratch_load_dwordx4 v[58:61], off, off offset:24
	scratch_load_dwordx4 v[52:55], off, off offset:32
	;; [unrolled: 1-line block ×4, first 2 shown]
	ds_read2_b64 v[26:29], v119 offset0:23 offset1:24
	v_sub_f32_e32 v10, v10, v12
	scratch_load_dwordx4 v[78:81], off, off offset:80
	scratch_load_dwordx4 v[96:99], off, off offset:88
	;; [unrolled: 1-line block ×3, first 2 shown]
	s_waitcnt lgkmcnt(0)
	v_mov_b32_e32 v21, v27
	s_waitcnt vmcnt(5)
	v_mov_b32_e32 v23, v54
	v_mul_f32_e32 v12, v39, v61
	v_fma_f32 v12, v38, v60, -v12
	v_mul_f32_e32 v15, v38, v61
	v_pk_add_f32 v[10:11], v[10:11], v[12:13] neg_lo:[0,1] neg_hi:[0,1]
	v_mul_f32_e32 v12, v27, v55
	v_fmac_f32_e32 v15, v39, v60
	v_fma_f32 v14, v26, v54, -v12
	v_pk_add_f32 v[14:15], v[10:11], v[14:15] neg_lo:[0,1] neg_hi:[0,1]
	scratch_load_dwordx4 v[10:13], off, off offset:64
	scratch_load_dwordx4 v[36:39], off, off offset:72
	v_mov_b32_e32 v60, v63
	v_mov_b32_e32 v61, v26
	s_waitcnt vmcnt(6)
	v_mov_b32_e32 v54, v47
	s_waitcnt vmcnt(5)
	v_mov_b32_e32 v24, v42
	v_mov_b32_e32 v25, v46
	;; [unrolled: 1-line block ×3, first 2 shown]
	v_pk_mul_f32 v[26:27], v[60:61], v[54:55]
	v_mov_b32_e32 v46, v43
	v_pk_fma_f32 v[54:55], v[62:63], v[24:25], v[26:27] op_sel:[0,1,0] op_sel_hi:[1,0,1] neg_lo:[0,0,1] neg_hi:[0,0,1]
	v_pk_fma_f32 v[20:21], v[20:21], v[22:23], v[26:27]
	v_mov_b32_e32 v61, v62
	v_mov_b32_e32 v55, v21
	ds_read2_b64 v[20:23], v120 offset0:23 offset1:24
	v_pk_add_f32 v[14:15], v[14:15], v[54:55] neg_lo:[0,1] neg_hi:[0,1]
	v_mov_b32_e32 v26, v42
	v_mov_b32_e32 v55, v63
	ds_read2_b64 v[62:65], v112 offset0:23 offset1:24
	s_waitcnt lgkmcnt(1)
	v_mov_b32_e32 v60, v21
	v_mov_b32_e32 v54, v20
	v_pk_mul_f32 v[46:47], v[60:61], v[46:47]
	s_waitcnt vmcnt(1)
	v_mov_b32_e32 v27, v10
	v_pk_fma_f32 v[60:61], v[20:21], v[26:27], v[46:47] neg_lo:[0,0,1] neg_hi:[0,0,1]
	v_pk_fma_f32 v[24:25], v[54:55], v[24:25], v[46:47]
	v_mov_b32_e32 v42, v11
	v_mov_b32_e32 v61, v25
	;; [unrolled: 1-line block ×6, first 2 shown]
	v_pk_mul_f32 v[24:25], v[24:25], v[26:27]
	v_mov_b32_e32 v12, v11
	v_mov_b32_e32 v10, v67
	;; [unrolled: 1-line block ×3, first 2 shown]
	v_pk_fma_f32 v[20:21], v[10:11], v[42:43], v[24:25] op_sel:[0,0,1] op_sel_hi:[1,1,0] neg_lo:[1,0,0] neg_hi:[1,0,0]
	v_pk_fma_f32 v[10:11], v[10:11], v[42:43], v[24:25] op_sel:[0,0,1] op_sel_hi:[1,1,0]
	ds_read2_b64 v[24:27], v111 offset0:23 offset1:24
	v_pk_add_f32 v[14:15], v[14:15], v[60:61] neg_lo:[0,1] neg_hi:[0,1]
	v_mov_b32_e32 v21, v11
	v_pk_add_f32 v[10:11], v[14:15], v[20:21] neg_lo:[0,1] neg_hi:[0,1]
	v_mov_b32_e32 v20, v67
	s_waitcnt lgkmcnt(0)
	v_mov_b32_e32 v67, v25
	v_mov_b32_e32 v21, v24
	v_pk_mul_f32 v[12:13], v[66:67], v[12:13]
	s_waitcnt vmcnt(0)
	v_mov_b32_e32 v14, v36
	v_mov_b32_e32 v15, v38
	;; [unrolled: 1-line block ×3, first 2 shown]
	v_pk_fma_f32 v[36:37], v[20:21], v[46:47], v[12:13] neg_lo:[0,0,1] neg_hi:[0,0,1]
	v_pk_fma_f32 v[12:13], v[20:21], v[46:47], v[12:13]
	v_mov_b32_e32 v42, v25
	v_pk_mov_b32 v[12:13], v[36:37], v[12:13] op_sel:[1,0]
	v_mov_b32_e32 v25, v73
	v_pk_add_f32 v[20:21], v[10:11], v[12:13] neg_lo:[0,1] neg_hi:[0,1]
	scratch_load_dwordx4 v[10:13], off, off offset:104
	v_mov_b32_e32 v43, v72
	v_pk_mul_f32 v[24:25], v[24:25], v[38:39]
	v_mov_b32_e32 v37, v80
	v_mov_b32_e32 v80, v79
	v_pk_fma_f32 v[38:39], v[42:43], v[14:15], v[24:25] neg_lo:[0,0,1] neg_hi:[0,0,1]
	v_pk_fma_f32 v[14:15], v[42:43], v[14:15], v[24:25]
	v_mov_b32_e32 v24, v73
	v_mov_b32_e32 v73, v63
	;; [unrolled: 1-line block ×3, first 2 shown]
	v_pk_mov_b32 v[14:15], v[38:39], v[14:15] op_sel:[1,0]
	v_mov_b32_e32 v25, v62
	v_pk_mul_f32 v[38:39], v[72:73], v[80:81]
	v_pk_add_f32 v[14:15], v[20:21], v[14:15] neg_lo:[0,1] neg_hi:[0,1]
	v_mov_b32_e32 v21, v98
	v_mov_b32_e32 v98, v97
	v_pk_fma_f32 v[42:43], v[24:25], v[36:37], v[38:39] neg_lo:[0,0,1] neg_hi:[0,0,1]
	v_pk_fma_f32 v[24:25], v[24:25], v[36:37], v[38:39]
	v_mov_b32_e32 v36, v63
	v_mov_b32_e32 v63, v71
	;; [unrolled: 1-line block ×4, first 2 shown]
	v_pk_mul_f32 v[38:39], v[62:63], v[98:99]
	v_pk_mov_b32 v[24:25], v[42:43], v[24:25] op_sel:[1,0]
	v_pk_fma_f32 v[42:43], v[36:37], v[20:21], v[38:39] neg_lo:[0,0,1] neg_hi:[0,0,1]
	v_pk_fma_f32 v[20:21], v[36:37], v[20:21], v[38:39]
	ds_read2_b64 v[36:39], v113 offset0:23 offset1:24
	v_pk_add_f32 v[14:15], v[14:15], v[24:25] neg_lo:[0,1] neg_hi:[0,1]
	v_mov_b32_e32 v25, v102
	v_mov_b32_e32 v102, v101
	v_pk_mov_b32 v[20:21], v[42:43], v[20:21] op_sel:[1,0]
	v_mov_b32_e32 v42, v71
	s_waitcnt lgkmcnt(0)
	v_mov_b32_e32 v71, v37
	v_mov_b32_e32 v24, v100
	;; [unrolled: 1-line block ×3, first 2 shown]
	v_pk_mul_f32 v[46:47], v[70:71], v[102:103]
	v_pk_add_f32 v[14:15], v[14:15], v[20:21] neg_lo:[0,1] neg_hi:[0,1]
	v_pk_fma_f32 v[54:55], v[42:43], v[24:25], v[46:47] neg_lo:[0,0,1] neg_hi:[0,0,1]
	v_pk_fma_f32 v[24:25], v[42:43], v[24:25], v[46:47]
	ds_read2_b64 v[66:69], v114 offset0:23 offset1:24
	v_pk_mov_b32 v[24:25], v[54:55], v[24:25] op_sel:[1,0]
	ds_read2_b64 v[70:73], v115 offset0:23 offset1:24
	v_pk_add_f32 v[14:15], v[14:15], v[24:25] neg_lo:[0,1] neg_hi:[0,1]
	v_mov_b32_e32 v24, v37
	v_mov_b32_e32 v37, v77
	;; [unrolled: 1-line block ×3, first 2 shown]
	ds_read_b128 v[98:101], v123 offset:192
	v_mov_b32_e32 v42, s10
	s_add_i32 s10, s5, s11
	s_waitcnt vmcnt(0)
	v_mov_b32_e32 v20, v10
	v_mov_b32_e32 v10, v11
	;; [unrolled: 1-line block ×4, first 2 shown]
	v_pk_mul_f32 v[10:11], v[36:37], v[10:11]
	s_nop 0
	v_pk_fma_f32 v[36:37], v[24:25], v[20:21], v[10:11] neg_lo:[0,0,1] neg_hi:[0,0,1]
	v_pk_fma_f32 v[10:11], v[24:25], v[20:21], v[10:11]
	s_nop 0
	v_pk_mov_b32 v[10:11], v[36:37], v[10:11] op_sel:[1,0]
	s_nop 0
	v_pk_add_f32 v[14:15], v[14:15], v[10:11] neg_lo:[0,1] neg_hi:[0,1]
	v_mul_f32_e32 v10, v77, v12
	v_fmac_f32_e32 v10, v76, v13
	v_sub_f32_e32 v15, v15, v10
	scratch_load_dwordx4 v[10:13], off, off offset:120
	ds_read2_b64 v[74:77], v121 offset0:23 offset1:24
	s_waitcnt vmcnt(0) lgkmcnt(3)
	v_mul_f32_e32 v20, v67, v11
	v_fma_f32 v20, v66, v10, -v20
	v_mul_f32_e32 v11, v66, v11
	v_fmac_f32_e32 v11, v67, v10
	v_sub_f32_e32 v10, v14, v20
	v_mul_f32_e32 v14, v35, v13
	v_mul_f32_e32 v13, v34, v13
	v_fma_f32 v14, v34, v12, -v14
	v_fmac_f32_e32 v13, v35, v12
	scratch_load_dwordx4 v[34:37], off, off offset:136
	v_sub_f32_e32 v11, v15, v11
	v_sub_f32_e32 v11, v11, v13
	s_waitcnt lgkmcnt(2)
	v_mul_f32_e32 v12, v71, v19
	v_mul_f32_e32 v13, v70, v19
	v_fma_f32 v12, v70, v18, -v12
	v_fmac_f32_e32 v13, v71, v18
	ds_read2_b64 v[18:21], v117 offset0:23 offset1:24
	v_sub_f32_e32 v10, v10, v14
	v_sub_f32_e32 v10, v10, v12
	v_sub_f32_e32 v11, v11, v13
	s_waitcnt vmcnt(0)
	v_mul_f32_e32 v12, v87, v37
	v_mul_f32_e32 v13, v86, v37
	v_fma_f32 v12, v86, v36, -v12
	v_fmac_f32_e32 v13, v87, v36
	v_sub_f32_e32 v10, v10, v12
	v_sub_f32_e32 v11, v11, v13
	s_waitcnt lgkmcnt(0)
	v_mul_f32_e32 v12, v19, v33
	v_mul_f32_e32 v13, v18, v33
	v_fma_f32 v12, v18, v32, -v12
	v_fmac_f32_e32 v13, v19, v32
	v_sub_f32_e32 v14, v10, v12
	v_sub_f32_e32 v15, v11, v13
	scratch_load_dwordx4 v[10:13], off, off offset:152
	v_mov_b32_e32 v36, v23
	s_waitcnt vmcnt(0)
	v_mul_f32_e32 v18, v91, v13
	v_mul_f32_e32 v13, v90, v13
	v_fma_f32 v18, v90, v12, -v18
	v_fmac_f32_e32 v13, v91, v12
	v_sub_f32_e32 v18, v14, v18
	v_sub_f32_e32 v19, v15, v13
	scratch_load_dwordx4 v[12:15], off, off offset:160
	s_waitcnt vmcnt(0)
	v_mul_f32_e32 v24, v75, v15
	v_fma_f32 v24, v74, v14, -v24
	v_mul_f32_e32 v15, v74, v15
	v_fmac_f32_e32 v15, v75, v14
	v_sub_f32_e32 v14, v18, v24
	v_mul_f32_e32 v18, v95, v7
	v_fma_f32 v18, v94, v6, -v18
	v_mul_f32_e32 v7, v94, v7
	v_fmac_f32_e32 v7, v95, v6
	v_sub_f32_e32 v6, v14, v18
	v_mov_b32_e32 v14, s12
	ds_read2_b64 v[78:81], v14 offset1:1
	v_sub_f32_e32 v15, v19, v15
	v_sub_f32_e32 v7, v15, v7
	ds_read_b128 v[94:97], v122 offset:192
	s_waitcnt lgkmcnt(1)
	v_mul_f32_e32 v14, v79, v7
	v_mul_f32_e32 v55, v78, v7
	v_fma_f32 v54, v78, v6, -v14
	v_fmac_f32_e32 v55, v79, v6
	v_add_u32_e32 v6, s11, v1
	ds_write_b64 v6, v[54:55]
	scratch_load_dwordx2 v[6:7], off, off
	s_or_b32 s11, s7, 24
	s_mul_i32 s12, s11, 0x108
	s_lshl_b32 s11, s11, 8
	s_waitcnt vmcnt(0) lgkmcnt(1)
	v_mul_f32_e32 v14, v95, v7
	v_mul_f32_e32 v7, v94, v7
	v_fma_f32 v14, v94, v6, -v14
	v_fmac_f32_e32 v7, v95, v6
	v_sub_f32_e32 v6, v2, v14
	v_sub_f32_e32 v7, v3, v7
	scratch_load_dwordx2 v[2:3], off, off offset:8
	s_waitcnt vmcnt(0)
	v_mul_f32_e32 v14, v85, v3
	v_mul_f32_e32 v3, v84, v3
	v_fmac_f32_e32 v3, v85, v2
	v_fma_f32 v14, v84, v2, -v14
	v_sub_f32_e32 v7, v7, v3
	scratch_load_dwordx2 v[2:3], off, off offset:16
	v_sub_f32_e32 v6, v6, v14
	s_waitcnt vmcnt(0)
	v_mul_f32_e32 v14, v99, v3
	v_mul_f32_e32 v3, v98, v3
	v_fmac_f32_e32 v3, v99, v2
	v_fma_f32 v14, v98, v2, -v14
	v_sub_f32_e32 v7, v7, v3
	scratch_load_dwordx2 v[2:3], off, off offset:24
	v_sub_f32_e32 v6, v6, v14
	s_waitcnt vmcnt(0)
	v_mul_f32_e32 v14, v83, v3
	v_mul_f32_e32 v3, v82, v3
	v_fma_f32 v14, v82, v2, -v14
	v_fmac_f32_e32 v3, v83, v2
	v_sub_f32_e32 v2, v6, v14
	v_sub_f32_e32 v3, v7, v3
	scratch_load_dwordx2 v[6:7], off, off offset:32
	ds_read_b128 v[82:85], v124 offset:192
	s_waitcnt vmcnt(0) lgkmcnt(0)
	v_mul_f32_e32 v14, v83, v7
	v_fma_f32 v14, v82, v6, -v14
	v_sub_f32_e32 v2, v2, v14
	scratch_load_dwordx2 v[14:15], off, off offset:40
	scratch_load_dwordx2 v[18:19], off, off offset:48
	;; [unrolled: 1-line block ×3, first 2 shown]
	scratch_load_dwordx4 v[60:63], off, off offset:56
	scratch_load_dwordx4 v[90:93], off, off offset:72
	;; [unrolled: 1-line block ×3, first 2 shown]
	ds_read_b128 v[102:105], v126 offset:192
	ds_read_b128 v[86:89], v125 offset:192
	v_mul_f32_e32 v7, v82, v7
	v_fmac_f32_e32 v7, v83, v6
	scratch_load_dwordx4 v[138:141], off, off offset:88
	scratch_load_dwordx4 v[142:145], off, off offset:96
	s_waitcnt lgkmcnt(1)
	v_mov_b32_e32 v37, v102
	scratch_load_dwordx4 v[146:149], off, off offset:104
	s_waitcnt lgkmcnt(0)
	v_mov_b32_e32 v46, v89
	s_waitcnt vmcnt(8)
	v_mul_f32_e32 v6, v29, v15
	v_fma_f32 v6, v28, v14, -v6
	v_mul_f32_e32 v15, v28, v15
	v_pk_add_f32 v[2:3], v[2:3], v[6:7] neg_lo:[0,1] neg_hi:[0,1]
	s_waitcnt vmcnt(7)
	v_mul_f32_e32 v6, v103, v19
	v_fmac_f32_e32 v15, v29, v14
	v_fma_f32 v14, v102, v18, -v6
	v_mov_b32_e32 v29, v18
	s_waitcnt vmcnt(6)
	v_mov_b32_e32 v18, v25
	v_pk_add_f32 v[2:3], v[2:3], v[14:15] neg_lo:[0,1] neg_hi:[0,1]
	v_mov_b32_e32 v14, v22
	v_mov_b32_e32 v15, v103
	;; [unrolled: 1-line block ×3, first 2 shown]
	v_pk_mul_f32 v[18:19], v[36:37], v[18:19]
	v_mov_b32_e32 v7, v24
	v_mov_b32_e32 v33, v25
	v_pk_fma_f32 v[24:25], v[22:23], v[24:25], v[18:19] neg_lo:[0,0,1] neg_hi:[0,0,1]
	v_pk_fma_f32 v[14:15], v[14:15], v[28:29], v[18:19]
	s_waitcnt vmcnt(5)
	v_mov_b32_e32 v32, v63
	v_mov_b32_e32 v25, v15
	v_pk_add_f32 v[2:3], v[2:3], v[24:25] neg_lo:[0,1] neg_hi:[0,1]
	v_mov_b32_e32 v24, v87
	v_mov_b32_e32 v25, v22
	;; [unrolled: 1-line block ×5, first 2 shown]
	v_pk_mul_f32 v[22:23], v[24:25], v[32:33]
	v_mov_b32_e32 v14, v62
	s_waitcnt vmcnt(4)
	v_mov_b32_e32 v15, v90
	v_pk_fma_f32 v[6:7], v[18:19], v[6:7], v[22:23]
	v_mov_b32_e32 v18, v87
	v_mov_b32_e32 v19, v26
	v_mov_b32_e32 v62, v91
	v_pk_fma_f32 v[24:25], v[86:87], v[14:15], v[22:23] neg_lo:[0,0,1] neg_hi:[0,0,1]
	v_pk_mul_f32 v[14:15], v[18:19], v[14:15]
	v_mov_b32_e32 v18, v27
	v_mov_b32_e32 v19, v86
	;; [unrolled: 1-line block ×3, first 2 shown]
	v_pk_fma_f32 v[22:23], v[18:19], v[62:63], v[14:15] op_sel:[0,0,1] op_sel_hi:[1,1,0] neg_lo:[1,0,0] neg_hi:[1,0,0]
	v_pk_fma_f32 v[14:15], v[18:19], v[62:63], v[14:15] op_sel:[0,0,1] op_sel_hi:[1,1,0]
	v_pk_add_f32 v[2:3], v[2:3], v[24:25] neg_lo:[0,1] neg_hi:[0,1]
	v_mov_b32_e32 v23, v15
	v_pk_add_f32 v[2:3], v[2:3], v[22:23] neg_lo:[0,1] neg_hi:[0,1]
	ds_read_b128 v[22:25], v127 offset:192
	v_mov_b32_e32 v7, v92
	v_mov_b32_e32 v92, v91
	;; [unrolled: 1-line block ×3, first 2 shown]
	s_waitcnt vmcnt(3)
	v_mov_b32_e32 v15, v136
	s_waitcnt lgkmcnt(0)
	v_mov_b32_e32 v27, v23
	v_mov_b32_e32 v19, v22
	v_pk_mul_f32 v[26:27], v[26:27], v[92:93]
	ds_read_b128 v[92:95], v128 offset:192
	v_pk_fma_f32 v[28:29], v[18:19], v[6:7], v[26:27] neg_lo:[0,0,1] neg_hi:[0,0,1]
	v_pk_fma_f32 v[6:7], v[18:19], v[6:7], v[26:27]
	v_mov_b32_e32 v136, v135
	v_pk_mov_b32 v[6:7], v[28:29], v[6:7] op_sel:[1,0]
	scratch_load_dwordx4 v[26:29], off, off offset:112
	v_mov_b32_e32 v18, v23
	v_mov_b32_e32 v23, v65
	;; [unrolled: 1-line block ×4, first 2 shown]
	v_pk_mul_f32 v[22:23], v[22:23], v[136:137]
	v_pk_add_f32 v[2:3], v[2:3], v[6:7] neg_lo:[0,1] neg_hi:[0,1]
	s_waitcnt vmcnt(3)
	v_mov_b32_e32 v7, v140
	v_mov_b32_e32 v140, v139
	v_pk_fma_f32 v[32:33], v[18:19], v[14:15], v[22:23] neg_lo:[0,0,1] neg_hi:[0,0,1]
	v_pk_fma_f32 v[14:15], v[18:19], v[14:15], v[22:23]
	v_mov_b32_e32 v18, v65
	s_waitcnt lgkmcnt(0)
	v_mov_b32_e32 v65, v93
	v_mov_b32_e32 v6, v138
	v_pk_mov_b32 v[14:15], v[32:33], v[14:15] op_sel:[1,0]
	v_mov_b32_e32 v19, v92
	v_pk_mul_f32 v[22:23], v[64:65], v[140:141]
	v_pk_add_f32 v[2:3], v[2:3], v[14:15] neg_lo:[0,1] neg_hi:[0,1]
	s_waitcnt vmcnt(2)
	v_mov_b32_e32 v15, v144
	v_mov_b32_e32 v144, v143
	v_pk_fma_f32 v[32:33], v[18:19], v[6:7], v[22:23] neg_lo:[0,0,1] neg_hi:[0,0,1]
	v_pk_fma_f32 v[6:7], v[18:19], v[6:7], v[22:23]
	v_mov_b32_e32 v18, v93
	v_mov_b32_e32 v93, v39
	v_pk_mul_f32 v[22:23], v[92:93], v[144:145]
	ds_read_b128 v[90:93], v129 offset:192
	v_mov_b32_e32 v14, v142
	v_mov_b32_e32 v19, v38
	v_pk_mov_b32 v[6:7], v[32:33], v[6:7] op_sel:[1,0]
	v_pk_fma_f32 v[32:33], v[18:19], v[14:15], v[22:23] neg_lo:[0,0,1] neg_hi:[0,0,1]
	v_pk_fma_f32 v[14:15], v[18:19], v[14:15], v[22:23]
	v_pk_add_f32 v[2:3], v[2:3], v[6:7] neg_lo:[0,1] neg_hi:[0,1]
	s_waitcnt vmcnt(1)
	v_mov_b32_e32 v7, v148
	v_mov_b32_e32 v148, v147
	v_pk_mov_b32 v[14:15], v[32:33], v[14:15] op_sel:[1,0]
	v_mov_b32_e32 v18, v39
	s_waitcnt lgkmcnt(0)
	v_mov_b32_e32 v39, v91
	v_mov_b32_e32 v6, v146
	v_pk_add_f32 v[2:3], v[2:3], v[14:15] neg_lo:[0,1] neg_hi:[0,1]
	v_mov_b32_e32 v19, v90
	s_waitcnt vmcnt(0)
	v_mov_b32_e32 v14, v26
	v_mov_b32_e32 v22, v27
	v_pk_mul_f32 v[26:27], v[38:39], v[148:149]
	v_mov_b32_e32 v23, v29
	v_pk_fma_f32 v[32:33], v[18:19], v[6:7], v[26:27] neg_lo:[0,0,1] neg_hi:[0,0,1]
	v_pk_fma_f32 v[6:7], v[18:19], v[6:7], v[26:27]
	v_mov_b32_e32 v15, v28
	v_pk_mov_b32 v[6:7], v[32:33], v[6:7] op_sel:[1,0]
	s_nop 0
	v_pk_add_f32 v[2:3], v[2:3], v[6:7] neg_lo:[0,1] neg_hi:[0,1]
	v_mov_b32_e32 v6, v91
	v_mov_b32_e32 v91, v69
	;; [unrolled: 1-line block ×3, first 2 shown]
	v_pk_mul_f32 v[18:19], v[90:91], v[22:23]
	s_nop 0
	v_pk_fma_f32 v[22:23], v[6:7], v[14:15], v[18:19] neg_lo:[0,0,1] neg_hi:[0,0,1]
	v_pk_fma_f32 v[6:7], v[6:7], v[14:15], v[18:19]
	v_mov_b32_e32 v18, v88
	v_pk_mov_b32 v[6:7], v[22:23], v[6:7] op_sel:[1,0]
	s_nop 0
	v_pk_add_f32 v[2:3], v[2:3], v[6:7] neg_lo:[0,1] neg_hi:[0,1]
	v_mul_f32_e32 v6, v69, v28
	v_fmac_f32_e32 v6, v68, v29
	ds_read_b128 v[68:71], v130 offset:192
	ds_read_b128 v[26:29], v42 offset:192
	v_sub_f32_e32 v3, v3, v6
	s_waitcnt lgkmcnt(1)
	v_mul_f32_e32 v6, v69, v17
	v_mul_f32_e32 v7, v68, v17
	v_fma_f32 v6, v68, v16, -v6
	v_fmac_f32_e32 v7, v69, v16
	v_sub_f32_e32 v6, v2, v6
	v_sub_f32_e32 v7, v3, v7
	scratch_load_dwordx2 v[2:3], off, off offset:136
	ds_read_b128 v[66:69], v131 offset:192
	s_waitcnt vmcnt(0)
	v_mul_f32_e32 v14, v73, v3
	v_mul_f32_e32 v3, v72, v3
	v_fmac_f32_e32 v3, v73, v2
	v_fma_f32 v14, v72, v2, -v14
	v_sub_f32_e32 v7, v7, v3
	scratch_load_dwordx2 v[2:3], off, off offset:144
	v_sub_f32_e32 v6, v6, v14
	ds_read2_b64 v[72:75], v116 offset0:25 offset1:26
	s_waitcnt vmcnt(0) lgkmcnt(1)
	v_mul_f32_e32 v14, v67, v3
	v_mul_f32_e32 v3, v66, v3
	v_fmac_f32_e32 v3, v67, v2
	v_fma_f32 v14, v66, v2, -v14
	v_sub_f32_e32 v7, v7, v3
	scratch_load_dwordx2 v[2:3], off, off offset:152
	v_sub_f32_e32 v6, v6, v14
	ds_read_b128 v[64:67], v132 offset:192
	s_waitcnt vmcnt(0)
	v_mul_f32_e32 v14, v21, v3
	v_mul_f32_e32 v3, v20, v3
	v_fmac_f32_e32 v3, v21, v2
	v_fma_f32 v14, v20, v2, -v14
	v_sub_f32_e32 v7, v7, v3
	scratch_load_dwordx2 v[2:3], off, off offset:160
	v_sub_f32_e32 v6, v6, v14
	s_waitcnt vmcnt(0) lgkmcnt(0)
	v_mul_f32_e32 v14, v65, v3
	v_mul_f32_e32 v3, v64, v3
	v_fmac_f32_e32 v3, v65, v2
	v_fma_f32 v14, v64, v2, -v14
	v_sub_f32_e32 v7, v7, v3
	scratch_load_dwordx2 v[2:3], off, off offset:168
	v_sub_f32_e32 v6, v6, v14
	s_waitcnt vmcnt(0)
	v_mul_f32_e32 v14, v77, v3
	v_mul_f32_e32 v3, v76, v3
	v_fmac_f32_e32 v3, v77, v2
	v_fma_f32 v14, v76, v2, -v14
	v_sub_f32_e32 v7, v7, v3
	scratch_load_dwordx2 v[2:3], off, off offset:176
	v_sub_f32_e32 v6, v6, v14
	ds_read2_b64 v[76:79], v118 offset0:25 offset1:26
	s_waitcnt vmcnt(0)
	v_mul_f32_e32 v14, v27, v3
	v_fma_f32 v14, v26, v2, -v14
	v_mul_f32_e32 v3, v26, v3
	v_fmac_f32_e32 v3, v27, v2
	v_sub_f32_e32 v2, v6, v14
	v_mul_f32_e32 v6, v81, v55
	v_fma_f32 v6, v80, v54, -v6
	v_sub_f32_e32 v2, v2, v6
	v_mov_b32_e32 v6, s12
	ds_read_b128 v[36:39], v6
	v_sub_f32_e32 v3, v7, v3
	v_mul_f32_e32 v7, v80, v55
	v_fmac_f32_e32 v7, v81, v54
	v_sub_f32_e32 v3, v3, v7
	s_waitcnt lgkmcnt(0)
	v_mul_f32_e32 v6, v37, v3
	v_mul_f32_e32 v91, v36, v3
	v_fma_f32 v90, v36, v2, -v6
	v_fmac_f32_e32 v91, v37, v2
	v_add_u32_e32 v2, s11, v1
	ds_write_b64 v2, v[90:91]
	scratch_load_dwordx2 v[2:3], off, off
	ds_read2_b64 v[80:83], v119 offset0:25 offset1:26
	s_waitcnt vmcnt(0)
	v_mul_f32_e32 v6, v97, v3
	v_mul_f32_e32 v3, v96, v3
	v_fmac_f32_e32 v3, v97, v2
	v_fma_f32 v6, v96, v2, -v6
	v_sub_f32_e32 v5, v5, v3
	scratch_load_dwordx2 v[2:3], off, off offset:8
	v_sub_f32_e32 v4, v4, v6
	s_waitcnt vmcnt(0)
	v_mul_f32_e32 v6, v73, v3
	v_mul_f32_e32 v3, v72, v3
	v_fmac_f32_e32 v3, v73, v2
	v_fma_f32 v6, v72, v2, -v6
	v_sub_f32_e32 v5, v5, v3
	scratch_load_dwordx2 v[2:3], off, off offset:16
	v_sub_f32_e32 v4, v4, v6
	;; [unrolled: 8-line block ×4, first 2 shown]
	s_waitcnt vmcnt(0)
	v_mul_f32_e32 v6, v85, v3
	v_mul_f32_e32 v3, v84, v3
	v_fma_f32 v6, v84, v2, -v6
	v_fmac_f32_e32 v3, v85, v2
	v_sub_f32_e32 v2, v4, v6
	v_sub_f32_e32 v3, v5, v3
	scratch_load_dwordx2 v[4:5], off, off offset:40
	s_waitcnt vmcnt(0) lgkmcnt(0)
	v_mul_f32_e32 v6, v81, v5
	v_fma_f32 v6, v80, v4, -v6
	v_sub_f32_e32 v2, v2, v6
	scratch_load_dwordx2 v[6:7], off, off offset:48
	scratch_load_dwordx2 v[14:15], off, off offset:56
	;; [unrolled: 1-line block ×3, first 2 shown]
	scratch_load_dwordx4 v[62:65], off, off offset:64
	ds_read2_b64 v[84:87], v120 offset0:25 offset1:26
	v_mul_f32_e32 v5, v80, v5
	v_fmac_f32_e32 v5, v81, v4
	scratch_load_dwordx4 v[20:23], off, off offset:88
	scratch_load_dwordx4 v[96:99], off, off offset:96
	s_waitcnt lgkmcnt(0)
	v_mov_b32_e32 v47, v84
	v_mov_b32_e32 v19, v85
	scratch_load_dwordx4 v[100:103], off, off offset:104
	scratch_load_dwordx4 v[134:137], off, off offset:112
	s_waitcnt vmcnt(6)
	v_mov_b32_e32 v33, v14
	v_mul_f32_e32 v4, v105, v7
	v_fma_f32 v4, v104, v6, -v4
	v_mul_f32_e32 v7, v104, v7
	v_pk_add_f32 v[2:3], v[2:3], v[4:5] neg_lo:[0,1] neg_hi:[0,1]
	v_mul_f32_e32 v4, v85, v15
	v_fmac_f32_e32 v7, v105, v6
	v_fma_f32 v6, v84, v14, -v4
	v_pk_add_f32 v[6:7], v[2:3], v[6:7] neg_lo:[0,1] neg_hi:[0,1]
	scratch_load_dwordx4 v[2:5], off, off offset:80
	s_waitcnt vmcnt(6)
	v_mov_b32_e32 v14, v17
	v_mov_b32_e32 v32, v16
	v_pk_mul_f32 v[14:15], v[46:47], v[14:15]
	v_mov_b32_e32 v27, v16
	v_mov_b32_e32 v37, v17
	v_pk_fma_f32 v[16:17], v[88:89], v[16:17], v[14:15] neg_lo:[0,0,1] neg_hi:[0,0,1]
	v_pk_fma_f32 v[14:15], v[18:19], v[32:33], v[14:15]
	s_waitcnt vmcnt(5)
	v_mov_b32_e32 v36, v65
	v_mov_b32_e32 v17, v15
	v_pk_add_f32 v[6:7], v[6:7], v[16:17] neg_lo:[0,1] neg_hi:[0,1]
	ds_read2_b64 v[16:19], v111 offset0:25 offset1:26
	v_mov_b32_e32 v47, v88
	v_mov_b32_e32 v26, v64
	;; [unrolled: 1-line block ×4, first 2 shown]
	s_waitcnt lgkmcnt(0)
	v_mov_b32_e32 v46, v17
	v_mov_b32_e32 v32, v16
	v_pk_mul_f32 v[36:37], v[46:47], v[36:37]
	s_waitcnt vmcnt(0)
	v_mov_b32_e32 v15, v2
	v_pk_fma_f32 v[46:47], v[16:17], v[14:15], v[36:37] neg_lo:[0,0,1] neg_hi:[0,0,1]
	v_pk_fma_f32 v[26:27], v[32:33], v[26:27], v[36:37]
	v_mov_b32_e32 v32, v17
	v_mov_b32_e32 v33, v24
	;; [unrolled: 1-line block ×6, first 2 shown]
	v_pk_mul_f32 v[14:15], v[32:33], v[14:15]
	v_mov_b32_e32 v4, v3
	v_mov_b32_e32 v2, v25
	v_mov_b32_e32 v3, v16
	v_pk_fma_f32 v[16:17], v[2:3], v[64:65], v[14:15] op_sel:[0,0,1] op_sel_hi:[1,1,0] neg_lo:[1,0,0] neg_hi:[1,0,0]
	v_pk_fma_f32 v[2:3], v[2:3], v[64:65], v[14:15] op_sel:[0,0,1] op_sel_hi:[1,1,0]
	v_pk_add_f32 v[6:7], v[6:7], v[46:47] neg_lo:[0,1] neg_hi:[0,1]
	v_mov_b32_e32 v17, v3
	v_pk_add_f32 v[2:3], v[6:7], v[16:17] neg_lo:[0,1] neg_hi:[0,1]
	ds_read2_b64 v[14:17], v112 offset0:25 offset1:26
	v_mov_b32_e32 v32, v25
	v_mov_b32_e32 v6, v20
	v_mov_b32_e32 v7, v22
	v_mov_b32_e32 v22, v21
	s_waitcnt lgkmcnt(0)
	v_mov_b32_e32 v25, v15
	v_mov_b32_e32 v33, v14
	v_pk_mul_f32 v[4:5], v[24:25], v[4:5]
	v_mov_b32_e32 v25, v98
	v_pk_fma_f32 v[20:21], v[32:33], v[26:27], v[4:5] neg_lo:[0,0,1] neg_hi:[0,0,1]
	v_pk_fma_f32 v[4:5], v[32:33], v[26:27], v[4:5]
	v_mov_b32_e32 v26, v15
	v_pk_mov_b32 v[4:5], v[20:21], v[4:5] op_sel:[1,0]
	v_mov_b32_e32 v15, v95
	v_pk_add_f32 v[20:21], v[2:3], v[4:5] neg_lo:[0,1] neg_hi:[0,1]
	scratch_load_dwordx4 v[2:5], off, off offset:120
	v_mov_b32_e32 v27, v94
	v_pk_mul_f32 v[14:15], v[14:15], v[22:23]
	v_mov_b32_e32 v98, v97
	v_pk_fma_f32 v[22:23], v[26:27], v[6:7], v[14:15] neg_lo:[0,0,1] neg_hi:[0,0,1]
	v_pk_fma_f32 v[6:7], v[26:27], v[6:7], v[14:15]
	v_mov_b32_e32 v26, v95
	v_pk_mov_b32 v[6:7], v[22:23], v[6:7] op_sel:[1,0]
	v_mov_b32_e32 v24, v96
	v_pk_add_f32 v[6:7], v[20:21], v[6:7] neg_lo:[0,1] neg_hi:[0,1]
	ds_read2_b64 v[20:23], v113 offset0:25 offset1:26
	v_mov_b32_e32 v15, v102
	v_mov_b32_e32 v102, v101
	;; [unrolled: 1-line block ×3, first 2 shown]
	s_waitcnt lgkmcnt(0)
	v_mov_b32_e32 v95, v21
	v_mov_b32_e32 v27, v20
	v_pk_mul_f32 v[32:33], v[94:95], v[98:99]
	v_mov_b32_e32 v94, s10
	v_pk_fma_f32 v[36:37], v[26:27], v[24:25], v[32:33] neg_lo:[0,0,1] neg_hi:[0,0,1]
	v_pk_fma_f32 v[24:25], v[26:27], v[24:25], v[32:33]
	v_mov_b32_e32 v33, v136
	v_pk_mov_b32 v[24:25], v[36:37], v[24:25] op_sel:[1,0]
	v_mov_b32_e32 v136, v135
	v_pk_add_f32 v[6:7], v[6:7], v[24:25] neg_lo:[0,1] neg_hi:[0,1]
	v_mov_b32_e32 v24, v21
	v_mov_b32_e32 v21, v93
	;; [unrolled: 1-line block ×3, first 2 shown]
	v_pk_mul_f32 v[20:21], v[20:21], v[102:103]
	v_mov_b32_e32 v32, v134
	v_pk_fma_f32 v[26:27], v[24:25], v[14:15], v[20:21] neg_lo:[0,0,1] neg_hi:[0,0,1]
	v_pk_fma_f32 v[14:15], v[24:25], v[14:15], v[20:21]
	v_mov_b32_e32 v20, v93
	v_pk_mov_b32 v[14:15], v[26:27], v[14:15] op_sel:[1,0]
	ds_read2_b64 v[24:27], v114 offset0:25 offset1:26
	v_pk_add_f32 v[6:7], v[6:7], v[14:15] neg_lo:[0,1] neg_hi:[0,1]
	s_add_i32 s10, s5, s11
	s_or_b32 s11, s7, 25
	s_mul_i32 s12, s11, 0x108
	s_waitcnt lgkmcnt(0)
	v_mov_b32_e32 v93, v25
	v_mov_b32_e32 v21, v24
	v_pk_mul_f32 v[36:37], v[92:93], v[136:137]
	s_lshl_b32 s11, s11, 8
	v_pk_fma_f32 v[46:47], v[20:21], v[32:33], v[36:37] neg_lo:[0,0,1] neg_hi:[0,0,1]
	v_pk_fma_f32 v[20:21], v[20:21], v[32:33], v[36:37]
	s_or_b32 s7, s7, 26
	v_pk_mov_b32 v[20:21], v[46:47], v[20:21] op_sel:[1,0]
	s_add_i32 s5, s5, s11
	v_pk_add_f32 v[6:7], v[6:7], v[20:21] neg_lo:[0,1] neg_hi:[0,1]
	v_mov_b32_e32 v20, v25
	v_mov_b32_e32 v25, v71
	;; [unrolled: 1-line block ×3, first 2 shown]
	s_waitcnt vmcnt(0)
	v_mov_b32_e32 v14, v2
	v_mov_b32_e32 v2, v3
	;; [unrolled: 1-line block ×4, first 2 shown]
	v_pk_mul_f32 v[2:3], v[24:25], v[2:3]
	v_mul_f32_e32 v4, v71, v4
	v_pk_fma_f32 v[24:25], v[20:21], v[14:15], v[2:3] neg_lo:[0,0,1] neg_hi:[0,0,1]
	v_pk_fma_f32 v[2:3], v[20:21], v[14:15], v[2:3]
	v_fmac_f32_e32 v4, v70, v5
	v_pk_mov_b32 v[2:3], v[24:25], v[2:3] op_sel:[1,0]
	ds_read2_b64 v[70:73], v121 offset0:25 offset1:26
	v_pk_add_f32 v[2:3], v[6:7], v[2:3] neg_lo:[0,1] neg_hi:[0,1]
	s_nop 0
	v_sub_f32_e32 v3, v3, v4
	ds_read2_b64 v[4:7], v115 offset0:25 offset1:26
	s_waitcnt lgkmcnt(0)
	v_mul_f32_e32 v14, v5, v35
	v_fma_f32 v14, v4, v34, -v14
	v_mul_f32_e32 v4, v4, v35
	v_fmac_f32_e32 v4, v5, v34
	v_sub_f32_e32 v5, v2, v14
	v_sub_f32_e32 v4, v3, v4
	scratch_load_dwordx2 v[2:3], off, off offset:144
	v_mov_b32_e32 v34, v19
	s_waitcnt vmcnt(0)
	v_mul_f32_e32 v14, v69, v3
	v_fma_f32 v14, v68, v2, -v14
	v_sub_f32_e32 v20, v5, v14
	scratch_load_dwordx2 v[14:15], off, off offset:152
	v_mul_f32_e32 v3, v68, v3
	v_fmac_f32_e32 v3, v69, v2
	v_sub_f32_e32 v21, v4, v3
	ds_read2_b64 v[2:5], v117 offset0:25 offset1:26
	s_waitcnt vmcnt(0) lgkmcnt(0)
	v_mul_f32_e32 v24, v3, v15
	v_fma_f32 v24, v2, v14, -v24
	v_mul_f32_e32 v2, v2, v15
	v_fmac_f32_e32 v2, v3, v14
	v_sub_f32_e32 v15, v21, v2
	scratch_load_dwordx2 v[2:3], off, off offset:160
	v_sub_f32_e32 v14, v20, v24
	s_waitcnt vmcnt(0)
	v_mul_f32_e32 v20, v67, v3
	v_mul_f32_e32 v3, v66, v3
	v_fmac_f32_e32 v3, v67, v2
	v_fma_f32 v20, v66, v2, -v20
	v_sub_f32_e32 v15, v15, v3
	scratch_load_dwordx2 v[2:3], off, off offset:168
	v_sub_f32_e32 v14, v14, v20
	s_waitcnt vmcnt(0)
	v_mul_f32_e32 v20, v71, v3
	v_mul_f32_e32 v3, v70, v3
	v_fmac_f32_e32 v3, v71, v2
	v_fma_f32 v20, v70, v2, -v20
	v_sub_f32_e32 v15, v15, v3
	scratch_load_dwordx2 v[2:3], off, off offset:176
	ds_read2_b64 v[68:71], v94 offset0:25 offset1:26
	v_sub_f32_e32 v14, v14, v20
	s_waitcnt vmcnt(0)
	v_mul_f32_e32 v20, v29, v3
	v_fma_f32 v20, v28, v2, -v20
	v_mul_f32_e32 v3, v28, v3
	v_fmac_f32_e32 v3, v29, v2
	v_sub_f32_e32 v2, v14, v20
	s_waitcnt lgkmcnt(0)
	v_mul_f32_e32 v14, v69, v55
	v_fma_f32 v14, v68, v54, -v14
	v_sub_f32_e32 v2, v2, v14
	v_mul_f32_e32 v14, v39, v91
	v_fma_f32 v14, v38, v90, -v14
	v_sub_f32_e32 v3, v15, v3
	v_mul_f32_e32 v15, v68, v55
	v_sub_f32_e32 v2, v2, v14
	v_mov_b32_e32 v14, s12
	v_fmac_f32_e32 v15, v69, v54
	ds_read2_b64 v[66:69], v14 offset1:1
	v_sub_f32_e32 v3, v3, v15
	v_mul_f32_e32 v15, v38, v91
	v_fmac_f32_e32 v15, v39, v90
	v_sub_f32_e32 v3, v3, v15
	s_waitcnt lgkmcnt(0)
	v_mul_f32_e32 v14, v67, v3
	v_mul_f32_e32 v93, v66, v3
	v_fma_f32 v92, v66, v2, -v14
	v_fmac_f32_e32 v93, v67, v2
	v_add_u32_e32 v2, s11, v1
	ds_write_b64 v2, v[92:93]
	scratch_load_dwordx2 v[2:3], off, off
	ds_read_b128 v[64:67], v122 offset:208
	s_waitcnt vmcnt(0) lgkmcnt(0)
	v_mul_f32_e32 v14, v65, v3
	v_mul_f32_e32 v3, v64, v3
	v_fmac_f32_e32 v3, v65, v2
	v_fma_f32 v14, v64, v2, -v14
	v_sub_f32_e32 v15, v109, v3
	scratch_load_dwordx2 v[2:3], off, off offset:8
	v_sub_f32_e32 v14, v108, v14
	s_waitcnt vmcnt(0)
	v_mul_f32_e32 v20, v75, v3
	v_mul_f32_e32 v3, v74, v3
	v_fmac_f32_e32 v3, v75, v2
	v_fma_f32 v20, v74, v2, -v20
	v_sub_f32_e32 v15, v15, v3
	scratch_load_dwordx2 v[2:3], off, off offset:16
	ds_read_b128 v[74:77], v123 offset:208
	v_sub_f32_e32 v14, v14, v20
	s_waitcnt vmcnt(0) lgkmcnt(0)
	v_mul_f32_e32 v20, v75, v3
	v_mul_f32_e32 v3, v74, v3
	v_fmac_f32_e32 v3, v75, v2
	v_fma_f32 v20, v74, v2, -v20
	v_sub_f32_e32 v15, v15, v3
	scratch_load_dwordx2 v[2:3], off, off offset:24
	v_sub_f32_e32 v14, v14, v20
	s_waitcnt vmcnt(0)
	v_mul_f32_e32 v20, v79, v3
	v_mul_f32_e32 v3, v78, v3
	v_fmac_f32_e32 v3, v79, v2
	v_fma_f32 v20, v78, v2, -v20
	v_sub_f32_e32 v15, v15, v3
	scratch_load_dwordx2 v[2:3], off, off offset:32
	ds_read_b128 v[78:81], v124 offset:208
	v_sub_f32_e32 v14, v14, v20
	;; [unrolled: 17-line block ×3, first 2 shown]
	s_waitcnt vmcnt(0) lgkmcnt(0)
	v_mul_f32_e32 v15, v83, v3
	v_mul_f32_e32 v25, v82, v3
	v_fma_f32 v15, v82, v2, -v15
	v_fmac_f32_e32 v25, v83, v2
	scratch_load_dwordx2 v[2:3], off, off offset:56
	v_sub_f32_e32 v20, v14, v15
	s_waitcnt vmcnt(0)
	v_mul_f32_e32 v14, v87, v3
	v_mul_f32_e32 v29, v86, v3
	v_fma_f32 v24, v86, v2, -v14
	v_fmac_f32_e32 v29, v87, v2
	scratch_load_dwordx2 v[2:3], off, off offset:64
	scratch_load_dwordx2 v[14:15], off, off offset:72
	scratch_load_dwordx4 v[36:39], off, off offset:72
	scratch_load_dwordx4 v[96:99], off, off offset:88
	;; [unrolled: 1-line block ×3, first 2 shown]
	ds_read_b128 v[86:89], v125 offset:208
	v_pk_add_f32 v[20:21], v[20:21], v[24:25] neg_lo:[0,1] neg_hi:[0,1]
	scratch_load_dwordx4 v[122:125], off, off offset:104
	scratch_load_dwordx4 v[134:137], off, off offset:112
	;; [unrolled: 1-line block ×3, first 2 shown]
	s_waitcnt lgkmcnt(0)
	v_mov_b32_e32 v35, v86
	s_waitcnt vmcnt(7)
	v_mul_f32_e32 v24, v87, v3
	v_fma_f32 v28, v86, v2, -v24
	v_mov_b32_e32 v33, v2
	s_waitcnt vmcnt(6)
	v_mov_b32_e32 v2, v15
	v_pk_add_f32 v[20:21], v[20:21], v[28:29] neg_lo:[0,1] neg_hi:[0,1]
	v_mov_b32_e32 v28, v18
	v_mov_b32_e32 v29, v87
	v_mov_b32_e32 v32, v14
	v_pk_mul_f32 v[2:3], v[34:35], v[2:3]
	v_mov_b32_e32 v25, v14
	v_mov_b32_e32 v47, v15
	v_pk_fma_f32 v[14:15], v[18:19], v[14:15], v[2:3] neg_lo:[0,0,1] neg_hi:[0,0,1]
	v_pk_fma_f32 v[2:3], v[28:29], v[32:33], v[2:3]
	ds_read_b128 v[32:35], v127 offset:208
	s_waitcnt vmcnt(5)
	v_mov_b32_e32 v46, v39
	v_mov_b32_e32 v15, v3
	;; [unrolled: 1-line block ×4, first 2 shown]
	s_waitcnt lgkmcnt(0)
	v_mov_b32_e32 v28, v33
	v_pk_add_f32 v[2:3], v[20:21], v[14:15] neg_lo:[0,1] neg_hi:[0,1]
	v_mov_b32_e32 v14, v38
	s_waitcnt vmcnt(4)
	v_mov_b32_e32 v15, v96
	v_mov_b32_e32 v20, v32
	;; [unrolled: 1-line block ×3, first 2 shown]
	v_pk_mul_f32 v[18:19], v[28:29], v[46:47]
	v_mov_b32_e32 v38, v97
	v_pk_fma_f32 v[28:29], v[32:33], v[14:15], v[18:19] neg_lo:[0,0,1] neg_hi:[0,0,1]
	v_pk_fma_f32 v[18:19], v[20:21], v[24:25], v[18:19]
	v_mov_b32_e32 v25, v98
	v_mov_b32_e32 v29, v19
	;; [unrolled: 1-line block ×4, first 2 shown]
	v_pk_mul_f32 v[14:15], v[18:19], v[14:15]
	v_mov_b32_e32 v18, v17
	v_mov_b32_e32 v19, v32
	v_pk_fma_f32 v[20:21], v[18:19], v[38:39], v[14:15] op_sel:[0,0,1] op_sel_hi:[1,1,0] neg_lo:[1,0,0] neg_hi:[1,0,0]
	v_pk_fma_f32 v[14:15], v[18:19], v[38:39], v[14:15] op_sel:[0,0,1] op_sel_hi:[1,1,0]
	v_pk_add_f32 v[2:3], v[2:3], v[28:29] neg_lo:[0,1] neg_hi:[0,1]
	v_mov_b32_e32 v21, v15
	v_pk_add_f32 v[2:3], v[2:3], v[20:21] neg_lo:[0,1] neg_hi:[0,1]
	ds_read_b128 v[18:21], v128 offset:208
	v_mov_b32_e32 v98, v97
	v_mov_b32_e32 v28, v17
	;; [unrolled: 1-line block ×3, first 2 shown]
	s_waitcnt vmcnt(3)
	v_mov_b32_e32 v15, v102
	s_waitcnt lgkmcnt(0)
	v_mov_b32_e32 v17, v19
	v_pk_mul_f32 v[16:17], v[16:17], v[98:99]
	scratch_load_dwordx4 v[96:99], off, off offset:128
	v_mov_b32_e32 v29, v18
	v_pk_fma_f32 v[32:33], v[28:29], v[24:25], v[16:17] neg_lo:[0,0,1] neg_hi:[0,0,1]
	v_pk_fma_f32 v[16:17], v[28:29], v[24:25], v[16:17]
	v_mov_b32_e32 v102, v101
	v_pk_mov_b32 v[16:17], v[32:33], v[16:17] op_sel:[1,0]
	v_mov_b32_e32 v14, v100
	v_pk_add_f32 v[2:3], v[2:3], v[16:17] neg_lo:[0,1] neg_hi:[0,1]
	v_mov_b32_e32 v16, v19
	v_mov_b32_e32 v19, v23
	v_mov_b32_e32 v17, v22
	v_pk_mul_f32 v[18:19], v[18:19], v[102:103]
	s_waitcnt vmcnt(3)
	v_mov_b32_e32 v25, v124
	v_pk_fma_f32 v[28:29], v[16:17], v[14:15], v[18:19] neg_lo:[0,0,1] neg_hi:[0,0,1]
	v_pk_fma_f32 v[14:15], v[16:17], v[14:15], v[18:19]
	ds_read_b128 v[16:19], v129 offset:208
	v_mov_b32_e32 v124, v123
	v_pk_mov_b32 v[14:15], v[28:29], v[14:15] op_sel:[1,0]
	v_mov_b32_e32 v28, v23
	v_mov_b32_e32 v24, v122
	s_waitcnt lgkmcnt(0)
	v_mov_b32_e32 v23, v17
	v_mov_b32_e32 v29, v16
	v_pk_mul_f32 v[22:23], v[22:23], v[124:125]
	v_pk_add_f32 v[2:3], v[2:3], v[14:15] neg_lo:[0,1] neg_hi:[0,1]
	v_pk_fma_f32 v[32:33], v[28:29], v[24:25], v[22:23] neg_lo:[0,0,1] neg_hi:[0,0,1]
	v_pk_fma_f32 v[22:23], v[28:29], v[24:25], v[22:23]
	s_waitcnt vmcnt(2)
	v_mov_b32_e32 v15, v136
	v_pk_mov_b32 v[22:23], v[32:33], v[22:23] op_sel:[1,0]
	v_mov_b32_e32 v136, v135
	v_pk_add_f32 v[2:3], v[2:3], v[22:23] neg_lo:[0,1] neg_hi:[0,1]
	v_mov_b32_e32 v22, v17
	v_mov_b32_e32 v17, v27
	;; [unrolled: 1-line block ×4, first 2 shown]
	v_pk_mul_f32 v[16:17], v[16:17], v[136:137]
	s_waitcnt vmcnt(1)
	v_mov_b32_e32 v29, v140
	v_pk_fma_f32 v[24:25], v[22:23], v[14:15], v[16:17] neg_lo:[0,0,1] neg_hi:[0,0,1]
	v_pk_fma_f32 v[14:15], v[22:23], v[14:15], v[16:17]
	v_mov_b32_e32 v140, v139
	v_pk_mov_b32 v[14:15], v[24:25], v[14:15] op_sel:[1,0]
	ds_read_b128 v[22:25], v130 offset:208
	v_mov_b32_e32 v16, v27
	v_mov_b32_e32 v28, v138
	v_pk_add_f32 v[2:3], v[2:3], v[14:15] neg_lo:[0,1] neg_hi:[0,1]
	s_waitcnt lgkmcnt(0)
	v_mov_b32_e32 v27, v23
	v_mov_b32_e32 v17, v22
	v_pk_mul_f32 v[26:27], v[26:27], v[140:141]
	s_waitcnt vmcnt(0)
	v_mov_b32_e32 v32, v97
	v_pk_fma_f32 v[38:39], v[16:17], v[28:29], v[26:27] neg_lo:[0,0,1] neg_hi:[0,0,1]
	v_pk_fma_f32 v[16:17], v[16:17], v[28:29], v[26:27]
	v_mov_b32_e32 v33, v99
	v_pk_mov_b32 v[16:17], v[38:39], v[16:17] op_sel:[1,0]
	v_mov_b32_e32 v14, v96
	v_pk_add_f32 v[2:3], v[2:3], v[16:17] neg_lo:[0,1] neg_hi:[0,1]
	v_mov_b32_e32 v16, v23
	v_mov_b32_e32 v23, v7
	;; [unrolled: 1-line block ×4, first 2 shown]
	v_pk_mul_f32 v[22:23], v[22:23], v[32:33]
	v_mul_f32_e32 v7, v7, v98
	v_pk_fma_f32 v[26:27], v[16:17], v[14:15], v[22:23] neg_lo:[0,0,1] neg_hi:[0,0,1]
	v_pk_fma_f32 v[14:15], v[16:17], v[14:15], v[22:23]
	v_fmac_f32_e32 v7, v6, v99
	v_pk_mov_b32 v[14:15], v[26:27], v[14:15] op_sel:[1,0]
	ds_read_b128 v[26:29], v131 offset:208
	v_pk_add_f32 v[2:3], v[2:3], v[14:15] neg_lo:[0,1] neg_hi:[0,1]
	s_waitcnt lgkmcnt(0)
	v_mul_f32_e32 v6, v27, v31
	v_sub_f32_e32 v3, v3, v7
	v_mul_f32_e32 v7, v26, v31
	v_fma_f32 v6, v26, v30, -v6
	v_fmac_f32_e32 v7, v27, v30
	v_sub_f32_e32 v6, v2, v6
	v_sub_f32_e32 v7, v3, v7
	scratch_load_dwordx2 v[2:3], off, off offset:152
	ds_read_b128 v[30:33], v132 offset:208
	s_waitcnt vmcnt(0)
	v_mul_f32_e32 v14, v5, v3
	v_mul_f32_e32 v3, v4, v3
	v_fmac_f32_e32 v3, v5, v2
	v_fma_f32 v14, v4, v2, -v14
	v_sub_f32_e32 v5, v7, v3
	scratch_load_dwordx2 v[2:3], off, off offset:160
	v_sub_f32_e32 v4, v6, v14
	ds_read_b128 v[14:17], v42 offset:208
	s_waitcnt vmcnt(0) lgkmcnt(1)
	v_mul_f32_e32 v6, v31, v3
	v_mul_f32_e32 v3, v30, v3
	v_fmac_f32_e32 v3, v31, v2
	v_fma_f32 v6, v30, v2, -v6
	v_sub_f32_e32 v5, v5, v3
	scratch_load_dwordx2 v[2:3], off, off offset:168
	v_sub_f32_e32 v4, v4, v6
	ds_read_b64 v[30:31], v111 offset:216
	s_waitcnt vmcnt(0)
	v_mul_f32_e32 v6, v73, v3
	v_mul_f32_e32 v3, v72, v3
	v_fmac_f32_e32 v3, v73, v2
	v_fma_f32 v6, v72, v2, -v6
	v_sub_f32_e32 v5, v5, v3
	scratch_load_dwordx2 v[2:3], off, off offset:176
	v_sub_f32_e32 v4, v4, v6
	s_waitcnt vmcnt(0) lgkmcnt(1)
	v_mul_f32_e32 v6, v15, v3
	v_fma_f32 v6, v14, v2, -v6
	v_mul_f32_e32 v3, v14, v3
	v_fmac_f32_e32 v3, v15, v2
	v_sub_f32_e32 v2, v4, v6
	v_mul_f32_e32 v4, v71, v55
	v_sub_f32_e32 v3, v5, v3
	v_fma_f32 v4, v70, v54, -v4
	v_mul_f32_e32 v5, v70, v55
	v_fmac_f32_e32 v5, v71, v54
	v_sub_f32_e32 v2, v2, v4
	v_mov_b32_e32 v4, s10
	v_sub_f32_e32 v3, v3, v5
	ds_read_b128 v[4:7], v4 offset:208
	s_mul_i32 s10, s7, 0x108
	s_waitcnt lgkmcnt(0)
	v_mul_f32_e32 v14, v5, v91
	v_fma_f32 v14, v4, v90, -v14
	v_mul_f32_e32 v4, v4, v91
	v_fmac_f32_e32 v4, v5, v90
	v_sub_f32_e32 v3, v3, v4
	v_mul_f32_e32 v4, v69, v93
	v_sub_f32_e32 v2, v2, v14
	v_fma_f32 v4, v68, v92, -v4
	v_mul_f32_e32 v5, v68, v93
	v_fmac_f32_e32 v5, v69, v92
	v_sub_f32_e32 v22, v2, v4
	v_mov_b32_e32 v2, s10
	v_sub_f32_e32 v15, v3, v5
	ds_read_b128 v[2:5], v2
	s_waitcnt lgkmcnt(0)
	v_mul_f32_e32 v14, v3, v15
	v_mul_f32_e32 v15, v2, v15
	v_fma_f32 v14, v2, v22, -v14
	v_fmac_f32_e32 v15, v3, v22
	v_lshl_add_u32 v2, s7, 8, v1
	ds_write_b64 v2, v[14:15]
	v_mul_f32_e32 v2, v67, v49
	v_mul_f32_e32 v3, v66, v49
	v_fma_f32 v2, v66, v48, -v2
	v_fmac_f32_e32 v3, v67, v48
	v_sub_f32_e32 v22, v106, v2
	v_sub_f32_e32 v23, v107, v3
	ds_read_b64 v[2:3], v116 offset:216
	scratch_load_dwordx4 v[46:49], off, off offset:80
	s_mov_b32 s7, s4
	s_waitcnt lgkmcnt(0)
	v_mul_f32_e32 v26, v3, v51
	v_fma_f32 v26, v2, v50, -v26
	v_mul_f32_e32 v2, v2, v51
	v_fmac_f32_e32 v2, v3, v50
	v_sub_f32_e32 v3, v22, v26
	v_sub_f32_e32 v2, v23, v2
	v_mul_f32_e32 v22, v77, v57
	v_mul_f32_e32 v23, v76, v57
	v_fma_f32 v22, v76, v56, -v22
	v_fmac_f32_e32 v23, v77, v56
	v_sub_f32_e32 v22, v3, v22
	v_sub_f32_e32 v23, v2, v23
	ds_read_b64 v[2:3], v118 offset:216
	v_mov_b32_e32 v56, v35
	v_mov_b32_e32 v57, v30
	v_mov_b32_e32 v50, v34
	v_mov_b32_e32 v51, v31
	s_waitcnt lgkmcnt(0)
	v_mul_f32_e32 v26, v3, v59
	v_fma_f32 v26, v2, v58, -v26
	v_mul_f32_e32 v2, v2, v59
	v_fmac_f32_e32 v2, v3, v58
	v_sub_f32_e32 v3, v22, v26
	v_sub_f32_e32 v2, v23, v2
	v_mul_f32_e32 v22, v81, v53
	v_mul_f32_e32 v23, v80, v53
	v_fma_f32 v22, v80, v52, -v22
	v_fmac_f32_e32 v23, v81, v52
	v_sub_f32_e32 v22, v3, v22
	v_sub_f32_e32 v23, v2, v23
	ds_read_b64 v[2:3], v119 offset:216
	v_mov_b32_e32 v53, v36
	s_waitcnt lgkmcnt(0)
	v_mul_f32_e32 v26, v3, v45
	v_fma_f32 v26, v2, v44, -v26
	v_mul_f32_e32 v2, v2, v45
	v_fmac_f32_e32 v2, v3, v44
	v_sub_f32_e32 v3, v22, v26
	v_sub_f32_e32 v2, v23, v2
	v_mul_f32_e32 v22, v85, v41
	v_mul_f32_e32 v23, v84, v41
	v_fma_f32 v22, v84, v40, -v22
	v_fmac_f32_e32 v23, v85, v40
	scratch_load_dwordx4 v[38:41], off, off offset:96
	ds_read_b64 v[26:27], v120 offset:216
	v_sub_f32_e32 v22, v3, v22
	v_sub_f32_e32 v3, v2, v23
	scratch_load_dwordx4 v[42:45], off, off offset:104
	s_waitcnt lgkmcnt(0)
	v_mul_f32_e32 v2, v27, v61
	v_fma_f32 v2, v26, v60, -v2
	v_mul_f32_e32 v23, v26, v61
	v_sub_f32_e32 v2, v22, v2
	v_mul_f32_e32 v22, v89, v63
	v_fmac_f32_e32 v23, v27, v60
	v_fma_f32 v22, v88, v62, -v22
	v_pk_add_f32 v[2:3], v[2:3], v[22:23] neg_lo:[0,1] neg_hi:[0,1]
	v_mul_f32_e32 v22, v31, v37
	v_fma_f32 v26, v30, v36, -v22
	v_mul_f32_e32 v27, v88, v63
	v_fmac_f32_e32 v27, v89, v62
	v_pk_add_f32 v[22:23], v[2:3], v[26:27] neg_lo:[0,1] neg_hi:[0,1]
	s_waitcnt vmcnt(2)
	v_mov_b32_e32 v36, v47
	v_mov_b32_e32 v52, v46
	v_pk_mul_f32 v[30:31], v[56:57], v[36:37]
	v_mov_b32_e32 v26, v49
	v_pk_fma_f32 v[36:37], v[34:35], v[46:47], v[30:31] neg_lo:[0,0,1] neg_hi:[0,0,1]
	v_pk_fma_f32 v[30:31], v[50:51], v[52:53], v[30:31]
	v_mov_b32_e32 v27, v47
	v_mov_b32_e32 v37, v31
	v_pk_add_f32 v[36:37], v[22:23], v[36:37] neg_lo:[0,1] neg_hi:[0,1]
	ds_read_b64 v[22:23], v112 offset:216
	v_mov_b32_e32 v57, v34
	v_mov_b32_e32 v2, v48
	;; [unrolled: 1-line block ×4, first 2 shown]
	s_waitcnt lgkmcnt(0)
	v_mov_b32_e32 v56, v23
	v_mov_b32_e32 v46, v22
	;; [unrolled: 1-line block ×3, first 2 shown]
	v_pk_mul_f32 v[26:27], v[56:57], v[26:27]
	scratch_load_dwordx4 v[50:53], off, off offset:112
	v_pk_fma_f32 v[2:3], v[46:47], v[2:3], v[26:27]
	s_waitcnt vmcnt(2)
	v_mov_b32_e32 v31, v38
	v_pk_fma_f32 v[34:35], v[22:23], v[30:31], v[26:27] neg_lo:[0,0,1] neg_hi:[0,0,1]
	v_mov_b32_e32 v48, v39
	v_mov_b32_e32 v35, v3
	v_pk_add_f32 v[26:27], v[36:37], v[34:35] neg_lo:[0,1] neg_hi:[0,1]
	v_mov_b32_e32 v34, v23
	v_mov_b32_e32 v35, v20
	v_pk_mul_f32 v[30:31], v[34:35], v[30:31]
	scratch_load_dwordx4 v[34:37], off, off offset:120
	v_mov_b32_e32 v2, v38
	v_mov_b32_e32 v3, v40
	;; [unrolled: 1-line block ×5, first 2 shown]
	v_pk_fma_f32 v[22:23], v[38:39], v[48:49], v[30:31] op_sel:[0,0,1] op_sel_hi:[1,1,0] neg_lo:[1,0,0] neg_hi:[1,0,0]
	v_pk_fma_f32 v[30:31], v[38:39], v[48:49], v[30:31] op_sel:[0,0,1] op_sel_hi:[1,1,0]
	scratch_load_dwordx4 v[46:49], off, off offset:128
	v_mov_b32_e32 v23, v31
	v_pk_add_f32 v[30:31], v[26:27], v[22:23] neg_lo:[0,1] neg_hi:[0,1]
	ds_read_b64 v[26:27], v113 offset:216
	s_waitcnt vmcnt(3)
	v_mov_b32_e32 v23, v44
	v_mov_b32_e32 v44, v43
	;; [unrolled: 1-line block ×3, first 2 shown]
	s_waitcnt lgkmcnt(0)
	v_mov_b32_e32 v21, v27
	v_mov_b32_e32 v39, v26
	v_pk_mul_f32 v[20:21], v[20:21], v[40:41]
	s_nop 0
	v_pk_fma_f32 v[40:41], v[38:39], v[2:3], v[20:21] neg_lo:[0,0,1] neg_hi:[0,0,1]
	v_pk_fma_f32 v[2:3], v[38:39], v[2:3], v[20:21]
	s_waitcnt vmcnt(2)
	v_mov_b32_e32 v21, v52
	v_pk_mov_b32 v[2:3], v[40:41], v[2:3] op_sel:[1,0]
	scratch_load_dwordx4 v[38:41], off, off offset:136
	v_pk_add_f32 v[2:3], v[30:31], v[2:3] neg_lo:[0,1] neg_hi:[0,1]
	v_mov_b32_e32 v30, v27
	v_mov_b32_e32 v27, v19
	;; [unrolled: 1-line block ×3, first 2 shown]
	v_pk_mul_f32 v[26:27], v[26:27], v[44:45]
	v_mov_b32_e32 v52, v51
	v_pk_fma_f32 v[42:43], v[30:31], v[22:23], v[26:27] neg_lo:[0,0,1] neg_hi:[0,0,1]
	v_pk_fma_f32 v[22:23], v[30:31], v[22:23], v[26:27]
	v_mov_b32_e32 v30, v19
	v_pk_mov_b32 v[22:23], v[42:43], v[22:23] op_sel:[1,0]
	v_mov_b32_e32 v20, v50
	v_pk_add_f32 v[2:3], v[2:3], v[22:23] neg_lo:[0,1] neg_hi:[0,1]
	ds_read_b64 v[22:23], v114 offset:216
	s_waitcnt lgkmcnt(0)
	v_mov_b32_e32 v19, v23
	v_mov_b32_e32 v31, v22
	v_pk_mul_f32 v[18:19], v[18:19], v[52:53]
	s_waitcnt vmcnt(2)
	v_mov_b32_e32 v26, v34
	v_mov_b32_e32 v27, v36
	;; [unrolled: 1-line block ×3, first 2 shown]
	v_pk_fma_f32 v[34:35], v[30:31], v[20:21], v[18:19] neg_lo:[0,0,1] neg_hi:[0,0,1]
	v_pk_fma_f32 v[18:19], v[30:31], v[20:21], v[18:19]
	v_mov_b32_e32 v20, v23
	v_mov_b32_e32 v23, v25
	;; [unrolled: 1-line block ×3, first 2 shown]
	v_pk_mul_f32 v[22:23], v[22:23], v[36:37]
	v_pk_mov_b32 v[18:19], v[34:35], v[18:19] op_sel:[1,0]
	v_pk_fma_f32 v[30:31], v[20:21], v[26:27], v[22:23] neg_lo:[0,0,1] neg_hi:[0,0,1]
	v_pk_fma_f32 v[20:21], v[20:21], v[26:27], v[22:23]
	v_pk_add_f32 v[2:3], v[2:3], v[18:19] neg_lo:[0,1] neg_hi:[0,1]
	v_pk_mov_b32 v[20:21], v[30:31], v[20:21] op_sel:[1,0]
	s_waitcnt vmcnt(1)
	v_mov_b32_e32 v19, v48
	v_pk_add_f32 v[2:3], v[2:3], v[20:21] neg_lo:[0,1] neg_hi:[0,1]
	ds_read_b64 v[20:21], v115 offset:216
	v_mov_b32_e32 v48, v47
	v_mov_b32_e32 v26, v25
	;; [unrolled: 1-line block ×3, first 2 shown]
	s_waitcnt lgkmcnt(0)
	v_mov_b32_e32 v25, v21
	v_mov_b32_e32 v27, v20
	v_pk_mul_f32 v[24:25], v[24:25], v[48:49]
	s_waitcnt vmcnt(0)
	v_mov_b32_e32 v30, v39
	v_pk_fma_f32 v[34:35], v[26:27], v[18:19], v[24:25] neg_lo:[0,0,1] neg_hi:[0,0,1]
	v_pk_fma_f32 v[18:19], v[26:27], v[18:19], v[24:25]
	v_mov_b32_e32 v31, v41
	v_pk_mov_b32 v[18:19], v[34:35], v[18:19] op_sel:[1,0]
	v_mov_b32_e32 v22, v38
	v_pk_add_f32 v[2:3], v[2:3], v[18:19] neg_lo:[0,1] neg_hi:[0,1]
	v_mov_b32_e32 v18, v21
	v_mov_b32_e32 v21, v29
	;; [unrolled: 1-line block ×4, first 2 shown]
	v_pk_mul_f32 v[20:21], v[20:21], v[30:31]
	s_nop 0
	v_pk_fma_f32 v[24:25], v[18:19], v[22:23], v[20:21] neg_lo:[0,0,1] neg_hi:[0,0,1]
	v_pk_fma_f32 v[18:19], v[18:19], v[22:23], v[20:21]
	v_mov_b32_e32 v20, v28
	v_pk_mov_b32 v[18:19], v[24:25], v[18:19] op_sel:[1,0]
	v_mov_b32_e32 v22, v41
	v_pk_add_f32 v[2:3], v[2:3], v[18:19] neg_lo:[0,1] neg_hi:[0,1]
	ds_read_b64 v[18:19], v117 offset:216
	v_mov_b32_e32 v23, v11
	v_mov_b32_e32 v41, v10
	s_waitcnt lgkmcnt(0)
	v_mov_b32_e32 v21, v18
	v_pk_mul_f32 v[20:21], v[20:21], v[22:23]
	v_mov_b32_e32 v22, v29
	v_mov_b32_e32 v23, v19
	v_mul_f32_e32 v11, v19, v11
	v_pk_fma_f32 v[20:21], v[22:23], v[40:41], v[20:21]
	v_fma_f32 v10, v18, v10, -v11
	v_sub_f32_e32 v2, v2, v10
	v_sub_f32_e32 v3, v3, v20
	v_mul_f32_e32 v10, v33, v13
	v_mul_f32_e32 v11, v32, v13
	v_sub_f32_e32 v3, v3, v21
	v_fma_f32 v10, v32, v12, -v10
	v_fmac_f32_e32 v11, v33, v12
	v_sub_f32_e32 v10, v2, v10
	v_sub_f32_e32 v11, v3, v11
	ds_read_b64 v[2:3], v121 offset:216
	s_waitcnt lgkmcnt(0)
	v_mul_f32_e32 v12, v3, v9
	v_mul_f32_e32 v9, v2, v9
	v_fmac_f32_e32 v9, v3, v8
	v_fma_f32 v12, v2, v8, -v12
	v_sub_f32_e32 v3, v11, v9
	scratch_load_dwordx2 v[8:9], off, off offset:176
	v_sub_f32_e32 v2, v10, v12
	s_waitcnt vmcnt(0)
	v_mul_f32_e32 v10, v17, v9
	v_mul_f32_e32 v9, v16, v9
	v_fmac_f32_e32 v9, v17, v8
	v_fma_f32 v10, v16, v8, -v10
	v_sub_f32_e32 v3, v3, v9
	ds_read_b64 v[8:9], v94 offset:216
	v_sub_f32_e32 v2, v2, v10
	s_waitcnt lgkmcnt(0)
	v_mul_f32_e32 v10, v9, v55
	v_fma_f32 v10, v8, v54, -v10
	v_mul_f32_e32 v8, v8, v55
	v_fmac_f32_e32 v8, v9, v54
	v_sub_f32_e32 v3, v3, v8
	v_mul_f32_e32 v8, v7, v91
	v_sub_f32_e32 v2, v2, v10
	v_fma_f32 v8, v6, v90, -v8
	v_mul_f32_e32 v6, v6, v91
	v_fmac_f32_e32 v6, v7, v90
	v_sub_f32_e32 v7, v2, v8
	v_mov_b32_e32 v2, s5
	v_sub_f32_e32 v6, v3, v6
	ds_read_b64 v[2:3], v2 offset:216
	s_mul_i32 s5, s6, 0x108
	s_waitcnt lgkmcnt(0)
	v_mul_f32_e32 v8, v3, v93
	v_fma_f32 v8, v2, v92, -v8
	v_mul_f32_e32 v2, v2, v93
	v_fmac_f32_e32 v2, v3, v92
	v_sub_f32_e32 v6, v6, v2
	v_mul_f32_e32 v2, v5, v15
	v_sub_f32_e32 v3, v7, v8
	v_fma_f32 v2, v4, v14, -v2
	v_mul_f32_e32 v4, v4, v15
	v_fmac_f32_e32 v4, v5, v14
	v_sub_f32_e32 v2, v3, v2
	v_mov_b32_e32 v3, s5
	v_sub_f32_e32 v4, v6, v4
	ds_read_b64 v[6:7], v3
	s_waitcnt lgkmcnt(0)
	v_pk_mul_f32 v[4:5], v[6:7], v[4:5] op_sel:[1,0] op_sel_hi:[0,0]
	v_pk_fma_f32 v[8:9], v[6:7], v[2:3], v[4:5] neg_lo:[0,0,1] neg_hi:[0,0,1]
	v_pk_fma_f32 v[2:3], v[6:7], v[2:3], v[4:5] op_sel_hi:[1,0,1]
	s_nop 0
	v_mov_b32_e32 v9, v3
	ds_write_b64 v110, v[8:9]
.LBB170_66:
	s_cmp_ge_i32 s7, s28
	s_cbranch_scc1 .LBB170_73
; %bb.67:
	v_mov_b32_e32 v2, 0x2000
	s_lshl_b32 s4, s7, 3
	v_lshl_or_b32 v5, v0, 3, v2
	s_branch .LBB170_69
.LBB170_68:                             ;   in Loop: Header=BB170_69 Depth=1
	s_lshl_b32 s6, s7, 3
	s_add_i32 s5, s6, s5
	v_mov_b32_e32 v4, v3
	v_mov_b32_e32 v3, s5
	ds_read_b64 v[8:9], v3
	s_add_i32 s7, s7, 1
	s_add_i32 s4, s4, 8
	s_cmp_ge_i32 s7, s28
	s_waitcnt lgkmcnt(0)
	v_pk_mul_f32 v[10:11], v[8:9], v[4:5] op_sel:[1,0] op_sel_hi:[0,0]
	v_pk_fma_f32 v[12:13], v[8:9], v[2:3], v[10:11] op_sel_hi:[1,0,1] neg_lo:[0,0,1] neg_hi:[0,0,1]
	v_pk_fma_f32 v[2:3], v[8:9], v[2:3], v[10:11] op_sel_hi:[1,0,1]
	s_nop 0
	v_mov_b32_e32 v13, v3
	scratch_store_dwordx2 off, v[12:13], off
	ds_write_b64 v6, v[12:13]
	s_cbranch_scc1 .LBB170_73
.LBB170_69:                             ; =>This Loop Header: Depth=1
                                        ;     Child Loop BB170_71 Depth 2
	s_lshl_b32 s5, s7, 8
	v_add_u32_e32 v6, s5, v1
	ds_read_b64 v[2:3], v6
	s_cmp_eq_u32 s7, 0
	s_waitcnt lgkmcnt(0)
	scratch_store_dwordx2 off, v[2:3], off
	s_cbranch_scc1 .LBB170_68
; %bb.70:                               ;   in Loop: Header=BB170_69 Depth=1
	v_mov_b32_e32 v4, v5
	s_mov_b32 s6, s4
	s_mov_b32 s10, s7
.LBB170_71:                             ;   Parent Loop BB170_69 Depth=1
                                        ; =>  This Inner Loop Header: Depth=2
	v_mov_b32_e32 v7, s6
	ds_read_b64 v[8:9], v4
	ds_read_b64 v[10:11], v7
	s_add_i32 s10, s10, -1
	s_addk_i32 s6, 0x100
	v_add_u32_e32 v4, 0x100, v4
	s_cmp_lg_u32 s10, 0
	s_waitcnt lgkmcnt(0)
	v_pk_mul_f32 v[12:13], v[10:11], v[8:9] op_sel:[1,1] op_sel_hi:[0,1]
	v_pk_fma_f32 v[14:15], v[10:11], v[8:9], v[12:13] neg_lo:[0,0,1] neg_hi:[0,0,1]
	v_pk_fma_f32 v[8:9], v[10:11], v[8:9], v[12:13] op_sel_hi:[1,0,1]
	s_nop 0
	v_mov_b32_e32 v15, v9
	v_pk_add_f32 v[2:3], v[2:3], v[14:15] neg_lo:[0,1] neg_hi:[0,1]
	s_cbranch_scc1 .LBB170_71
; %bb.72:                               ;   in Loop: Header=BB170_69 Depth=1
	scratch_store_dwordx2 off, v[2:3], off
	s_branch .LBB170_68
.LBB170_73:
	s_waitcnt lgkmcnt(0)
	; wave barrier
	s_and_saveexec_b64 s[4:5], s[0:1]
	s_cbranch_execz .LBB170_77
; %bb.74:
	s_andn2_b64 vcc, exec, s[8:9]
	s_cbranch_vccnz .LBB170_77
; %bb.75:
	v_mad_i64_i32 v[2:3], s[0:1], s29, v0, 0
	v_mov_b32_e32 v1, 0x2000
	v_lshl_add_u64 v[2:3], v[2:3], 3, s[2:3]
	v_lshl_or_b32 v0, v0, 3, v1
.LBB170_76:                             ; =>This Inner Loop Header: Depth=1
	ds_read_b64 v[4:5], v0
	s_add_i32 s28, s28, -1
	v_add_u32_e32 v0, 0x100, v0
	s_cmp_lg_u32 s28, 0
	s_waitcnt lgkmcnt(0)
	flat_store_dwordx2 v[2:3], v[4:5]
	v_lshl_add_u64 v[2:3], v[2:3], 0, 8
	s_cbranch_scc1 .LBB170_76
.LBB170_77:
	s_endpgm
	.section	.rodata,"a",@progbits
	.p2align	6, 0x0
	.amdhsa_kernel _ZL38rocblas_trsm_small_left_device_sharedBILi32ELi32ELb1E19rocblas_complex_numIfES1_PKPKS1_PKPS1_Ev13rocblas_fill_18rocblas_operation_17rocblas_diagonal_iiT3_T4_lilT5_lili
		.amdhsa_group_segment_fixed_size 16384
		.amdhsa_private_segment_fixed_size 192
		.amdhsa_kernarg_size 360
		.amdhsa_user_sgpr_count 2
		.amdhsa_user_sgpr_dispatch_ptr 0
		.amdhsa_user_sgpr_queue_ptr 0
		.amdhsa_user_sgpr_kernarg_segment_ptr 1
		.amdhsa_user_sgpr_dispatch_id 0
		.amdhsa_user_sgpr_kernarg_preload_length 0
		.amdhsa_user_sgpr_kernarg_preload_offset 0
		.amdhsa_user_sgpr_private_segment_size 0
		.amdhsa_uses_dynamic_stack 0
		.amdhsa_enable_private_segment 1
		.amdhsa_system_sgpr_workgroup_id_x 1
		.amdhsa_system_sgpr_workgroup_id_y 0
		.amdhsa_system_sgpr_workgroup_id_z 1
		.amdhsa_system_sgpr_workgroup_info 0
		.amdhsa_system_vgpr_workitem_id 0
		.amdhsa_next_free_vgpr 180
		.amdhsa_next_free_sgpr 96
		.amdhsa_accum_offset 180
		.amdhsa_reserve_vcc 1
		.amdhsa_float_round_mode_32 0
		.amdhsa_float_round_mode_16_64 0
		.amdhsa_float_denorm_mode_32 3
		.amdhsa_float_denorm_mode_16_64 3
		.amdhsa_dx10_clamp 1
		.amdhsa_ieee_mode 1
		.amdhsa_fp16_overflow 0
		.amdhsa_tg_split 0
		.amdhsa_exception_fp_ieee_invalid_op 0
		.amdhsa_exception_fp_denorm_src 0
		.amdhsa_exception_fp_ieee_div_zero 0
		.amdhsa_exception_fp_ieee_overflow 0
		.amdhsa_exception_fp_ieee_underflow 0
		.amdhsa_exception_fp_ieee_inexact 0
		.amdhsa_exception_int_div_zero 0
	.end_amdhsa_kernel
	.section	.text._ZL38rocblas_trsm_small_left_device_sharedBILi32ELi32ELb1E19rocblas_complex_numIfES1_PKPKS1_PKPS1_Ev13rocblas_fill_18rocblas_operation_17rocblas_diagonal_iiT3_T4_lilT5_lili,"axG",@progbits,_ZL38rocblas_trsm_small_left_device_sharedBILi32ELi32ELb1E19rocblas_complex_numIfES1_PKPKS1_PKPS1_Ev13rocblas_fill_18rocblas_operation_17rocblas_diagonal_iiT3_T4_lilT5_lili,comdat
.Lfunc_end170:
	.size	_ZL38rocblas_trsm_small_left_device_sharedBILi32ELi32ELb1E19rocblas_complex_numIfES1_PKPKS1_PKPS1_Ev13rocblas_fill_18rocblas_operation_17rocblas_diagonal_iiT3_T4_lilT5_lili, .Lfunc_end170-_ZL38rocblas_trsm_small_left_device_sharedBILi32ELi32ELb1E19rocblas_complex_numIfES1_PKPKS1_PKPS1_Ev13rocblas_fill_18rocblas_operation_17rocblas_diagonal_iiT3_T4_lilT5_lili
                                        ; -- End function
	.set _ZL38rocblas_trsm_small_left_device_sharedBILi32ELi32ELb1E19rocblas_complex_numIfES1_PKPKS1_PKPS1_Ev13rocblas_fill_18rocblas_operation_17rocblas_diagonal_iiT3_T4_lilT5_lili.num_vgpr, 180
	.set _ZL38rocblas_trsm_small_left_device_sharedBILi32ELi32ELb1E19rocblas_complex_numIfES1_PKPKS1_PKPS1_Ev13rocblas_fill_18rocblas_operation_17rocblas_diagonal_iiT3_T4_lilT5_lili.num_agpr, 0
	.set _ZL38rocblas_trsm_small_left_device_sharedBILi32ELi32ELb1E19rocblas_complex_numIfES1_PKPKS1_PKPS1_Ev13rocblas_fill_18rocblas_operation_17rocblas_diagonal_iiT3_T4_lilT5_lili.numbered_sgpr, 30
	.set _ZL38rocblas_trsm_small_left_device_sharedBILi32ELi32ELb1E19rocblas_complex_numIfES1_PKPKS1_PKPS1_Ev13rocblas_fill_18rocblas_operation_17rocblas_diagonal_iiT3_T4_lilT5_lili.num_named_barrier, 0
	.set _ZL38rocblas_trsm_small_left_device_sharedBILi32ELi32ELb1E19rocblas_complex_numIfES1_PKPKS1_PKPS1_Ev13rocblas_fill_18rocblas_operation_17rocblas_diagonal_iiT3_T4_lilT5_lili.private_seg_size, 192
	.set _ZL38rocblas_trsm_small_left_device_sharedBILi32ELi32ELb1E19rocblas_complex_numIfES1_PKPKS1_PKPS1_Ev13rocblas_fill_18rocblas_operation_17rocblas_diagonal_iiT3_T4_lilT5_lili.uses_vcc, 1
	.set _ZL38rocblas_trsm_small_left_device_sharedBILi32ELi32ELb1E19rocblas_complex_numIfES1_PKPKS1_PKPS1_Ev13rocblas_fill_18rocblas_operation_17rocblas_diagonal_iiT3_T4_lilT5_lili.uses_flat_scratch, 0
	.set _ZL38rocblas_trsm_small_left_device_sharedBILi32ELi32ELb1E19rocblas_complex_numIfES1_PKPKS1_PKPS1_Ev13rocblas_fill_18rocblas_operation_17rocblas_diagonal_iiT3_T4_lilT5_lili.has_dyn_sized_stack, 0
	.set _ZL38rocblas_trsm_small_left_device_sharedBILi32ELi32ELb1E19rocblas_complex_numIfES1_PKPKS1_PKPS1_Ev13rocblas_fill_18rocblas_operation_17rocblas_diagonal_iiT3_T4_lilT5_lili.has_recursion, 0
	.set _ZL38rocblas_trsm_small_left_device_sharedBILi32ELi32ELb1E19rocblas_complex_numIfES1_PKPKS1_PKPS1_Ev13rocblas_fill_18rocblas_operation_17rocblas_diagonal_iiT3_T4_lilT5_lili.has_indirect_call, 0
	.section	.AMDGPU.csdata,"",@progbits
; Kernel info:
; codeLenInByte = 112660
; TotalNumSgprs: 36
; NumVgprs: 180
; NumAgprs: 0
; TotalNumVgprs: 180
; ScratchSize: 192
; MemoryBound: 0
; FloatMode: 240
; IeeeMode: 1
; LDSByteSize: 16384 bytes/workgroup (compile time only)
; SGPRBlocks: 12
; VGPRBlocks: 22
; NumSGPRsForWavesPerEU: 102
; NumVGPRsForWavesPerEU: 180
; AccumOffset: 180
; Occupancy: 2
; WaveLimiterHint : 1
; COMPUTE_PGM_RSRC2:SCRATCH_EN: 1
; COMPUTE_PGM_RSRC2:USER_SGPR: 2
; COMPUTE_PGM_RSRC2:TRAP_HANDLER: 0
; COMPUTE_PGM_RSRC2:TGID_X_EN: 1
; COMPUTE_PGM_RSRC2:TGID_Y_EN: 0
; COMPUTE_PGM_RSRC2:TGID_Z_EN: 1
; COMPUTE_PGM_RSRC2:TIDIG_COMP_CNT: 0
; COMPUTE_PGM_RSRC3_GFX90A:ACCUM_OFFSET: 44
; COMPUTE_PGM_RSRC3_GFX90A:TG_SPLIT: 0
	.section	.text._ZL30rocblas_trsm_small_left_deviceILi32ELi32ELb1E19rocblas_complex_numIfES1_PKPKS1_PKPS1_Ev13rocblas_fill_18rocblas_operation_17rocblas_diagonal_iiT3_T4_lilT5_lili,"axG",@progbits,_ZL30rocblas_trsm_small_left_deviceILi32ELi32ELb1E19rocblas_complex_numIfES1_PKPKS1_PKPS1_Ev13rocblas_fill_18rocblas_operation_17rocblas_diagonal_iiT3_T4_lilT5_lili,comdat
	.globl	_ZL30rocblas_trsm_small_left_deviceILi32ELi32ELb1E19rocblas_complex_numIfES1_PKPKS1_PKPS1_Ev13rocblas_fill_18rocblas_operation_17rocblas_diagonal_iiT3_T4_lilT5_lili ; -- Begin function _ZL30rocblas_trsm_small_left_deviceILi32ELi32ELb1E19rocblas_complex_numIfES1_PKPKS1_PKPS1_Ev13rocblas_fill_18rocblas_operation_17rocblas_diagonal_iiT3_T4_lilT5_lili
	.p2align	8
	.type	_ZL30rocblas_trsm_small_left_deviceILi32ELi32ELb1E19rocblas_complex_numIfES1_PKPKS1_PKPS1_Ev13rocblas_fill_18rocblas_operation_17rocblas_diagonal_iiT3_T4_lilT5_lili,@function
_ZL30rocblas_trsm_small_left_deviceILi32ELi32ELb1E19rocblas_complex_numIfES1_PKPKS1_PKPS1_Ev13rocblas_fill_18rocblas_operation_17rocblas_diagonal_iiT3_T4_lilT5_lili: ; @_ZL30rocblas_trsm_small_left_deviceILi32ELi32ELb1E19rocblas_complex_numIfES1_PKPKS1_PKPS1_Ev13rocblas_fill_18rocblas_operation_17rocblas_diagonal_iiT3_T4_lilT5_lili
; %bb.0:
	s_load_dwordx4 s[8:11], s[0:1], 0x40
	s_load_dwordx4 s[4:7], s[0:1], 0x4
	s_load_dwordx2 s[12:13], s[0:1], 0x14
	s_mov_b32 s14, s3
	s_mov_b32 s15, 0
	s_lshl_b64 s[18:19], s[14:15], 3
	s_waitcnt lgkmcnt(0)
	s_add_u32 s8, s8, s18
	s_addc_u32 s9, s9, s19
	s_load_dword s3, s[0:1], 0x68
	s_min_i32 s30, s6, 32
	s_load_dwordx2 s[8:9], s[8:9], 0x0
	v_cmp_gt_i32_e32 vcc, s30, v0
	s_and_saveexec_b64 s[14:15], vcc
	s_cbranch_execz .LBB171_15
; %bb.1:
	s_load_dword s24, s[0:1], 0x30
	s_load_dwordx4 s[20:23], s[0:1], 0x20
	v_lshlrev_b32_e32 v2, 3, v0
	v_mov_b32_e32 v3, 0
	v_mov_b32_e32 v1, v2
	s_waitcnt lgkmcnt(0)
	s_ashr_i32 s25, s24, 31
	s_cmpk_lg_i32 s4, 0x71
	s_cselect_b64 s[16:17], -1, 0
	s_add_u32 s18, s20, s18
	s_addc_u32 s19, s21, s19
	s_load_dwordx2 s[18:19], s[18:19], 0x0
	s_lshl_b64 s[20:21], s[22:23], 3
	s_mov_b32 s6, s30
	s_waitcnt lgkmcnt(0)
	s_add_u32 s20, s18, s20
	s_addc_u32 s21, s19, s21
	s_lshl_b64 s[18:19], s[24:25], 3
	v_lshl_add_u64 v[4:5], s[20:21], 0, v[2:3]
	s_branch .LBB171_3
.LBB171_2:                              ;   in Loop: Header=BB171_3 Depth=1
	flat_load_dword v6, v[4:5]
	s_add_i32 s6, s6, -1
	v_lshl_add_u64 v[4:5], v[4:5], 0, s[18:19]
	s_cmp_eq_u32 s6, 0
	s_waitcnt vmcnt(0) lgkmcnt(0)
	ds_write_b64 v1, v[6:7]
	v_add_u32_e32 v1, 0x100, v1
	s_cbranch_scc1 .LBB171_7
.LBB171_3:                              ; =>This Inner Loop Header: Depth=1
	s_mov_b64 s[20:21], -1
	s_and_b64 vcc, exec, s[16:17]
                                        ; implicit-def: $vgpr7
	s_cbranch_vccz .LBB171_5
; %bb.4:                                ;   in Loop: Header=BB171_3 Depth=1
	flat_load_dword v7, v[4:5] offset:4
	s_mov_b64 s[20:21], 0
.LBB171_5:                              ;   in Loop: Header=BB171_3 Depth=1
	s_andn2_b64 vcc, exec, s[20:21]
	s_cbranch_vccnz .LBB171_2
; %bb.6:                                ;   in Loop: Header=BB171_3 Depth=1
	flat_load_dword v3, v[4:5] offset:4
	s_waitcnt vmcnt(0) lgkmcnt(0)
	v_xor_b32_e32 v7, 0x80000000, v3
	s_branch .LBB171_2
.LBB171_7:
	s_cmpk_lg_i32 s5, 0x84
	v_lshlrev_b32_e32 v1, 8, v0
	s_mov_b64 s[16:17], -1
	s_cbranch_scc0 .LBB171_13
; %bb.8:
	v_add_u32_e32 v3, v2, v1
	ds_read_b64 v[4:5], v3
                                        ; implicit-def: $vgpr6_vgpr7
	s_waitcnt lgkmcnt(0)
	v_cmp_ngt_f32_e64 s[16:17], |v4|, |v5|
	s_and_saveexec_b64 s[18:19], s[16:17]
	s_xor_b64 s[16:17], exec, s[18:19]
	s_cbranch_execz .LBB171_10
; %bb.9:
	v_div_scale_f32 v6, s[18:19], v5, v5, v4
	v_rcp_f32_e32 v7, v6
	v_div_scale_f32 v8, vcc, v4, v5, v4
	v_fma_f32 v9, -v6, v7, 1.0
	v_fmac_f32_e32 v7, v9, v7
	v_mul_f32_e32 v9, v8, v7
	v_fma_f32 v10, -v6, v9, v8
	v_fmac_f32_e32 v9, v10, v7
	v_fma_f32 v6, -v6, v9, v8
	v_div_fmas_f32 v6, v6, v7, v9
	v_div_fixup_f32 v6, v6, v5, v4
	v_fmac_f32_e32 v5, v4, v6
	v_div_scale_f32 v4, s[18:19], v5, v5, 1.0
	v_rcp_f32_e32 v7, v4
	s_mov_b32 s18, 0
	s_mov_b32 s19, -1.0
	v_fma_f32 v8, -v4, v7, 1.0
	v_fmac_f32_e32 v7, v8, v7
	v_div_scale_f32 v8, vcc, 1.0, v5, 1.0
	v_mul_f32_e32 v9, v8, v7
	v_fma_f32 v10, -v4, v9, v8
	v_fmac_f32_e32 v9, v10, v7
	v_fma_f32 v4, -v4, v9, v8
	v_div_fmas_f32 v4, v4, v7, v9
	v_mul_f32_e32 v7, 0, v6
	v_div_fixup_f32 v4, v4, v5, 1.0
	v_pk_add_f32 v[6:7], v[6:7], s[18:19]
	s_nop 0
	v_pk_mul_f32 v[6:7], v[6:7], v[4:5] op_sel_hi:[1,0]
                                        ; implicit-def: $vgpr4_vgpr5
.LBB171_10:
	s_andn2_saveexec_b64 s[16:17], s[16:17]
	s_cbranch_execz .LBB171_12
; %bb.11:
	v_div_scale_f32 v6, s[18:19], v4, v4, v5
	v_rcp_f32_e32 v7, v6
	v_div_scale_f32 v8, vcc, v5, v4, v5
	v_fma_f32 v9, -v6, v7, 1.0
	v_fmac_f32_e32 v7, v9, v7
	v_mul_f32_e32 v9, v8, v7
	v_fma_f32 v10, -v6, v9, v8
	v_fmac_f32_e32 v9, v10, v7
	v_fma_f32 v6, -v6, v9, v8
	v_div_fmas_f32 v6, v6, v7, v9
	v_div_fixup_f32 v7, v6, v4, v5
	v_fmac_f32_e32 v4, v5, v7
	v_div_scale_f32 v5, s[18:19], v4, v4, 1.0
	v_rcp_f32_e32 v6, v5
	s_nop 0
	v_fma_f32 v8, -v5, v6, 1.0
	v_fmac_f32_e32 v6, v8, v6
	v_div_scale_f32 v8, vcc, 1.0, v4, 1.0
	v_mul_f32_e32 v9, v8, v6
	v_fma_f32 v10, -v5, v9, v8
	v_fmac_f32_e32 v9, v10, v6
	v_fma_f32 v5, -v5, v9, v8
	v_div_fmas_f32 v5, v5, v6, v9
	v_div_fixup_f32 v4, v5, v4, 1.0
	v_mul_f32_e32 v5, 0, v7
	v_add_f32_e32 v6, 1.0, v5
	v_sub_f32_e32 v7, 0, v7
	v_pk_mul_f32 v[6:7], v[6:7], v[4:5] op_sel_hi:[1,0]
.LBB171_12:
	s_or_b64 exec, exec, s[16:17]
	s_mov_b64 s[16:17], 0
	ds_write_b64 v3, v[6:7]
.LBB171_13:
	s_and_b64 vcc, exec, s[16:17]
	s_cbranch_vccz .LBB171_15
; %bb.14:
	v_add_u32_e32 v1, v2, v1
	v_mov_b32_e32 v2, 1.0
	v_mov_b32_e32 v3, 0
	ds_write_b64 v1, v[2:3]
.LBB171_15:
	s_or_b64 exec, exec, s[14:15]
	s_lshl_b32 s5, s2, 5
	s_waitcnt lgkmcnt(0)
	s_add_i32 s3, s3, -1
	s_sub_i32 s6, s7, s5
	s_cmp_ge_u32 s2, s3
	s_cselect_b32 s2, s6, 32
	v_cmp_gt_i32_e32 vcc, s2, v0
	; wave barrier
	s_and_saveexec_b64 s[2:3], vcc
	s_cbranch_execz .LBB171_83
; %bb.16:
	s_load_dword s6, s[0:1], 0x50
	s_lshl_b64 s[2:3], s[10:11], 3
	s_add_u32 s0, s8, s2
	v_add_u32_e32 v0, s5, v0
	s_addc_u32 s1, s9, s3
	s_waitcnt lgkmcnt(0)
	v_mad_i64_i32 v[2:3], s[6:7], s6, v0, 0
	v_lshl_add_u64 v[0:1], v[2:3], 3, s[0:1]
	s_cmpk_eq_i32 s4, 0x6f
	s_mov_b64 s[0:1], -1
	s_cbranch_scc1 .LBB171_50
; %bb.17:
	s_add_i32 s31, s30, -1
	s_add_u32 s0, s8, s2
	s_addc_u32 s1, s9, s3
	s_lshl_b32 s33, s30, 3
	s_mov_b32 s15, 0
	s_mov_b32 s4, s12
	;; [unrolled: 1-line block ×7, first 2 shown]
	v_lshl_add_u64 v[4:5], v[2:3], 3, s[0:1]
	s_add_i32 s33, s33, -8
	s_mov_b32 s16, s15
	s_mov_b32 s18, s31
	s_branch .LBB171_19
.LBB171_18:                             ;   in Loop: Header=BB171_19 Depth=1
	s_cmp_lt_i32 s18, 0
	s_cselect_b64 s[0:1], -1, 0
	s_add_i32 s16, s16, 1
	s_cmp_eq_u32 s16, 3
	s_cselect_b64 s[20:21], -1, 0
	s_or_b64 s[0:1], s[0:1], s[20:21]
	s_andn2_b64 vcc, exec, s[0:1]
	s_cbranch_vccz .LBB171_49
.LBB171_19:                             ; =>This Loop Header: Depth=1
                                        ;     Child Loop BB171_22 Depth 2
                                        ;       Child Loop BB171_24 Depth 3
                                        ;       Child Loop BB171_28 Depth 3
	;; [unrolled: 1-line block ×3, first 2 shown]
                                        ;         Child Loop BB171_34 Depth 4
                                        ;         Child Loop BB171_40 Depth 4
                                        ;       Child Loop BB171_43 Depth 3
                                        ;         Child Loop BB171_45 Depth 4
	s_mov_b32 s17, s15
	s_lshl_b64 s[0:1], s[16:17], 2
	s_getpc_b64 s[20:21]
	s_add_u32 s20, s20, __const._ZL30rocblas_trsm_small_left_deviceILi32ELi32ELb1E19rocblas_complex_numIfES1_PKPKS1_PKPS1_Ev13rocblas_fill_18rocblas_operation_17rocblas_diagonal_iiT3_T4_lilT5_lili.step_sizes@rel32@lo+4
	s_addc_u32 s21, s21, __const._ZL30rocblas_trsm_small_left_deviceILi32ELi32ELb1E19rocblas_complex_numIfES1_PKPKS1_PKPS1_Ev13rocblas_fill_18rocblas_operation_17rocblas_diagonal_iiT3_T4_lilT5_lili.step_sizes@rel32@hi+12
	s_add_u32 s0, s20, s0
	s_addc_u32 s1, s21, s1
	s_load_dword s17, s[0:1], 0x0
	s_waitcnt lgkmcnt(0)
	s_add_i32 s34, s17, -1
	s_cmp_lt_i32 s18, s34
	s_cbranch_scc1 .LBB171_18
; %bb.20:                               ;   in Loop: Header=BB171_19 Depth=1
	s_max_i32 s35, s17, 1
	s_cmp_lg_u32 s16, 2
	s_cselect_b64 s[20:21], -1, 0
	s_and_b32 s36, s35, 0x7ffffffe
	s_cmp_lg_u32 s35, s36
	s_cselect_b64 s[22:23], -1, 0
	s_lshl_b32 s0, s18, 8
	s_add_i32 s37, s33, s0
	s_lshl_b32 s0, s17, 8
	v_cndmask_b32_e64 v6, 0, 1, s[20:21]
	s_sub_i32 s38, 0, s0
	s_mul_i32 s39, s18, 0x108
	s_mul_i32 s40, s17, 0xfffffef8
	v_cmp_ne_u32_e64 s[0:1], 1, v6
	s_branch .LBB171_22
.LBB171_21:                             ;   in Loop: Header=BB171_22 Depth=2
	s_sub_i32 s18, s18, s17
	s_add_i32 s37, s37, s38
	s_add_i32 s39, s39, s40
	s_cmp_lt_i32 s18, s34
	s_cbranch_scc1 .LBB171_18
.LBB171_22:                             ;   Parent Loop BB171_19 Depth=1
                                        ; =>  This Loop Header: Depth=2
                                        ;       Child Loop BB171_24 Depth 3
                                        ;       Child Loop BB171_28 Depth 3
                                        ;       Child Loop BB171_32 Depth 3
                                        ;         Child Loop BB171_34 Depth 4
                                        ;         Child Loop BB171_40 Depth 4
                                        ;       Child Loop BB171_43 Depth 3
                                        ;         Child Loop BB171_45 Depth 4
	s_and_b64 vcc, exec, s[0:1]
	s_cbranch_vccnz .LBB171_26
; %bb.23:                               ;   in Loop: Header=BB171_22 Depth=2
	s_mov_b32 s19, 0
	s_mov_b32 s26, s18
	s_mov_b32 s27, 1
	s_mov_b32 s28, 0
	s_mov_b32 s29, s36
.LBB171_24:                             ;   Parent Loop BB171_19 Depth=1
                                        ;     Parent Loop BB171_22 Depth=2
                                        ; =>    This Inner Loop Header: Depth=3
	s_sub_i32 s24, s18, s28
	s_sub_i32 s42, s26, s27
	s_ashr_i32 s25, s24, 31
	s_ashr_i32 s43, s42, 31
	v_lshl_add_u64 v[6:7], s[24:25], 3, v[0:1]
	v_lshl_add_u64 v[8:9], s[42:43], 3, v[0:1]
	flat_load_dwordx2 v[12:13], v[6:7]
	flat_load_dwordx2 v[10:11], v[8:9]
	s_add_i32 s28, s28, 2
	s_add_i32 s27, s27, 2
	s_add_i32 s29, s29, -2
	s_mov_b32 s14, s36
	s_mov_b64 s[24:25], s[22:23]
	s_waitcnt vmcnt(0) lgkmcnt(0)
	v_mov_b32_e32 v6, v12
	v_mov_b32_e32 v7, v10
	;; [unrolled: 1-line block ×3, first 2 shown]
	v_pk_mul_f32 v[8:9], v[10:11], s[6:7]
	v_pk_mul_f32 v[10:11], v[10:11], s[4:5]
	v_pk_fma_f32 v[12:13], v[6:7], s[4:5], v[8:9] neg_lo:[0,0,1] neg_hi:[0,0,1]
	v_pk_fma_f32 v[8:9], v[6:7], s[6:7], v[10:11]
	v_mov_b32_e32 v6, v12
	v_mov_b32_e32 v7, v8
	;; [unrolled: 1-line block ×3, first 2 shown]
	scratch_store_dwordx4 off, v[6:9], s19
	s_add_i32 s19, s19, 16
	s_cmp_lg_u32 s29, 0
	s_cbranch_scc1 .LBB171_24
; %bb.25:                               ;   in Loop: Header=BB171_22 Depth=2
	s_ashr_i32 s19, s18, 31
	s_and_b64 vcc, exec, s[24:25]
	s_cbranch_vccnz .LBB171_27
	s_branch .LBB171_29
.LBB171_26:                             ;   in Loop: Header=BB171_22 Depth=2
	s_mov_b32 s14, 0
	s_ashr_i32 s19, s18, 31
	s_cbranch_execz .LBB171_29
.LBB171_27:                             ;   in Loop: Header=BB171_22 Depth=2
	s_lshl_b64 s[26:27], s[18:19], 3
	s_sub_i32 s24, s35, s14
	s_lshl_b64 s[28:29], s[14:15], 3
	s_sub_u32 s26, s26, s28
	s_subb_u32 s27, s27, s29
	v_lshl_add_u64 v[6:7], v[4:5], 0, s[26:27]
	s_lshl_b32 s14, s14, 3
.LBB171_28:                             ;   Parent Loop BB171_19 Depth=1
                                        ;     Parent Loop BB171_22 Depth=2
                                        ; =>    This Inner Loop Header: Depth=3
	flat_load_dwordx2 v[8:9], v[6:7]
	s_add_i32 s24, s24, -1
	v_lshl_add_u64 v[6:7], v[6:7], 0, -8
	s_waitcnt vmcnt(0) lgkmcnt(0)
	v_pk_mul_f32 v[10:11], v[8:9], s[10:11] op_sel:[1,0]
	s_nop 0
	v_pk_fma_f32 v[12:13], v[8:9], s[12:13], v[10:11] neg_lo:[0,0,1] neg_hi:[0,0,1]
	v_pk_fma_f32 v[8:9], v[8:9], s[12:13], v[10:11] op_sel_hi:[0,1,1]
	v_mov_b32_e32 v13, v9
	scratch_store_dwordx2 off, v[12:13], s14
	s_add_i32 s14, s14, 8
	s_cmp_eq_u32 s24, 0
	s_cbranch_scc0 .LBB171_28
.LBB171_29:                             ;   in Loop: Header=BB171_22 Depth=2
	s_cmp_le_i32 s31, s18
	s_cbranch_scc1 .LBB171_41
; %bb.30:                               ;   in Loop: Header=BB171_22 Depth=2
	s_mov_b32 s14, s18
	s_mov_b32 s41, s18
	s_mov_b32 s42, s37
	s_mov_b32 s24, s31
	s_branch .LBB171_32
.LBB171_31:                             ;   in Loop: Header=BB171_32 Depth=3
	s_add_i32 s24, s24, -1
	s_add_i32 s42, s42, -8
	s_cmp_le_i32 s24, s18
	s_cbranch_scc1 .LBB171_41
.LBB171_32:                             ;   Parent Loop BB171_19 Depth=1
                                        ;     Parent Loop BB171_22 Depth=2
                                        ; =>    This Loop Header: Depth=3
                                        ;         Child Loop BB171_34 Depth 4
                                        ;         Child Loop BB171_40 Depth 4
	s_ashr_i32 s25, s24, 31
	v_lshl_add_u64 v[6:7], s[24:25], 3, v[0:1]
	flat_load_dwordx2 v[6:7], v[6:7]
	s_and_b64 vcc, exec, s[20:21]
	s_cbranch_vccz .LBB171_36
; %bb.33:                               ;   in Loop: Header=BB171_32 Depth=3
	s_lshl_b32 s25, s24, 3
	s_waitcnt vmcnt(0) lgkmcnt(0)
	v_mov_b32_e32 v10, v6
	v_mov_b32_e32 v11, v6
	;; [unrolled: 1-line block ×3, first 2 shown]
	s_mov_b32 s26, 0
	v_mov_b32_e32 v12, v7
	v_mov_b32_e32 v13, v7
	s_mov_b32 s27, 1
	s_mov_b32 s28, 0
	;; [unrolled: 1-line block ×3, first 2 shown]
.LBB171_34:                             ;   Parent Loop BB171_19 Depth=1
                                        ;     Parent Loop BB171_22 Depth=2
                                        ;       Parent Loop BB171_32 Depth=3
                                        ; =>      This Inner Loop Header: Depth=4
	scratch_load_dwordx4 v[14:17], off, s26
	s_sub_i32 s43, s14, s28
	s_sub_i32 s44, s41, s27
	s_lshl_b32 s44, s44, 8
	s_lshl_b32 s43, s43, 8
	s_add_i32 s43, s25, s43
	s_add_i32 s44, s25, s44
	v_mov_b32_e32 v9, s43
	v_mov_b32_e32 v18, s44
	ds_read_b64 v[22:23], v9
	ds_read_b64 v[18:19], v18
	s_add_i32 s28, s28, 2
	s_add_i32 s27, s27, 2
	s_add_i32 s29, s29, -2
	s_waitcnt lgkmcnt(1)
	v_mov_b32_e32 v20, v22
	s_waitcnt lgkmcnt(0)
	v_mov_b32_e32 v21, v18
	v_mov_b32_e32 v18, v23
	v_pk_mul_f32 v[22:23], v[18:19], v[12:13]
	v_pk_mul_f32 v[18:19], v[18:19], v[10:11]
	v_pk_fma_f32 v[22:23], v[20:21], v[10:11], v[22:23] neg_lo:[0,0,1] neg_hi:[0,0,1]
	v_pk_fma_f32 v[18:19], v[20:21], v[12:13], v[18:19]
	s_waitcnt vmcnt(0)
	v_mov_b32_e32 v20, v14
	v_mov_b32_e32 v21, v16
	;; [unrolled: 1-line block ×3, first 2 shown]
	v_pk_add_f32 v[20:21], v[20:21], v[22:23] neg_lo:[0,1] neg_hi:[0,1]
	v_pk_add_f32 v[16:17], v[16:17], v[18:19] neg_lo:[0,1] neg_hi:[0,1]
	v_mov_b32_e32 v14, v20
	v_mov_b32_e32 v15, v16
	;; [unrolled: 1-line block ×3, first 2 shown]
	scratch_store_dwordx4 off, v[14:17], s26
	s_add_i32 s26, s26, 16
	s_cmp_lg_u32 s29, 0
	s_cbranch_scc1 .LBB171_34
; %bb.35:                               ;   in Loop: Header=BB171_32 Depth=3
	s_mov_b64 s[26:27], s[22:23]
	s_mov_b32 s28, s36
	s_branch .LBB171_38
.LBB171_36:                             ;   in Loop: Header=BB171_32 Depth=3
	s_waitcnt vmcnt(0) lgkmcnt(0)
	v_mov_b32_e32 v8, v7
	s_mov_b64 s[26:27], 0
	s_mov_b32 s28, s36
	s_cbranch_execz .LBB171_38
; %bb.37:                               ;   in Loop: Header=BB171_32 Depth=3
	s_mov_b64 s[26:27], -1
	s_mov_b32 s28, 0
.LBB171_38:                             ;   in Loop: Header=BB171_32 Depth=3
	s_andn2_b64 vcc, exec, s[26:27]
	s_cbranch_vccnz .LBB171_31
; %bb.39:                               ;   in Loop: Header=BB171_32 Depth=3
	s_lshl_b32 s26, s28, 8
	v_mov_b32_e32 v9, v7
	v_mov_b32_e32 v7, v6
	s_sub_i32 s25, s35, s28
	s_sub_i32 s26, s42, s26
	s_lshl_b32 s27, s28, 3
.LBB171_40:                             ;   Parent Loop BB171_19 Depth=1
                                        ;     Parent Loop BB171_22 Depth=2
                                        ;       Parent Loop BB171_32 Depth=3
                                        ; =>      This Inner Loop Header: Depth=4
	scratch_load_dwordx2 v[10:11], off, s27
	v_mov_b32_e32 v12, s26
	ds_read_b64 v[12:13], v12
	s_add_i32 s25, s25, -1
	s_addk_i32 s26, 0xff00
	s_waitcnt lgkmcnt(0)
	v_pk_mul_f32 v[14:15], v[12:13], v[8:9] op_sel:[1,0] op_sel_hi:[0,1]
	v_pk_fma_f32 v[16:17], v[12:13], v[6:7], v[14:15] neg_lo:[0,0,1] neg_hi:[0,0,1]
	v_pk_fma_f32 v[12:13], v[12:13], v[6:7], v[14:15]
	s_nop 0
	v_mov_b32_e32 v17, v13
	s_waitcnt vmcnt(0)
	v_pk_add_f32 v[10:11], v[10:11], v[16:17] neg_lo:[0,1] neg_hi:[0,1]
	scratch_store_dwordx2 off, v[10:11], s27
	s_add_i32 s27, s27, 8
	s_cmp_eq_u32 s25, 0
	s_cbranch_scc0 .LBB171_40
	s_branch .LBB171_31
.LBB171_41:                             ;   in Loop: Header=BB171_22 Depth=2
	s_mov_b32 s14, 0
	s_mov_b32 s41, s39
	s_branch .LBB171_43
.LBB171_42:                             ;   in Loop: Header=BB171_43 Depth=3
	s_mulk_i32 s26, 0x108
	v_mov_b32_e32 v7, s26
	ds_read_b64 v[10:11], v7
	s_lshl_b32 s26, s14, 3
	s_add_i32 s14, s14, 1
	s_addk_i32 s41, 0xff00
	v_lshl_add_u64 v[12:13], s[24:25], 3, v[0:1]
	s_waitcnt lgkmcnt(0)
	v_pk_mul_f32 v[8:9], v[10:11], v[8:9] op_sel:[1,0] op_sel_hi:[0,0]
	v_pk_fma_f32 v[14:15], v[10:11], v[6:7], v[8:9] neg_lo:[0,0,1] neg_hi:[0,0,1]
	v_pk_fma_f32 v[6:7], v[10:11], v[6:7], v[8:9] op_sel_hi:[1,0,1]
	s_cmp_eq_u32 s14, s35
	v_mov_b32_e32 v15, v7
	scratch_store_dwordx2 off, v[14:15], s26
	flat_store_dwordx2 v[12:13], v[14:15]
	s_cbranch_scc1 .LBB171_21
.LBB171_43:                             ;   Parent Loop BB171_19 Depth=1
                                        ;     Parent Loop BB171_22 Depth=2
                                        ; =>    This Loop Header: Depth=3
                                        ;         Child Loop BB171_45 Depth 4
	s_cmp_lg_u32 s14, 0
	s_cbranch_scc0 .LBB171_47
; %bb.44:                               ;   in Loop: Header=BB171_43 Depth=3
	s_lshl_b32 s24, s14, 3
	scratch_load_dwordx2 v[6:7], off, s24
	s_mov_b32 s25, 0
	s_mov_b32 s26, s41
	;; [unrolled: 1-line block ×3, first 2 shown]
.LBB171_45:                             ;   Parent Loop BB171_19 Depth=1
                                        ;     Parent Loop BB171_22 Depth=2
                                        ;       Parent Loop BB171_43 Depth=3
                                        ; =>      This Inner Loop Header: Depth=4
	scratch_load_dwordx2 v[8:9], off, s25
	v_mov_b32_e32 v10, s26
	ds_read_b64 v[10:11], v10
	s_add_i32 s27, s27, -1
	s_add_i32 s26, s26, -8
	s_add_i32 s25, s25, 8
	s_cmp_eq_u32 s27, 0
	s_waitcnt vmcnt(0) lgkmcnt(0)
	v_pk_mul_f32 v[12:13], v[10:11], v[8:9] op_sel:[1,1] op_sel_hi:[0,1]
	v_pk_fma_f32 v[14:15], v[10:11], v[8:9], v[12:13] neg_lo:[0,0,1] neg_hi:[0,0,1]
	v_pk_fma_f32 v[8:9], v[10:11], v[8:9], v[12:13] op_sel_hi:[1,0,1]
	s_nop 0
	v_mov_b32_e32 v15, v9
	v_pk_add_f32 v[6:7], v[6:7], v[14:15] neg_lo:[0,1] neg_hi:[0,1]
	scratch_store_dwordx2 off, v[6:7], s24
	s_cbranch_scc0 .LBB171_45
; %bb.46:                               ;   in Loop: Header=BB171_43 Depth=3
	s_sub_i32 s26, s18, s14
	s_ashr_i32 s27, s26, 31
	v_mov_b32_e32 v8, v7
	s_mov_b64 s[24:25], s[26:27]
	s_branch .LBB171_42
.LBB171_47:                             ;   in Loop: Header=BB171_43 Depth=3
                                        ; implicit-def: $vgpr6
                                        ; implicit-def: $vgpr8
                                        ; implicit-def: $sgpr26
                                        ; implicit-def: $sgpr24_sgpr25
	s_cbranch_execz .LBB171_42
; %bb.48:                               ;   in Loop: Header=BB171_43 Depth=3
	scratch_load_dwordx2 v[6:7], off, off
	s_mov_b64 s[24:25], s[18:19]
	s_mov_b32 s26, s18
	s_waitcnt vmcnt(0)
	v_mov_b32_e32 v8, v7
	s_branch .LBB171_42
.LBB171_49:
	s_mov_b64 s[0:1], 0
.LBB171_50:
	s_and_b64 vcc, exec, s[0:1]
	s_cbranch_vccz .LBB171_83
; %bb.51:
	s_add_u32 s0, s8, s2
	s_addc_u32 s1, s9, s3
	s_mov_b32 s3, 0
	s_mov_b32 s4, s12
	;; [unrolled: 1-line block ×7, first 2 shown]
	v_lshl_add_u64 v[2:3], v[2:3], 3, s[0:1]
	s_mov_b32 s22, s3
	s_mov_b32 s8, s3
	s_branch .LBB171_53
.LBB171_52:                             ;   in Loop: Header=BB171_53 Depth=1
	s_cmp_ge_i32 s22, s30
	s_cselect_b64 s[0:1], -1, 0
	s_add_i32 s8, s8, 1
	s_cmp_eq_u32 s8, 3
	s_cselect_b64 s[14:15], -1, 0
	s_or_b64 s[0:1], s[0:1], s[14:15]
	s_and_b64 vcc, exec, s[0:1]
	s_cbranch_vccnz .LBB171_83
.LBB171_53:                             ; =>This Loop Header: Depth=1
                                        ;     Child Loop BB171_56 Depth 2
                                        ;       Child Loop BB171_58 Depth 3
                                        ;       Child Loop BB171_62 Depth 3
	;; [unrolled: 1-line block ×3, first 2 shown]
                                        ;         Child Loop BB171_68 Depth 4
                                        ;         Child Loop BB171_74 Depth 4
                                        ;       Child Loop BB171_77 Depth 3
                                        ;         Child Loop BB171_79 Depth 4
	s_mov_b32 s9, s3
	s_lshl_b64 s[0:1], s[8:9], 2
	s_getpc_b64 s[14:15]
	s_add_u32 s14, s14, __const._ZL30rocblas_trsm_small_left_deviceILi32ELi32ELb1E19rocblas_complex_numIfES1_PKPKS1_PKPS1_Ev13rocblas_fill_18rocblas_operation_17rocblas_diagonal_iiT3_T4_lilT5_lili.step_sizes@rel32@lo+4
	s_addc_u32 s15, s15, __const._ZL30rocblas_trsm_small_left_deviceILi32ELi32ELb1E19rocblas_complex_numIfES1_PKPKS1_PKPS1_Ev13rocblas_fill_18rocblas_operation_17rocblas_diagonal_iiT3_T4_lilT5_lili.step_sizes@rel32@hi+12
	s_add_u32 s0, s14, s0
	s_addc_u32 s1, s15, s1
	s_load_dword s9, s[0:1], 0x0
	s_waitcnt lgkmcnt(0)
	s_add_i32 s23, s9, -1
	s_add_i32 s0, s23, s22
	s_cmp_ge_i32 s0, s30
	s_cbranch_scc1 .LBB171_52
; %bb.54:                               ;   in Loop: Header=BB171_53 Depth=1
	s_max_i32 s24, s9, 1
	s_cmp_lg_u32 s8, 2
	s_cselect_b64 s[14:15], -1, 0
	s_and_b32 s25, s24, 0x7ffffffe
	s_cmp_lg_u32 s24, s25
	v_cndmask_b32_e64 v4, 0, 1, s[14:15]
	s_cselect_b64 s[16:17], -1, 0
	s_ashr_i32 s26, s22, 31
	s_ashr_i32 s27, s9, 31
	s_lshl_b32 s28, s22, 3
	s_lshl_b32 s29, s9, 3
	s_mul_i32 s31, s22, 0x108
	s_mul_i32 s33, s9, 0x108
	v_cmp_ne_u32_e64 s[0:1], 1, v4
	s_branch .LBB171_56
.LBB171_55:                             ;   in Loop: Header=BB171_56 Depth=2
	s_add_u32 s22, s22, s9
	s_addc_u32 s26, s26, s27
	s_add_i32 s2, s23, s22
	s_add_i32 s28, s28, s29
	;; [unrolled: 1-line block ×3, first 2 shown]
	s_cmp_ge_i32 s2, s30
	s_cbranch_scc1 .LBB171_52
.LBB171_56:                             ;   Parent Loop BB171_53 Depth=1
                                        ; =>  This Loop Header: Depth=2
                                        ;       Child Loop BB171_58 Depth 3
                                        ;       Child Loop BB171_62 Depth 3
	;; [unrolled: 1-line block ×3, first 2 shown]
                                        ;         Child Loop BB171_68 Depth 4
                                        ;         Child Loop BB171_74 Depth 4
                                        ;       Child Loop BB171_77 Depth 3
                                        ;         Child Loop BB171_79 Depth 4
	s_and_b64 vcc, exec, s[0:1]
	s_cbranch_vccnz .LBB171_60
; %bb.57:                               ;   in Loop: Header=BB171_56 Depth=2
	s_mov_b32 s2, 0
	s_mov_b32 s20, s22
	;; [unrolled: 1-line block ×6, first 2 shown]
.LBB171_58:                             ;   Parent Loop BB171_53 Depth=1
                                        ;     Parent Loop BB171_56 Depth=2
                                        ; =>    This Inner Loop Header: Depth=3
	s_add_i32 s18, s35, s20
	s_add_i32 s38, s34, s21
	s_ashr_i32 s19, s18, 31
	s_ashr_i32 s39, s38, 31
	v_lshl_add_u64 v[4:5], s[18:19], 3, v[0:1]
	v_lshl_add_u64 v[6:7], s[38:39], 3, v[0:1]
	flat_load_dwordx2 v[10:11], v[4:5]
	flat_load_dwordx2 v[8:9], v[6:7]
	s_add_i32 s35, s35, 2
	s_add_i32 s34, s34, 2
	s_add_i32 s36, s36, -2
	s_mov_b32 s37, s25
	s_mov_b64 s[18:19], s[16:17]
	s_waitcnt vmcnt(0) lgkmcnt(0)
	v_mov_b32_e32 v4, v10
	v_mov_b32_e32 v5, v8
	;; [unrolled: 1-line block ×3, first 2 shown]
	v_pk_mul_f32 v[6:7], v[8:9], s[6:7]
	v_pk_mul_f32 v[8:9], v[8:9], s[4:5]
	v_pk_fma_f32 v[10:11], v[4:5], s[4:5], v[6:7] neg_lo:[0,0,1] neg_hi:[0,0,1]
	v_pk_fma_f32 v[6:7], v[4:5], s[6:7], v[8:9]
	v_mov_b32_e32 v4, v10
	v_mov_b32_e32 v5, v6
	;; [unrolled: 1-line block ×3, first 2 shown]
	scratch_store_dwordx4 off, v[4:7], s2
	s_add_i32 s2, s2, 16
	s_cmp_lg_u32 s36, 0
	s_cbranch_scc1 .LBB171_58
; %bb.59:                               ;   in Loop: Header=BB171_56 Depth=2
	s_and_b64 vcc, exec, s[18:19]
	s_cbranch_vccnz .LBB171_61
	s_branch .LBB171_63
.LBB171_60:                             ;   in Loop: Header=BB171_56 Depth=2
	s_mov_b32 s37, 0
	s_cbranch_execz .LBB171_63
.LBB171_61:                             ;   in Loop: Header=BB171_56 Depth=2
	s_sub_i32 s2, s24, s37
	s_add_u32 s18, s22, s37
	s_addc_u32 s19, s26, 0
	v_lshl_add_u64 v[4:5], s[18:19], 3, v[2:3]
	s_lshl_b32 s18, s37, 3
.LBB171_62:                             ;   Parent Loop BB171_53 Depth=1
                                        ;     Parent Loop BB171_56 Depth=2
                                        ; =>    This Inner Loop Header: Depth=3
	flat_load_dwordx2 v[6:7], v[4:5]
	s_add_i32 s2, s2, -1
	v_lshl_add_u64 v[4:5], v[4:5], 0, 8
	s_waitcnt vmcnt(0) lgkmcnt(0)
	v_pk_mul_f32 v[8:9], v[6:7], s[10:11] op_sel:[1,0]
	s_nop 0
	v_pk_fma_f32 v[10:11], v[6:7], s[12:13], v[8:9] neg_lo:[0,0,1] neg_hi:[0,0,1]
	v_pk_fma_f32 v[6:7], v[6:7], s[12:13], v[8:9] op_sel_hi:[0,1,1]
	v_mov_b32_e32 v11, v7
	scratch_store_dwordx2 off, v[10:11], s18
	s_add_i32 s18, s18, 8
	s_cmp_eq_u32 s2, 0
	s_cbranch_scc0 .LBB171_62
.LBB171_63:                             ;   in Loop: Header=BB171_56 Depth=2
	s_cmp_lt_i32 s22, 1
	s_cbranch_scc1 .LBB171_75
; %bb.64:                               ;   in Loop: Header=BB171_56 Depth=2
	s_mov_b32 s2, 0
	s_mov_b32 s34, s28
	s_branch .LBB171_66
.LBB171_65:                             ;   in Loop: Header=BB171_66 Depth=3
	s_add_i32 s2, s2, 1
	s_addk_i32 s34, 0x100
	s_cmp_eq_u32 s2, s22
	s_cbranch_scc1 .LBB171_75
.LBB171_66:                             ;   Parent Loop BB171_53 Depth=1
                                        ;     Parent Loop BB171_56 Depth=2
                                        ; =>    This Loop Header: Depth=3
                                        ;         Child Loop BB171_68 Depth 4
                                        ;         Child Loop BB171_74 Depth 4
	v_lshl_add_u64 v[4:5], s[2:3], 3, v[0:1]
	flat_load_dwordx2 v[4:5], v[4:5]
	s_and_b64 vcc, exec, s[14:15]
	s_cbranch_vccz .LBB171_70
; %bb.67:                               ;   in Loop: Header=BB171_66 Depth=3
	s_waitcnt vmcnt(0) lgkmcnt(0)
	v_mov_b32_e32 v8, v4
	v_mov_b32_e32 v9, v4
	v_mov_b32_e32 v6, v5
	s_mov_b32 s18, 0
	v_mov_b32_e32 v10, v5
	v_mov_b32_e32 v11, v5
	s_mov_b32 s19, s25
	s_mov_b32 s20, s34
.LBB171_68:                             ;   Parent Loop BB171_53 Depth=1
                                        ;     Parent Loop BB171_56 Depth=2
                                        ;       Parent Loop BB171_66 Depth=3
                                        ; =>      This Inner Loop Header: Depth=4
	scratch_load_dwordx4 v[12:15], off, s18
	v_mov_b32_e32 v7, s20
	ds_read2_b64 v[16:19], v7 offset1:1
	s_add_i32 s20, s20, 16
	s_add_i32 s19, s19, -2
	s_waitcnt lgkmcnt(0)
	v_mov_b32_e32 v21, v18
	v_mov_b32_e32 v18, v17
	;; [unrolled: 1-line block ×3, first 2 shown]
	v_pk_mul_f32 v[16:17], v[18:19], v[10:11]
	v_pk_mul_f32 v[18:19], v[18:19], v[8:9]
	v_pk_fma_f32 v[16:17], v[20:21], v[8:9], v[16:17] neg_lo:[0,0,1] neg_hi:[0,0,1]
	v_pk_fma_f32 v[18:19], v[20:21], v[10:11], v[18:19]
	s_waitcnt vmcnt(0)
	v_mov_b32_e32 v20, v12
	v_mov_b32_e32 v21, v14
	;; [unrolled: 1-line block ×3, first 2 shown]
	v_pk_add_f32 v[16:17], v[20:21], v[16:17] neg_lo:[0,1] neg_hi:[0,1]
	v_pk_add_f32 v[14:15], v[14:15], v[18:19] neg_lo:[0,1] neg_hi:[0,1]
	v_mov_b32_e32 v12, v16
	v_mov_b32_e32 v13, v14
	;; [unrolled: 1-line block ×3, first 2 shown]
	scratch_store_dwordx4 off, v[12:15], s18
	s_add_i32 s18, s18, 16
	s_cmp_lg_u32 s19, 0
	s_cbranch_scc1 .LBB171_68
; %bb.69:                               ;   in Loop: Header=BB171_66 Depth=3
	s_mov_b64 s[18:19], s[16:17]
	s_mov_b32 s20, s25
	s_branch .LBB171_72
.LBB171_70:                             ;   in Loop: Header=BB171_66 Depth=3
	s_waitcnt vmcnt(0) lgkmcnt(0)
	v_mov_b32_e32 v6, v5
	s_mov_b64 s[18:19], 0
	s_mov_b32 s20, s25
	s_cbranch_execz .LBB171_72
; %bb.71:                               ;   in Loop: Header=BB171_66 Depth=3
	s_mov_b64 s[18:19], -1
	s_mov_b32 s20, 0
.LBB171_72:                             ;   in Loop: Header=BB171_66 Depth=3
	s_andn2_b64 vcc, exec, s[18:19]
	s_cbranch_vccnz .LBB171_65
; %bb.73:                               ;   in Loop: Header=BB171_66 Depth=3
	v_mov_b32_e32 v7, v5
	v_mov_b32_e32 v5, v4
	s_sub_i32 s18, s24, s20
	s_lshl_b32 s19, s20, 3
.LBB171_74:                             ;   Parent Loop BB171_53 Depth=1
                                        ;     Parent Loop BB171_56 Depth=2
                                        ;       Parent Loop BB171_66 Depth=3
                                        ; =>      This Inner Loop Header: Depth=4
	scratch_load_dwordx2 v[8:9], off, s19
	s_add_i32 s21, s34, s19
	v_mov_b32_e32 v10, s21
	ds_read_b64 v[10:11], v10
	s_mov_b32 s20, s19
	s_add_i32 s18, s18, -1
	s_add_i32 s19, s19, 8
	s_cmp_eq_u32 s18, 0
	s_waitcnt lgkmcnt(0)
	v_pk_mul_f32 v[12:13], v[10:11], v[6:7] op_sel:[1,0] op_sel_hi:[0,1]
	v_pk_fma_f32 v[14:15], v[10:11], v[4:5], v[12:13] neg_lo:[0,0,1] neg_hi:[0,0,1]
	v_pk_fma_f32 v[10:11], v[10:11], v[4:5], v[12:13]
	s_nop 0
	v_mov_b32_e32 v15, v11
	s_waitcnt vmcnt(0)
	v_pk_add_f32 v[8:9], v[8:9], v[14:15] neg_lo:[0,1] neg_hi:[0,1]
	scratch_store_dwordx2 off, v[8:9], s20
	s_cbranch_scc0 .LBB171_74
	s_branch .LBB171_65
.LBB171_75:                             ;   in Loop: Header=BB171_56 Depth=2
	s_mov_b32 s2, 0
	s_mov_b32 s20, s31
	s_branch .LBB171_77
.LBB171_76:                             ;   in Loop: Header=BB171_77 Depth=3
	s_add_i32 s18, s2, s22
	s_mul_i32 s19, s18, 0x108
	v_mov_b32_e32 v5, s19
	ds_read_b64 v[8:9], v5
	s_lshl_b32 s21, s2, 3
	s_ashr_i32 s19, s18, 31
	s_add_i32 s2, s2, 1
	s_add_i32 s20, s20, 8
	s_waitcnt lgkmcnt(0)
	v_pk_mul_f32 v[6:7], v[8:9], v[6:7] op_sel:[1,0] op_sel_hi:[0,0]
	v_pk_fma_f32 v[10:11], v[8:9], v[4:5], v[6:7] neg_lo:[0,0,1] neg_hi:[0,0,1]
	v_pk_fma_f32 v[4:5], v[8:9], v[4:5], v[6:7] op_sel_hi:[1,0,1]
	s_cmp_eq_u32 s2, s24
	v_mov_b32_e32 v11, v5
	v_lshl_add_u64 v[4:5], s[18:19], 3, v[0:1]
	scratch_store_dwordx2 off, v[10:11], s21
	flat_store_dwordx2 v[4:5], v[10:11]
	s_cbranch_scc1 .LBB171_55
.LBB171_77:                             ;   Parent Loop BB171_53 Depth=1
                                        ;     Parent Loop BB171_56 Depth=2
                                        ; =>    This Loop Header: Depth=3
                                        ;         Child Loop BB171_79 Depth 4
	s_cmp_lg_u32 s2, 0
	s_cbranch_scc0 .LBB171_81
; %bb.78:                               ;   in Loop: Header=BB171_77 Depth=3
	s_lshl_b32 s18, s2, 3
	scratch_load_dwordx2 v[4:5], off, s18
	s_mov_b32 s19, 0
	s_mov_b32 s21, s20
	;; [unrolled: 1-line block ×3, first 2 shown]
.LBB171_79:                             ;   Parent Loop BB171_53 Depth=1
                                        ;     Parent Loop BB171_56 Depth=2
                                        ;       Parent Loop BB171_77 Depth=3
                                        ; =>      This Inner Loop Header: Depth=4
	scratch_load_dwordx2 v[6:7], off, s19
	v_mov_b32_e32 v8, s21
	ds_read_b64 v[8:9], v8
	s_add_i32 s34, s34, -1
	s_addk_i32 s21, 0x100
	s_add_i32 s19, s19, 8
	s_cmp_eq_u32 s34, 0
	s_waitcnt vmcnt(0) lgkmcnt(0)
	v_pk_mul_f32 v[10:11], v[8:9], v[6:7] op_sel:[1,1] op_sel_hi:[0,1]
	v_pk_fma_f32 v[12:13], v[8:9], v[6:7], v[10:11] neg_lo:[0,0,1] neg_hi:[0,0,1]
	v_pk_fma_f32 v[6:7], v[8:9], v[6:7], v[10:11] op_sel_hi:[1,0,1]
	s_nop 0
	v_mov_b32_e32 v13, v7
	v_pk_add_f32 v[4:5], v[4:5], v[12:13] neg_lo:[0,1] neg_hi:[0,1]
	scratch_store_dwordx2 off, v[4:5], s18
	s_cbranch_scc0 .LBB171_79
; %bb.80:                               ;   in Loop: Header=BB171_77 Depth=3
	v_mov_b32_e32 v6, v5
	s_branch .LBB171_76
.LBB171_81:                             ;   in Loop: Header=BB171_77 Depth=3
                                        ; implicit-def: $vgpr4
                                        ; implicit-def: $vgpr6
	s_cbranch_execz .LBB171_76
; %bb.82:                               ;   in Loop: Header=BB171_77 Depth=3
	scratch_load_dwordx2 v[4:5], off, off
	s_waitcnt vmcnt(0)
	v_mov_b32_e32 v6, v5
	s_branch .LBB171_76
.LBB171_83:
	s_endpgm
	.section	.rodata,"a",@progbits
	.p2align	6, 0x0
	.amdhsa_kernel _ZL30rocblas_trsm_small_left_deviceILi32ELi32ELb1E19rocblas_complex_numIfES1_PKPKS1_PKPS1_Ev13rocblas_fill_18rocblas_operation_17rocblas_diagonal_iiT3_T4_lilT5_lili
		.amdhsa_group_segment_fixed_size 8192
		.amdhsa_private_segment_fixed_size 272
		.amdhsa_kernarg_size 360
		.amdhsa_user_sgpr_count 2
		.amdhsa_user_sgpr_dispatch_ptr 0
		.amdhsa_user_sgpr_queue_ptr 0
		.amdhsa_user_sgpr_kernarg_segment_ptr 1
		.amdhsa_user_sgpr_dispatch_id 0
		.amdhsa_user_sgpr_kernarg_preload_length 0
		.amdhsa_user_sgpr_kernarg_preload_offset 0
		.amdhsa_user_sgpr_private_segment_size 0
		.amdhsa_uses_dynamic_stack 0
		.amdhsa_enable_private_segment 1
		.amdhsa_system_sgpr_workgroup_id_x 1
		.amdhsa_system_sgpr_workgroup_id_y 0
		.amdhsa_system_sgpr_workgroup_id_z 1
		.amdhsa_system_sgpr_workgroup_info 0
		.amdhsa_system_vgpr_workitem_id 0
		.amdhsa_next_free_vgpr 81
		.amdhsa_next_free_sgpr 96
		.amdhsa_accum_offset 24
		.amdhsa_reserve_vcc 1
		.amdhsa_float_round_mode_32 0
		.amdhsa_float_round_mode_16_64 0
		.amdhsa_float_denorm_mode_32 3
		.amdhsa_float_denorm_mode_16_64 3
		.amdhsa_dx10_clamp 1
		.amdhsa_ieee_mode 1
		.amdhsa_fp16_overflow 0
		.amdhsa_tg_split 0
		.amdhsa_exception_fp_ieee_invalid_op 0
		.amdhsa_exception_fp_denorm_src 0
		.amdhsa_exception_fp_ieee_div_zero 0
		.amdhsa_exception_fp_ieee_overflow 0
		.amdhsa_exception_fp_ieee_underflow 0
		.amdhsa_exception_fp_ieee_inexact 0
		.amdhsa_exception_int_div_zero 0
	.end_amdhsa_kernel
	.section	.text._ZL30rocblas_trsm_small_left_deviceILi32ELi32ELb1E19rocblas_complex_numIfES1_PKPKS1_PKPS1_Ev13rocblas_fill_18rocblas_operation_17rocblas_diagonal_iiT3_T4_lilT5_lili,"axG",@progbits,_ZL30rocblas_trsm_small_left_deviceILi32ELi32ELb1E19rocblas_complex_numIfES1_PKPKS1_PKPS1_Ev13rocblas_fill_18rocblas_operation_17rocblas_diagonal_iiT3_T4_lilT5_lili,comdat
.Lfunc_end171:
	.size	_ZL30rocblas_trsm_small_left_deviceILi32ELi32ELb1E19rocblas_complex_numIfES1_PKPKS1_PKPS1_Ev13rocblas_fill_18rocblas_operation_17rocblas_diagonal_iiT3_T4_lilT5_lili, .Lfunc_end171-_ZL30rocblas_trsm_small_left_deviceILi32ELi32ELb1E19rocblas_complex_numIfES1_PKPKS1_PKPS1_Ev13rocblas_fill_18rocblas_operation_17rocblas_diagonal_iiT3_T4_lilT5_lili
                                        ; -- End function
	.set _ZL30rocblas_trsm_small_left_deviceILi32ELi32ELb1E19rocblas_complex_numIfES1_PKPKS1_PKPS1_Ev13rocblas_fill_18rocblas_operation_17rocblas_diagonal_iiT3_T4_lilT5_lili.num_vgpr, 24
	.set _ZL30rocblas_trsm_small_left_deviceILi32ELi32ELb1E19rocblas_complex_numIfES1_PKPKS1_PKPS1_Ev13rocblas_fill_18rocblas_operation_17rocblas_diagonal_iiT3_T4_lilT5_lili.num_agpr, 0
	.set _ZL30rocblas_trsm_small_left_deviceILi32ELi32ELb1E19rocblas_complex_numIfES1_PKPKS1_PKPS1_Ev13rocblas_fill_18rocblas_operation_17rocblas_diagonal_iiT3_T4_lilT5_lili.numbered_sgpr, 45
	.set _ZL30rocblas_trsm_small_left_deviceILi32ELi32ELb1E19rocblas_complex_numIfES1_PKPKS1_PKPS1_Ev13rocblas_fill_18rocblas_operation_17rocblas_diagonal_iiT3_T4_lilT5_lili.num_named_barrier, 0
	.set _ZL30rocblas_trsm_small_left_deviceILi32ELi32ELb1E19rocblas_complex_numIfES1_PKPKS1_PKPS1_Ev13rocblas_fill_18rocblas_operation_17rocblas_diagonal_iiT3_T4_lilT5_lili.private_seg_size, 272
	.set _ZL30rocblas_trsm_small_left_deviceILi32ELi32ELb1E19rocblas_complex_numIfES1_PKPKS1_PKPS1_Ev13rocblas_fill_18rocblas_operation_17rocblas_diagonal_iiT3_T4_lilT5_lili.uses_vcc, 1
	.set _ZL30rocblas_trsm_small_left_deviceILi32ELi32ELb1E19rocblas_complex_numIfES1_PKPKS1_PKPS1_Ev13rocblas_fill_18rocblas_operation_17rocblas_diagonal_iiT3_T4_lilT5_lili.uses_flat_scratch, 0
	.set _ZL30rocblas_trsm_small_left_deviceILi32ELi32ELb1E19rocblas_complex_numIfES1_PKPKS1_PKPS1_Ev13rocblas_fill_18rocblas_operation_17rocblas_diagonal_iiT3_T4_lilT5_lili.has_dyn_sized_stack, 0
	.set _ZL30rocblas_trsm_small_left_deviceILi32ELi32ELb1E19rocblas_complex_numIfES1_PKPKS1_PKPS1_Ev13rocblas_fill_18rocblas_operation_17rocblas_diagonal_iiT3_T4_lilT5_lili.has_recursion, 0
	.set _ZL30rocblas_trsm_small_left_deviceILi32ELi32ELb1E19rocblas_complex_numIfES1_PKPKS1_PKPS1_Ev13rocblas_fill_18rocblas_operation_17rocblas_diagonal_iiT3_T4_lilT5_lili.has_indirect_call, 0
	.section	.AMDGPU.csdata,"",@progbits
; Kernel info:
; codeLenInByte = 3408
; TotalNumSgprs: 51
; NumVgprs: 24
; NumAgprs: 0
; TotalNumVgprs: 24
; ScratchSize: 272
; MemoryBound: 0
; FloatMode: 240
; IeeeMode: 1
; LDSByteSize: 8192 bytes/workgroup (compile time only)
; SGPRBlocks: 12
; VGPRBlocks: 10
; NumSGPRsForWavesPerEU: 102
; NumVGPRsForWavesPerEU: 81
; AccumOffset: 24
; Occupancy: 5
; WaveLimiterHint : 1
; COMPUTE_PGM_RSRC2:SCRATCH_EN: 1
; COMPUTE_PGM_RSRC2:USER_SGPR: 2
; COMPUTE_PGM_RSRC2:TRAP_HANDLER: 0
; COMPUTE_PGM_RSRC2:TGID_X_EN: 1
; COMPUTE_PGM_RSRC2:TGID_Y_EN: 0
; COMPUTE_PGM_RSRC2:TGID_Z_EN: 1
; COMPUTE_PGM_RSRC2:TIDIG_COMP_CNT: 0
; COMPUTE_PGM_RSRC3_GFX90A:ACCUM_OFFSET: 5
; COMPUTE_PGM_RSRC3_GFX90A:TG_SPLIT: 0
	.section	.text._ZL31rocblas_trsm_small_right_deviceI19rocblas_complex_numIfES1_PKPKS1_PKPS1_Li32EEv13rocblas_fill_18rocblas_operation_17rocblas_diagonal_iiT0_T1_lilT2_lili,"axG",@progbits,_ZL31rocblas_trsm_small_right_deviceI19rocblas_complex_numIfES1_PKPKS1_PKPS1_Li32EEv13rocblas_fill_18rocblas_operation_17rocblas_diagonal_iiT0_T1_lilT2_lili,comdat
	.globl	_ZL31rocblas_trsm_small_right_deviceI19rocblas_complex_numIfES1_PKPKS1_PKPS1_Li32EEv13rocblas_fill_18rocblas_operation_17rocblas_diagonal_iiT0_T1_lilT2_lili ; -- Begin function _ZL31rocblas_trsm_small_right_deviceI19rocblas_complex_numIfES1_PKPKS1_PKPS1_Li32EEv13rocblas_fill_18rocblas_operation_17rocblas_diagonal_iiT0_T1_lilT2_lili
	.p2align	8
	.type	_ZL31rocblas_trsm_small_right_deviceI19rocblas_complex_numIfES1_PKPKS1_PKPS1_Li32EEv13rocblas_fill_18rocblas_operation_17rocblas_diagonal_iiT0_T1_lilT2_lili,@function
_ZL31rocblas_trsm_small_right_deviceI19rocblas_complex_numIfES1_PKPKS1_PKPS1_Li32EEv13rocblas_fill_18rocblas_operation_17rocblas_diagonal_iiT0_T1_lilT2_lili: ; @_ZL31rocblas_trsm_small_right_deviceI19rocblas_complex_numIfES1_PKPKS1_PKPS1_Li32EEv13rocblas_fill_18rocblas_operation_17rocblas_diagonal_iiT0_T1_lilT2_lili
; %bb.0:
	s_load_dwordx4 s[12:15], s[0:1], 0x40
	s_load_dwordx8 s[4:11], s[0:1], 0x0
	s_mov_b32 s16, s3
	s_mov_b32 s17, 0
	s_lshl_b64 s[20:21], s[16:17], 3
	s_waitcnt lgkmcnt(0)
	s_add_u32 s12, s12, s20
	s_addc_u32 s13, s13, s21
	s_load_dwordx2 s[12:13], s[12:13], 0x0
	s_min_i32 s28, s8, 32
	v_cmp_gt_i32_e32 vcc, s28, v0
	s_and_saveexec_b64 s[16:17], vcc
	s_cbranch_execz .LBB172_9
; %bb.1:
	s_load_dword s22, s[0:1], 0x30
	s_load_dwordx4 s[24:27], s[0:1], 0x20
	v_lshlrev_b32_e32 v2, 3, v0
	v_mov_b32_e32 v3, 0
	v_mov_b32_e32 v1, v2
	s_waitcnt lgkmcnt(0)
	s_ashr_i32 s23, s22, 31
	s_cmpk_lg_i32 s5, 0x71
	s_cselect_b64 s[18:19], -1, 0
	s_add_u32 s20, s24, s20
	s_addc_u32 s21, s25, s21
	s_load_dwordx2 s[20:21], s[20:21], 0x0
	s_lshl_b64 s[24:25], s[26:27], 3
	s_mov_b32 s3, s28
	s_waitcnt lgkmcnt(0)
	s_add_u32 s24, s20, s24
	s_addc_u32 s25, s21, s25
	s_lshl_b64 s[20:21], s[22:23], 3
	v_lshl_add_u64 v[4:5], s[24:25], 0, v[2:3]
	s_branch .LBB172_3
.LBB172_2:                              ;   in Loop: Header=BB172_3 Depth=1
	flat_load_dword v6, v[4:5]
	s_add_i32 s3, s3, -1
	v_lshl_add_u64 v[4:5], v[4:5], 0, s[20:21]
	s_cmp_eq_u32 s3, 0
	s_waitcnt vmcnt(0) lgkmcnt(0)
	ds_write_b64 v1, v[6:7]
	v_add_u32_e32 v1, 0x100, v1
	s_cbranch_scc1 .LBB172_7
.LBB172_3:                              ; =>This Inner Loop Header: Depth=1
	s_mov_b64 s[22:23], -1
	s_and_b64 vcc, exec, s[18:19]
                                        ; implicit-def: $vgpr7
	s_cbranch_vccz .LBB172_5
; %bb.4:                                ;   in Loop: Header=BB172_3 Depth=1
	flat_load_dword v7, v[4:5] offset:4
	s_mov_b64 s[22:23], 0
.LBB172_5:                              ;   in Loop: Header=BB172_3 Depth=1
	s_andn2_b64 vcc, exec, s[22:23]
	s_cbranch_vccnz .LBB172_2
; %bb.6:                                ;   in Loop: Header=BB172_3 Depth=1
	flat_load_dword v3, v[4:5] offset:4
	s_waitcnt vmcnt(0) lgkmcnt(0)
	v_xor_b32_e32 v7, 0x80000000, v3
	s_branch .LBB172_2
.LBB172_7:
	s_cmpk_eq_i32 s6, 0x84
	s_cbranch_scc0 .LBB172_9
; %bb.8:
	v_lshl_or_b32 v1, v0, 8, v2
	v_mov_b32_e32 v2, 1.0
	v_mov_b32_e32 v3, 0
	ds_write_b64 v1, v[2:3]
.LBB172_9:
	s_or_b64 exec, exec, s[16:17]
	s_load_dword s3, s[0:1], 0x68
	s_load_dword s6, s[0:1], 0x50
	s_lshl_b64 s[18:19], s[14:15], 3
	s_waitcnt lgkmcnt(0)
	s_add_u32 s0, s12, s18
	s_addc_u32 s1, s13, s19
	s_lshl_b32 s11, s2, 5
	s_add_i32 s3, s3, -1
	s_sub_i32 s7, s7, s11
	s_cmp_ge_u32 s2, s3
	s_cselect_b32 s7, s7, 32
	s_ashr_i32 s3, s2, 31
	s_lshl_b64 s[20:21], s[2:3], 8
	s_add_u32 s2, s0, s20
	s_addc_u32 s3, s1, s21
	v_cmp_gt_i32_e64 s[0:1], s7, v0
	s_and_saveexec_b64 s[14:15], s[0:1]
	s_cbranch_execz .LBB172_18
; %bb.10:
	s_cmp_lt_i32 s8, 1
	s_cbranch_scc1 .LBB172_18
; %bb.11:
	s_cmp_eq_u32 s8, 1
	s_cselect_b64 s[22:23], -1, 0
	s_cmp_lg_u32 s6, 1
	s_cselect_b64 s[24:25], -1, 0
	s_or_b64 s[22:23], s[22:23], s[24:25]
	s_mov_b32 s16, s9
	s_mov_b32 s17, s10
	v_mov_b32_e32 v3, 0
	s_and_b64 vcc, exec, s[22:23]
	s_cbranch_vccnz .LBB172_15
; %bb.12:
	v_lshlrev_b32_e32 v2, 3, v0
	v_mov_b32_e32 v1, 0x2000
	s_and_b32 s29, s8, 0x7ffffffe
	s_mov_b32 s27, 0
	v_lshl_add_u64 v[2:3], s[2:3], 0, v[2:3]
	v_lshl_or_b32 v1, v0, 3, v1
	s_mov_b32 s22, s16
	s_mov_b32 s23, s9
	;; [unrolled: 1-line block ×6, first 2 shown]
.LBB172_13:                             ; =>This Inner Loop Header: Depth=1
	v_lshl_add_u64 v[4:5], s[26:27], 3, v[2:3]
	s_mov_b32 s25, s27
	v_lshl_add_u64 v[6:7], s[24:25], 3, v[2:3]
	flat_load_dwordx2 v[12:13], v[4:5]
	flat_load_dwordx2 v[8:9], v[6:7]
	v_lshl_add_u32 v10, s26, 8, v1
	v_lshl_add_u32 v11, s24, 8, v1
	s_add_i32 s26, s26, 2
	s_add_i32 s7, s7, -2
	s_add_i32 s24, s24, 2
	s_cmp_lg_u32 s7, 0
	s_waitcnt vmcnt(0) lgkmcnt(0)
	v_mov_b32_e32 v4, v12
	v_mov_b32_e32 v5, v8
	v_mov_b32_e32 v8, v13
	v_pk_mul_f32 v[6:7], s[10:11], v[8:9]
	v_pk_mul_f32 v[8:9], s[22:23], v[8:9]
	v_pk_fma_f32 v[6:7], s[22:23], v[4:5], v[6:7] neg_lo:[0,0,1] neg_hi:[0,0,1]
	v_pk_fma_f32 v[4:5], s[10:11], v[4:5], v[8:9]
	ds_write_b32 v10, v6
	ds_write_b32 v11, v7
	ds_write_b32 v10, v4 offset:4
	ds_write_b32 v11, v5 offset:4
	s_cbranch_scc1 .LBB172_13
; %bb.14:
	s_cmp_lg_u32 s8, s29
	s_cselect_b64 s[22:23], -1, 0
	s_and_b64 vcc, exec, s[22:23]
	s_cbranch_vccnz .LBB172_16
	s_branch .LBB172_18
.LBB172_15:
	s_mov_b32 s29, 0
	s_cbranch_execz .LBB172_18
.LBB172_16:
	s_mul_hi_i32 s23, s6, s29
	s_mul_i32 s22, s6, s29
	s_ashr_i32 s7, s6, 31
	s_mov_b32 s11, s9
	s_sub_i32 s9, s8, s29
	s_lshl_b64 s[22:23], s[22:23], 3
	s_add_u32 s20, s22, s20
	s_addc_u32 s21, s23, s21
	s_add_u32 s18, s20, s18
	s_addc_u32 s19, s21, s19
	v_lshlrev_b32_e32 v4, 3, v0
	s_add_u32 s12, s12, s18
	v_mov_b32_e32 v5, 0
	s_addc_u32 s13, s13, s19
	v_lshl_or_b32 v1, s29, 8, v4
	v_lshl_add_u64 v[2:3], s[12:13], 0, v[4:5]
	s_lshl_b64 s[12:13], s[6:7], 3
	v_add_u32_e32 v1, 0x2000, v1
.LBB172_17:                             ; =>This Inner Loop Header: Depth=1
	flat_load_dwordx2 v[4:5], v[2:3]
	s_add_i32 s9, s9, -1
	v_lshl_add_u64 v[2:3], v[2:3], 0, s[12:13]
	s_cmp_lg_u32 s9, 0
	s_waitcnt vmcnt(0) lgkmcnt(0)
	v_pk_mul_f32 v[6:7], s[10:11], v[4:5] op_sel:[0,1]
	s_nop 0
	v_pk_fma_f32 v[8:9], s[16:17], v[4:5], v[6:7] neg_lo:[0,0,1] neg_hi:[0,0,1]
	v_pk_fma_f32 v[4:5], s[16:17], v[4:5], v[6:7] op_sel_hi:[1,0,1]
	s_nop 0
	v_mov_b32_e32 v9, v5
	ds_write_b64 v1, v[8:9]
	v_add_u32_e32 v1, 0x100, v1
	s_cbranch_scc1 .LBB172_17
.LBB172_18:
	s_or_b64 exec, exec, s[14:15]
	s_cmpk_eq_i32 s5, 0x6f
	s_cselect_b64 s[12:13], -1, 0
	s_cmpk_lg_i32 s4, 0x79
	s_cselect_b64 s[10:11], -1, 0
	s_cmpk_eq_i32 s4, 0x79
	s_cselect_b64 s[14:15], -1, 0
	s_and_b64 s[14:15], s[14:15], s[12:13]
	s_andn2_b64 vcc, exec, s[14:15]
	s_mov_b64 s[14:15], -1
	s_waitcnt lgkmcnt(0)
	; wave barrier
	s_cbranch_vccz .LBB172_119
; %bb.19:
	s_cmpk_lg_i32 s4, 0x7a
	s_cselect_b64 s[4:5], -1, 0
	s_xor_b64 s[12:13], s[12:13], -1
	s_add_i32 s7, s28, -1
	s_or_b64 s[12:13], s[4:5], s[12:13]
	v_mov_b32_e32 v1, 0x2000
	s_cmp_gt_i32 s8, 3
	v_lshl_or_b32 v1, v0, 3, v1
	s_cselect_b64 s[4:5], -1, 0
	s_and_b64 vcc, exec, s[12:13]
	s_cbranch_vccz .LBB172_86
; %bb.20:
	s_andn2_b64 vcc, exec, s[10:11]
	s_mov_b64 s[10:11], -1
	s_cbranch_vccnz .LBB172_53
; %bb.21:
	s_andn2_b64 vcc, exec, s[4:5]
	s_mov_b32 s13, 0
	s_cbranch_vccnz .LBB172_43
; %bb.22:
	v_mov_b32_e32 v2, 0x2000
	v_lshl_or_b32 v14, v0, 3, v2
	s_mov_b32 s9, 0
	s_mov_b32 s12, 0
.LBB172_23:                             ; =>This Loop Header: Depth=1
                                        ;     Child Loop BB172_24 Depth 2
	s_lshl_b32 s10, s12, 8
	v_add_u32_e32 v18, s10, v1
	s_or_b32 s16, s12, 1
	s_or_b32 s13, s12, 2
	;; [unrolled: 1-line block ×3, first 2 shown]
	v_lshl_add_u32 v17, s16, 8, v1
	v_lshl_add_u32 v16, s13, 8, v1
	v_add_u32_e32 v15, s11, v1
	ds_read_b64 v[2:3], v18
	ds_read_b64 v[12:13], v17
	;; [unrolled: 1-line block ×4, first 2 shown]
	s_cmp_eq_u32 s12, 0
	v_mov_b32_e32 v4, v14
	s_mov_b32 s11, s9
	s_mov_b32 s14, s12
	s_cbranch_scc1 .LBB172_25
.LBB172_24:                             ;   Parent Loop BB172_23 Depth=1
                                        ; =>  This Inner Loop Header: Depth=2
	v_mov_b32_e32 v5, s11
	ds_read_b64 v[10:11], v4
	ds_read_b128 v[20:23], v5
	ds_read_b128 v[24:27], v5 offset:16
	s_add_i32 s14, s14, -1
	s_addk_i32 s11, 0x100
	v_add_u32_e32 v4, 0x100, v4
	s_waitcnt lgkmcnt(1)
	v_mul_f32_e32 v5, v21, v11
	v_mul_f32_e32 v19, v20, v11
	v_mul_f32_e32 v32, v23, v11
	v_mul_f32_e32 v33, v23, v10
	s_waitcnt lgkmcnt(0)
	v_pk_mul_f32 v[28:29], v[24:25], v[10:11] op_sel:[0,1]
	v_pk_mul_f32 v[30:31], v[26:27], v[10:11] op_sel:[0,1]
	v_fma_f32 v5, v20, v10, -v5
	v_fmac_f32_e32 v19, v21, v10
	v_fma_f32 v32, v22, v10, -v32
	v_fmac_f32_e32 v33, v22, v11
	v_pk_fma_f32 v[20:21], v[24:25], v[10:11], v[28:29] op_sel:[0,0,1] op_sel_hi:[1,1,0] neg_lo:[0,0,1] neg_hi:[0,0,1]
	v_pk_fma_f32 v[22:23], v[24:25], v[10:11], v[28:29] op_sel:[0,0,1] op_sel_hi:[1,0,0]
	v_pk_fma_f32 v[24:25], v[26:27], v[10:11], v[30:31] op_sel:[0,0,1] op_sel_hi:[1,1,0] neg_lo:[0,0,1] neg_hi:[0,0,1]
	v_pk_fma_f32 v[10:11], v[26:27], v[10:11], v[30:31] op_sel:[0,0,1] op_sel_hi:[1,0,0]
	v_mov_b32_e32 v21, v23
	v_mov_b32_e32 v25, v11
	s_cmp_eq_u32 s14, 0
	v_sub_f32_e32 v2, v2, v5
	v_sub_f32_e32 v3, v3, v19
	;; [unrolled: 1-line block ×4, first 2 shown]
	v_pk_add_f32 v[8:9], v[8:9], v[20:21] neg_lo:[0,1] neg_hi:[0,1]
	v_pk_add_f32 v[6:7], v[6:7], v[24:25] neg_lo:[0,1] neg_hi:[0,1]
	s_cbranch_scc0 .LBB172_24
.LBB172_25:                             ;   in Loop: Header=BB172_23 Depth=1
	s_lshl_b32 s14, s12, 3
	s_add_i32 s15, s14, s10
	v_mov_b32_e32 v4, s15
	ds_read_b64 v[4:5], v4
	s_mov_b64 s[10:11], -1
                                        ; implicit-def: $vgpr11
	s_waitcnt lgkmcnt(0)
	v_cmp_ngt_f32_e64 s[18:19], |v4|, |v5|
	s_and_b64 vcc, exec, s[18:19]
	s_cbranch_vccz .LBB172_27
; %bb.26:                               ;   in Loop: Header=BB172_23 Depth=1
	v_div_scale_f32 v10, s[10:11], v5, v5, v4
	v_rcp_f32_e32 v11, v10
	v_div_scale_f32 v19, vcc, v4, v5, v4
	v_fma_f32 v20, -v10, v11, 1.0
	v_fmac_f32_e32 v11, v20, v11
	v_mul_f32_e32 v20, v19, v11
	v_fma_f32 v21, -v10, v20, v19
	v_fmac_f32_e32 v20, v21, v11
	v_fma_f32 v10, -v10, v20, v19
	v_div_fmas_f32 v10, v10, v11, v20
	v_div_fixup_f32 v11, v10, v5, v4
	v_fma_f32 v10, v4, v11, v5
	v_div_scale_f32 v19, s[10:11], v10, v10, 1.0
	v_rcp_f32_e32 v20, v19
	s_mov_b64 s[10:11], 0
	v_fma_f32 v21, -v19, v20, 1.0
	v_fmac_f32_e32 v20, v21, v20
	v_div_scale_f32 v21, vcc, 1.0, v10, 1.0
	v_mul_f32_e32 v22, v21, v20
	v_fma_f32 v23, -v19, v22, v21
	v_fmac_f32_e32 v22, v23, v20
	v_fma_f32 v19, -v19, v22, v21
	v_div_fmas_f32 v19, v19, v20, v22
	v_div_fixup_f32 v19, v19, v10, 1.0
	v_fma_f32 v10, v2, v11, v3
	v_fma_f32 v11, v3, v11, -v2
	v_mul_f32_e32 v10, v10, v19
	v_mul_f32_e32 v11, v11, v19
.LBB172_27:                             ;   in Loop: Header=BB172_23 Depth=1
	s_andn2_b64 vcc, exec, s[10:11]
	s_cbranch_vccnz .LBB172_29
; %bb.28:                               ;   in Loop: Header=BB172_23 Depth=1
	v_div_scale_f32 v10, s[10:11], v4, v4, v5
	v_rcp_f32_e32 v11, v10
	v_div_scale_f32 v19, vcc, v5, v4, v5
	v_fma_f32 v20, -v10, v11, 1.0
	v_fmac_f32_e32 v11, v20, v11
	v_mul_f32_e32 v20, v19, v11
	v_fma_f32 v21, -v10, v20, v19
	v_fmac_f32_e32 v20, v21, v11
	v_fma_f32 v10, -v10, v20, v19
	v_div_fmas_f32 v10, v10, v11, v20
	v_div_fixup_f32 v11, v10, v4, v5
	v_fmac_f32_e32 v4, v5, v11
	v_div_scale_f32 v5, s[10:11], v4, v4, 1.0
	v_rcp_f32_e32 v10, v5
	s_nop 0
	v_fma_f32 v19, -v5, v10, 1.0
	v_fmac_f32_e32 v10, v19, v10
	v_div_scale_f32 v19, vcc, 1.0, v4, 1.0
	v_mul_f32_e32 v20, v19, v10
	v_fma_f32 v21, -v5, v20, v19
	v_fmac_f32_e32 v20, v21, v10
	v_fma_f32 v5, -v5, v20, v19
	v_div_fmas_f32 v5, v5, v10, v20
	v_div_fixup_f32 v4, v5, v4, 1.0
	v_fma_f32 v5, v3, v11, v2
	v_fma_f32 v2, -v2, v11, v3
	v_mul_f32_e32 v10, v5, v4
	v_mul_f32_e32 v11, v2, v4
.LBB172_29:                             ;   in Loop: Header=BB172_23 Depth=1
	v_mov_b32_e32 v2, s15
	ds_read2_b64 v[2:5], v2 offset0:1 offset1:33
	ds_write_b64 v18, v[10:11]
	s_mov_b64 s[10:11], -1
	s_waitcnt lgkmcnt(1)
	v_mul_f32_e32 v18, v11, v3
	v_mul_f32_e32 v3, v10, v3
	v_fma_f32 v18, v10, v2, -v18
	v_fmac_f32_e32 v3, v11, v2
	v_cmp_ngt_f32_e64 s[18:19], |v4|, |v5|
	v_sub_f32_e32 v2, v12, v18
	v_sub_f32_e32 v3, v13, v3
	s_and_b64 vcc, exec, s[18:19]
                                        ; implicit-def: $vgpr13
	s_cbranch_vccz .LBB172_31
; %bb.30:                               ;   in Loop: Header=BB172_23 Depth=1
	v_div_scale_f32 v12, s[10:11], v5, v5, v4
	v_rcp_f32_e32 v13, v12
	v_div_scale_f32 v18, vcc, v4, v5, v4
	v_fma_f32 v19, -v12, v13, 1.0
	v_fmac_f32_e32 v13, v19, v13
	v_mul_f32_e32 v19, v18, v13
	v_fma_f32 v20, -v12, v19, v18
	v_fmac_f32_e32 v19, v20, v13
	v_fma_f32 v12, -v12, v19, v18
	v_div_fmas_f32 v12, v12, v13, v19
	v_div_fixup_f32 v13, v12, v5, v4
	v_fma_f32 v12, v4, v13, v5
	v_div_scale_f32 v18, s[10:11], v12, v12, 1.0
	v_rcp_f32_e32 v19, v18
	s_mov_b64 s[10:11], 0
	v_fma_f32 v20, -v18, v19, 1.0
	v_fmac_f32_e32 v19, v20, v19
	v_div_scale_f32 v20, vcc, 1.0, v12, 1.0
	v_mul_f32_e32 v21, v20, v19
	v_fma_f32 v22, -v18, v21, v20
	v_fmac_f32_e32 v21, v22, v19
	v_fma_f32 v18, -v18, v21, v20
	v_div_fmas_f32 v18, v18, v19, v21
	v_div_fixup_f32 v18, v18, v12, 1.0
	v_fma_f32 v12, v13, v2, v3
	v_fma_f32 v13, v13, v3, -v2
	v_mul_f32_e32 v12, v12, v18
	v_mul_f32_e32 v13, v13, v18
.LBB172_31:                             ;   in Loop: Header=BB172_23 Depth=1
	s_andn2_b64 vcc, exec, s[10:11]
	s_cbranch_vccnz .LBB172_33
; %bb.32:                               ;   in Loop: Header=BB172_23 Depth=1
	v_div_scale_f32 v12, s[10:11], v4, v4, v5
	v_rcp_f32_e32 v13, v12
	v_div_scale_f32 v18, vcc, v5, v4, v5
	v_fma_f32 v19, -v12, v13, 1.0
	v_fmac_f32_e32 v13, v19, v13
	v_mul_f32_e32 v19, v18, v13
	v_fma_f32 v20, -v12, v19, v18
	v_fmac_f32_e32 v19, v20, v13
	v_fma_f32 v12, -v12, v19, v18
	v_div_fmas_f32 v12, v12, v13, v19
	v_div_fixup_f32 v13, v12, v4, v5
	v_fmac_f32_e32 v4, v5, v13
	v_div_scale_f32 v5, s[10:11], v4, v4, 1.0
	v_rcp_f32_e32 v12, v5
	s_nop 0
	v_fma_f32 v18, -v5, v12, 1.0
	v_fmac_f32_e32 v12, v18, v12
	v_div_scale_f32 v18, vcc, 1.0, v4, 1.0
	v_mul_f32_e32 v19, v18, v12
	v_fma_f32 v20, -v5, v19, v18
	v_fmac_f32_e32 v19, v20, v12
	v_fma_f32 v5, -v5, v19, v18
	v_div_fmas_f32 v5, v5, v12, v19
	v_div_fixup_f32 v4, v5, v4, 1.0
	v_fma_f32 v5, v13, v3, v2
	v_fma_f32 v2, -v13, v2, v3
	v_mul_f32_e32 v12, v5, v4
	v_mul_f32_e32 v13, v2, v4
.LBB172_33:                             ;   in Loop: Header=BB172_23 Depth=1
	v_mov_b32_e32 v2, s15
	s_add_i32 s17, s15, 0x108
	ds_read2_b64 v[2:5], v2 offset0:2 offset1:66
	s_lshl_b32 s10, s16, 3
	s_sub_i32 s16, s17, s10
	s_add_i32 s16, s16, s14
	ds_write_b64 v17, v[12:13]
	v_mov_b32_e32 v17, s16
	v_mov_b32_e32 v18, v11
	ds_read_b64 v[22:23], v17 offset:16
	s_waitcnt lgkmcnt(2)
	v_pk_mul_f32 v[18:19], v[18:19], v[2:3] op_sel_hi:[0,1]
	v_pk_fma_f32 v[20:21], v[10:11], v[2:3], v[18:19] op_sel:[0,0,1] op_sel_hi:[1,1,0] neg_lo:[0,0,1] neg_hi:[0,0,1]
	v_pk_fma_f32 v[2:3], v[10:11], v[2:3], v[18:19] op_sel:[0,0,1] op_sel_hi:[0,1,0]
	v_mov_b32_e32 v21, v3
	v_pk_add_f32 v[2:3], v[8:9], v[20:21] neg_lo:[0,1] neg_hi:[0,1]
	v_mov_b32_e32 v8, v13
	s_waitcnt lgkmcnt(0)
	v_pk_mul_f32 v[8:9], v[8:9], v[22:23] op_sel_hi:[0,1]
	v_pk_fma_f32 v[18:19], v[12:13], v[22:23], v[8:9] op_sel:[0,0,1] op_sel_hi:[1,1,0] neg_lo:[0,0,1] neg_hi:[0,0,1]
	v_pk_fma_f32 v[8:9], v[12:13], v[22:23], v[8:9] op_sel:[0,0,1] op_sel_hi:[0,1,0]
	v_mov_b32_e32 v19, v9
	v_cmp_ngt_f32_e64 s[18:19], |v4|, |v5|
	v_pk_add_f32 v[2:3], v[2:3], v[18:19] neg_lo:[0,1] neg_hi:[0,1]
	s_mov_b64 s[10:11], -1
	s_and_b64 vcc, exec, s[18:19]
                                        ; implicit-def: $vgpr8_vgpr9
	s_cbranch_vccz .LBB172_35
; %bb.34:                               ;   in Loop: Header=BB172_23 Depth=1
	v_div_scale_f32 v8, s[10:11], v5, v5, v4
	v_rcp_f32_e32 v9, v8
	v_div_scale_f32 v17, vcc, v4, v5, v4
	v_fma_f32 v18, -v8, v9, 1.0
	v_fmac_f32_e32 v9, v18, v9
	v_mul_f32_e32 v18, v17, v9
	v_fma_f32 v19, -v8, v18, v17
	v_fmac_f32_e32 v18, v19, v9
	v_fma_f32 v8, -v8, v18, v17
	v_div_fmas_f32 v8, v8, v9, v18
	v_div_fixup_f32 v8, v8, v5, v4
	v_fma_f32 v9, v4, v8, v5
	v_div_scale_f32 v17, s[10:11], v9, v9, 1.0
	v_rcp_f32_e32 v20, v17
	v_pk_fma_f32 v[18:19], v[8:9], v[2:3], v[2:3] op_sel:[0,0,1] op_sel_hi:[1,1,0]
	s_mov_b64 s[10:11], 0
	v_fma_f32 v19, -v17, v20, 1.0
	v_fmac_f32_e32 v20, v19, v20
	v_div_scale_f32 v19, vcc, 1.0, v9, 1.0
	v_mul_f32_e32 v21, v19, v20
	v_fma_f32 v22, -v17, v21, v19
	v_fmac_f32_e32 v21, v22, v20
	v_fma_f32 v17, -v17, v21, v19
	v_div_fmas_f32 v17, v17, v20, v21
	v_div_fixup_f32 v19, v17, v9, 1.0
	v_fma_f32 v9, v8, v3, -v2
	v_mov_b32_e32 v8, v19
	v_pk_mul_f32 v[8:9], v[18:19], v[8:9]
.LBB172_35:                             ;   in Loop: Header=BB172_23 Depth=1
	s_andn2_b64 vcc, exec, s[10:11]
	s_cbranch_vccnz .LBB172_37
; %bb.36:                               ;   in Loop: Header=BB172_23 Depth=1
	v_div_scale_f32 v8, s[10:11], v4, v4, v5
	v_rcp_f32_e32 v9, v8
	v_div_scale_f32 v17, vcc, v5, v4, v5
	v_fma_f32 v18, -v8, v9, 1.0
	v_fmac_f32_e32 v9, v18, v9
	v_mul_f32_e32 v18, v17, v9
	v_fma_f32 v19, -v8, v18, v17
	v_fmac_f32_e32 v18, v19, v9
	v_fma_f32 v8, -v8, v18, v17
	v_div_fmas_f32 v8, v8, v9, v18
	v_div_fixup_f32 v8, v8, v4, v5
	v_fma_f32 v4, v5, v8, v4
	v_div_scale_f32 v5, s[10:11], v4, v4, 1.0
	v_rcp_f32_e32 v9, v5
	s_nop 0
	v_fma_f32 v17, -v5, v9, 1.0
	v_fmac_f32_e32 v9, v17, v9
	v_div_scale_f32 v17, vcc, 1.0, v4, 1.0
	v_mul_f32_e32 v18, v17, v9
	v_fma_f32 v19, -v5, v18, v17
	v_fmac_f32_e32 v18, v19, v9
	v_fma_f32 v5, -v5, v18, v17
	v_div_fmas_f32 v5, v5, v9, v18
	v_pk_fma_f32 v[18:19], v[8:9], v[2:3], v[2:3] op_sel:[0,1,0] op_sel_hi:[1,0,1]
	v_pk_fma_f32 v[2:3], v[8:9], v[2:3], v[2:3] op_sel:[0,1,0] op_sel_hi:[0,0,1] neg_lo:[1,0,0] neg_hi:[1,0,0]
	v_div_fixup_f32 v4, v5, v4, 1.0
	v_mov_b32_e32 v19, v3
	v_pk_mul_f32 v[8:9], v[18:19], v[4:5] op_sel_hi:[1,0]
.LBB172_37:                             ;   in Loop: Header=BB172_23 Depth=1
	v_mov_b32_e32 v2, s15
	ds_read2_b64 v[2:5], v2 offset0:3 offset1:99
	v_mov_b32_e32 v18, v11
	v_mov_b32_e32 v19, v11
	;; [unrolled: 1-line block ×3, first 2 shown]
	ds_write_b64 v16, v[8:9]
	s_waitcnt lgkmcnt(1)
	v_pk_mul_f32 v[16:17], v[18:19], v[2:3]
	s_lshl_b32 s10, s13, 3
	v_pk_fma_f32 v[18:19], v[10:11], v[2:3], v[16:17] op_sel:[0,0,1] op_sel_hi:[1,1,0] neg_lo:[0,0,1] neg_hi:[0,0,1]
	v_pk_fma_f32 v[2:3], v[10:11], v[2:3], v[16:17] op_sel:[0,0,1] op_sel_hi:[1,1,0]
	s_sub_i32 s10, s17, s10
	v_mov_b32_e32 v2, s16
	s_add_i32 s10, s10, s14
	ds_read_b64 v[10:11], v2 offset:24
	v_mov_b32_e32 v19, v3
	v_pk_add_f32 v[2:3], v[6:7], v[18:19] neg_lo:[0,1] neg_hi:[0,1]
	v_mov_b32_e32 v6, s10
	ds_read_b64 v[6:7], v6 offset:288
	v_mov_b32_e32 v20, v13
	v_mov_b32_e32 v21, v13
	;; [unrolled: 1-line block ×3, first 2 shown]
	s_waitcnt lgkmcnt(1)
	v_pk_mul_f32 v[16:17], v[20:21], v[10:11]
	v_cmp_ngt_f32_e64 s[14:15], |v4|, |v5|
	v_pk_fma_f32 v[18:19], v[12:13], v[10:11], v[16:17] op_sel:[0,0,1] op_sel_hi:[1,1,0] neg_lo:[0,0,1] neg_hi:[0,0,1]
	v_pk_fma_f32 v[10:11], v[12:13], v[10:11], v[16:17] op_sel:[0,0,1] op_sel_hi:[1,1,0]
	s_mov_b64 s[10:11], -1
	v_mov_b32_e32 v19, v11
	s_waitcnt lgkmcnt(0)
	v_pk_mul_f32 v[10:11], v[8:9], v[6:7] op_sel:[1,1] op_sel_hi:[1,0]
	v_pk_add_f32 v[2:3], v[2:3], v[18:19] neg_lo:[0,1] neg_hi:[0,1]
	v_pk_fma_f32 v[12:13], v[8:9], v[6:7], v[10:11] neg_lo:[0,0,1] neg_hi:[0,0,1]
	v_pk_fma_f32 v[6:7], v[8:9], v[6:7], v[10:11] op_sel_hi:[0,1,1]
	v_mov_b32_e32 v13, v7
	v_pk_add_f32 v[2:3], v[2:3], v[12:13] neg_lo:[0,1] neg_hi:[0,1]
	s_and_b64 vcc, exec, s[14:15]
                                        ; implicit-def: $vgpr6_vgpr7
	s_cbranch_vccz .LBB172_39
; %bb.38:                               ;   in Loop: Header=BB172_23 Depth=1
	v_div_scale_f32 v6, s[10:11], v5, v5, v4
	v_rcp_f32_e32 v7, v6
	v_div_scale_f32 v8, vcc, v4, v5, v4
	v_fma_f32 v9, -v6, v7, 1.0
	v_fmac_f32_e32 v7, v9, v7
	v_mul_f32_e32 v9, v8, v7
	v_fma_f32 v10, -v6, v9, v8
	v_fmac_f32_e32 v9, v10, v7
	v_fma_f32 v6, -v6, v9, v8
	v_div_fmas_f32 v6, v6, v7, v9
	v_div_fixup_f32 v6, v6, v5, v4
	v_fma_f32 v7, v4, v6, v5
	v_div_scale_f32 v10, s[10:11], v7, v7, 1.0
	v_rcp_f32_e32 v11, v10
	v_pk_fma_f32 v[8:9], v[6:7], v[2:3], v[2:3] op_sel:[0,0,1] op_sel_hi:[1,1,0]
	s_mov_b64 s[10:11], 0
	v_fma_f32 v9, -v10, v11, 1.0
	v_fmac_f32_e32 v11, v9, v11
	v_div_scale_f32 v9, vcc, 1.0, v7, 1.0
	v_mul_f32_e32 v12, v9, v11
	v_fma_f32 v13, -v10, v12, v9
	v_fmac_f32_e32 v12, v13, v11
	v_fma_f32 v9, -v10, v12, v9
	v_div_fmas_f32 v9, v9, v11, v12
	v_div_fixup_f32 v9, v9, v7, 1.0
	v_fma_f32 v7, v6, v3, -v2
	v_mov_b32_e32 v6, v9
	v_pk_mul_f32 v[6:7], v[8:9], v[6:7]
.LBB172_39:                             ;   in Loop: Header=BB172_23 Depth=1
	s_andn2_b64 vcc, exec, s[10:11]
	s_cbranch_vccnz .LBB172_41
; %bb.40:                               ;   in Loop: Header=BB172_23 Depth=1
	v_div_scale_f32 v6, s[10:11], v4, v4, v5
	v_rcp_f32_e32 v7, v6
	v_div_scale_f32 v8, vcc, v5, v4, v5
	v_fma_f32 v9, -v6, v7, 1.0
	v_fmac_f32_e32 v7, v9, v7
	v_mul_f32_e32 v9, v8, v7
	v_fma_f32 v10, -v6, v9, v8
	v_fmac_f32_e32 v9, v10, v7
	v_fma_f32 v6, -v6, v9, v8
	v_div_fmas_f32 v6, v6, v7, v9
	v_div_fixup_f32 v6, v6, v4, v5
	v_fma_f32 v4, v5, v6, v4
	v_div_scale_f32 v5, s[10:11], v4, v4, 1.0
	v_rcp_f32_e32 v7, v5
	s_nop 0
	v_fma_f32 v8, -v5, v7, 1.0
	v_fmac_f32_e32 v7, v8, v7
	v_div_scale_f32 v8, vcc, 1.0, v4, 1.0
	v_mul_f32_e32 v9, v8, v7
	v_fma_f32 v10, -v5, v9, v8
	v_fmac_f32_e32 v9, v10, v7
	v_fma_f32 v5, -v5, v9, v8
	v_div_fmas_f32 v5, v5, v7, v9
	v_pk_fma_f32 v[8:9], v[6:7], v[2:3], v[2:3] op_sel:[0,1,0] op_sel_hi:[1,0,1]
	v_pk_fma_f32 v[2:3], v[6:7], v[2:3], v[2:3] op_sel:[0,1,0] op_sel_hi:[0,0,1] neg_lo:[1,0,0] neg_hi:[1,0,0]
	v_div_fixup_f32 v4, v5, v4, 1.0
	v_mov_b32_e32 v9, v3
	v_pk_mul_f32 v[6:7], v[8:9], v[4:5] op_sel_hi:[1,0]
.LBB172_41:                             ;   in Loop: Header=BB172_23 Depth=1
	s_add_i32 s13, s12, 4
	s_add_i32 s10, s12, 7
	;; [unrolled: 1-line block ×3, first 2 shown]
	s_cmp_ge_i32 s10, s28
	ds_write_b64 v15, v[6:7]
	s_cbranch_scc1 .LBB172_43
; %bb.42:                               ;   in Loop: Header=BB172_23 Depth=1
	s_mov_b32 s12, s13
	s_branch .LBB172_23
.LBB172_43:
	s_cmp_ge_i32 s13, s28
	s_cbranch_scc1 .LBB172_52
; %bb.44:
	v_mov_b32_e32 v2, 0x2000
	s_lshl_b32 s9, s13, 3
	v_lshl_or_b32 v8, v0, 3, v2
	s_branch .LBB172_46
.LBB172_45:                             ;   in Loop: Header=BB172_46 Depth=1
	s_add_i32 s13, s13, 1
	s_add_i32 s9, s9, 8
	s_cmp_ge_i32 s13, s28
	ds_write_b64 v9, v[6:7]
	s_cbranch_scc1 .LBB172_52
.LBB172_46:                             ; =>This Loop Header: Depth=1
                                        ;     Child Loop BB172_47 Depth 2
	s_lshl_b32 s10, s13, 8
	v_add_u32_e32 v9, s10, v1
	ds_read_b64 v[2:3], v9
	s_cmp_eq_u32 s13, 0
	v_mov_b32_e32 v4, v8
	s_mov_b32 s11, s9
	s_mov_b32 s12, s13
	s_cbranch_scc1 .LBB172_48
.LBB172_47:                             ;   Parent Loop BB172_46 Depth=1
                                        ; =>  This Inner Loop Header: Depth=2
	v_mov_b32_e32 v5, s11
	ds_read_b64 v[6:7], v4
	ds_read_b64 v[10:11], v5
	s_add_i32 s12, s12, -1
	s_addk_i32 s11, 0x100
	v_add_u32_e32 v4, 0x100, v4
	s_cmp_eq_u32 s12, 0
	s_waitcnt lgkmcnt(0)
	v_pk_mul_f32 v[12:13], v[10:11], v[6:7] op_sel:[1,1] op_sel_hi:[0,1]
	v_pk_fma_f32 v[14:15], v[10:11], v[6:7], v[12:13] op_sel_hi:[1,0,1]
	v_pk_fma_f32 v[6:7], v[10:11], v[6:7], v[12:13] op_sel_hi:[1,0,1] neg_lo:[0,0,1] neg_hi:[0,0,1]
	s_nop 0
	v_mov_b32_e32 v7, v15
	v_pk_add_f32 v[2:3], v[2:3], v[6:7] neg_lo:[0,1] neg_hi:[0,1]
	s_cbranch_scc0 .LBB172_47
.LBB172_48:                             ;   in Loop: Header=BB172_46 Depth=1
	s_lshl_b32 s11, s13, 3
	s_add_i32 s10, s11, s10
	v_mov_b32_e32 v4, s10
	ds_read_b64 v[4:5], v4
	s_mov_b64 s[10:11], -1
                                        ; implicit-def: $vgpr6_vgpr7
	s_waitcnt lgkmcnt(0)
	v_cmp_ngt_f32_e64 s[14:15], |v4|, |v5|
	s_and_b64 vcc, exec, s[14:15]
	s_cbranch_vccz .LBB172_50
; %bb.49:                               ;   in Loop: Header=BB172_46 Depth=1
	v_div_scale_f32 v6, s[10:11], v5, v5, v4
	v_rcp_f32_e32 v7, v6
	v_div_scale_f32 v10, vcc, v4, v5, v4
	v_fma_f32 v11, -v6, v7, 1.0
	v_fmac_f32_e32 v7, v11, v7
	v_mul_f32_e32 v11, v10, v7
	v_fma_f32 v12, -v6, v11, v10
	v_fmac_f32_e32 v11, v12, v7
	v_fma_f32 v6, -v6, v11, v10
	v_div_fmas_f32 v6, v6, v7, v11
	v_div_fixup_f32 v6, v6, v5, v4
	v_fma_f32 v7, v4, v6, v5
	v_div_scale_f32 v10, s[10:11], v7, v7, 1.0
	v_rcp_f32_e32 v11, v10
	s_mov_b64 s[10:11], 0
	v_fma_f32 v12, -v10, v11, 1.0
	v_fmac_f32_e32 v11, v12, v11
	v_div_scale_f32 v12, vcc, 1.0, v7, 1.0
	v_mul_f32_e32 v13, v12, v11
	v_fma_f32 v14, -v10, v13, v12
	v_fmac_f32_e32 v13, v14, v11
	v_fma_f32 v10, -v10, v13, v12
	v_div_fmas_f32 v10, v10, v11, v13
	v_div_fixup_f32 v10, v10, v7, 1.0
	v_pk_fma_f32 v[12:13], v[2:3], v[6:7], v[2:3] op_sel:[0,0,1] op_sel_hi:[1,0,0] neg_lo:[0,0,1] neg_hi:[0,0,1]
	v_pk_fma_f32 v[6:7], v[2:3], v[6:7], v[2:3] op_sel:[0,0,1] op_sel_hi:[1,0,0]
	s_nop 0
	v_mov_b32_e32 v7, v13
	v_pk_mul_f32 v[6:7], v[6:7], v[10:11] op_sel_hi:[1,0]
.LBB172_50:                             ;   in Loop: Header=BB172_46 Depth=1
	s_andn2_b64 vcc, exec, s[10:11]
	s_cbranch_vccnz .LBB172_45
; %bb.51:                               ;   in Loop: Header=BB172_46 Depth=1
	v_div_scale_f32 v6, s[10:11], v4, v4, v5
	v_rcp_f32_e32 v7, v6
	v_div_scale_f32 v10, vcc, v5, v4, v5
	v_fma_f32 v11, -v6, v7, 1.0
	v_fmac_f32_e32 v7, v11, v7
	v_mul_f32_e32 v11, v10, v7
	v_fma_f32 v12, -v6, v11, v10
	v_fmac_f32_e32 v11, v12, v7
	v_fma_f32 v6, -v6, v11, v10
	v_div_fmas_f32 v6, v6, v7, v11
	v_div_fixup_f32 v6, v6, v4, v5
	v_fmac_f32_e32 v4, v5, v6
	v_div_scale_f32 v5, s[10:11], v4, v4, 1.0
	v_rcp_f32_e32 v7, v5
	s_nop 0
	v_fma_f32 v10, -v5, v7, 1.0
	v_fmac_f32_e32 v7, v10, v7
	v_div_scale_f32 v10, vcc, 1.0, v4, 1.0
	v_mul_f32_e32 v11, v10, v7
	v_fma_f32 v12, -v5, v11, v10
	v_fmac_f32_e32 v11, v12, v7
	v_fma_f32 v5, -v5, v11, v10
	v_div_fmas_f32 v5, v5, v7, v11
	v_pk_fma_f32 v[10:11], v[2:3], v[6:7], v[2:3] op_sel:[1,0,0] op_sel_hi:[0,0,1] neg_lo:[1,0,0] neg_hi:[1,0,0]
	v_pk_fma_f32 v[2:3], v[2:3], v[6:7], v[2:3] op_sel:[1,0,0] op_sel_hi:[0,0,1]
	v_div_fixup_f32 v4, v5, v4, 1.0
	v_mov_b32_e32 v3, v11
	v_pk_mul_f32 v[6:7], v[2:3], v[4:5] op_sel_hi:[1,0]
	s_branch .LBB172_45
.LBB172_52:
	s_mov_b64 s[10:11], 0
.LBB172_53:
	s_and_b64 vcc, exec, s[10:11]
	s_cbranch_vccz .LBB172_85
; %bb.54:
	s_andn2_b64 vcc, exec, s[4:5]
	s_mov_b32 s13, s7
	s_cbranch_vccnz .LBB172_76
; %bb.55:
	v_lshlrev_b32_e32 v2, 3, v0
	v_lshl_or_b32 v2, s28, 8, v2
	s_mul_i32 s9, s28, 0x108
	v_add_u32_e32 v14, 0x1f00, v2
	s_mov_b32 s12, s7
.LBB172_56:                             ; =>This Loop Header: Depth=1
                                        ;     Child Loop BB172_57 Depth 2
	s_add_i32 s13, s12, -3
	v_lshl_add_u32 v18, s12, 8, v1
	s_add_i32 s17, s12, -1
	s_add_i32 s18, s12, -2
	s_lshl_b32 s14, s13, 8
	v_lshl_add_u32 v17, s17, 8, v1
	v_lshl_add_u32 v16, s18, 8, v1
	v_add_u32_e32 v15, s14, v1
	ds_read_b64 v[10:11], v18
	ds_read_b64 v[8:9], v17
	;; [unrolled: 1-line block ×4, first 2 shown]
	s_cmp_le_i32 s7, s12
	v_mov_b32_e32 v6, v14
	s_mov_b32 s10, s9
	s_mov_b32 s11, s7
	s_cbranch_scc1 .LBB172_58
.LBB172_57:                             ;   Parent Loop BB172_56 Depth=1
                                        ; =>  This Inner Loop Header: Depth=2
	s_add_i32 s15, s10, 0xfffffef0
	s_add_i32 s16, s10, 0xfffffee0
	v_mov_b32_e32 v7, s15
	ds_read_b64 v[12:13], v6
	v_mov_b32_e32 v19, s16
	ds_read2_b64 v[20:23], v7 offset1:1
	ds_read2_b64 v[24:27], v19 offset1:1
	s_add_i32 s11, s11, -1
	s_addk_i32 s10, 0xff00
	v_add_u32_e32 v6, 0xffffff00, v6
	s_waitcnt lgkmcnt(1)
	v_mul_f32_e32 v7, v23, v13
	v_mul_f32_e32 v19, v22, v13
	;; [unrolled: 1-line block ×4, first 2 shown]
	s_waitcnt lgkmcnt(0)
	v_pk_mul_f32 v[28:29], v[26:27], v[12:13] op_sel:[0,1]
	v_pk_mul_f32 v[30:31], v[24:25], v[12:13] op_sel:[0,1]
	v_fma_f32 v7, v22, v12, -v7
	v_fmac_f32_e32 v19, v23, v12
	v_fma_f32 v32, v20, v12, -v32
	v_fmac_f32_e32 v33, v20, v13
	v_pk_fma_f32 v[20:21], v[26:27], v[12:13], v[28:29] op_sel:[0,0,1] op_sel_hi:[1,1,0] neg_lo:[0,0,1] neg_hi:[0,0,1]
	v_pk_fma_f32 v[22:23], v[26:27], v[12:13], v[28:29] op_sel:[0,0,1] op_sel_hi:[1,0,0]
	v_pk_fma_f32 v[26:27], v[24:25], v[12:13], v[30:31] op_sel:[0,0,1] op_sel_hi:[1,1,0] neg_lo:[0,0,1] neg_hi:[0,0,1]
	v_pk_fma_f32 v[12:13], v[24:25], v[12:13], v[30:31] op_sel:[0,0,1] op_sel_hi:[1,0,0]
	v_mov_b32_e32 v21, v23
	v_mov_b32_e32 v27, v13
	s_cmp_le_i32 s11, s12
	v_sub_f32_e32 v10, v10, v7
	v_sub_f32_e32 v11, v11, v19
	;; [unrolled: 1-line block ×4, first 2 shown]
	v_pk_add_f32 v[4:5], v[4:5], v[20:21] neg_lo:[0,1] neg_hi:[0,1]
	v_pk_add_f32 v[2:3], v[2:3], v[26:27] neg_lo:[0,1] neg_hi:[0,1]
	s_cbranch_scc0 .LBB172_57
.LBB172_58:                             ;   in Loop: Header=BB172_56 Depth=1
	s_lshl_b32 s16, s12, 3
	s_lshl_b32 s10, s12, 8
	s_add_i32 s15, s16, s10
	v_mov_b32_e32 v6, s15
	ds_read_b64 v[12:13], v6
	s_mov_b64 s[10:11], -1
                                        ; implicit-def: $vgpr7
	s_waitcnt lgkmcnt(0)
	v_cmp_ngt_f32_e64 s[20:21], |v12|, |v13|
	s_and_b64 vcc, exec, s[20:21]
	s_cbranch_vccz .LBB172_60
; %bb.59:                               ;   in Loop: Header=BB172_56 Depth=1
	v_div_scale_f32 v6, s[10:11], v13, v13, v12
	v_rcp_f32_e32 v7, v6
	v_div_scale_f32 v19, vcc, v12, v13, v12
	v_fma_f32 v20, -v6, v7, 1.0
	v_fmac_f32_e32 v7, v20, v7
	v_mul_f32_e32 v20, v19, v7
	v_fma_f32 v21, -v6, v20, v19
	v_fmac_f32_e32 v20, v21, v7
	v_fma_f32 v6, -v6, v20, v19
	v_div_fmas_f32 v6, v6, v7, v20
	v_div_fixup_f32 v7, v6, v13, v12
	v_fma_f32 v6, v12, v7, v13
	v_div_scale_f32 v19, s[10:11], v6, v6, 1.0
	v_rcp_f32_e32 v20, v19
	s_mov_b64 s[10:11], 0
	v_fma_f32 v21, -v19, v20, 1.0
	v_fmac_f32_e32 v20, v21, v20
	v_div_scale_f32 v21, vcc, 1.0, v6, 1.0
	v_mul_f32_e32 v22, v21, v20
	v_fma_f32 v23, -v19, v22, v21
	v_fmac_f32_e32 v22, v23, v20
	v_fma_f32 v19, -v19, v22, v21
	v_div_fmas_f32 v19, v19, v20, v22
	v_div_fixup_f32 v19, v19, v6, 1.0
	v_fma_f32 v6, v10, v7, v11
	v_fma_f32 v7, v11, v7, -v10
	v_mul_f32_e32 v6, v6, v19
	v_mul_f32_e32 v7, v7, v19
.LBB172_60:                             ;   in Loop: Header=BB172_56 Depth=1
	s_andn2_b64 vcc, exec, s[10:11]
	s_cbranch_vccnz .LBB172_62
; %bb.61:                               ;   in Loop: Header=BB172_56 Depth=1
	v_div_scale_f32 v6, s[10:11], v12, v12, v13
	v_rcp_f32_e32 v7, v6
	v_div_scale_f32 v19, vcc, v13, v12, v13
	v_fma_f32 v20, -v6, v7, 1.0
	v_fmac_f32_e32 v7, v20, v7
	v_mul_f32_e32 v20, v19, v7
	v_fma_f32 v21, -v6, v20, v19
	v_fmac_f32_e32 v20, v21, v7
	v_fma_f32 v6, -v6, v20, v19
	v_div_fmas_f32 v6, v6, v7, v20
	v_div_fixup_f32 v7, v6, v12, v13
	v_fmac_f32_e32 v12, v13, v7
	v_div_scale_f32 v6, s[10:11], v12, v12, 1.0
	v_rcp_f32_e32 v13, v6
	s_nop 0
	v_fma_f32 v19, -v6, v13, 1.0
	v_fmac_f32_e32 v13, v19, v13
	v_div_scale_f32 v19, vcc, 1.0, v12, 1.0
	v_mul_f32_e32 v20, v19, v13
	v_fma_f32 v21, -v6, v20, v19
	v_fmac_f32_e32 v20, v21, v13
	v_fma_f32 v6, -v6, v20, v19
	v_div_fmas_f32 v6, v6, v13, v20
	v_div_fixup_f32 v12, v6, v12, 1.0
	v_fma_f32 v6, v11, v7, v10
	v_fma_f32 v7, -v10, v7, v11
	v_mul_f32_e32 v6, v6, v12
	v_mul_f32_e32 v7, v7, v12
.LBB172_62:                             ;   in Loop: Header=BB172_56 Depth=1
	s_lshl_b32 s10, s17, 8
	s_add_i32 s19, s16, s10
	s_add_i32 s10, s15, -8
	v_mov_b32_e32 v10, s10
	s_add_i32 s19, s19, -8
	ds_read_b64 v[12:13], v10
	v_mov_b32_e32 v10, s19
	ds_read_b64 v[10:11], v10
	ds_write_b64 v18, v[6:7]
	s_mov_b64 s[10:11], -1
	s_waitcnt lgkmcnt(2)
	v_mul_f32_e32 v18, v7, v13
	v_mul_f32_e32 v13, v6, v13
	v_fma_f32 v18, v6, v12, -v18
	v_fmac_f32_e32 v13, v7, v12
	s_waitcnt lgkmcnt(1)
	v_cmp_ngt_f32_e64 s[20:21], |v10|, |v11|
	v_sub_f32_e32 v12, v8, v18
	v_sub_f32_e32 v13, v9, v13
	s_and_b64 vcc, exec, s[20:21]
                                        ; implicit-def: $vgpr9
	s_cbranch_vccz .LBB172_64
; %bb.63:                               ;   in Loop: Header=BB172_56 Depth=1
	v_div_scale_f32 v8, s[10:11], v11, v11, v10
	v_rcp_f32_e32 v9, v8
	v_div_scale_f32 v18, vcc, v10, v11, v10
	v_fma_f32 v19, -v8, v9, 1.0
	v_fmac_f32_e32 v9, v19, v9
	v_mul_f32_e32 v19, v18, v9
	v_fma_f32 v20, -v8, v19, v18
	v_fmac_f32_e32 v19, v20, v9
	v_fma_f32 v8, -v8, v19, v18
	v_div_fmas_f32 v8, v8, v9, v19
	v_div_fixup_f32 v9, v8, v11, v10
	v_fma_f32 v8, v10, v9, v11
	v_div_scale_f32 v18, s[10:11], v8, v8, 1.0
	v_rcp_f32_e32 v19, v18
	s_mov_b64 s[10:11], 0
	v_fma_f32 v20, -v18, v19, 1.0
	v_fmac_f32_e32 v19, v20, v19
	v_div_scale_f32 v20, vcc, 1.0, v8, 1.0
	v_mul_f32_e32 v21, v20, v19
	v_fma_f32 v22, -v18, v21, v20
	v_fmac_f32_e32 v21, v22, v19
	v_fma_f32 v18, -v18, v21, v20
	v_div_fmas_f32 v18, v18, v19, v21
	v_div_fixup_f32 v18, v18, v8, 1.0
	v_fma_f32 v8, v9, v12, v13
	v_fma_f32 v9, v9, v13, -v12
	v_mul_f32_e32 v8, v8, v18
	v_mul_f32_e32 v9, v9, v18
.LBB172_64:                             ;   in Loop: Header=BB172_56 Depth=1
	s_andn2_b64 vcc, exec, s[10:11]
	s_cbranch_vccnz .LBB172_66
; %bb.65:                               ;   in Loop: Header=BB172_56 Depth=1
	v_div_scale_f32 v8, s[10:11], v10, v10, v11
	v_rcp_f32_e32 v9, v8
	v_div_scale_f32 v18, vcc, v11, v10, v11
	v_fma_f32 v19, -v8, v9, 1.0
	v_fmac_f32_e32 v9, v19, v9
	v_mul_f32_e32 v19, v18, v9
	v_fma_f32 v20, -v8, v19, v18
	v_fmac_f32_e32 v19, v20, v9
	v_fma_f32 v8, -v8, v19, v18
	v_div_fmas_f32 v8, v8, v9, v19
	v_div_fixup_f32 v9, v8, v10, v11
	v_fmac_f32_e32 v10, v11, v9
	v_div_scale_f32 v8, s[10:11], v10, v10, 1.0
	v_rcp_f32_e32 v11, v8
	s_nop 0
	v_fma_f32 v18, -v8, v11, 1.0
	v_fmac_f32_e32 v11, v18, v11
	v_div_scale_f32 v18, vcc, 1.0, v10, 1.0
	v_mul_f32_e32 v19, v18, v11
	v_fma_f32 v20, -v8, v19, v18
	v_fmac_f32_e32 v19, v20, v11
	v_fma_f32 v8, -v8, v19, v18
	v_div_fmas_f32 v8, v8, v11, v19
	v_div_fixup_f32 v10, v8, v10, 1.0
	v_fma_f32 v8, v9, v13, v12
	v_fma_f32 v9, -v9, v12, v13
	v_mul_f32_e32 v8, v8, v10
	v_mul_f32_e32 v9, v9, v10
.LBB172_66:                             ;   in Loop: Header=BB172_56 Depth=1
	s_add_i32 s11, s15, -16
	s_lshl_b32 s17, s17, 3
	v_mov_b32_e32 v10, s11
	s_lshl_b32 s10, s18, 8
	s_sub_i32 s17, s19, s17
	s_lshl_b32 s18, s18, 3
	ds_read_b64 v[12:13], v10
	s_add_i32 s10, s16, s10
	s_add_i32 s19, s17, s18
	v_mov_b32_e32 v10, s19
	s_add_i32 s19, s10, -16
	ds_write_b64 v17, v[8:9]
	v_mov_b32_e32 v11, s19
	v_mov_b32_e32 v18, v7
	ds_read_b64 v[20:21], v10
	ds_read_b64 v[10:11], v11
	s_waitcnt lgkmcnt(3)
	v_pk_mul_f32 v[18:19], v[18:19], v[12:13] op_sel_hi:[0,1]
	v_pk_fma_f32 v[22:23], v[6:7], v[12:13], v[18:19] op_sel:[0,0,1] op_sel_hi:[1,1,0] neg_lo:[0,0,1] neg_hi:[0,0,1]
	v_pk_fma_f32 v[12:13], v[6:7], v[12:13], v[18:19] op_sel:[0,0,1] op_sel_hi:[0,1,0]
	v_mov_b32_e32 v12, v9
	v_mov_b32_e32 v23, v13
	s_waitcnt lgkmcnt(1)
	v_pk_mul_f32 v[12:13], v[12:13], v[20:21] op_sel_hi:[0,1]
	v_pk_fma_f32 v[18:19], v[8:9], v[20:21], v[12:13] op_sel:[0,0,1] op_sel_hi:[1,1,0] neg_lo:[0,0,1] neg_hi:[0,0,1]
	v_pk_fma_f32 v[12:13], v[8:9], v[20:21], v[12:13] op_sel:[0,0,1] op_sel_hi:[0,1,0]
	v_pk_add_f32 v[4:5], v[4:5], v[22:23] neg_lo:[0,1] neg_hi:[0,1]
	v_mov_b32_e32 v19, v13
	s_waitcnt lgkmcnt(0)
	v_cmp_ngt_f32_e64 s[20:21], |v10|, |v11|
	v_pk_add_f32 v[4:5], v[4:5], v[18:19] neg_lo:[0,1] neg_hi:[0,1]
	s_mov_b64 s[10:11], -1
	s_and_b64 vcc, exec, s[20:21]
                                        ; implicit-def: $vgpr12_vgpr13
	s_cbranch_vccz .LBB172_68
; %bb.67:                               ;   in Loop: Header=BB172_56 Depth=1
	v_div_scale_f32 v12, s[10:11], v11, v11, v10
	v_rcp_f32_e32 v13, v12
	v_div_scale_f32 v17, vcc, v10, v11, v10
	v_fma_f32 v18, -v12, v13, 1.0
	v_fmac_f32_e32 v13, v18, v13
	v_mul_f32_e32 v18, v17, v13
	v_fma_f32 v19, -v12, v18, v17
	v_fmac_f32_e32 v18, v19, v13
	v_fma_f32 v12, -v12, v18, v17
	v_div_fmas_f32 v12, v12, v13, v18
	v_div_fixup_f32 v12, v12, v11, v10
	v_fma_f32 v13, v10, v12, v11
	v_div_scale_f32 v17, s[10:11], v13, v13, 1.0
	v_rcp_f32_e32 v20, v17
	v_pk_fma_f32 v[18:19], v[12:13], v[4:5], v[4:5] op_sel:[0,0,1] op_sel_hi:[1,1,0]
	s_mov_b64 s[10:11], 0
	v_fma_f32 v19, -v17, v20, 1.0
	v_fmac_f32_e32 v20, v19, v20
	v_div_scale_f32 v19, vcc, 1.0, v13, 1.0
	v_mul_f32_e32 v21, v19, v20
	v_fma_f32 v22, -v17, v21, v19
	v_fmac_f32_e32 v21, v22, v20
	v_fma_f32 v17, -v17, v21, v19
	v_div_fmas_f32 v17, v17, v20, v21
	v_div_fixup_f32 v19, v17, v13, 1.0
	v_fma_f32 v13, v12, v5, -v4
	v_mov_b32_e32 v12, v19
	v_pk_mul_f32 v[12:13], v[18:19], v[12:13]
.LBB172_68:                             ;   in Loop: Header=BB172_56 Depth=1
	s_andn2_b64 vcc, exec, s[10:11]
	s_cbranch_vccnz .LBB172_70
; %bb.69:                               ;   in Loop: Header=BB172_56 Depth=1
	v_div_scale_f32 v12, s[10:11], v10, v10, v11
	v_rcp_f32_e32 v13, v12
	v_div_scale_f32 v17, vcc, v11, v10, v11
	v_fma_f32 v18, -v12, v13, 1.0
	v_fmac_f32_e32 v13, v18, v13
	v_mul_f32_e32 v18, v17, v13
	v_fma_f32 v19, -v12, v18, v17
	v_fmac_f32_e32 v18, v19, v13
	v_fma_f32 v12, -v12, v18, v17
	v_div_fmas_f32 v12, v12, v13, v18
	v_div_fixup_f32 v12, v12, v10, v11
	v_fmac_f32_e32 v10, v11, v12
	v_div_scale_f32 v11, s[10:11], v10, v10, 1.0
	v_rcp_f32_e32 v13, v11
	s_nop 0
	v_fma_f32 v17, -v11, v13, 1.0
	v_fmac_f32_e32 v13, v17, v13
	v_div_scale_f32 v17, vcc, 1.0, v10, 1.0
	v_mul_f32_e32 v18, v17, v13
	v_fma_f32 v19, -v11, v18, v17
	v_fmac_f32_e32 v18, v19, v13
	v_fma_f32 v11, -v11, v18, v17
	v_div_fmas_f32 v11, v11, v13, v18
	v_pk_fma_f32 v[18:19], v[12:13], v[4:5], v[4:5] op_sel:[0,1,0] op_sel_hi:[1,0,1]
	v_pk_fma_f32 v[4:5], v[12:13], v[4:5], v[4:5] op_sel:[0,1,0] op_sel_hi:[0,0,1] neg_lo:[1,0,0] neg_hi:[1,0,0]
	v_div_fixup_f32 v10, v11, v10, 1.0
	v_mov_b32_e32 v19, v5
	v_pk_mul_f32 v[12:13], v[18:19], v[10:11] op_sel_hi:[1,0]
.LBB172_70:                             ;   in Loop: Header=BB172_56 Depth=1
	s_sub_i32 s10, s15, 24
	v_mov_b32_e32 v4, s10
	ds_write_b64 v16, v[12:13]
	ds_read_b64 v[16:17], v4
	s_add_i32 s16, s16, s14
	s_lshl_b32 s11, s13, 3
	s_sub_i32 s14, s19, s18
	s_add_i32 s13, s17, s11
	s_add_i32 s11, s14, s11
	v_mov_b32_e32 v4, s13
	v_mov_b32_e32 v5, s11
	s_sub_i32 s10, s16, 24
	v_mov_b32_e32 v10, v7
	v_mov_b32_e32 v11, v7
	v_mov_b32_e32 v24, s10
	ds_read_b64 v[20:21], v4
	ds_read_b64 v[22:23], v5
	;; [unrolled: 1-line block ×3, first 2 shown]
	v_mov_b32_e32 v7, v6
	s_waitcnt lgkmcnt(3)
	v_pk_mul_f32 v[10:11], v[10:11], v[16:17]
	v_mov_b32_e32 v18, v9
	v_mov_b32_e32 v19, v9
	v_pk_fma_f32 v[24:25], v[6:7], v[16:17], v[10:11] op_sel:[0,0,1] op_sel_hi:[1,1,0] neg_lo:[0,0,1] neg_hi:[0,0,1]
	v_pk_fma_f32 v[6:7], v[6:7], v[16:17], v[10:11] op_sel:[0,0,1] op_sel_hi:[1,1,0]
	v_mov_b32_e32 v9, v8
	v_mov_b32_e32 v25, v7
	s_waitcnt lgkmcnt(2)
	v_pk_mul_f32 v[6:7], v[18:19], v[20:21]
	v_pk_add_f32 v[2:3], v[2:3], v[24:25] neg_lo:[0,1] neg_hi:[0,1]
	v_pk_fma_f32 v[10:11], v[8:9], v[20:21], v[6:7] op_sel:[0,0,1] op_sel_hi:[1,1,0] neg_lo:[0,0,1] neg_hi:[0,0,1]
	v_pk_fma_f32 v[6:7], v[8:9], v[20:21], v[6:7] op_sel:[0,0,1] op_sel_hi:[1,1,0]
	s_waitcnt lgkmcnt(0)
	v_cmp_ngt_f32_e64 s[14:15], |v4|, |v5|
	v_mov_b32_e32 v11, v7
	v_pk_mul_f32 v[6:7], v[12:13], v[22:23] op_sel:[1,1] op_sel_hi:[1,0]
	v_pk_add_f32 v[2:3], v[2:3], v[10:11] neg_lo:[0,1] neg_hi:[0,1]
	v_pk_fma_f32 v[8:9], v[12:13], v[22:23], v[6:7] neg_lo:[0,0,1] neg_hi:[0,0,1]
	v_pk_fma_f32 v[6:7], v[12:13], v[22:23], v[6:7] op_sel_hi:[0,1,1]
	v_mov_b32_e32 v9, v7
	v_pk_add_f32 v[2:3], v[2:3], v[8:9] neg_lo:[0,1] neg_hi:[0,1]
	s_mov_b64 s[10:11], -1
	s_and_b64 vcc, exec, s[14:15]
                                        ; implicit-def: $vgpr6_vgpr7
	s_cbranch_vccz .LBB172_72
; %bb.71:                               ;   in Loop: Header=BB172_56 Depth=1
	v_div_scale_f32 v6, s[10:11], v5, v5, v4
	v_rcp_f32_e32 v7, v6
	v_div_scale_f32 v8, vcc, v4, v5, v4
	v_fma_f32 v9, -v6, v7, 1.0
	v_fmac_f32_e32 v7, v9, v7
	v_mul_f32_e32 v9, v8, v7
	v_fma_f32 v10, -v6, v9, v8
	v_fmac_f32_e32 v9, v10, v7
	v_fma_f32 v6, -v6, v9, v8
	v_div_fmas_f32 v6, v6, v7, v9
	v_div_fixup_f32 v6, v6, v5, v4
	v_fma_f32 v7, v4, v6, v5
	v_div_scale_f32 v10, s[10:11], v7, v7, 1.0
	v_rcp_f32_e32 v11, v10
	v_pk_fma_f32 v[8:9], v[6:7], v[2:3], v[2:3] op_sel:[0,0,1] op_sel_hi:[1,1,0]
	s_mov_b64 s[10:11], 0
	v_fma_f32 v9, -v10, v11, 1.0
	v_fmac_f32_e32 v11, v9, v11
	v_div_scale_f32 v9, vcc, 1.0, v7, 1.0
	v_mul_f32_e32 v12, v9, v11
	v_fma_f32 v13, -v10, v12, v9
	v_fmac_f32_e32 v12, v13, v11
	v_fma_f32 v9, -v10, v12, v9
	v_div_fmas_f32 v9, v9, v11, v12
	v_div_fixup_f32 v9, v9, v7, 1.0
	v_fma_f32 v7, v6, v3, -v2
	v_mov_b32_e32 v6, v9
	v_pk_mul_f32 v[6:7], v[8:9], v[6:7]
.LBB172_72:                             ;   in Loop: Header=BB172_56 Depth=1
	s_andn2_b64 vcc, exec, s[10:11]
	s_cbranch_vccnz .LBB172_74
; %bb.73:                               ;   in Loop: Header=BB172_56 Depth=1
	v_div_scale_f32 v6, s[10:11], v4, v4, v5
	v_rcp_f32_e32 v7, v6
	v_div_scale_f32 v8, vcc, v5, v4, v5
	v_fma_f32 v9, -v6, v7, 1.0
	v_fmac_f32_e32 v7, v9, v7
	v_mul_f32_e32 v9, v8, v7
	v_fma_f32 v10, -v6, v9, v8
	v_fmac_f32_e32 v9, v10, v7
	v_fma_f32 v6, -v6, v9, v8
	v_div_fmas_f32 v6, v6, v7, v9
	v_div_fixup_f32 v6, v6, v4, v5
	v_fmac_f32_e32 v4, v5, v6
	v_div_scale_f32 v5, s[10:11], v4, v4, 1.0
	v_rcp_f32_e32 v7, v5
	s_nop 0
	v_fma_f32 v8, -v5, v7, 1.0
	v_fmac_f32_e32 v7, v8, v7
	v_div_scale_f32 v8, vcc, 1.0, v4, 1.0
	v_mul_f32_e32 v9, v8, v7
	v_fma_f32 v10, -v5, v9, v8
	v_fmac_f32_e32 v9, v10, v7
	v_fma_f32 v5, -v5, v9, v8
	v_div_fmas_f32 v5, v5, v7, v9
	v_pk_fma_f32 v[8:9], v[6:7], v[2:3], v[2:3] op_sel:[0,1,0] op_sel_hi:[1,0,1]
	v_pk_fma_f32 v[2:3], v[6:7], v[2:3], v[2:3] op_sel:[0,1,0] op_sel_hi:[0,0,1] neg_lo:[1,0,0] neg_hi:[1,0,0]
	v_div_fixup_f32 v4, v5, v4, 1.0
	v_mov_b32_e32 v9, v3
	v_pk_mul_f32 v[6:7], v[8:9], v[4:5] op_sel_hi:[1,0]
.LBB172_74:                             ;   in Loop: Header=BB172_56 Depth=1
	s_add_i32 s13, s12, -4
	s_sub_i32 s9, s9, 32
	s_cmp_lt_i32 s12, 7
	ds_write_b64 v15, v[6:7]
	s_cbranch_scc1 .LBB172_76
; %bb.75:                               ;   in Loop: Header=BB172_56 Depth=1
	s_mov_b32 s12, s13
	s_branch .LBB172_56
.LBB172_76:
	s_cmp_lt_i32 s13, 0
	s_cbranch_scc1 .LBB172_85
; %bb.77:
	s_lshl_b32 s10, s28, 8
	s_lshl_b32 s9, s13, 3
	s_add_i32 s9, s10, s9
	v_lshl_or_b32 v2, v0, 3, s10
	s_addk_i32 s9, 0xff00
	v_add_u32_e32 v8, 0x1f00, v2
	s_branch .LBB172_79
.LBB172_78:                             ;   in Loop: Header=BB172_79 Depth=1
	v_sub_co_u32_e64 v2, s[10:11], s13, 1
	s_nop 0
	v_readfirstlane_b32 s13, v2
	s_add_i32 s9, s9, -8
	s_and_b64 vcc, exec, s[10:11]
	ds_write_b64 v9, v[6:7]
	s_cbranch_vccnz .LBB172_85
.LBB172_79:                             ; =>This Loop Header: Depth=1
                                        ;     Child Loop BB172_80 Depth 2
	s_lshl_b32 s10, s13, 8
	v_add_u32_e32 v9, s10, v1
	ds_read_b64 v[2:3], v9
	s_cmp_le_i32 s7, s13
	v_mov_b32_e32 v4, v8
	s_mov_b32 s11, s9
	s_mov_b32 s12, s7
	s_cbranch_scc1 .LBB172_81
.LBB172_80:                             ;   Parent Loop BB172_79 Depth=1
                                        ; =>  This Inner Loop Header: Depth=2
	v_mov_b32_e32 v5, s11
	ds_read_b64 v[6:7], v4
	ds_read_b64 v[10:11], v5
	s_add_i32 s12, s12, -1
	s_addk_i32 s11, 0xff00
	v_add_u32_e32 v4, 0xffffff00, v4
	s_cmp_le_u32 s12, s13
	s_waitcnt lgkmcnt(0)
	v_pk_mul_f32 v[12:13], v[10:11], v[6:7] op_sel:[1,1] op_sel_hi:[0,1]
	v_pk_fma_f32 v[14:15], v[10:11], v[6:7], v[12:13] op_sel_hi:[1,0,1]
	v_pk_fma_f32 v[6:7], v[10:11], v[6:7], v[12:13] op_sel_hi:[1,0,1] neg_lo:[0,0,1] neg_hi:[0,0,1]
	s_nop 0
	v_mov_b32_e32 v7, v15
	v_pk_add_f32 v[2:3], v[2:3], v[6:7] neg_lo:[0,1] neg_hi:[0,1]
	s_cbranch_scc0 .LBB172_80
.LBB172_81:                             ;   in Loop: Header=BB172_79 Depth=1
	s_lshl_b32 s11, s13, 3
	s_add_i32 s10, s11, s10
	v_mov_b32_e32 v4, s10
	ds_read_b64 v[4:5], v4
	s_mov_b64 s[10:11], -1
                                        ; implicit-def: $vgpr6_vgpr7
	s_waitcnt lgkmcnt(0)
	v_cmp_ngt_f32_e64 s[14:15], |v4|, |v5|
	s_and_b64 vcc, exec, s[14:15]
	s_cbranch_vccz .LBB172_83
; %bb.82:                               ;   in Loop: Header=BB172_79 Depth=1
	v_div_scale_f32 v6, s[10:11], v5, v5, v4
	v_rcp_f32_e32 v7, v6
	v_div_scale_f32 v10, vcc, v4, v5, v4
	v_fma_f32 v11, -v6, v7, 1.0
	v_fmac_f32_e32 v7, v11, v7
	v_mul_f32_e32 v11, v10, v7
	v_fma_f32 v12, -v6, v11, v10
	v_fmac_f32_e32 v11, v12, v7
	v_fma_f32 v6, -v6, v11, v10
	v_div_fmas_f32 v6, v6, v7, v11
	v_div_fixup_f32 v6, v6, v5, v4
	v_fma_f32 v7, v4, v6, v5
	v_div_scale_f32 v10, s[10:11], v7, v7, 1.0
	v_rcp_f32_e32 v11, v10
	s_mov_b64 s[10:11], 0
	v_fma_f32 v12, -v10, v11, 1.0
	v_fmac_f32_e32 v11, v12, v11
	v_div_scale_f32 v12, vcc, 1.0, v7, 1.0
	v_mul_f32_e32 v13, v12, v11
	v_fma_f32 v14, -v10, v13, v12
	v_fmac_f32_e32 v13, v14, v11
	v_fma_f32 v10, -v10, v13, v12
	v_div_fmas_f32 v10, v10, v11, v13
	v_div_fixup_f32 v10, v10, v7, 1.0
	v_pk_fma_f32 v[12:13], v[2:3], v[6:7], v[2:3] op_sel:[0,0,1] op_sel_hi:[1,0,0] neg_lo:[0,0,1] neg_hi:[0,0,1]
	v_pk_fma_f32 v[6:7], v[2:3], v[6:7], v[2:3] op_sel:[0,0,1] op_sel_hi:[1,0,0]
	s_nop 0
	v_mov_b32_e32 v7, v13
	v_pk_mul_f32 v[6:7], v[6:7], v[10:11] op_sel_hi:[1,0]
.LBB172_83:                             ;   in Loop: Header=BB172_79 Depth=1
	s_andn2_b64 vcc, exec, s[10:11]
	s_cbranch_vccnz .LBB172_78
; %bb.84:                               ;   in Loop: Header=BB172_79 Depth=1
	v_div_scale_f32 v6, s[10:11], v4, v4, v5
	v_rcp_f32_e32 v7, v6
	v_div_scale_f32 v10, vcc, v5, v4, v5
	v_fma_f32 v11, -v6, v7, 1.0
	v_fmac_f32_e32 v7, v11, v7
	v_mul_f32_e32 v11, v10, v7
	v_fma_f32 v12, -v6, v11, v10
	v_fmac_f32_e32 v11, v12, v7
	v_fma_f32 v6, -v6, v11, v10
	v_div_fmas_f32 v6, v6, v7, v11
	v_div_fixup_f32 v6, v6, v4, v5
	v_fmac_f32_e32 v4, v5, v6
	v_div_scale_f32 v5, s[10:11], v4, v4, 1.0
	v_rcp_f32_e32 v7, v5
	s_nop 0
	v_fma_f32 v10, -v5, v7, 1.0
	v_fmac_f32_e32 v7, v10, v7
	v_div_scale_f32 v10, vcc, 1.0, v4, 1.0
	v_mul_f32_e32 v11, v10, v7
	v_fma_f32 v12, -v5, v11, v10
	v_fmac_f32_e32 v11, v12, v7
	v_fma_f32 v5, -v5, v11, v10
	v_div_fmas_f32 v5, v5, v7, v11
	v_pk_fma_f32 v[10:11], v[2:3], v[6:7], v[2:3] op_sel:[1,0,0] op_sel_hi:[0,0,1] neg_lo:[1,0,0] neg_hi:[1,0,0]
	v_pk_fma_f32 v[2:3], v[2:3], v[6:7], v[2:3] op_sel:[1,0,0] op_sel_hi:[0,0,1]
	v_div_fixup_f32 v4, v5, v4, 1.0
	v_mov_b32_e32 v3, v11
	v_pk_mul_f32 v[6:7], v[2:3], v[4:5] op_sel_hi:[1,0]
	s_branch .LBB172_78
.LBB172_85:
	s_mov_b64 s[14:15], 0
.LBB172_86:
	s_andn2_b64 vcc, exec, s[14:15]
	s_cbranch_vccnz .LBB172_118
; %bb.87:
	s_andn2_b64 vcc, exec, s[4:5]
	s_mov_b32 s11, s7
	s_cbranch_vccnz .LBB172_109
; %bb.88:
	v_lshlrev_b32_e32 v2, 3, v0
	v_lshl_or_b32 v2, s28, 8, v2
	s_mul_i32 s4, s28, 0x108
	v_add_u32_e32 v14, 0x1f00, v2
	s_add_i32 s9, s4, 0xfffffbf8
	s_mov_b32 s10, s7
.LBB172_89:                             ; =>This Loop Header: Depth=1
                                        ;     Child Loop BB172_90 Depth 2
	v_lshl_add_u32 v18, s10, 8, v1
	s_add_i32 s14, s10, -1
	s_add_i32 s13, s10, -2
	;; [unrolled: 1-line block ×3, first 2 shown]
	v_lshl_add_u32 v17, s14, 8, v1
	v_lshl_add_u32 v16, s13, 8, v1
	;; [unrolled: 1-line block ×3, first 2 shown]
	ds_read_b64 v[2:3], v18
	ds_read_b64 v[12:13], v17
	;; [unrolled: 1-line block ×4, first 2 shown]
	s_cmp_le_i32 s7, s10
	s_mov_b32 s4, s9
	v_mov_b32_e32 v4, v14
	s_mov_b32 s5, s7
	s_cbranch_scc1 .LBB172_91
.LBB172_90:                             ;   Parent Loop BB172_89 Depth=1
                                        ; =>  This Inner Loop Header: Depth=2
	v_mov_b32_e32 v5, s4
	ds_read_b64 v[10:11], v4
	ds_read2_b64 v[20:23], v5 offset0:64 offset1:96
	ds_read2_b64 v[24:27], v5 offset1:32
	s_add_i32 s5, s5, -1
	s_add_i32 s4, s4, -8
	v_add_u32_e32 v4, 0xffffff00, v4
	s_waitcnt lgkmcnt(1)
	v_mul_f32_e32 v5, v23, v11
	v_mul_f32_e32 v19, v22, v11
	;; [unrolled: 1-line block ×4, first 2 shown]
	s_waitcnt lgkmcnt(0)
	v_pk_mul_f32 v[28:29], v[26:27], v[10:11] op_sel:[0,1]
	v_pk_mul_f32 v[30:31], v[24:25], v[10:11] op_sel:[0,1]
	v_fma_f32 v5, v22, v10, -v5
	v_fmac_f32_e32 v19, v23, v10
	v_fma_f32 v32, v20, v10, -v32
	v_fmac_f32_e32 v33, v20, v11
	v_pk_fma_f32 v[20:21], v[26:27], v[10:11], v[28:29] op_sel:[0,0,1] op_sel_hi:[1,1,0] neg_lo:[0,0,1] neg_hi:[0,0,1]
	v_pk_fma_f32 v[22:23], v[26:27], v[10:11], v[28:29] op_sel:[0,0,1] op_sel_hi:[1,0,0]
	v_pk_fma_f32 v[26:27], v[24:25], v[10:11], v[30:31] op_sel:[0,0,1] op_sel_hi:[1,1,0] neg_lo:[0,0,1] neg_hi:[0,0,1]
	v_pk_fma_f32 v[10:11], v[24:25], v[10:11], v[30:31] op_sel:[0,0,1] op_sel_hi:[1,0,0]
	v_mov_b32_e32 v21, v23
	v_mov_b32_e32 v27, v11
	s_cmp_le_i32 s5, s10
	v_sub_f32_e32 v2, v2, v5
	v_sub_f32_e32 v3, v3, v19
	;; [unrolled: 1-line block ×4, first 2 shown]
	v_pk_add_f32 v[8:9], v[8:9], v[20:21] neg_lo:[0,1] neg_hi:[0,1]
	v_pk_add_f32 v[6:7], v[6:7], v[26:27] neg_lo:[0,1] neg_hi:[0,1]
	s_cbranch_scc0 .LBB172_90
.LBB172_91:                             ;   in Loop: Header=BB172_89 Depth=1
	s_mul_i32 s4, s10, 0x108
	v_mov_b32_e32 v4, s4
	ds_read_b64 v[4:5], v4
	s_lshl_b32 s16, s14, 5
	s_lshl_b32 s15, s13, 5
	;; [unrolled: 1-line block ×3, first 2 shown]
	s_mov_b64 s[4:5], -1
	s_waitcnt lgkmcnt(0)
	v_cmp_ngt_f32_e64 s[18:19], |v4|, |v5|
	s_and_b64 vcc, exec, s[18:19]
                                        ; implicit-def: $vgpr11
	s_cbranch_vccz .LBB172_93
; %bb.92:                               ;   in Loop: Header=BB172_89 Depth=1
	v_div_scale_f32 v10, s[4:5], v5, v5, v4
	v_rcp_f32_e32 v11, v10
	v_div_scale_f32 v19, vcc, v4, v5, v4
	v_fma_f32 v20, -v10, v11, 1.0
	v_fmac_f32_e32 v11, v20, v11
	v_mul_f32_e32 v20, v19, v11
	v_fma_f32 v21, -v10, v20, v19
	v_fmac_f32_e32 v20, v21, v11
	v_fma_f32 v10, -v10, v20, v19
	v_div_fmas_f32 v10, v10, v11, v20
	v_div_fixup_f32 v11, v10, v5, v4
	v_fma_f32 v10, v4, v11, v5
	v_div_scale_f32 v19, s[4:5], v10, v10, 1.0
	v_rcp_f32_e32 v20, v19
	s_mov_b64 s[4:5], 0
	v_fma_f32 v21, -v19, v20, 1.0
	v_fmac_f32_e32 v20, v21, v20
	v_div_scale_f32 v21, vcc, 1.0, v10, 1.0
	v_mul_f32_e32 v22, v21, v20
	v_fma_f32 v23, -v19, v22, v21
	v_fmac_f32_e32 v22, v23, v20
	v_fma_f32 v19, -v19, v22, v21
	v_div_fmas_f32 v19, v19, v20, v22
	v_div_fixup_f32 v19, v19, v10, 1.0
	v_fma_f32 v10, v2, v11, v3
	v_fma_f32 v11, v3, v11, -v2
	v_mul_f32_e32 v10, v10, v19
	v_mul_f32_e32 v11, v11, v19
.LBB172_93:                             ;   in Loop: Header=BB172_89 Depth=1
	s_andn2_b64 vcc, exec, s[4:5]
	s_cbranch_vccnz .LBB172_95
; %bb.94:                               ;   in Loop: Header=BB172_89 Depth=1
	v_div_scale_f32 v10, s[4:5], v4, v4, v5
	v_rcp_f32_e32 v11, v10
	v_div_scale_f32 v19, vcc, v5, v4, v5
	v_fma_f32 v20, -v10, v11, 1.0
	v_fmac_f32_e32 v11, v20, v11
	v_mul_f32_e32 v20, v19, v11
	v_fma_f32 v21, -v10, v20, v19
	v_fmac_f32_e32 v20, v21, v11
	v_fma_f32 v10, -v10, v20, v19
	v_div_fmas_f32 v10, v10, v11, v20
	v_div_fixup_f32 v11, v10, v4, v5
	v_fmac_f32_e32 v4, v5, v11
	v_div_scale_f32 v5, s[4:5], v4, v4, 1.0
	v_rcp_f32_e32 v10, v5
	s_nop 0
	v_fma_f32 v19, -v5, v10, 1.0
	v_fmac_f32_e32 v10, v19, v10
	v_div_scale_f32 v19, vcc, 1.0, v4, 1.0
	v_mul_f32_e32 v20, v19, v10
	v_fma_f32 v21, -v5, v20, v19
	v_fmac_f32_e32 v20, v21, v10
	v_fma_f32 v5, -v5, v20, v19
	v_div_fmas_f32 v5, v5, v10, v20
	v_div_fixup_f32 v4, v5, v4, 1.0
	v_fma_f32 v5, v3, v11, v2
	v_fma_f32 v2, -v2, v11, v3
	v_mul_f32_e32 v10, v5, v4
	v_mul_f32_e32 v11, v2, v4
.LBB172_95:                             ;   in Loop: Header=BB172_89 Depth=1
	s_lshl_b32 s4, s16, 3
	s_lshl_b32 s5, s14, 3
	s_add_i32 s4, s4, s5
	v_mov_b32_e32 v2, s4
	ds_read2_b64 v[2:5], v2 offset1:1
	ds_write_b64 v18, v[10:11]
	s_mov_b64 s[4:5], -1
	s_waitcnt lgkmcnt(1)
	v_mul_f32_e32 v18, v11, v5
	v_mul_f32_e32 v5, v10, v5
	v_fma_f32 v18, v10, v4, -v18
	v_fmac_f32_e32 v5, v11, v4
	v_cmp_ngt_f32_e64 s[16:17], |v2|, |v3|
	v_sub_f32_e32 v4, v12, v18
	v_sub_f32_e32 v5, v13, v5
	s_and_b64 vcc, exec, s[16:17]
                                        ; implicit-def: $vgpr13
	s_cbranch_vccz .LBB172_97
; %bb.96:                               ;   in Loop: Header=BB172_89 Depth=1
	v_div_scale_f32 v12, s[4:5], v3, v3, v2
	v_rcp_f32_e32 v13, v12
	v_div_scale_f32 v18, vcc, v2, v3, v2
	v_fma_f32 v19, -v12, v13, 1.0
	v_fmac_f32_e32 v13, v19, v13
	v_mul_f32_e32 v19, v18, v13
	v_fma_f32 v20, -v12, v19, v18
	v_fmac_f32_e32 v19, v20, v13
	v_fma_f32 v12, -v12, v19, v18
	v_div_fmas_f32 v12, v12, v13, v19
	v_div_fixup_f32 v13, v12, v3, v2
	v_fma_f32 v12, v2, v13, v3
	v_div_scale_f32 v18, s[4:5], v12, v12, 1.0
	v_rcp_f32_e32 v19, v18
	s_mov_b64 s[4:5], 0
	v_fma_f32 v20, -v18, v19, 1.0
	v_fmac_f32_e32 v19, v20, v19
	v_div_scale_f32 v20, vcc, 1.0, v12, 1.0
	v_mul_f32_e32 v21, v20, v19
	v_fma_f32 v22, -v18, v21, v20
	v_fmac_f32_e32 v21, v22, v19
	v_fma_f32 v18, -v18, v21, v20
	v_div_fmas_f32 v18, v18, v19, v21
	v_div_fixup_f32 v18, v18, v12, 1.0
	v_fma_f32 v12, v13, v4, v5
	v_fma_f32 v13, v13, v5, -v4
	v_mul_f32_e32 v12, v12, v18
	v_mul_f32_e32 v13, v13, v18
.LBB172_97:                             ;   in Loop: Header=BB172_89 Depth=1
	s_andn2_b64 vcc, exec, s[4:5]
	s_cbranch_vccnz .LBB172_99
; %bb.98:                               ;   in Loop: Header=BB172_89 Depth=1
	v_div_scale_f32 v12, s[4:5], v2, v2, v3
	v_rcp_f32_e32 v13, v12
	v_div_scale_f32 v18, vcc, v3, v2, v3
	v_fma_f32 v19, -v12, v13, 1.0
	v_fmac_f32_e32 v13, v19, v13
	v_mul_f32_e32 v19, v18, v13
	v_fma_f32 v20, -v12, v19, v18
	v_fmac_f32_e32 v19, v20, v13
	v_fma_f32 v12, -v12, v19, v18
	v_div_fmas_f32 v12, v12, v13, v19
	v_div_fixup_f32 v13, v12, v2, v3
	v_fmac_f32_e32 v2, v3, v13
	v_div_scale_f32 v3, s[4:5], v2, v2, 1.0
	v_rcp_f32_e32 v12, v3
	s_nop 0
	v_fma_f32 v18, -v3, v12, 1.0
	v_fmac_f32_e32 v12, v18, v12
	v_div_scale_f32 v18, vcc, 1.0, v2, 1.0
	v_mul_f32_e32 v19, v18, v12
	v_fma_f32 v20, -v3, v19, v18
	v_fmac_f32_e32 v19, v20, v12
	v_fma_f32 v3, -v3, v19, v18
	v_div_fmas_f32 v3, v3, v12, v19
	v_div_fixup_f32 v2, v3, v2, 1.0
	v_fma_f32 v3, v13, v5, v4
	v_mul_f32_e32 v12, v3, v2
	v_fma_f32 v3, -v13, v4, v5
	v_mul_f32_e32 v13, v3, v2
.LBB172_99:                             ;   in Loop: Header=BB172_89 Depth=1
	s_lshl_b32 s4, s15, 3
	s_lshl_b32 s14, s10, 3
	s_add_i32 s5, s4, s14
	v_mov_b32_e32 v2, s5
	ds_read_b64 v[18:19], v2
	s_lshl_b32 s5, s13, 3
	s_add_i32 s4, s4, s5
	v_mov_b32_e32 v2, s4
	ds_read2_b64 v[2:5], v2 offset1:1
	v_mov_b32_e32 v20, v11
	s_waitcnt lgkmcnt(1)
	v_pk_mul_f32 v[20:21], v[20:21], v[18:19] op_sel_hi:[0,1]
	v_pk_fma_f32 v[22:23], v[10:11], v[18:19], v[20:21] op_sel:[0,0,1] op_sel_hi:[1,1,0] neg_lo:[0,0,1] neg_hi:[0,0,1]
	v_pk_fma_f32 v[18:19], v[10:11], v[18:19], v[20:21] op_sel:[0,0,1] op_sel_hi:[0,1,0]
	v_mov_b32_e32 v18, v13
	v_mov_b32_e32 v23, v19
	s_waitcnt lgkmcnt(0)
	v_pk_mul_f32 v[18:19], v[18:19], v[4:5] op_sel_hi:[0,1]
	v_pk_fma_f32 v[20:21], v[12:13], v[4:5], v[18:19] op_sel:[0,0,1] op_sel_hi:[1,1,0] neg_lo:[0,0,1] neg_hi:[0,0,1]
	v_pk_fma_f32 v[4:5], v[12:13], v[4:5], v[18:19] op_sel:[0,0,1] op_sel_hi:[0,1,0]
	v_pk_add_f32 v[8:9], v[8:9], v[22:23] neg_lo:[0,1] neg_hi:[0,1]
	v_mov_b32_e32 v21, v5
	v_cmp_ngt_f32_e64 s[16:17], |v2|, |v3|
	v_pk_add_f32 v[4:5], v[8:9], v[20:21] neg_lo:[0,1] neg_hi:[0,1]
	s_mov_b64 s[4:5], -1
	s_and_b64 vcc, exec, s[16:17]
	ds_write_b64 v17, v[12:13]
                                        ; implicit-def: $vgpr8_vgpr9
	s_cbranch_vccz .LBB172_101
; %bb.100:                              ;   in Loop: Header=BB172_89 Depth=1
	v_div_scale_f32 v8, s[4:5], v3, v3, v2
	v_rcp_f32_e32 v9, v8
	v_div_scale_f32 v17, vcc, v2, v3, v2
	v_fma_f32 v18, -v8, v9, 1.0
	v_fmac_f32_e32 v9, v18, v9
	v_mul_f32_e32 v18, v17, v9
	v_fma_f32 v19, -v8, v18, v17
	v_fmac_f32_e32 v18, v19, v9
	v_fma_f32 v8, -v8, v18, v17
	v_div_fmas_f32 v8, v8, v9, v18
	v_div_fixup_f32 v8, v8, v3, v2
	v_fma_f32 v9, v2, v8, v3
	v_div_scale_f32 v17, s[4:5], v9, v9, 1.0
	v_rcp_f32_e32 v20, v17
	v_pk_fma_f32 v[18:19], v[8:9], v[4:5], v[4:5] op_sel:[0,0,1] op_sel_hi:[1,1,0]
	s_mov_b64 s[4:5], 0
	v_fma_f32 v19, -v17, v20, 1.0
	v_fmac_f32_e32 v20, v19, v20
	v_div_scale_f32 v19, vcc, 1.0, v9, 1.0
	v_mul_f32_e32 v21, v19, v20
	v_fma_f32 v22, -v17, v21, v19
	v_fmac_f32_e32 v21, v22, v20
	v_fma_f32 v17, -v17, v21, v19
	v_div_fmas_f32 v17, v17, v20, v21
	v_div_fixup_f32 v19, v17, v9, 1.0
	v_fma_f32 v9, v8, v5, -v4
	v_mov_b32_e32 v8, v19
	v_pk_mul_f32 v[8:9], v[18:19], v[8:9]
.LBB172_101:                            ;   in Loop: Header=BB172_89 Depth=1
	s_andn2_b64 vcc, exec, s[4:5]
	s_cbranch_vccnz .LBB172_103
; %bb.102:                              ;   in Loop: Header=BB172_89 Depth=1
	v_div_scale_f32 v8, s[4:5], v2, v2, v3
	v_rcp_f32_e32 v9, v8
	v_div_scale_f32 v17, vcc, v3, v2, v3
	v_fma_f32 v18, -v8, v9, 1.0
	v_fmac_f32_e32 v9, v18, v9
	v_mul_f32_e32 v18, v17, v9
	v_fma_f32 v19, -v8, v18, v17
	v_fmac_f32_e32 v18, v19, v9
	v_fma_f32 v8, -v8, v18, v17
	v_div_fmas_f32 v8, v8, v9, v18
	v_div_fixup_f32 v8, v8, v2, v3
	v_fmac_f32_e32 v2, v3, v8
	v_div_scale_f32 v3, s[4:5], v2, v2, 1.0
	v_rcp_f32_e32 v9, v3
	s_nop 0
	v_fma_f32 v17, -v3, v9, 1.0
	v_fmac_f32_e32 v9, v17, v9
	v_div_scale_f32 v17, vcc, 1.0, v2, 1.0
	v_mul_f32_e32 v18, v17, v9
	v_fma_f32 v19, -v3, v18, v17
	v_fmac_f32_e32 v18, v19, v9
	v_fma_f32 v3, -v3, v18, v17
	v_div_fmas_f32 v3, v3, v9, v18
	v_pk_fma_f32 v[18:19], v[8:9], v[4:5], v[4:5] op_sel:[0,1,0] op_sel_hi:[1,0,1]
	v_pk_fma_f32 v[4:5], v[8:9], v[4:5], v[4:5] op_sel:[0,1,0] op_sel_hi:[0,0,1] neg_lo:[1,0,0] neg_hi:[1,0,0]
	v_div_fixup_f32 v2, v3, v2, 1.0
	v_mov_b32_e32 v19, v5
	v_pk_mul_f32 v[8:9], v[18:19], v[2:3] op_sel_hi:[1,0]
.LBB172_103:                            ;   in Loop: Header=BB172_89 Depth=1
	s_lshl_b32 s4, s12, 3
	s_add_i32 s5, s4, s14
	s_add_i32 s5, s5, -8
	v_mov_b32_e32 v2, s5
	ds_write_b64 v16, v[8:9]
	ds_read2_b64 v[16:19], v2 offset1:1
	s_lshl_b32 s5, s11, 3
	s_add_i32 s4, s4, s5
	v_mov_b32_e32 v2, s4
	v_mov_b32_e32 v20, v11
	;; [unrolled: 1-line block ×3, first 2 shown]
	ds_read2_b64 v[2:5], v2 offset1:1
	v_mov_b32_e32 v11, v10
	s_waitcnt lgkmcnt(1)
	v_pk_mul_f32 v[20:21], v[20:21], v[18:19]
	v_mov_b32_e32 v22, v13
	v_mov_b32_e32 v23, v13
	v_pk_fma_f32 v[24:25], v[10:11], v[18:19], v[20:21] op_sel:[0,0,1] op_sel_hi:[1,1,0] neg_lo:[0,0,1] neg_hi:[0,0,1]
	v_pk_fma_f32 v[10:11], v[10:11], v[18:19], v[20:21] op_sel:[0,0,1] op_sel_hi:[1,1,0]
	v_mov_b32_e32 v13, v12
	v_mov_b32_e32 v25, v11
	v_pk_mul_f32 v[10:11], v[22:23], v[16:17]
	v_pk_add_f32 v[6:7], v[6:7], v[24:25] neg_lo:[0,1] neg_hi:[0,1]
	v_pk_fma_f32 v[18:19], v[12:13], v[16:17], v[10:11] op_sel:[0,0,1] op_sel_hi:[1,1,0] neg_lo:[0,0,1] neg_hi:[0,0,1]
	v_pk_fma_f32 v[10:11], v[12:13], v[16:17], v[10:11] op_sel:[0,0,1] op_sel_hi:[1,1,0]
	s_waitcnt lgkmcnt(0)
	v_cmp_ngt_f32_e64 s[12:13], |v2|, |v3|
	v_mov_b32_e32 v19, v11
	v_pk_mul_f32 v[10:11], v[8:9], v[4:5] op_sel:[1,1] op_sel_hi:[1,0]
	v_pk_add_f32 v[6:7], v[6:7], v[18:19] neg_lo:[0,1] neg_hi:[0,1]
	v_pk_fma_f32 v[12:13], v[8:9], v[4:5], v[10:11] neg_lo:[0,0,1] neg_hi:[0,0,1]
	v_pk_fma_f32 v[4:5], v[8:9], v[4:5], v[10:11] op_sel_hi:[0,1,1]
	v_mov_b32_e32 v13, v5
	v_pk_add_f32 v[4:5], v[6:7], v[12:13] neg_lo:[0,1] neg_hi:[0,1]
	s_mov_b64 s[4:5], -1
	s_and_b64 vcc, exec, s[12:13]
                                        ; implicit-def: $vgpr6_vgpr7
	s_cbranch_vccz .LBB172_105
; %bb.104:                              ;   in Loop: Header=BB172_89 Depth=1
	v_div_scale_f32 v6, s[4:5], v3, v3, v2
	v_rcp_f32_e32 v7, v6
	v_div_scale_f32 v8, vcc, v2, v3, v2
	v_fma_f32 v9, -v6, v7, 1.0
	v_fmac_f32_e32 v7, v9, v7
	v_mul_f32_e32 v9, v8, v7
	v_fma_f32 v10, -v6, v9, v8
	v_fmac_f32_e32 v9, v10, v7
	v_fma_f32 v6, -v6, v9, v8
	v_div_fmas_f32 v6, v6, v7, v9
	v_div_fixup_f32 v6, v6, v3, v2
	v_fma_f32 v7, v2, v6, v3
	v_div_scale_f32 v10, s[4:5], v7, v7, 1.0
	v_rcp_f32_e32 v11, v10
	v_pk_fma_f32 v[8:9], v[6:7], v[4:5], v[4:5] op_sel:[0,0,1] op_sel_hi:[1,1,0]
	s_mov_b64 s[4:5], 0
	v_fma_f32 v9, -v10, v11, 1.0
	v_fmac_f32_e32 v11, v9, v11
	v_div_scale_f32 v9, vcc, 1.0, v7, 1.0
	v_mul_f32_e32 v12, v9, v11
	v_fma_f32 v13, -v10, v12, v9
	v_fmac_f32_e32 v12, v13, v11
	v_fma_f32 v9, -v10, v12, v9
	v_div_fmas_f32 v9, v9, v11, v12
	v_div_fixup_f32 v9, v9, v7, 1.0
	v_fma_f32 v7, v6, v5, -v4
	v_mov_b32_e32 v6, v9
	v_pk_mul_f32 v[6:7], v[8:9], v[6:7]
.LBB172_105:                            ;   in Loop: Header=BB172_89 Depth=1
	s_andn2_b64 vcc, exec, s[4:5]
	s_cbranch_vccnz .LBB172_107
; %bb.106:                              ;   in Loop: Header=BB172_89 Depth=1
	v_div_scale_f32 v6, s[4:5], v2, v2, v3
	v_rcp_f32_e32 v7, v6
	v_div_scale_f32 v8, vcc, v3, v2, v3
	v_fma_f32 v9, -v6, v7, 1.0
	v_fmac_f32_e32 v7, v9, v7
	v_mul_f32_e32 v9, v8, v7
	v_fma_f32 v10, -v6, v9, v8
	v_fmac_f32_e32 v9, v10, v7
	v_fma_f32 v6, -v6, v9, v8
	v_div_fmas_f32 v6, v6, v7, v9
	v_div_fixup_f32 v6, v6, v2, v3
	v_fmac_f32_e32 v2, v3, v6
	v_div_scale_f32 v3, s[4:5], v2, v2, 1.0
	v_rcp_f32_e32 v7, v3
	s_nop 0
	v_fma_f32 v8, -v3, v7, 1.0
	v_fmac_f32_e32 v7, v8, v7
	v_div_scale_f32 v8, vcc, 1.0, v2, 1.0
	v_mul_f32_e32 v9, v8, v7
	v_fma_f32 v10, -v3, v9, v8
	v_fmac_f32_e32 v9, v10, v7
	v_fma_f32 v3, -v3, v9, v8
	v_div_fmas_f32 v3, v3, v7, v9
	v_pk_fma_f32 v[8:9], v[6:7], v[4:5], v[4:5] op_sel:[0,1,0] op_sel_hi:[1,0,1]
	v_pk_fma_f32 v[4:5], v[6:7], v[4:5], v[4:5] op_sel:[0,1,0] op_sel_hi:[0,0,1] neg_lo:[1,0,0] neg_hi:[1,0,0]
	v_div_fixup_f32 v2, v3, v2, 1.0
	v_mov_b32_e32 v9, v5
	v_pk_mul_f32 v[6:7], v[8:9], v[2:3] op_sel_hi:[1,0]
.LBB172_107:                            ;   in Loop: Header=BB172_89 Depth=1
	s_add_i32 s11, s10, -4
	s_addk_i32 s9, 0xfc00
	s_cmp_lt_i32 s10, 7
	ds_write_b64 v15, v[6:7]
	s_cbranch_scc1 .LBB172_109
; %bb.108:                              ;   in Loop: Header=BB172_89 Depth=1
	s_mov_b32 s10, s11
	s_branch .LBB172_89
.LBB172_109:
	s_cmp_lt_i32 s11, 0
	s_cbranch_scc1 .LBB172_118
; %bb.110:
	v_lshlrev_b32_e32 v2, 3, v0
	s_lshl_b32 s4, s11, 8
	s_lshl_b32 s5, s28, 3
	v_lshl_or_b32 v2, s28, 8, v2
	s_add_i32 s4, s4, s5
	v_add_u32_e32 v8, 0x1f00, v2
	s_add_i32 s9, s4, -8
	s_branch .LBB172_112
.LBB172_111:                            ;   in Loop: Header=BB172_112 Depth=1
	v_sub_co_u32_e64 v2, s[4:5], s11, 1
	s_nop 0
	v_readfirstlane_b32 s11, v2
	s_addk_i32 s9, 0xff00
	s_and_b64 vcc, exec, s[4:5]
	ds_write_b64 v9, v[6:7]
	s_cbranch_vccnz .LBB172_118
.LBB172_112:                            ; =>This Loop Header: Depth=1
                                        ;     Child Loop BB172_113 Depth 2
	v_lshl_add_u32 v9, s11, 8, v1
	ds_read_b64 v[2:3], v9
	s_cmp_le_i32 s7, s11
	s_mov_b32 s4, s9
	v_mov_b32_e32 v4, v8
	s_mov_b32 s5, s7
	s_cbranch_scc1 .LBB172_114
.LBB172_113:                            ;   Parent Loop BB172_112 Depth=1
                                        ; =>  This Inner Loop Header: Depth=2
	v_mov_b32_e32 v5, s4
	ds_read_b64 v[6:7], v4
	ds_read_b64 v[10:11], v5
	s_add_i32 s5, s5, -1
	s_add_i32 s4, s4, -8
	v_add_u32_e32 v4, 0xffffff00, v4
	s_cmp_le_u32 s5, s11
	s_waitcnt lgkmcnt(0)
	v_pk_mul_f32 v[12:13], v[10:11], v[6:7] op_sel:[1,1] op_sel_hi:[0,1]
	v_pk_fma_f32 v[14:15], v[10:11], v[6:7], v[12:13] op_sel_hi:[1,0,1]
	v_pk_fma_f32 v[6:7], v[10:11], v[6:7], v[12:13] op_sel_hi:[1,0,1] neg_lo:[0,0,1] neg_hi:[0,0,1]
	s_nop 0
	v_mov_b32_e32 v7, v15
	v_pk_add_f32 v[2:3], v[2:3], v[6:7] neg_lo:[0,1] neg_hi:[0,1]
	s_cbranch_scc0 .LBB172_113
.LBB172_114:                            ;   in Loop: Header=BB172_112 Depth=1
	s_mul_i32 s4, s11, 0x108
	v_mov_b32_e32 v4, s4
	ds_read_b64 v[4:5], v4
	s_mov_b64 s[4:5], -1
                                        ; implicit-def: $vgpr6_vgpr7
	s_waitcnt lgkmcnt(0)
	v_cmp_ngt_f32_e64 s[12:13], |v4|, |v5|
	s_and_b64 vcc, exec, s[12:13]
	s_cbranch_vccz .LBB172_116
; %bb.115:                              ;   in Loop: Header=BB172_112 Depth=1
	v_div_scale_f32 v6, s[4:5], v5, v5, v4
	v_rcp_f32_e32 v7, v6
	v_div_scale_f32 v10, vcc, v4, v5, v4
	v_fma_f32 v11, -v6, v7, 1.0
	v_fmac_f32_e32 v7, v11, v7
	v_mul_f32_e32 v11, v10, v7
	v_fma_f32 v12, -v6, v11, v10
	v_fmac_f32_e32 v11, v12, v7
	v_fma_f32 v6, -v6, v11, v10
	v_div_fmas_f32 v6, v6, v7, v11
	v_div_fixup_f32 v6, v6, v5, v4
	v_fma_f32 v7, v4, v6, v5
	v_div_scale_f32 v10, s[4:5], v7, v7, 1.0
	v_rcp_f32_e32 v11, v10
	s_mov_b64 s[4:5], 0
	v_fma_f32 v12, -v10, v11, 1.0
	v_fmac_f32_e32 v11, v12, v11
	v_div_scale_f32 v12, vcc, 1.0, v7, 1.0
	v_mul_f32_e32 v13, v12, v11
	v_fma_f32 v14, -v10, v13, v12
	v_fmac_f32_e32 v13, v14, v11
	v_fma_f32 v10, -v10, v13, v12
	v_div_fmas_f32 v10, v10, v11, v13
	v_div_fixup_f32 v10, v10, v7, 1.0
	v_pk_fma_f32 v[12:13], v[2:3], v[6:7], v[2:3] op_sel:[0,0,1] op_sel_hi:[1,0,0] neg_lo:[0,0,1] neg_hi:[0,0,1]
	v_pk_fma_f32 v[6:7], v[2:3], v[6:7], v[2:3] op_sel:[0,0,1] op_sel_hi:[1,0,0]
	s_nop 0
	v_mov_b32_e32 v7, v13
	v_pk_mul_f32 v[6:7], v[6:7], v[10:11] op_sel_hi:[1,0]
.LBB172_116:                            ;   in Loop: Header=BB172_112 Depth=1
	s_andn2_b64 vcc, exec, s[4:5]
	s_cbranch_vccnz .LBB172_111
; %bb.117:                              ;   in Loop: Header=BB172_112 Depth=1
	v_div_scale_f32 v6, s[4:5], v4, v4, v5
	v_rcp_f32_e32 v7, v6
	v_div_scale_f32 v10, vcc, v5, v4, v5
	v_fma_f32 v11, -v6, v7, 1.0
	v_fmac_f32_e32 v7, v11, v7
	v_mul_f32_e32 v11, v10, v7
	v_fma_f32 v12, -v6, v11, v10
	v_fmac_f32_e32 v11, v12, v7
	v_fma_f32 v6, -v6, v11, v10
	v_div_fmas_f32 v6, v6, v7, v11
	v_div_fixup_f32 v6, v6, v4, v5
	v_fmac_f32_e32 v4, v5, v6
	v_div_scale_f32 v5, s[4:5], v4, v4, 1.0
	v_rcp_f32_e32 v7, v5
	s_nop 0
	v_fma_f32 v10, -v5, v7, 1.0
	v_fmac_f32_e32 v7, v10, v7
	v_div_scale_f32 v10, vcc, 1.0, v4, 1.0
	v_mul_f32_e32 v11, v10, v7
	v_fma_f32 v12, -v5, v11, v10
	v_fmac_f32_e32 v11, v12, v7
	v_fma_f32 v5, -v5, v11, v10
	v_div_fmas_f32 v5, v5, v7, v11
	v_pk_fma_f32 v[10:11], v[2:3], v[6:7], v[2:3] op_sel:[1,0,0] op_sel_hi:[0,0,1] neg_lo:[1,0,0] neg_hi:[1,0,0]
	v_pk_fma_f32 v[2:3], v[2:3], v[6:7], v[2:3] op_sel:[1,0,0] op_sel_hi:[0,0,1]
	v_div_fixup_f32 v4, v5, v4, 1.0
	v_mov_b32_e32 v3, v11
	v_pk_mul_f32 v[6:7], v[2:3], v[4:5] op_sel_hi:[1,0]
	s_branch .LBB172_111
.LBB172_118:
	s_mov_b64 s[14:15], 0
.LBB172_119:
	s_andn2_b64 vcc, exec, s[14:15]
	s_cbranch_vccnz .LBB172_151
; %bb.120:
	v_mov_b32_e32 v1, 0x2000
	v_lshl_or_b32 v1, v0, 3, v1
	s_cmp_lt_i32 s8, 4
	s_mov_b32 s10, 0
	s_cbranch_scc1 .LBB172_142
; %bb.121:
	s_mov_b32 s7, 0
	s_mov_b32 s9, 0
.LBB172_122:                            ; =>This Loop Header: Depth=1
                                        ;     Child Loop BB172_123 Depth 2
	s_or_b32 s4, s9, 3
	v_lshl_add_u32 v17, s9, 8, v1
	s_or_b32 s5, s9, 1
	s_or_b32 s11, s9, 2
	v_lshl_add_u32 v16, s5, 8, v1
	v_lshl_add_u32 v15, s11, 8, v1
	;; [unrolled: 1-line block ×3, first 2 shown]
	ds_read_b64 v[2:3], v17
	ds_read_b64 v[12:13], v16
	;; [unrolled: 1-line block ×4, first 2 shown]
	s_cmp_eq_u32 s9, 0
	s_mov_b32 s10, s7
	v_mov_b32_e32 v4, v1
	s_mov_b32 s12, s9
	s_cbranch_scc1 .LBB172_124
.LBB172_123:                            ;   Parent Loop BB172_122 Depth=1
                                        ; =>  This Inner Loop Header: Depth=2
	v_mov_b32_e32 v5, s10
	ds_read_b64 v[10:11], v4
	ds_read2_b64 v[18:21], v5 offset1:32
	ds_read2_b64 v[22:25], v5 offset0:64 offset1:96
	s_add_i32 s12, s12, -1
	s_add_i32 s10, s10, 8
	v_add_u32_e32 v4, 0x100, v4
	s_waitcnt lgkmcnt(1)
	v_mul_f32_e32 v5, v19, v11
	v_mul_f32_e32 v30, v18, v11
	;; [unrolled: 1-line block ×4, first 2 shown]
	s_waitcnt lgkmcnt(0)
	v_pk_mul_f32 v[26:27], v[22:23], v[10:11] op_sel:[0,1]
	v_pk_mul_f32 v[28:29], v[24:25], v[10:11] op_sel:[0,1]
	v_fma_f32 v5, v18, v10, -v5
	v_fmac_f32_e32 v30, v19, v10
	v_fma_f32 v31, v20, v10, -v31
	v_fmac_f32_e32 v32, v20, v11
	v_pk_fma_f32 v[18:19], v[22:23], v[10:11], v[26:27] op_sel:[0,0,1] op_sel_hi:[1,1,0] neg_lo:[0,0,1] neg_hi:[0,0,1]
	v_pk_fma_f32 v[20:21], v[22:23], v[10:11], v[26:27] op_sel:[0,0,1] op_sel_hi:[1,0,0]
	v_pk_fma_f32 v[22:23], v[24:25], v[10:11], v[28:29] op_sel:[0,0,1] op_sel_hi:[1,1,0] neg_lo:[0,0,1] neg_hi:[0,0,1]
	v_pk_fma_f32 v[10:11], v[24:25], v[10:11], v[28:29] op_sel:[0,0,1] op_sel_hi:[1,0,0]
	v_mov_b32_e32 v19, v21
	v_mov_b32_e32 v23, v11
	s_cmp_eq_u32 s12, 0
	v_sub_f32_e32 v2, v2, v5
	v_sub_f32_e32 v3, v3, v30
	;; [unrolled: 1-line block ×4, first 2 shown]
	v_pk_add_f32 v[8:9], v[8:9], v[18:19] neg_lo:[0,1] neg_hi:[0,1]
	v_pk_add_f32 v[6:7], v[6:7], v[22:23] neg_lo:[0,1] neg_hi:[0,1]
	s_cbranch_scc0 .LBB172_123
.LBB172_124:                            ;   in Loop: Header=BB172_122 Depth=1
	s_lshl_b32 s10, s4, 5
	s_mul_i32 s4, s9, 0x108
	v_mov_b32_e32 v4, s4
	ds_read_b64 v[4:5], v4
	s_lshl_b32 s12, s5, 5
	s_lshl_b32 s13, s11, 5
	s_mov_b64 s[4:5], -1
                                        ; implicit-def: $vgpr11
	s_waitcnt lgkmcnt(0)
	v_cmp_ngt_f32_e64 s[14:15], |v4|, |v5|
	s_and_b64 vcc, exec, s[14:15]
	s_cbranch_vccz .LBB172_126
; %bb.125:                              ;   in Loop: Header=BB172_122 Depth=1
	v_div_scale_f32 v10, s[4:5], v5, v5, v4
	v_rcp_f32_e32 v11, v10
	v_div_scale_f32 v18, vcc, v4, v5, v4
	v_fma_f32 v19, -v10, v11, 1.0
	v_fmac_f32_e32 v11, v19, v11
	v_mul_f32_e32 v19, v18, v11
	v_fma_f32 v20, -v10, v19, v18
	v_fmac_f32_e32 v19, v20, v11
	v_fma_f32 v10, -v10, v19, v18
	v_div_fmas_f32 v10, v10, v11, v19
	v_div_fixup_f32 v11, v10, v5, v4
	v_fma_f32 v10, v4, v11, v5
	v_div_scale_f32 v18, s[4:5], v10, v10, 1.0
	v_rcp_f32_e32 v19, v18
	s_mov_b64 s[4:5], 0
	v_fma_f32 v20, -v18, v19, 1.0
	v_fmac_f32_e32 v19, v20, v19
	v_div_scale_f32 v20, vcc, 1.0, v10, 1.0
	v_mul_f32_e32 v21, v20, v19
	v_fma_f32 v22, -v18, v21, v20
	v_fmac_f32_e32 v21, v22, v19
	v_fma_f32 v18, -v18, v21, v20
	v_div_fmas_f32 v18, v18, v19, v21
	v_div_fixup_f32 v18, v18, v10, 1.0
	v_fma_f32 v10, v2, v11, v3
	v_fma_f32 v11, v3, v11, -v2
	v_mul_f32_e32 v10, v10, v18
	v_mul_f32_e32 v11, v11, v18
.LBB172_126:                            ;   in Loop: Header=BB172_122 Depth=1
	s_andn2_b64 vcc, exec, s[4:5]
	s_cbranch_vccnz .LBB172_128
; %bb.127:                              ;   in Loop: Header=BB172_122 Depth=1
	v_div_scale_f32 v10, s[4:5], v4, v4, v5
	v_rcp_f32_e32 v11, v10
	v_div_scale_f32 v18, vcc, v5, v4, v5
	v_fma_f32 v19, -v10, v11, 1.0
	v_fmac_f32_e32 v11, v19, v11
	v_mul_f32_e32 v19, v18, v11
	v_fma_f32 v20, -v10, v19, v18
	v_fmac_f32_e32 v19, v20, v11
	v_fma_f32 v10, -v10, v19, v18
	v_div_fmas_f32 v10, v10, v11, v19
	v_div_fixup_f32 v11, v10, v4, v5
	v_fmac_f32_e32 v4, v5, v11
	v_div_scale_f32 v5, s[4:5], v4, v4, 1.0
	v_rcp_f32_e32 v10, v5
	s_nop 0
	v_fma_f32 v18, -v5, v10, 1.0
	v_fmac_f32_e32 v10, v18, v10
	v_div_scale_f32 v18, vcc, 1.0, v4, 1.0
	v_mul_f32_e32 v19, v18, v10
	v_fma_f32 v20, -v5, v19, v18
	v_fmac_f32_e32 v19, v20, v10
	v_fma_f32 v5, -v5, v19, v18
	v_div_fmas_f32 v5, v5, v10, v19
	v_div_fixup_f32 v4, v5, v4, 1.0
	v_fma_f32 v5, v3, v11, v2
	v_fma_f32 v2, -v2, v11, v3
	v_mul_f32_e32 v10, v5, v4
	v_mul_f32_e32 v11, v2, v4
.LBB172_128:                            ;   in Loop: Header=BB172_122 Depth=1
	s_lshl_b32 s4, s12, 3
	s_lshl_b32 s12, s9, 3
	s_add_i32 s4, s4, s12
	v_mov_b32_e32 v2, s4
	ds_read_b128 v[2:5], v2
	ds_write_b64 v17, v[10:11]
	s_mov_b64 s[4:5], -1
	s_waitcnt lgkmcnt(1)
	v_mul_f32_e32 v17, v11, v3
	v_mul_f32_e32 v3, v10, v3
	v_fma_f32 v17, v10, v2, -v17
	v_fmac_f32_e32 v3, v11, v2
	v_cmp_ngt_f32_e64 s[14:15], |v4|, |v5|
	v_sub_f32_e32 v2, v12, v17
	v_sub_f32_e32 v3, v13, v3
	s_and_b64 vcc, exec, s[14:15]
                                        ; implicit-def: $vgpr13
	s_cbranch_vccz .LBB172_130
; %bb.129:                              ;   in Loop: Header=BB172_122 Depth=1
	v_div_scale_f32 v12, s[4:5], v5, v5, v4
	v_rcp_f32_e32 v13, v12
	v_div_scale_f32 v17, vcc, v4, v5, v4
	v_fma_f32 v18, -v12, v13, 1.0
	v_fmac_f32_e32 v13, v18, v13
	v_mul_f32_e32 v18, v17, v13
	v_fma_f32 v19, -v12, v18, v17
	v_fmac_f32_e32 v18, v19, v13
	v_fma_f32 v12, -v12, v18, v17
	v_div_fmas_f32 v12, v12, v13, v18
	v_div_fixup_f32 v13, v12, v5, v4
	v_fma_f32 v12, v4, v13, v5
	v_div_scale_f32 v17, s[4:5], v12, v12, 1.0
	v_rcp_f32_e32 v18, v17
	s_mov_b64 s[4:5], 0
	v_fma_f32 v19, -v17, v18, 1.0
	v_fmac_f32_e32 v18, v19, v18
	v_div_scale_f32 v19, vcc, 1.0, v12, 1.0
	v_mul_f32_e32 v20, v19, v18
	v_fma_f32 v21, -v17, v20, v19
	v_fmac_f32_e32 v20, v21, v18
	v_fma_f32 v17, -v17, v20, v19
	v_div_fmas_f32 v17, v17, v18, v20
	v_div_fixup_f32 v17, v17, v12, 1.0
	v_fma_f32 v12, v13, v2, v3
	v_fma_f32 v13, v13, v3, -v2
	v_mul_f32_e32 v12, v12, v17
	v_mul_f32_e32 v13, v13, v17
.LBB172_130:                            ;   in Loop: Header=BB172_122 Depth=1
	s_andn2_b64 vcc, exec, s[4:5]
	s_cbranch_vccnz .LBB172_132
; %bb.131:                              ;   in Loop: Header=BB172_122 Depth=1
	v_div_scale_f32 v12, s[4:5], v4, v4, v5
	v_rcp_f32_e32 v13, v12
	v_div_scale_f32 v17, vcc, v5, v4, v5
	v_fma_f32 v18, -v12, v13, 1.0
	v_fmac_f32_e32 v13, v18, v13
	v_mul_f32_e32 v18, v17, v13
	v_fma_f32 v19, -v12, v18, v17
	v_fmac_f32_e32 v18, v19, v13
	v_fma_f32 v12, -v12, v18, v17
	v_div_fmas_f32 v12, v12, v13, v18
	v_div_fixup_f32 v13, v12, v4, v5
	v_fmac_f32_e32 v4, v5, v13
	v_div_scale_f32 v5, s[4:5], v4, v4, 1.0
	v_rcp_f32_e32 v12, v5
	s_nop 0
	v_fma_f32 v17, -v5, v12, 1.0
	v_fmac_f32_e32 v12, v17, v12
	v_div_scale_f32 v17, vcc, 1.0, v4, 1.0
	v_mul_f32_e32 v18, v17, v12
	v_fma_f32 v19, -v5, v18, v17
	v_fmac_f32_e32 v18, v19, v12
	v_fma_f32 v5, -v5, v18, v17
	v_div_fmas_f32 v5, v5, v12, v18
	v_div_fixup_f32 v4, v5, v4, 1.0
	v_fma_f32 v5, v13, v3, v2
	v_fma_f32 v2, -v13, v2, v3
	v_mul_f32_e32 v12, v5, v4
	v_mul_f32_e32 v13, v2, v4
.LBB172_132:                            ;   in Loop: Header=BB172_122 Depth=1
	s_lshl_b32 s4, s13, 3
	s_add_i32 s5, s4, s12
	v_mov_b32_e32 v2, s5
	ds_write_b64 v16, v[12:13]
	ds_read_b128 v[16:19], v2
	s_lshl_b32 s5, s11, 3
	v_mov_b32_e32 v4, v11
	s_add_i32 s4, s4, s5
	v_mov_b32_e32 v2, s4
	s_waitcnt lgkmcnt(0)
	v_pk_mul_f32 v[4:5], v[4:5], v[16:17] op_sel_hi:[0,1]
	ds_read_b64 v[2:3], v2
	v_pk_fma_f32 v[20:21], v[10:11], v[16:17], v[4:5] op_sel:[0,0,1] op_sel_hi:[1,1,0] neg_lo:[0,0,1] neg_hi:[0,0,1]
	v_pk_fma_f32 v[4:5], v[10:11], v[16:17], v[4:5] op_sel:[0,0,1] op_sel_hi:[0,1,0]
	v_mov_b32_e32 v21, v5
	v_pk_add_f32 v[4:5], v[8:9], v[20:21] neg_lo:[0,1] neg_hi:[0,1]
	v_mov_b32_e32 v8, v13
	v_pk_mul_f32 v[8:9], v[8:9], v[18:19] op_sel_hi:[0,1]
	v_pk_fma_f32 v[16:17], v[12:13], v[18:19], v[8:9] op_sel:[0,0,1] op_sel_hi:[1,1,0] neg_lo:[0,0,1] neg_hi:[0,0,1]
	v_pk_fma_f32 v[8:9], v[12:13], v[18:19], v[8:9] op_sel:[0,0,1] op_sel_hi:[0,1,0]
	v_mov_b32_e32 v17, v9
	s_waitcnt lgkmcnt(0)
	v_cmp_ngt_f32_e64 s[14:15], |v2|, |v3|
	v_pk_add_f32 v[4:5], v[4:5], v[16:17] neg_lo:[0,1] neg_hi:[0,1]
	s_mov_b64 s[4:5], -1
	s_and_b64 vcc, exec, s[14:15]
                                        ; implicit-def: $vgpr8_vgpr9
	s_cbranch_vccz .LBB172_134
; %bb.133:                              ;   in Loop: Header=BB172_122 Depth=1
	v_div_scale_f32 v8, s[4:5], v3, v3, v2
	v_rcp_f32_e32 v9, v8
	v_div_scale_f32 v16, vcc, v2, v3, v2
	v_fma_f32 v17, -v8, v9, 1.0
	v_fmac_f32_e32 v9, v17, v9
	v_mul_f32_e32 v17, v16, v9
	v_fma_f32 v18, -v8, v17, v16
	v_fmac_f32_e32 v17, v18, v9
	v_fma_f32 v8, -v8, v17, v16
	v_div_fmas_f32 v8, v8, v9, v17
	v_div_fixup_f32 v8, v8, v3, v2
	v_fma_f32 v9, v2, v8, v3
	v_div_scale_f32 v18, s[4:5], v9, v9, 1.0
	v_rcp_f32_e32 v19, v18
	v_pk_fma_f32 v[16:17], v[8:9], v[4:5], v[4:5] op_sel:[0,0,1] op_sel_hi:[1,1,0]
	s_mov_b64 s[4:5], 0
	v_fma_f32 v17, -v18, v19, 1.0
	v_fmac_f32_e32 v19, v17, v19
	v_div_scale_f32 v17, vcc, 1.0, v9, 1.0
	v_mul_f32_e32 v20, v17, v19
	v_fma_f32 v21, -v18, v20, v17
	v_fmac_f32_e32 v20, v21, v19
	v_fma_f32 v17, -v18, v20, v17
	v_div_fmas_f32 v17, v17, v19, v20
	v_div_fixup_f32 v17, v17, v9, 1.0
	v_fma_f32 v9, v8, v5, -v4
	v_mov_b32_e32 v8, v17
	v_pk_mul_f32 v[8:9], v[16:17], v[8:9]
.LBB172_134:                            ;   in Loop: Header=BB172_122 Depth=1
	s_andn2_b64 vcc, exec, s[4:5]
	s_cbranch_vccnz .LBB172_136
; %bb.135:                              ;   in Loop: Header=BB172_122 Depth=1
	v_div_scale_f32 v8, s[4:5], v2, v2, v3
	v_rcp_f32_e32 v9, v8
	v_div_scale_f32 v16, vcc, v3, v2, v3
	v_fma_f32 v17, -v8, v9, 1.0
	v_fmac_f32_e32 v9, v17, v9
	v_mul_f32_e32 v17, v16, v9
	v_fma_f32 v18, -v8, v17, v16
	v_fmac_f32_e32 v17, v18, v9
	v_fma_f32 v8, -v8, v17, v16
	v_div_fmas_f32 v8, v8, v9, v17
	v_div_fixup_f32 v8, v8, v2, v3
	v_fmac_f32_e32 v2, v3, v8
	v_div_scale_f32 v3, s[4:5], v2, v2, 1.0
	v_rcp_f32_e32 v9, v3
	s_nop 0
	v_fma_f32 v16, -v3, v9, 1.0
	v_fmac_f32_e32 v9, v16, v9
	v_div_scale_f32 v16, vcc, 1.0, v2, 1.0
	v_mul_f32_e32 v17, v16, v9
	v_fma_f32 v18, -v3, v17, v16
	v_fmac_f32_e32 v17, v18, v9
	v_fma_f32 v3, -v3, v17, v16
	v_div_fmas_f32 v3, v3, v9, v17
	v_pk_fma_f32 v[16:17], v[8:9], v[4:5], v[4:5] op_sel:[0,1,0] op_sel_hi:[1,0,1]
	v_pk_fma_f32 v[4:5], v[8:9], v[4:5], v[4:5] op_sel:[0,1,0] op_sel_hi:[0,0,1] neg_lo:[1,0,0] neg_hi:[1,0,0]
	v_div_fixup_f32 v2, v3, v2, 1.0
	v_mov_b32_e32 v17, v5
	v_pk_mul_f32 v[8:9], v[16:17], v[2:3] op_sel_hi:[1,0]
.LBB172_136:                            ;   in Loop: Header=BB172_122 Depth=1
	s_lshl_b32 s4, s10, 3
	s_add_i32 s4, s4, s12
	v_mov_b32_e32 v2, s4
	ds_read_b128 v[16:19], v2
	v_mov_b32_e32 v20, v11
	v_mov_b32_e32 v21, v11
	ds_read_b128 v[2:5], v2 offset:16
	v_mov_b32_e32 v11, v10
	s_waitcnt lgkmcnt(1)
	v_pk_mul_f32 v[20:21], v[20:21], v[16:17]
	v_mov_b32_e32 v22, v13
	v_mov_b32_e32 v23, v13
	v_pk_fma_f32 v[24:25], v[10:11], v[16:17], v[20:21] op_sel:[0,0,1] op_sel_hi:[1,1,0] neg_lo:[0,0,1] neg_hi:[0,0,1]
	v_pk_fma_f32 v[10:11], v[10:11], v[16:17], v[20:21] op_sel:[0,0,1] op_sel_hi:[1,1,0]
	v_mov_b32_e32 v13, v12
	v_mov_b32_e32 v25, v11
	v_pk_mul_f32 v[10:11], v[22:23], v[18:19]
	v_pk_add_f32 v[6:7], v[6:7], v[24:25] neg_lo:[0,1] neg_hi:[0,1]
	v_pk_fma_f32 v[16:17], v[12:13], v[18:19], v[10:11] op_sel:[0,0,1] op_sel_hi:[1,1,0] neg_lo:[0,0,1] neg_hi:[0,0,1]
	v_pk_fma_f32 v[10:11], v[12:13], v[18:19], v[10:11] op_sel:[0,0,1] op_sel_hi:[1,1,0]
	s_waitcnt lgkmcnt(0)
	v_cmp_ngt_f32_e64 s[10:11], |v4|, |v5|
	v_mov_b32_e32 v17, v11
	v_pk_mul_f32 v[10:11], v[8:9], v[2:3] op_sel:[1,1] op_sel_hi:[1,0]
	v_pk_add_f32 v[6:7], v[6:7], v[16:17] neg_lo:[0,1] neg_hi:[0,1]
	v_pk_fma_f32 v[12:13], v[8:9], v[2:3], v[10:11] neg_lo:[0,0,1] neg_hi:[0,0,1]
	v_pk_fma_f32 v[2:3], v[8:9], v[2:3], v[10:11] op_sel_hi:[0,1,1]
	v_mov_b32_e32 v13, v3
	v_pk_add_f32 v[2:3], v[6:7], v[12:13] neg_lo:[0,1] neg_hi:[0,1]
	s_mov_b64 s[4:5], -1
	s_and_b64 vcc, exec, s[10:11]
	ds_write_b64 v15, v[8:9]
                                        ; implicit-def: $vgpr6_vgpr7
	s_cbranch_vccz .LBB172_138
; %bb.137:                              ;   in Loop: Header=BB172_122 Depth=1
	v_div_scale_f32 v6, s[4:5], v5, v5, v4
	v_rcp_f32_e32 v7, v6
	v_div_scale_f32 v8, vcc, v4, v5, v4
	v_fma_f32 v9, -v6, v7, 1.0
	v_fmac_f32_e32 v7, v9, v7
	v_mul_f32_e32 v9, v8, v7
	v_fma_f32 v10, -v6, v9, v8
	v_fmac_f32_e32 v9, v10, v7
	v_fma_f32 v6, -v6, v9, v8
	v_div_fmas_f32 v6, v6, v7, v9
	v_div_fixup_f32 v6, v6, v5, v4
	v_fma_f32 v7, v4, v6, v5
	v_div_scale_f32 v10, s[4:5], v7, v7, 1.0
	v_rcp_f32_e32 v11, v10
	v_pk_fma_f32 v[8:9], v[6:7], v[2:3], v[2:3] op_sel:[0,0,1] op_sel_hi:[1,1,0]
	s_mov_b64 s[4:5], 0
	v_fma_f32 v9, -v10, v11, 1.0
	v_fmac_f32_e32 v11, v9, v11
	v_div_scale_f32 v9, vcc, 1.0, v7, 1.0
	v_mul_f32_e32 v12, v9, v11
	v_fma_f32 v13, -v10, v12, v9
	v_fmac_f32_e32 v12, v13, v11
	v_fma_f32 v9, -v10, v12, v9
	v_div_fmas_f32 v9, v9, v11, v12
	v_div_fixup_f32 v9, v9, v7, 1.0
	v_fma_f32 v7, v6, v3, -v2
	v_mov_b32_e32 v6, v9
	v_pk_mul_f32 v[6:7], v[8:9], v[6:7]
.LBB172_138:                            ;   in Loop: Header=BB172_122 Depth=1
	s_andn2_b64 vcc, exec, s[4:5]
	s_cbranch_vccnz .LBB172_140
; %bb.139:                              ;   in Loop: Header=BB172_122 Depth=1
	v_div_scale_f32 v6, s[4:5], v4, v4, v5
	v_rcp_f32_e32 v7, v6
	v_div_scale_f32 v8, vcc, v5, v4, v5
	v_fma_f32 v9, -v6, v7, 1.0
	v_fmac_f32_e32 v7, v9, v7
	v_mul_f32_e32 v9, v8, v7
	v_fma_f32 v10, -v6, v9, v8
	v_fmac_f32_e32 v9, v10, v7
	v_fma_f32 v6, -v6, v9, v8
	v_div_fmas_f32 v6, v6, v7, v9
	v_div_fixup_f32 v6, v6, v4, v5
	v_fmac_f32_e32 v4, v5, v6
	v_div_scale_f32 v5, s[4:5], v4, v4, 1.0
	v_rcp_f32_e32 v7, v5
	s_nop 0
	v_fma_f32 v8, -v5, v7, 1.0
	v_fmac_f32_e32 v7, v8, v7
	v_div_scale_f32 v8, vcc, 1.0, v4, 1.0
	v_mul_f32_e32 v9, v8, v7
	v_fma_f32 v10, -v5, v9, v8
	v_fmac_f32_e32 v9, v10, v7
	v_fma_f32 v5, -v5, v9, v8
	v_div_fmas_f32 v5, v5, v7, v9
	v_pk_fma_f32 v[8:9], v[6:7], v[2:3], v[2:3] op_sel:[0,1,0] op_sel_hi:[1,0,1]
	v_pk_fma_f32 v[2:3], v[6:7], v[2:3], v[2:3] op_sel:[0,1,0] op_sel_hi:[0,0,1] neg_lo:[1,0,0] neg_hi:[1,0,0]
	v_div_fixup_f32 v4, v5, v4, 1.0
	v_mov_b32_e32 v9, v3
	v_pk_mul_f32 v[6:7], v[8:9], v[4:5] op_sel_hi:[1,0]
.LBB172_140:                            ;   in Loop: Header=BB172_122 Depth=1
	s_add_i32 s10, s9, 4
	s_add_i32 s4, s9, 7
	s_addk_i32 s7, 0x400
	s_cmp_ge_i32 s4, s28
	ds_write_b64 v14, v[6:7]
	s_cbranch_scc1 .LBB172_142
; %bb.141:                              ;   in Loop: Header=BB172_122 Depth=1
	s_mov_b32 s9, s10
	s_branch .LBB172_122
.LBB172_142:
	s_cmp_ge_i32 s10, s28
	s_cbranch_scc1 .LBB172_151
; %bb.143:
	v_mov_b32_e32 v2, 0x2000
	v_lshl_or_b32 v8, v0, 3, v2
	s_lshl_b32 s7, s10, 8
	s_branch .LBB172_145
.LBB172_144:                            ;   in Loop: Header=BB172_145 Depth=1
	s_add_i32 s10, s10, 1
	s_addk_i32 s7, 0x100
	s_cmp_ge_i32 s10, s28
	ds_write_b64 v9, v[6:7]
	s_cbranch_scc1 .LBB172_151
.LBB172_145:                            ; =>This Loop Header: Depth=1
                                        ;     Child Loop BB172_146 Depth 2
	v_lshl_add_u32 v9, s10, 8, v1
	ds_read_b64 v[2:3], v9
	s_cmp_eq_u32 s10, 0
	s_mov_b32 s4, s7
	v_mov_b32_e32 v4, v8
	s_mov_b32 s5, s10
	s_cbranch_scc1 .LBB172_147
.LBB172_146:                            ;   Parent Loop BB172_145 Depth=1
                                        ; =>  This Inner Loop Header: Depth=2
	v_mov_b32_e32 v5, s4
	ds_read_b64 v[6:7], v4
	ds_read_b64 v[10:11], v5
	s_add_i32 s5, s5, -1
	s_add_i32 s4, s4, 8
	v_add_u32_e32 v4, 0x100, v4
	s_cmp_eq_u32 s5, 0
	s_waitcnt lgkmcnt(0)
	v_pk_mul_f32 v[12:13], v[10:11], v[6:7] op_sel:[1,1] op_sel_hi:[0,1]
	v_pk_fma_f32 v[14:15], v[10:11], v[6:7], v[12:13] op_sel_hi:[1,0,1]
	v_pk_fma_f32 v[6:7], v[10:11], v[6:7], v[12:13] op_sel_hi:[1,0,1] neg_lo:[0,0,1] neg_hi:[0,0,1]
	s_nop 0
	v_mov_b32_e32 v7, v15
	v_pk_add_f32 v[2:3], v[2:3], v[6:7] neg_lo:[0,1] neg_hi:[0,1]
	s_cbranch_scc0 .LBB172_146
.LBB172_147:                            ;   in Loop: Header=BB172_145 Depth=1
	s_mul_i32 s4, s10, 0x108
	v_mov_b32_e32 v4, s4
	ds_read_b64 v[4:5], v4
	s_mov_b64 s[4:5], -1
                                        ; implicit-def: $vgpr6_vgpr7
	s_waitcnt lgkmcnt(0)
	v_cmp_ngt_f32_e64 s[12:13], |v4|, |v5|
	s_and_b64 vcc, exec, s[12:13]
	s_cbranch_vccz .LBB172_149
; %bb.148:                              ;   in Loop: Header=BB172_145 Depth=1
	v_div_scale_f32 v6, s[4:5], v5, v5, v4
	v_rcp_f32_e32 v7, v6
	v_div_scale_f32 v10, vcc, v4, v5, v4
	v_fma_f32 v11, -v6, v7, 1.0
	v_fmac_f32_e32 v7, v11, v7
	v_mul_f32_e32 v11, v10, v7
	v_fma_f32 v12, -v6, v11, v10
	v_fmac_f32_e32 v11, v12, v7
	v_fma_f32 v6, -v6, v11, v10
	v_div_fmas_f32 v6, v6, v7, v11
	v_div_fixup_f32 v6, v6, v5, v4
	v_fma_f32 v7, v4, v6, v5
	v_div_scale_f32 v10, s[4:5], v7, v7, 1.0
	v_rcp_f32_e32 v11, v10
	s_mov_b64 s[4:5], 0
	v_fma_f32 v12, -v10, v11, 1.0
	v_fmac_f32_e32 v11, v12, v11
	v_div_scale_f32 v12, vcc, 1.0, v7, 1.0
	v_mul_f32_e32 v13, v12, v11
	v_fma_f32 v14, -v10, v13, v12
	v_fmac_f32_e32 v13, v14, v11
	v_fma_f32 v10, -v10, v13, v12
	v_div_fmas_f32 v10, v10, v11, v13
	v_div_fixup_f32 v10, v10, v7, 1.0
	v_pk_fma_f32 v[12:13], v[2:3], v[6:7], v[2:3] op_sel:[0,0,1] op_sel_hi:[1,0,0] neg_lo:[0,0,1] neg_hi:[0,0,1]
	v_pk_fma_f32 v[6:7], v[2:3], v[6:7], v[2:3] op_sel:[0,0,1] op_sel_hi:[1,0,0]
	s_nop 0
	v_mov_b32_e32 v7, v13
	v_pk_mul_f32 v[6:7], v[6:7], v[10:11] op_sel_hi:[1,0]
.LBB172_149:                            ;   in Loop: Header=BB172_145 Depth=1
	s_andn2_b64 vcc, exec, s[4:5]
	s_cbranch_vccnz .LBB172_144
; %bb.150:                              ;   in Loop: Header=BB172_145 Depth=1
	v_div_scale_f32 v6, s[4:5], v4, v4, v5
	v_rcp_f32_e32 v7, v6
	v_div_scale_f32 v10, vcc, v5, v4, v5
	v_fma_f32 v11, -v6, v7, 1.0
	v_fmac_f32_e32 v7, v11, v7
	v_mul_f32_e32 v11, v10, v7
	v_fma_f32 v12, -v6, v11, v10
	v_fmac_f32_e32 v11, v12, v7
	v_fma_f32 v6, -v6, v11, v10
	v_div_fmas_f32 v6, v6, v7, v11
	v_div_fixup_f32 v6, v6, v4, v5
	v_fmac_f32_e32 v4, v5, v6
	v_div_scale_f32 v5, s[4:5], v4, v4, 1.0
	v_rcp_f32_e32 v7, v5
	s_nop 0
	v_fma_f32 v10, -v5, v7, 1.0
	v_fmac_f32_e32 v7, v10, v7
	v_div_scale_f32 v10, vcc, 1.0, v4, 1.0
	v_mul_f32_e32 v11, v10, v7
	v_fma_f32 v12, -v5, v11, v10
	v_fmac_f32_e32 v11, v12, v7
	v_fma_f32 v5, -v5, v11, v10
	v_div_fmas_f32 v5, v5, v7, v11
	v_pk_fma_f32 v[10:11], v[2:3], v[6:7], v[2:3] op_sel:[1,0,0] op_sel_hi:[0,0,1] neg_lo:[1,0,0] neg_hi:[1,0,0]
	v_pk_fma_f32 v[2:3], v[2:3], v[6:7], v[2:3] op_sel:[1,0,0] op_sel_hi:[0,0,1]
	v_div_fixup_f32 v4, v5, v4, 1.0
	v_mov_b32_e32 v3, v11
	v_pk_mul_f32 v[6:7], v[2:3], v[4:5] op_sel_hi:[1,0]
	s_branch .LBB172_144
.LBB172_151:
	s_and_saveexec_b64 s[4:5], s[0:1]
	s_cbranch_execz .LBB172_155
; %bb.152:
	s_cmp_lt_i32 s8, 1
	s_cbranch_scc1 .LBB172_155
; %bb.153:
	s_ashr_i32 s7, s6, 31
	v_lshlrev_b32_e32 v2, 3, v0
	v_mov_b32_e32 v3, 0
	v_lshl_add_u64 v[0:1], s[2:3], 0, v[2:3]
	s_lshl_b64 s[0:1], s[6:7], 3
	v_or_b32_e32 v2, 0x2000, v2
.LBB172_154:                            ; =>This Inner Loop Header: Depth=1
	ds_read_b64 v[4:5], v2
	s_add_i32 s8, s8, -1
	v_add_u32_e32 v2, 0x100, v2
	s_cmp_lg_u32 s8, 0
	s_waitcnt lgkmcnt(0)
	flat_store_dwordx2 v[0:1], v[4:5]
	v_lshl_add_u64 v[0:1], v[0:1], 0, s[0:1]
	s_cbranch_scc1 .LBB172_154
.LBB172_155:
	s_endpgm
	.section	.rodata,"a",@progbits
	.p2align	6, 0x0
	.amdhsa_kernel _ZL31rocblas_trsm_small_right_deviceI19rocblas_complex_numIfES1_PKPKS1_PKPS1_Li32EEv13rocblas_fill_18rocblas_operation_17rocblas_diagonal_iiT0_T1_lilT2_lili
		.amdhsa_group_segment_fixed_size 16384
		.amdhsa_private_segment_fixed_size 0
		.amdhsa_kernarg_size 360
		.amdhsa_user_sgpr_count 2
		.amdhsa_user_sgpr_dispatch_ptr 0
		.amdhsa_user_sgpr_queue_ptr 0
		.amdhsa_user_sgpr_kernarg_segment_ptr 1
		.amdhsa_user_sgpr_dispatch_id 0
		.amdhsa_user_sgpr_kernarg_preload_length 0
		.amdhsa_user_sgpr_kernarg_preload_offset 0
		.amdhsa_user_sgpr_private_segment_size 0
		.amdhsa_uses_dynamic_stack 0
		.amdhsa_enable_private_segment 0
		.amdhsa_system_sgpr_workgroup_id_x 1
		.amdhsa_system_sgpr_workgroup_id_y 0
		.amdhsa_system_sgpr_workgroup_id_z 1
		.amdhsa_system_sgpr_workgroup_info 0
		.amdhsa_system_vgpr_workitem_id 0
		.amdhsa_next_free_vgpr 129
		.amdhsa_next_free_sgpr 96
		.amdhsa_accum_offset 36
		.amdhsa_reserve_vcc 1
		.amdhsa_float_round_mode_32 0
		.amdhsa_float_round_mode_16_64 0
		.amdhsa_float_denorm_mode_32 3
		.amdhsa_float_denorm_mode_16_64 3
		.amdhsa_dx10_clamp 1
		.amdhsa_ieee_mode 1
		.amdhsa_fp16_overflow 0
		.amdhsa_tg_split 0
		.amdhsa_exception_fp_ieee_invalid_op 0
		.amdhsa_exception_fp_denorm_src 0
		.amdhsa_exception_fp_ieee_div_zero 0
		.amdhsa_exception_fp_ieee_overflow 0
		.amdhsa_exception_fp_ieee_underflow 0
		.amdhsa_exception_fp_ieee_inexact 0
		.amdhsa_exception_int_div_zero 0
	.end_amdhsa_kernel
	.section	.text._ZL31rocblas_trsm_small_right_deviceI19rocblas_complex_numIfES1_PKPKS1_PKPS1_Li32EEv13rocblas_fill_18rocblas_operation_17rocblas_diagonal_iiT0_T1_lilT2_lili,"axG",@progbits,_ZL31rocblas_trsm_small_right_deviceI19rocblas_complex_numIfES1_PKPKS1_PKPS1_Li32EEv13rocblas_fill_18rocblas_operation_17rocblas_diagonal_iiT0_T1_lilT2_lili,comdat
.Lfunc_end172:
	.size	_ZL31rocblas_trsm_small_right_deviceI19rocblas_complex_numIfES1_PKPKS1_PKPS1_Li32EEv13rocblas_fill_18rocblas_operation_17rocblas_diagonal_iiT0_T1_lilT2_lili, .Lfunc_end172-_ZL31rocblas_trsm_small_right_deviceI19rocblas_complex_numIfES1_PKPKS1_PKPS1_Li32EEv13rocblas_fill_18rocblas_operation_17rocblas_diagonal_iiT0_T1_lilT2_lili
                                        ; -- End function
	.set _ZL31rocblas_trsm_small_right_deviceI19rocblas_complex_numIfES1_PKPKS1_PKPS1_Li32EEv13rocblas_fill_18rocblas_operation_17rocblas_diagonal_iiT0_T1_lilT2_lili.num_vgpr, 34
	.set _ZL31rocblas_trsm_small_right_deviceI19rocblas_complex_numIfES1_PKPKS1_PKPS1_Li32EEv13rocblas_fill_18rocblas_operation_17rocblas_diagonal_iiT0_T1_lilT2_lili.num_agpr, 0
	.set _ZL31rocblas_trsm_small_right_deviceI19rocblas_complex_numIfES1_PKPKS1_PKPS1_Li32EEv13rocblas_fill_18rocblas_operation_17rocblas_diagonal_iiT0_T1_lilT2_lili.numbered_sgpr, 30
	.set _ZL31rocblas_trsm_small_right_deviceI19rocblas_complex_numIfES1_PKPKS1_PKPS1_Li32EEv13rocblas_fill_18rocblas_operation_17rocblas_diagonal_iiT0_T1_lilT2_lili.num_named_barrier, 0
	.set _ZL31rocblas_trsm_small_right_deviceI19rocblas_complex_numIfES1_PKPKS1_PKPS1_Li32EEv13rocblas_fill_18rocblas_operation_17rocblas_diagonal_iiT0_T1_lilT2_lili.private_seg_size, 0
	.set _ZL31rocblas_trsm_small_right_deviceI19rocblas_complex_numIfES1_PKPKS1_PKPS1_Li32EEv13rocblas_fill_18rocblas_operation_17rocblas_diagonal_iiT0_T1_lilT2_lili.uses_vcc, 1
	.set _ZL31rocblas_trsm_small_right_deviceI19rocblas_complex_numIfES1_PKPKS1_PKPS1_Li32EEv13rocblas_fill_18rocblas_operation_17rocblas_diagonal_iiT0_T1_lilT2_lili.uses_flat_scratch, 0
	.set _ZL31rocblas_trsm_small_right_deviceI19rocblas_complex_numIfES1_PKPKS1_PKPS1_Li32EEv13rocblas_fill_18rocblas_operation_17rocblas_diagonal_iiT0_T1_lilT2_lili.has_dyn_sized_stack, 0
	.set _ZL31rocblas_trsm_small_right_deviceI19rocblas_complex_numIfES1_PKPKS1_PKPS1_Li32EEv13rocblas_fill_18rocblas_operation_17rocblas_diagonal_iiT0_T1_lilT2_lili.has_recursion, 0
	.set _ZL31rocblas_trsm_small_right_deviceI19rocblas_complex_numIfES1_PKPKS1_PKPS1_Li32EEv13rocblas_fill_18rocblas_operation_17rocblas_diagonal_iiT0_T1_lilT2_lili.has_indirect_call, 0
	.section	.AMDGPU.csdata,"",@progbits
; Kernel info:
; codeLenInByte = 13004
; TotalNumSgprs: 36
; NumVgprs: 34
; NumAgprs: 0
; TotalNumVgprs: 34
; ScratchSize: 0
; MemoryBound: 0
; FloatMode: 240
; IeeeMode: 1
; LDSByteSize: 16384 bytes/workgroup (compile time only)
; SGPRBlocks: 12
; VGPRBlocks: 16
; NumSGPRsForWavesPerEU: 102
; NumVGPRsForWavesPerEU: 129
; AccumOffset: 36
; Occupancy: 3
; WaveLimiterHint : 1
; COMPUTE_PGM_RSRC2:SCRATCH_EN: 0
; COMPUTE_PGM_RSRC2:USER_SGPR: 2
; COMPUTE_PGM_RSRC2:TRAP_HANDLER: 0
; COMPUTE_PGM_RSRC2:TGID_X_EN: 1
; COMPUTE_PGM_RSRC2:TGID_Y_EN: 0
; COMPUTE_PGM_RSRC2:TGID_Z_EN: 1
; COMPUTE_PGM_RSRC2:TIDIG_COMP_CNT: 0
; COMPUTE_PGM_RSRC3_GFX90A:ACCUM_OFFSET: 8
; COMPUTE_PGM_RSRC3_GFX90A:TG_SPLIT: 0
	.section	.text._ZL38rocblas_trsm_small_left_device_sharedBILi64ELi32ELb0E19rocblas_complex_numIfES1_PKPKS1_PKPS1_Ev13rocblas_fill_18rocblas_operation_17rocblas_diagonal_iiT3_T4_lilT5_lili,"axG",@progbits,_ZL38rocblas_trsm_small_left_device_sharedBILi64ELi32ELb0E19rocblas_complex_numIfES1_PKPKS1_PKPS1_Ev13rocblas_fill_18rocblas_operation_17rocblas_diagonal_iiT3_T4_lilT5_lili,comdat
	.globl	_ZL38rocblas_trsm_small_left_device_sharedBILi64ELi32ELb0E19rocblas_complex_numIfES1_PKPKS1_PKPS1_Ev13rocblas_fill_18rocblas_operation_17rocblas_diagonal_iiT3_T4_lilT5_lili ; -- Begin function _ZL38rocblas_trsm_small_left_device_sharedBILi64ELi32ELb0E19rocblas_complex_numIfES1_PKPKS1_PKPS1_Ev13rocblas_fill_18rocblas_operation_17rocblas_diagonal_iiT3_T4_lilT5_lili
	.p2align	8
	.type	_ZL38rocblas_trsm_small_left_device_sharedBILi64ELi32ELb0E19rocblas_complex_numIfES1_PKPKS1_PKPS1_Ev13rocblas_fill_18rocblas_operation_17rocblas_diagonal_iiT3_T4_lilT5_lili,@function
_ZL38rocblas_trsm_small_left_device_sharedBILi64ELi32ELb0E19rocblas_complex_numIfES1_PKPKS1_PKPS1_Ev13rocblas_fill_18rocblas_operation_17rocblas_diagonal_iiT3_T4_lilT5_lili: ; @_ZL38rocblas_trsm_small_left_device_sharedBILi64ELi32ELb0E19rocblas_complex_numIfES1_PKPKS1_PKPS1_Ev13rocblas_fill_18rocblas_operation_17rocblas_diagonal_iiT3_T4_lilT5_lili
; %bb.0:
	s_load_dwordx4 s[8:11], s[0:1], 0x40
	s_load_dwordx4 s[4:7], s[0:1], 0x4
	s_load_dwordx2 s[12:13], s[0:1], 0x14
	s_mov_b32 s14, s3
	s_mov_b32 s15, 0
	s_lshl_b64 s[18:19], s[14:15], 3
	s_waitcnt lgkmcnt(0)
	s_add_u32 s8, s8, s18
	s_addc_u32 s9, s9, s19
	s_load_dword s3, s[0:1], 0x68
	s_load_dwordx2 s[14:15], s[8:9], 0x0
	s_min_i32 s28, s6, 64
	v_cmp_gt_i32_e32 vcc, s28, v0
	s_and_saveexec_b64 s[8:9], vcc
	s_cbranch_execz .LBB173_15
; %bb.1:
	s_load_dword s24, s[0:1], 0x30
	s_load_dwordx4 s[20:23], s[0:1], 0x20
	v_lshlrev_b32_e32 v2, 3, v0
	v_mov_b32_e32 v3, 0
	v_mov_b32_e32 v1, v2
	s_waitcnt lgkmcnt(0)
	s_ashr_i32 s25, s24, 31
	s_cmpk_lg_i32 s4, 0x71
	s_cselect_b64 s[16:17], -1, 0
	s_add_u32 s18, s20, s18
	s_addc_u32 s19, s21, s19
	s_load_dwordx2 s[18:19], s[18:19], 0x0
	s_lshl_b64 s[20:21], s[22:23], 3
	s_mov_b32 s22, s28
	s_waitcnt lgkmcnt(0)
	s_add_u32 s20, s18, s20
	s_addc_u32 s21, s19, s21
	s_lshl_b64 s[18:19], s[24:25], 3
	v_lshl_add_u64 v[4:5], s[20:21], 0, v[2:3]
	s_branch .LBB173_3
.LBB173_2:                              ;   in Loop: Header=BB173_3 Depth=1
	flat_load_dword v6, v[4:5]
	s_add_i32 s22, s22, -1
	v_lshl_add_u64 v[4:5], v[4:5], 0, s[18:19]
	s_cmp_eq_u32 s22, 0
	s_waitcnt vmcnt(0) lgkmcnt(0)
	ds_write_b64 v1, v[6:7]
	v_add_u32_e32 v1, 0x200, v1
	s_cbranch_scc1 .LBB173_7
.LBB173_3:                              ; =>This Inner Loop Header: Depth=1
	s_mov_b64 s[20:21], -1
	s_and_b64 vcc, exec, s[16:17]
                                        ; implicit-def: $vgpr7
	s_cbranch_vccz .LBB173_5
; %bb.4:                                ;   in Loop: Header=BB173_3 Depth=1
	flat_load_dword v7, v[4:5] offset:4
	s_mov_b64 s[20:21], 0
.LBB173_5:                              ;   in Loop: Header=BB173_3 Depth=1
	s_andn2_b64 vcc, exec, s[20:21]
	s_cbranch_vccnz .LBB173_2
; %bb.6:                                ;   in Loop: Header=BB173_3 Depth=1
	flat_load_dword v3, v[4:5] offset:4
	s_waitcnt vmcnt(0) lgkmcnt(0)
	v_xor_b32_e32 v7, 0x80000000, v3
	s_branch .LBB173_2
.LBB173_7:
	s_cmpk_lg_i32 s5, 0x84
	v_lshlrev_b32_e32 v1, 9, v0
	s_mov_b64 s[16:17], -1
	s_cbranch_scc0 .LBB173_13
; %bb.8:
	v_add_u32_e32 v3, v2, v1
	ds_read_b64 v[4:5], v3
                                        ; implicit-def: $vgpr6_vgpr7
	s_waitcnt lgkmcnt(0)
	v_cmp_ngt_f32_e64 s[16:17], |v4|, |v5|
	s_and_saveexec_b64 s[18:19], s[16:17]
	s_xor_b64 s[16:17], exec, s[18:19]
	s_cbranch_execz .LBB173_10
; %bb.9:
	v_div_scale_f32 v6, s[18:19], v5, v5, v4
	v_rcp_f32_e32 v7, v6
	v_div_scale_f32 v8, vcc, v4, v5, v4
	v_fma_f32 v9, -v6, v7, 1.0
	v_fmac_f32_e32 v7, v9, v7
	v_mul_f32_e32 v9, v8, v7
	v_fma_f32 v10, -v6, v9, v8
	v_fmac_f32_e32 v9, v10, v7
	v_fma_f32 v6, -v6, v9, v8
	v_div_fmas_f32 v6, v6, v7, v9
	v_div_fixup_f32 v6, v6, v5, v4
	v_fmac_f32_e32 v5, v4, v6
	v_div_scale_f32 v4, s[18:19], v5, v5, 1.0
	v_rcp_f32_e32 v7, v4
	s_mov_b32 s18, 0
	s_mov_b32 s19, -1.0
	v_fma_f32 v8, -v4, v7, 1.0
	v_fmac_f32_e32 v7, v8, v7
	v_div_scale_f32 v8, vcc, 1.0, v5, 1.0
	v_mul_f32_e32 v9, v8, v7
	v_fma_f32 v10, -v4, v9, v8
	v_fmac_f32_e32 v9, v10, v7
	v_fma_f32 v4, -v4, v9, v8
	v_div_fmas_f32 v4, v4, v7, v9
	v_mul_f32_e32 v7, 0, v6
	v_div_fixup_f32 v4, v4, v5, 1.0
	v_pk_add_f32 v[6:7], v[6:7], s[18:19]
	s_nop 0
	v_pk_mul_f32 v[6:7], v[6:7], v[4:5] op_sel_hi:[1,0]
                                        ; implicit-def: $vgpr4_vgpr5
.LBB173_10:
	s_andn2_saveexec_b64 s[16:17], s[16:17]
	s_cbranch_execz .LBB173_12
; %bb.11:
	v_div_scale_f32 v6, s[18:19], v4, v4, v5
	v_rcp_f32_e32 v7, v6
	v_div_scale_f32 v8, vcc, v5, v4, v5
	v_fma_f32 v9, -v6, v7, 1.0
	v_fmac_f32_e32 v7, v9, v7
	v_mul_f32_e32 v9, v8, v7
	v_fma_f32 v10, -v6, v9, v8
	v_fmac_f32_e32 v9, v10, v7
	v_fma_f32 v6, -v6, v9, v8
	v_div_fmas_f32 v6, v6, v7, v9
	v_div_fixup_f32 v7, v6, v4, v5
	v_fmac_f32_e32 v4, v5, v7
	v_div_scale_f32 v5, s[18:19], v4, v4, 1.0
	v_rcp_f32_e32 v6, v5
	s_nop 0
	v_fma_f32 v8, -v5, v6, 1.0
	v_fmac_f32_e32 v6, v8, v6
	v_div_scale_f32 v8, vcc, 1.0, v4, 1.0
	v_mul_f32_e32 v9, v8, v6
	v_fma_f32 v10, -v5, v9, v8
	v_fmac_f32_e32 v9, v10, v6
	v_fma_f32 v5, -v5, v9, v8
	v_div_fmas_f32 v5, v5, v6, v9
	v_div_fixup_f32 v4, v5, v4, 1.0
	v_mul_f32_e32 v5, 0, v7
	v_add_f32_e32 v6, 1.0, v5
	v_sub_f32_e32 v7, 0, v7
	v_pk_mul_f32 v[6:7], v[6:7], v[4:5] op_sel_hi:[1,0]
.LBB173_12:
	s_or_b64 exec, exec, s[16:17]
	s_mov_b64 s[16:17], 0
	ds_write_b64 v3, v[6:7]
.LBB173_13:
	s_and_b64 vcc, exec, s[16:17]
	s_cbranch_vccz .LBB173_15
; %bb.14:
	v_add_u32_e32 v1, v2, v1
	v_mov_b32_e32 v2, 1.0
	v_mov_b32_e32 v3, 0
	ds_write_b64 v1, v[2:3]
.LBB173_15:
	s_or_b64 exec, exec, s[8:9]
	s_load_dword s29, s[0:1], 0x50
	s_lshl_b64 s[16:17], s[10:11], 3
	s_waitcnt lgkmcnt(0)
	s_ashr_i32 s5, s29, 31
	s_add_u32 s8, s14, s16
	s_addc_u32 s9, s15, s17
	s_lshl_b32 s18, s2, 6
	s_add_i32 s3, s3, -1
	s_sub_i32 s0, s7, s18
	s_cmp_ge_u32 s2, s3
	s_mul_hi_i32 s1, s29, s18
	s_cselect_b32 s7, s0, 64
	s_mul_i32 s0, s29, s18
	s_lshl_b64 s[0:1], s[0:1], 3
	s_add_u32 s2, s8, s0
	s_addc_u32 s3, s9, s1
	s_cmp_gt_i32 s6, 0
	v_cmp_gt_i32_e64 s[0:1], s7, v0
	s_cselect_b64 s[8:9], -1, 0
	s_mov_b32 s7, 0
	s_and_b64 s[20:21], s[0:1], s[8:9]
	s_and_saveexec_b64 s[10:11], s[20:21]
	s_cbranch_execz .LBB173_23
; %bb.16:
	s_cmp_lt_i32 s6, 2
	s_mov_b64 s[20:21], -1
	s_cbranch_scc1 .LBB173_20
; %bb.17:
	v_mad_i64_i32 v[2:3], s[20:21], s29, v0, 0
	v_mov_b32_e32 v1, 0x8000
	s_and_b32 s7, s28, 0x7e
	s_mov_b32 s27, 0
	v_lshl_add_u64 v[2:3], v[2:3], 3, s[2:3]
	v_lshl_or_b32 v1, v0, 3, v1
	s_mov_b32 s20, s12
	s_mov_b32 s21, s12
	;; [unrolled: 1-line block ×7, first 2 shown]
.LBB173_18:                             ; =>This Inner Loop Header: Depth=1
	v_lshl_add_u64 v[4:5], s[26:27], 3, v[2:3]
	s_mov_b32 s25, s27
	v_lshl_add_u64 v[6:7], s[24:25], 3, v[2:3]
	flat_load_dwordx2 v[12:13], v[4:5]
	flat_load_dwordx2 v[8:9], v[6:7]
	v_lshl_add_u32 v10, s26, 9, v1
	v_lshl_add_u32 v11, s24, 9, v1
	s_add_i32 s26, s26, 2
	s_add_i32 s19, s19, -2
	s_add_i32 s24, s24, 2
	s_cmp_lg_u32 s19, 0
	s_waitcnt vmcnt(0) lgkmcnt(0)
	v_mov_b32_e32 v4, v12
	v_mov_b32_e32 v5, v8
	;; [unrolled: 1-line block ×3, first 2 shown]
	v_pk_mul_f32 v[6:7], s[22:23], v[8:9]
	v_pk_mul_f32 v[8:9], s[20:21], v[8:9]
	v_pk_fma_f32 v[6:7], s[20:21], v[4:5], v[6:7] neg_lo:[0,0,1] neg_hi:[0,0,1]
	v_pk_fma_f32 v[4:5], s[22:23], v[4:5], v[8:9]
	ds_write_b32 v10, v6
	ds_write_b32 v11, v7
	ds_write_b32 v10, v4 offset:4
	ds_write_b32 v11, v5 offset:4
	s_cbranch_scc1 .LBB173_18
; %bb.19:
	s_cmp_lg_u32 s28, s7
	s_cselect_b64 s[20:21], -1, 0
.LBB173_20:
	s_and_b64 vcc, exec, s[20:21]
	s_cbranch_vccz .LBB173_23
; %bb.21:
	s_ashr_i32 s19, s18, 31
	v_lshlrev_b32_e32 v4, 3, v0
	v_mov_b32_e32 v5, 0
	s_sub_i32 s22, s28, s7
	v_lshl_add_u64 v[6:7], s[18:19], 3, v[4:5]
	s_lshl_b32 s18, s7, 3
	s_add_u32 s14, s14, s18
	s_addc_u32 s15, s15, 0
	s_add_u32 s14, s14, s16
	s_addc_u32 s15, s15, s17
	v_mov_b64_e32 v[2:3], s[14:15]
	v_mad_u64_u32 v[2:3], s[14:15], v6, s29, v[2:3]
	v_mul_lo_u32 v1, v6, s5
	v_mul_lo_u32 v5, v7, s29
	v_add3_u32 v3, v5, v3, v1
	v_lshl_or_b32 v1, s7, 9, v4
	s_mov_b32 s20, s13
	s_mov_b32 s21, s12
	v_add_u32_e32 v1, 0x8000, v1
.LBB173_22:                             ; =>This Inner Loop Header: Depth=1
	flat_load_dwordx2 v[4:5], v[2:3]
	s_add_i32 s22, s22, -1
	v_lshl_add_u64 v[2:3], v[2:3], 0, 8
	s_cmp_lg_u32 s22, 0
	s_waitcnt vmcnt(0) lgkmcnt(0)
	v_pk_mul_f32 v[6:7], s[20:21], v[4:5] op_sel:[0,1]
	s_nop 0
	v_pk_fma_f32 v[8:9], s[12:13], v[4:5], v[6:7] neg_lo:[0,0,1] neg_hi:[0,0,1]
	v_pk_fma_f32 v[4:5], s[12:13], v[4:5], v[6:7] op_sel_hi:[1,0,1]
	s_nop 0
	v_mov_b32_e32 v9, v5
	ds_write_b64 v1, v[8:9]
	v_add_u32_e32 v1, 0x200, v1
	s_cbranch_scc1 .LBB173_22
.LBB173_23:
	s_or_b64 exec, exec, s[10:11]
	v_mov_b32_e32 v1, 0x8000
	s_cmpk_eq_i32 s4, 0x6f
	v_lshl_or_b32 v1, v0, 3, v1
	s_mov_b64 s[4:5], -1
	s_waitcnt lgkmcnt(0)
	; wave barrier
	s_cbranch_scc1 .LBB173_57
; %bb.24:
	s_cmp_gt_i32 s6, 31
	s_mov_b32 s4, 0
	s_cbranch_scc0 .LBB173_34
; %bb.25:
	v_mov_b32_e32 v2, 0x8000
	v_lshl_or_b32 v190, v0, 3, v2
	s_mov_b32 s7, 0
	s_mov_b32 s10, 0
.LBB173_26:                             ; =>This Loop Header: Depth=1
                                        ;     Child Loop BB173_28 Depth 2
	s_lshl_b32 s11, s10, 9
	v_add_u32_e32 v191, s11, v1
	ds_read2st64_b64 v[2:5], v191 offset1:1
	ds_read2st64_b64 v[6:9], v191 offset0:2 offset1:3
	ds_read2st64_b64 v[14:17], v191 offset0:4 offset1:5
	;; [unrolled: 1-line block ×3, first 2 shown]
	s_cmp_lg_u32 s10, 0
	s_waitcnt lgkmcnt(3)
	scratch_store_dwordx4 off, v[2:5], off
	s_waitcnt lgkmcnt(2)
	scratch_store_dwordx4 off, v[6:9], off offset:16
	s_waitcnt lgkmcnt(1)
	scratch_store_dwordx4 off, v[14:17], off offset:32
	;; [unrolled: 2-line block ×3, first 2 shown]
	ds_read2st64_b64 v[22:25], v191 offset0:8 offset1:9
	ds_read2st64_b64 v[26:29], v191 offset0:10 offset1:11
	;; [unrolled: 1-line block ×5, first 2 shown]
	s_waitcnt lgkmcnt(4)
	scratch_store_dwordx4 off, v[22:25], off offset:64
	s_waitcnt lgkmcnt(3)
	scratch_store_dwordx4 off, v[26:29], off offset:80
	;; [unrolled: 2-line block ×4, first 2 shown]
	ds_read2st64_b64 v[42:45], v191 offset0:18 offset1:19
	s_waitcnt lgkmcnt(1)
	scratch_store_dwordx4 off, v[38:41], off offset:128
	ds_read2st64_b64 v[46:49], v191 offset0:20 offset1:21
	ds_read2st64_b64 v[10:13], v191 offset0:22 offset1:23
	;; [unrolled: 1-line block ×6, first 2 shown]
	s_waitcnt lgkmcnt(6)
	scratch_store_dwordx4 off, v[42:45], off offset:144
	s_waitcnt lgkmcnt(5)
	scratch_store_dwordx4 off, v[46:49], off offset:160
	s_waitcnt lgkmcnt(4)
	scratch_store_dwordx2 off, v[10:11], off offset:176
	s_cbranch_scc0 .LBB173_33
; %bb.27:                               ;   in Loop: Header=BB173_26 Depth=1
	v_mov_b32_e32 v52, v190
	s_mov_b32 s4, s10
	s_mov_b32 s5, s7
	v_mov_b64_e32 v[152:153], v[12:13]
	s_waitcnt lgkmcnt(3)
	v_mov_b64_e32 v[150:151], v[54:55]
	v_mov_b64_e32 v[148:149], v[56:57]
	s_waitcnt lgkmcnt(2)
	v_mov_b64_e32 v[146:147], v[58:59]
	;; [unrolled: 3-line block ×4, first 2 shown]
	v_mov_b64_e32 v[136:137], v[68:69]
.LBB173_28:                             ;   Parent Loop BB173_26 Depth=1
                                        ; =>  This Inner Loop Header: Depth=2
	v_mov_b32_e32 v53, s5
	ds_read_b64 v[50:51], v52
	ds_read2st64_b64 v[70:73], v53 offset1:1
	ds_read2st64_b64 v[74:77], v53 offset0:2 offset1:3
	ds_read2st64_b64 v[78:81], v53 offset0:4 offset1:5
	;; [unrolled: 1-line block ×15, first 2 shown]
	s_add_i32 s5, s5, 8
	s_add_i32 s4, s4, -1
	v_add_u32_e32 v52, 0x200, v52
	s_waitcnt lgkmcnt(14)
	v_pk_mul_f32 v[134:135], v[70:71], v[50:51] op_sel:[0,1]
	v_pk_mul_f32 v[154:155], v[72:73], v[50:51] op_sel:[0,1]
	;; [unrolled: 1-line block ×4, first 2 shown]
	s_waitcnt lgkmcnt(13)
	v_pk_mul_f32 v[160:161], v[78:79], v[50:51] op_sel:[0,1]
	v_pk_mul_f32 v[162:163], v[80:81], v[50:51] op_sel:[0,1]
	s_waitcnt lgkmcnt(12)
	v_pk_mul_f32 v[164:165], v[82:83], v[50:51] op_sel:[0,1]
	v_pk_mul_f32 v[166:167], v[84:85], v[50:51] op_sel:[0,1]
	;; [unrolled: 3-line block ×14, first 2 shown]
	v_pk_fma_f32 v[218:219], v[70:71], v[50:51], v[134:135] op_sel:[0,0,1] op_sel_hi:[1,1,0] neg_lo:[0,0,1] neg_hi:[0,0,1]
	v_pk_fma_f32 v[70:71], v[70:71], v[50:51], v[134:135] op_sel:[0,0,1] op_sel_hi:[1,0,0]
	v_pk_fma_f32 v[134:135], v[72:73], v[50:51], v[154:155] op_sel:[0,0,1] op_sel_hi:[1,1,0] neg_lo:[0,0,1] neg_hi:[0,0,1]
	v_pk_fma_f32 v[72:73], v[72:73], v[50:51], v[154:155] op_sel:[0,0,1] op_sel_hi:[1,0,0]
	;; [unrolled: 2-line block ×32, first 2 shown]
	v_mov_b32_e32 v219, v71
	v_mov_b32_e32 v135, v73
	;; [unrolled: 1-line block ×32, first 2 shown]
	s_cmp_eq_u32 s4, 0
	v_pk_add_f32 v[2:3], v[2:3], v[218:219] neg_lo:[0,1] neg_hi:[0,1]
	v_pk_add_f32 v[4:5], v[4:5], v[134:135] neg_lo:[0,1] neg_hi:[0,1]
	;; [unrolled: 1-line block ×32, first 2 shown]
	s_cbranch_scc0 .LBB173_28
; %bb.29:                               ;   in Loop: Header=BB173_26 Depth=1
	scratch_store_dwordx4 off, v[2:5], off
	scratch_store_dwordx4 off, v[6:9], off offset:16
	scratch_store_dwordx4 off, v[14:17], off offset:32
	;; [unrolled: 1-line block ×10, first 2 shown]
	scratch_store_dwordx2 off, v[10:11], off offset:176
	s_branch .LBB173_31
.LBB173_30:                             ;   in Loop: Header=BB173_26 Depth=1
	scratch_load_dwordx4 v[2:5], off, off
	scratch_load_dwordx2 v[6:7], off, off offset:16
	s_waitcnt lgkmcnt(0)
	v_mov_b64_e32 v[136:137], v[68:69]
	v_mov_b64_e32 v[138:139], v[66:67]
	;; [unrolled: 1-line block ×9, first 2 shown]
.LBB173_31:                             ;   in Loop: Header=BB173_26 Depth=1
	scratch_load_dwordx4 v[8:11], off, off offset:24
	scratch_load_dwordx4 v[12:15], off, off offset:40
	s_lshl_b32 s4, s10, 3
	s_or_b32 s13, s11, 0x200
	s_or_b32 s12, s11, 0x400
	;; [unrolled: 1-line block ×4, first 2 shown]
	s_add_i32 s15, s4, s11
	s_add_i32 s16, s4, s13
	;; [unrolled: 1-line block ×5, first 2 shown]
	v_mov_b32_e32 v192, s15
	v_mov_b32_e32 v20, s16
	;; [unrolled: 1-line block ×5, first 2 shown]
	ds_read2_b64 v[16:19], v192 offset1:130
	ds_read_b128 v[20:23], v20
	ds_read_b128 v[24:27], v24
	;; [unrolled: 1-line block ×3, first 2 shown]
	ds_read_b128 v[32:35], v32 offset:16
	ds_read_b128 v[36:39], v40
	ds_read_b128 v[40:43], v40 offset:16
	s_waitcnt vmcnt(3) lgkmcnt(6)
	v_mul_f32_e32 v155, v16, v3
	v_mul_f32_e32 v44, v17, v3
	v_fmac_f32_e32 v155, v17, v2
	v_fma_f32 v154, v16, v2, -v44
	s_waitcnt lgkmcnt(5)
	v_mul_f32_e32 v3, v20, v155
	v_mul_f32_e32 v2, v21, v155
	v_fmac_f32_e32 v3, v21, v154
	s_waitcnt lgkmcnt(4)
	v_mul_f32_e32 v16, v25, v155
	v_fma_f32 v2, v20, v154, -v2
	v_sub_f32_e32 v3, v5, v3
	v_fma_f32 v16, v24, v154, -v16
	v_sub_f32_e32 v2, v4, v2
	v_mul_f32_e32 v157, v22, v3
	v_mul_f32_e32 v17, v24, v155
	s_waitcnt vmcnt(2)
	v_sub_f32_e32 v4, v6, v16
	v_mul_f32_e32 v6, v23, v3
	v_fmac_f32_e32 v157, v23, v2
	v_fmac_f32_e32 v17, v25, v154
	v_fma_f32 v156, v22, v2, -v6
	v_mul_f32_e32 v3, v26, v157
	v_sub_f32_e32 v5, v7, v17
	v_mul_f32_e32 v2, v27, v157
	v_fmac_f32_e32 v3, v27, v156
	v_fma_f32 v2, v26, v156, -v2
	v_sub_f32_e32 v3, v5, v3
	s_waitcnt lgkmcnt(3)
	v_mul_f32_e32 v45, v28, v155
	v_sub_f32_e32 v2, v4, v2
	v_mul_f32_e32 v159, v18, v3
	v_mul_f32_e32 v44, v29, v155
	v_fmac_f32_e32 v45, v29, v154
	v_mul_f32_e32 v7, v30, v157
	v_mul_f32_e32 v4, v19, v3
	v_fmac_f32_e32 v159, v19, v2
	v_fma_f32 v20, v28, v154, -v44
	v_mul_f32_e32 v6, v31, v157
	v_fmac_f32_e32 v7, v31, v156
	v_fma_f32 v158, v18, v2, -v4
	s_waitcnt lgkmcnt(2)
	v_mul_f32_e32 v3, v32, v159
	v_fma_f32 v6, v30, v156, -v6
	v_mul_f32_e32 v2, v33, v159
	v_fmac_f32_e32 v3, v33, v158
	s_waitcnt lgkmcnt(1)
	v_mul_f32_e32 v47, v36, v155
	v_fma_f32 v2, v32, v158, -v2
	v_fmac_f32_e32 v47, v37, v154
	v_mul_f32_e32 v46, v37, v155
	v_fma_f32 v21, v36, v154, -v46
	s_or_b32 s15, s11, 0xa00
	s_add_i32 s16, s4, s15
	scratch_store_dwordx2 off, v[154:155], off
	scratch_store_dwordx2 off, v[156:157], off offset:8
	scratch_store_dwordx2 off, v[158:159], off offset:16
	s_addk_i32 s7, 0x4000
	s_waitcnt vmcnt(4)
	v_sub_f32_e32 v5, v9, v45
	v_sub_f32_e32 v4, v8, v20
	;; [unrolled: 1-line block ×6, first 2 shown]
	v_mul_f32_e32 v4, v35, v3
	v_mul_f32_e32 v161, v34, v3
	;; [unrolled: 1-line block ×3, first 2 shown]
	v_sub_f32_e32 v9, v11, v47
	v_fmac_f32_e32 v3, v39, v156
	s_waitcnt lgkmcnt(0)
	v_mul_f32_e32 v5, v40, v159
	v_fma_f32 v160, v34, v2, -v4
	v_fmac_f32_e32 v161, v35, v2
	v_mul_f32_e32 v2, v39, v157
	v_sub_f32_e32 v3, v9, v3
	v_fmac_f32_e32 v5, v41, v158
	v_sub_f32_e32 v8, v10, v21
	v_fma_f32 v2, v38, v156, -v2
	v_sub_f32_e32 v3, v3, v5
	v_add_u32_e32 v5, 0x800, v192
	v_sub_f32_e32 v2, v8, v2
	v_mul_f32_e32 v4, v41, v159
	ds_read2_b64 v[6:9], v5 offset0:4 offset1:134
	v_fma_f32 v4, v40, v158, -v4
	v_sub_f32_e32 v2, v2, v4
	v_mul_f32_e32 v4, v43, v161
	v_mul_f32_e32 v5, v42, v161
	v_fma_f32 v4, v42, v160, -v4
	v_fmac_f32_e32 v5, v43, v160
	v_sub_f32_e32 v10, v2, v4
	v_sub_f32_e32 v2, v3, v5
	s_waitcnt lgkmcnt(0)
	v_mul_f32_e32 v3, v7, v2
	v_fma_f32 v162, v6, v10, -v3
	v_mul_f32_e32 v163, v6, v2
	v_mov_b32_e32 v6, s16
	ds_read_b128 v[2:5], v6
	v_fmac_f32_e32 v163, v7, v10
	scratch_store_dwordx2 off, v[160:161], off offset:24
	scratch_store_dwordx2 off, v[162:163], off offset:32
	ds_read_b128 v[16:19], v6 offset:16
	ds_read_b128 v[20:23], v6 offset:32
	s_waitcnt lgkmcnt(2)
	v_mul_f32_e32 v6, v3, v155
	v_fma_f32 v6, v2, v154, -v6
	v_mul_f32_e32 v2, v2, v155
	v_fmac_f32_e32 v2, v3, v154
	s_waitcnt vmcnt(5)
	v_sub_f32_e32 v3, v12, v6
	v_mul_f32_e32 v6, v5, v157
	v_fma_f32 v6, v4, v156, -v6
	v_mul_f32_e32 v4, v4, v157
	v_sub_f32_e32 v2, v13, v2
	v_fmac_f32_e32 v4, v5, v156
	v_sub_f32_e32 v2, v2, v4
	s_waitcnt lgkmcnt(1)
	v_mul_f32_e32 v4, v17, v159
	v_sub_f32_e32 v3, v3, v6
	v_fma_f32 v10, v16, v158, -v4
	scratch_load_dwordx4 v[4:7], off, off offset:56
	v_mul_f32_e32 v11, v16, v159
	v_fmac_f32_e32 v11, v17, v158
	v_sub_f32_e32 v2, v2, v11
	v_mul_f32_e32 v11, v18, v161
	s_or_b32 s16, s11, 0xc00
	v_sub_f32_e32 v3, v3, v10
	v_mul_f32_e32 v10, v19, v161
	v_fmac_f32_e32 v11, v19, v160
	s_add_i32 s17, s4, s16
	s_waitcnt lgkmcnt(0)
	v_mul_f32_e32 v17, v20, v163
	v_fma_f32 v10, v18, v160, -v10
	v_sub_f32_e32 v2, v2, v11
	v_mov_b32_e32 v24, s17
	v_mul_f32_e32 v16, v21, v163
	v_fmac_f32_e32 v17, v21, v162
	v_sub_f32_e32 v3, v3, v10
	ds_read_b128 v[10:13], v24
	v_fma_f32 v16, v20, v162, -v16
	v_sub_f32_e32 v2, v2, v17
	v_sub_f32_e32 v3, v3, v16
	v_mul_f32_e32 v16, v23, v2
	v_mul_f32_e32 v165, v22, v2
	v_fma_f32 v164, v22, v3, -v16
	v_fmac_f32_e32 v165, v23, v3
	scratch_store_dwordx2 off, v[164:165], off offset:40
	ds_read_b128 v[16:19], v24 offset:16
	ds_read_b128 v[20:23], v24 offset:32
	s_waitcnt lgkmcnt(2)
	v_mul_f32_e32 v3, v10, v155
	v_mul_f32_e32 v2, v11, v155
	v_fmac_f32_e32 v3, v11, v154
	v_mul_f32_e32 v11, v12, v157
	v_fma_f32 v2, v10, v154, -v2
	v_sub_f32_e32 v3, v15, v3
	v_mul_f32_e32 v10, v13, v157
	v_fmac_f32_e32 v11, v13, v156
	v_sub_f32_e32 v2, v14, v2
	v_fma_f32 v10, v12, v156, -v10
	v_sub_f32_e32 v3, v3, v11
	s_waitcnt lgkmcnt(1)
	v_mul_f32_e32 v11, v16, v159
	v_sub_f32_e32 v2, v2, v10
	v_mul_f32_e32 v10, v17, v159
	v_fmac_f32_e32 v11, v17, v158
	v_fma_f32 v10, v16, v158, -v10
	v_sub_f32_e32 v3, v3, v11
	v_mul_f32_e32 v11, v18, v161
	v_sub_f32_e32 v2, v2, v10
	v_mul_f32_e32 v10, v19, v161
	v_fmac_f32_e32 v11, v19, v160
	v_fma_f32 v10, v18, v160, -v10
	v_sub_f32_e32 v3, v3, v11
	s_waitcnt lgkmcnt(0)
	v_mul_f32_e32 v11, v20, v163
	v_sub_f32_e32 v2, v2, v10
	v_mul_f32_e32 v10, v21, v163
	v_fmac_f32_e32 v11, v21, v162
	v_fma_f32 v10, v20, v162, -v10
	v_sub_f32_e32 v3, v3, v11
	v_mul_f32_e32 v11, v22, v165
	v_sub_f32_e32 v2, v2, v10
	v_mul_f32_e32 v10, v23, v165
	v_fmac_f32_e32 v11, v23, v164
	v_fma_f32 v10, v22, v164, -v10
	v_sub_f32_e32 v3, v3, v11
	s_or_b32 s17, s11, 0xe00
	v_sub_f32_e32 v2, v2, v10
	v_mul_f32_e32 v10, v9, v3
	v_mul_f32_e32 v167, v8, v3
	s_add_i32 s18, s4, s17
	v_fma_f32 v166, v8, v2, -v10
	v_fmac_f32_e32 v167, v9, v2
	v_mov_b32_e32 v2, s18
	ds_read_b128 v[8:11], v2
	scratch_store_dwordx2 off, v[166:167], off offset:48
	ds_read_b128 v[16:19], v2 offset:16
	ds_read_b128 v[20:23], v2 offset:32
	;; [unrolled: 1-line block ×3, first 2 shown]
	scratch_load_dwordx4 v[12:15], off, off offset:72
	s_or_b32 s18, s11, 0x1000
	s_waitcnt lgkmcnt(3)
	v_mul_f32_e32 v2, v9, v155
	v_mul_f32_e32 v3, v8, v155
	v_fma_f32 v2, v8, v154, -v2
	v_fmac_f32_e32 v3, v9, v154
	s_add_i32 s19, s4, s18
	s_waitcnt vmcnt(3)
	v_sub_f32_e32 v2, v4, v2
	v_sub_f32_e32 v3, v5, v3
	v_mul_f32_e32 v4, v11, v157
	v_mul_f32_e32 v5, v10, v157
	v_fma_f32 v4, v10, v156, -v4
	v_fmac_f32_e32 v5, v11, v156
	scratch_load_dwordx4 v[8:11], off, off
	v_sub_f32_e32 v2, v2, v4
	v_sub_f32_e32 v3, v3, v5
	s_waitcnt lgkmcnt(2)
	v_mul_f32_e32 v4, v17, v159
	v_mul_f32_e32 v5, v16, v159
	v_fma_f32 v4, v16, v158, -v4
	v_fmac_f32_e32 v5, v17, v158
	v_sub_f32_e32 v2, v2, v4
	v_sub_f32_e32 v3, v3, v5
	v_mul_f32_e32 v4, v19, v161
	v_mul_f32_e32 v5, v18, v161
	v_fma_f32 v4, v18, v160, -v4
	v_fmac_f32_e32 v5, v19, v160
	scratch_load_dwordx4 v[16:19], off, off offset:16
	v_sub_f32_e32 v2, v2, v4
	v_sub_f32_e32 v3, v3, v5
	s_waitcnt lgkmcnt(1)
	v_mul_f32_e32 v4, v21, v163
	v_mul_f32_e32 v5, v20, v163
	v_fma_f32 v4, v20, v162, -v4
	v_fmac_f32_e32 v5, v21, v162
	v_sub_f32_e32 v2, v2, v4
	v_sub_f32_e32 v3, v3, v5
	v_mul_f32_e32 v4, v23, v165
	v_mul_f32_e32 v5, v22, v165
	v_fma_f32 v4, v22, v164, -v4
	v_fmac_f32_e32 v5, v23, v164
	scratch_load_dwordx4 v[20:23], off, off offset:32
	v_sub_f32_e32 v3, v3, v5
	s_waitcnt lgkmcnt(0)
	v_mul_f32_e32 v5, v24, v167
	v_sub_f32_e32 v2, v2, v4
	v_mul_f32_e32 v4, v25, v167
	v_fmac_f32_e32 v5, v25, v166
	v_fma_f32 v4, v24, v166, -v4
	v_sub_f32_e32 v3, v3, v5
	v_sub_f32_e32 v2, v2, v4
	v_mul_f32_e32 v4, v27, v3
	v_mul_f32_e32 v53, v26, v3
	v_fma_f32 v52, v26, v2, -v4
	v_fmac_f32_e32 v53, v27, v2
	scratch_store_dwordx2 off, v[52:53], off offset:56
	scratch_load_dwordx4 v[2:5], off, off offset:48
	scratch_load_dwordx4 v[24:27], off, off
	v_mov_b32_e32 v40, s19
	ds_read_b128 v[28:31], v40
	ds_read_b128 v[32:35], v40 offset:16
	ds_read_b128 v[36:39], v40 offset:32
	;; [unrolled: 1-line block ×3, first 2 shown]
	scratch_load_dwordx4 v[44:47], off, off offset:16
	s_or_b32 s19, s11, 0x1200
	s_add_i32 s20, s4, s19
	s_waitcnt vmcnt(6) lgkmcnt(3)
	v_mul_f32_e32 v48, v29, v9
	v_mul_f32_e32 v9, v28, v9
	v_fmac_f32_e32 v9, v29, v8
	v_fma_f32 v48, v28, v8, -v48
	v_sub_f32_e32 v7, v7, v9
	v_mul_f32_e32 v8, v31, v11
	v_mul_f32_e32 v9, v30, v11
	v_sub_f32_e32 v6, v6, v48
	v_fma_f32 v8, v30, v10, -v8
	v_fmac_f32_e32 v9, v31, v10
	scratch_load_dwordx4 v[48:51], off, off offset:32
	v_sub_f32_e32 v6, v6, v8
	v_sub_f32_e32 v7, v7, v9
	s_waitcnt vmcnt(6) lgkmcnt(2)
	v_mul_f32_e32 v8, v33, v17
	v_mul_f32_e32 v9, v32, v17
	v_fma_f32 v8, v32, v16, -v8
	v_fmac_f32_e32 v9, v33, v16
	v_sub_f32_e32 v6, v6, v8
	v_sub_f32_e32 v7, v7, v9
	v_mul_f32_e32 v8, v35, v19
	v_mul_f32_e32 v9, v34, v19
	v_fma_f32 v8, v34, v18, -v8
	v_fmac_f32_e32 v9, v35, v18
	scratch_load_dwordx4 v[16:19], off, off offset:48
	v_sub_f32_e32 v6, v6, v8
	v_sub_f32_e32 v7, v7, v9
	s_waitcnt vmcnt(6) lgkmcnt(1)
	v_mul_f32_e32 v8, v37, v21
	v_mul_f32_e32 v9, v36, v21
	v_fma_f32 v8, v36, v20, -v8
	v_fmac_f32_e32 v9, v37, v20
	scratch_load_dwordx4 v[34:37], off, off
	v_sub_f32_e32 v6, v6, v8
	v_mul_f32_e32 v8, v39, v23
	v_sub_f32_e32 v7, v7, v9
	v_fma_f32 v8, v38, v22, -v8
	v_mul_f32_e32 v9, v38, v23
	v_fmac_f32_e32 v9, v39, v22
	v_sub_f32_e32 v6, v6, v8
	v_sub_f32_e32 v7, v7, v9
	s_waitcnt vmcnt(5) lgkmcnt(0)
	v_mul_f32_e32 v8, v41, v3
	v_mul_f32_e32 v3, v40, v3
	v_fmac_f32_e32 v3, v41, v2
	v_fma_f32 v8, v40, v2, -v8
	v_sub_f32_e32 v3, v7, v3
	v_add_u32_e32 v7, 0x1000, v192
	v_sub_f32_e32 v2, v6, v8
	ds_read2_b64 v[8:11], v7 offset0:8 offset1:138
	v_mov_b32_e32 v28, s20
	ds_read_b128 v[20:23], v28
	v_mul_f32_e32 v7, v42, v53
	v_mul_f32_e32 v6, v43, v53
	v_fmac_f32_e32 v7, v43, v52
	v_fma_f32 v6, v42, v52, -v6
	v_sub_f32_e32 v3, v3, v7
	v_sub_f32_e32 v6, v2, v6
	s_waitcnt lgkmcnt(1)
	v_mul_f32_e32 v2, v9, v3
	v_mul_f32_e32 v3, v8, v3
	v_fma_f32 v2, v8, v6, -v2
	v_fmac_f32_e32 v3, v9, v6
	ds_read_b128 v[6:9], v28 offset:16
	s_waitcnt vmcnt(4) lgkmcnt(1)
	v_mul_f32_e32 v29, v21, v25
	v_fma_f32 v29, v20, v24, -v29
	v_mul_f32_e32 v20, v20, v25
	v_fmac_f32_e32 v20, v21, v24
	v_sub_f32_e32 v12, v12, v29
	v_sub_f32_e32 v13, v13, v20
	v_mul_f32_e32 v20, v23, v27
	v_mul_f32_e32 v21, v22, v27
	scratch_store_dwordx2 off, v[2:3], off offset:64
	scratch_store_dword off, v12, off offset:72
	v_fma_f32 v20, v22, v26, -v20
	v_fmac_f32_e32 v21, v23, v26
	v_sub_f32_e32 v12, v12, v20
	v_sub_f32_e32 v13, v13, v21
	ds_read_b128 v[20:23], v28 offset:32
	ds_read_b128 v[24:27], v28 offset:48
	;; [unrolled: 1-line block ×3, first 2 shown]
	s_waitcnt vmcnt(5) lgkmcnt(3)
	v_mul_f32_e32 v28, v7, v45
	v_fma_f32 v28, v6, v44, -v28
	v_mul_f32_e32 v6, v6, v45
	v_fmac_f32_e32 v6, v7, v44
	v_sub_f32_e32 v7, v12, v28
	v_mul_f32_e32 v12, v9, v47
	v_fma_f32 v12, v8, v46, -v12
	v_mul_f32_e32 v8, v8, v47
	v_sub_f32_e32 v6, v13, v6
	v_fmac_f32_e32 v8, v9, v46
	v_sub_f32_e32 v6, v6, v8
	v_sub_f32_e32 v7, v7, v12
	scratch_load_dwordx4 v[30:33], off, off offset:16
	scratch_load_dwordx4 v[40:43], off, off offset:48
	scratch_load_dwordx4 v[44:47], off, off offset:32
	s_waitcnt vmcnt(7) lgkmcnt(2)
	v_mul_f32_e32 v9, v20, v49
	v_mul_f32_e32 v8, v21, v49
	v_fmac_f32_e32 v9, v21, v48
	v_fma_f32 v8, v20, v48, -v8
	v_sub_f32_e32 v6, v6, v9
	v_mul_f32_e32 v9, v22, v51
	v_sub_f32_e32 v7, v7, v8
	v_mul_f32_e32 v8, v23, v51
	v_fmac_f32_e32 v9, v23, v50
	v_fma_f32 v8, v22, v50, -v8
	v_sub_f32_e32 v6, v6, v9
	v_sub_f32_e32 v7, v7, v8
	s_or_b32 s20, s11, 0x1400
	s_waitcnt vmcnt(6) lgkmcnt(1)
	v_mul_f32_e32 v9, v24, v17
	v_mul_f32_e32 v8, v25, v17
	v_fmac_f32_e32 v9, v25, v16
	v_fma_f32 v8, v24, v16, -v8
	v_sub_f32_e32 v6, v6, v9
	v_mul_f32_e32 v9, v26, v19
	v_sub_f32_e32 v7, v7, v8
	v_mul_f32_e32 v8, v27, v19
	v_fmac_f32_e32 v9, v27, v18
	v_fma_f32 v8, v26, v18, -v8
	v_sub_f32_e32 v6, v6, v9
	s_waitcnt lgkmcnt(0)
	v_mul_f32_e32 v9, v52, v3
	v_sub_f32_e32 v7, v7, v8
	v_mul_f32_e32 v8, v53, v3
	v_fmac_f32_e32 v9, v53, v2
	v_fma_f32 v8, v52, v2, -v8
	v_sub_f32_e32 v6, v6, v9
	v_sub_f32_e32 v7, v7, v8
	v_mul_f32_e32 v8, v55, v6
	v_mul_f32_e32 v25, v54, v6
	v_fma_f32 v24, v54, v7, -v8
	v_fmac_f32_e32 v25, v55, v7
	scratch_store_dwordx2 off, v[24:25], off offset:72
	scratch_load_dwordx4 v[6:9], off, off offset:64
	s_add_i32 s21, s4, s20
	v_mov_b32_e32 v60, s21
	ds_read_b128 v[16:19], v60
	s_waitcnt vmcnt(7)
	v_mov_b32_e32 v20, v34
	v_mov_b32_e32 v22, v35
	;; [unrolled: 1-line block ×4, first 2 shown]
	s_waitcnt lgkmcnt(0)
	v_pk_mul_f32 v[34:35], v[16:17], v[34:35]
	v_mov_b32_e32 v12, v17
	v_sub_f32_e32 v17, v34, v35
	v_sub_f32_e32 v14, v14, v17
	v_mov_b32_e32 v17, v19
	v_mov_b32_e32 v13, v18
	v_pk_mul_f32 v[16:17], v[16:17], v[22:23]
	scratch_load_dwordx4 v[26:29], off, off
	v_pk_fma_f32 v[22:23], v[12:13], v[20:21], v[16:17] neg_lo:[0,0,1] neg_hi:[0,0,1]
	v_pk_fma_f32 v[12:13], v[12:13], v[20:21], v[16:17]
	v_mul_f32_e32 v16, v18, v37
	v_pk_mov_b32 v[12:13], v[22:23], v[12:13] op_sel:[1,0]
	v_fmac_f32_e32 v16, v19, v36
	v_pk_add_f32 v[34:35], v[14:15], v[12:13] neg_lo:[0,1] neg_hi:[0,1]
	scratch_store_dwordx2 off, v[34:35], off offset:80
	v_sub_f32_e32 v61, v35, v16
	scratch_load_dwordx4 v[16:19], off, off offset:88
	ds_read_b128 v[48:51], v60 offset:16
	ds_read_b128 v[52:55], v60 offset:32
	scratch_load_dwordx4 v[36:39], off, off offset:8
	ds_read_b128 v[56:59], v60 offset:48
	ds_read_b128 v[12:15], v60 offset:64
	scratch_load_dwordx4 v[64:67], off, off offset:56
	s_or_b32 s21, s11, 0x1600
	s_add_i32 s22, s4, s21
	v_mov_b32_e32 v78, s22
	scratch_load_dwordx4 v[20:23], off, off offset:16
	scratch_load_dwordx4 v[68:71], off, off offset:8
	s_or_b32 s22, s11, 0x1800
	s_add_i32 s23, s4, s22
	v_mov_b32_e32 v82, s23
	s_or_b32 s23, s11, 0x1a00
	s_add_i32 s24, s4, s23
	s_waitcnt vmcnt(11) lgkmcnt(3)
	v_mul_f32_e32 v35, v49, v31
	v_fma_f32 v35, v48, v30, -v35
	v_mul_f32_e32 v31, v48, v31
	v_fmac_f32_e32 v31, v49, v30
	v_sub_f32_e32 v30, v34, v35
	v_mul_f32_e32 v34, v51, v33
	v_fma_f32 v34, v50, v32, -v34
	v_mul_f32_e32 v33, v50, v33
	s_waitcnt vmcnt(9) lgkmcnt(2)
	v_mul_f32_e32 v48, v53, v45
	v_mul_f32_e32 v45, v52, v45
	v_sub_f32_e32 v31, v61, v31
	v_fmac_f32_e32 v33, v51, v32
	v_sub_f32_e32 v30, v30, v34
	v_fma_f32 v48, v52, v44, -v48
	v_fmac_f32_e32 v45, v53, v44
	v_mul_f32_e32 v44, v55, v47
	scratch_load_dwordx4 v[60:63], off, off offset:24
	v_sub_f32_e32 v31, v31, v33
	v_sub_f32_e32 v30, v30, v48
	v_fma_f32 v44, v54, v46, -v44
	v_sub_f32_e32 v31, v31, v45
	v_mul_f32_e32 v45, v54, v47
	v_sub_f32_e32 v30, v30, v44
	s_waitcnt lgkmcnt(1)
	v_mul_f32_e32 v44, v57, v41
	v_fmac_f32_e32 v45, v55, v46
	v_fma_f32 v44, v56, v40, -v44
	v_sub_f32_e32 v31, v31, v45
	v_sub_f32_e32 v30, v30, v44
	scratch_load_dwordx4 v[44:47], off, off offset:40
	v_mul_f32_e32 v41, v56, v41
	v_fmac_f32_e32 v41, v57, v40
	v_mul_f32_e32 v40, v59, v43
	v_sub_f32_e32 v31, v31, v41
	v_fma_f32 v40, v58, v42, -v40
	v_mul_f32_e32 v41, v58, v43
	v_fmac_f32_e32 v41, v59, v42
	v_sub_f32_e32 v30, v30, v40
	v_sub_f32_e32 v31, v31, v41
	scratch_load_dwordx4 v[32:35], off, off offset:32
	s_waitcnt vmcnt(10) lgkmcnt(0)
	v_mul_f32_e32 v40, v13, v7
	v_mul_f32_e32 v7, v12, v7
	v_fmac_f32_e32 v7, v13, v6
	v_mul_f32_e32 v13, v14, v25
	v_fma_f32 v40, v12, v6, -v40
	v_sub_f32_e32 v7, v31, v7
	v_mul_f32_e32 v12, v15, v25
	v_fmac_f32_e32 v13, v15, v24
	v_sub_f32_e32 v6, v30, v40
	v_fma_f32 v12, v14, v24, -v12
	v_sub_f32_e32 v7, v7, v13
	v_sub_f32_e32 v6, v6, v12
	v_mul_f32_e32 v12, v11, v7
	v_mul_f32_e32 v15, v10, v7
	v_fma_f32 v14, v10, v6, -v12
	v_fmac_f32_e32 v15, v11, v6
	scratch_store_dwordx2 off, v[14:15], off offset:80
	scratch_load_dwordx4 v[10:13], off, off offset:72
	ds_read_b96 v[40:42], v78
	ds_read2_b32 v[6:7], v78 offset0:3 offset1:4
	s_waitcnt vmcnt(11)
	v_mov_b32_e32 v59, v28
	v_mov_b32_e32 v28, v27
	;; [unrolled: 1-line block ×3, first 2 shown]
	s_waitcnt lgkmcnt(1)
	v_pk_mul_f32 v[24:25], v[40:41], v[26:27]
	v_mov_b32_e32 v30, v41
	v_sub_f32_e32 v41, v24, v25
	s_waitcnt vmcnt(9)
	v_sub_f32_e32 v16, v16, v41
	s_waitcnt lgkmcnt(0)
	v_mov_b32_e32 v41, v6
	v_mov_b32_e32 v31, v42
	v_pk_mul_f32 v[28:29], v[40:41], v[28:29]
	s_waitcnt vmcnt(8)
	v_mov_b32_e32 v72, v36
	v_pk_fma_f32 v[40:41], v[30:31], v[58:59], v[28:29] neg_lo:[0,0,1] neg_hi:[0,0,1]
	v_pk_fma_f32 v[28:29], v[30:31], v[58:59], v[28:29]
	v_mov_b32_e32 v73, v38
	v_pk_mov_b32 v[28:29], v[40:41], v[28:29] op_sel:[1,0]
	scratch_load_dwordx4 v[50:53], off, off offset:48
	scratch_load_dwordx4 v[54:57], off, off offset:64
	ds_read2_b32 v[48:49], v78 offset0:5 offset1:6
	scratch_load_dwordx4 v[24:27], off, off offset:104
	v_pk_add_f32 v[16:17], v[16:17], v[28:29] neg_lo:[0,1] neg_hi:[0,1]
	v_pk_mul_f32 v[28:29], v[6:7], v[72:73]
	ds_read2_b32 v[40:41], v78 offset0:7 offset1:8
	ds_read2_b32 v[58:59], v78 offset0:9 offset1:10
	;; [unrolled: 1-line block ×3, first 2 shown]
	scratch_load_dwordx4 v[72:75], off, off
	v_mov_b32_e32 v36, v39
	s_waitcnt lgkmcnt(3)
	v_mov_b32_e32 v30, v48
	v_pk_fma_f32 v[42:43], v[30:31], v[36:37], v[28:29] op_sel:[0,0,1] op_sel_hi:[1,1,0] neg_lo:[1,0,0] neg_hi:[1,0,0]
	v_pk_fma_f32 v[28:29], v[30:31], v[36:37], v[28:29] op_sel:[0,0,1] op_sel_hi:[1,1,0]
	s_nop 0
	v_mov_b32_e32 v43, v29
	v_mul_f32_e32 v28, v7, v39
	v_fmac_f32_e32 v28, v48, v38
	v_pk_add_f32 v[6:7], v[16:17], v[42:43] neg_lo:[0,1] neg_hi:[0,1]
	scratch_store_dwordx2 off, v[6:7], off offset:88
	v_sub_f32_e32 v16, v7, v28
	scratch_load_dwordx4 v[28:31], off, off offset:24
	s_waitcnt vmcnt(10) lgkmcnt(2)
	v_mul_f32_e32 v7, v40, v61
	v_mul_f32_e32 v17, v49, v61
	v_fma_f32 v7, v49, v60, -v7
	v_fmac_f32_e32 v17, v40, v60
	v_sub_f32_e32 v6, v6, v7
	v_sub_f32_e32 v7, v16, v17
	s_waitcnt lgkmcnt(1)
	v_mul_f32_e32 v16, v58, v63
	v_mul_f32_e32 v17, v41, v63
	v_fma_f32 v16, v41, v62, -v16
	v_fmac_f32_e32 v17, v58, v62
	v_sub_f32_e32 v6, v6, v16
	v_sub_f32_e32 v16, v7, v17
	s_waitcnt vmcnt(9) lgkmcnt(0)
	v_mul_f32_e32 v7, v76, v45
	v_fma_f32 v7, v59, v44, -v7
	v_mul_f32_e32 v17, v59, v45
	v_sub_f32_e32 v42, v6, v7
	ds_read2_b32 v[6:7], v78 offset0:13 offset1:14
	v_fmac_f32_e32 v17, v76, v44
	scratch_load_dwordx4 v[38:41], off, off offset:40
	v_sub_f32_e32 v43, v16, v17
	ds_read2_b32 v[16:17], v78 offset0:15 offset1:16
	ds_read2_b32 v[36:37], v78 offset0:17 offset1:18
	;; [unrolled: 1-line block ×3, first 2 shown]
	s_waitcnt lgkmcnt(3)
	v_mul_f32_e32 v44, v6, v47
	v_mul_f32_e32 v45, v77, v47
	s_waitcnt lgkmcnt(2)
	v_mul_f32_e32 v47, v16, v65
	v_fma_f32 v44, v77, v46, -v44
	v_fma_f32 v47, v7, v64, -v47
	v_mul_f32_e32 v7, v7, v65
	v_fmac_f32_e32 v45, v6, v46
	v_sub_f32_e32 v6, v42, v44
	v_fmac_f32_e32 v7, v16, v64
	s_waitcnt lgkmcnt(1)
	v_mul_f32_e32 v16, v36, v67
	v_sub_f32_e32 v46, v43, v45
	v_sub_f32_e32 v6, v6, v47
	v_fma_f32 v16, v17, v66, -v16
	v_mul_f32_e32 v17, v17, v67
	v_sub_f32_e32 v7, v46, v7
	v_fmac_f32_e32 v17, v36, v66
	v_sub_f32_e32 v6, v6, v16
	v_sub_f32_e32 v7, v7, v17
	ds_read_b96 v[62:64], v82
	s_waitcnt vmcnt(7) lgkmcnt(1)
	v_mul_f32_e32 v16, v58, v11
	v_mul_f32_e32 v11, v37, v11
	v_fmac_f32_e32 v11, v58, v10
	v_fma_f32 v16, v37, v10, -v16
	v_sub_f32_e32 v17, v7, v11
	ds_read2_b32 v[10:11], v78 offset0:21 offset1:22
	v_sub_f32_e32 v16, v6, v16
	ds_read2_b32 v[76:77], v82 offset0:3 offset1:4
	scratch_load_dwordx4 v[42:45], off, off offset:56
	scratch_load_dwordx4 v[46:49], off, off offset:72
	s_waitcnt lgkmcnt(1)
	v_mul_f32_e32 v6, v10, v15
	v_fma_f32 v36, v59, v14, -v6
	v_add_u32_e32 v6, 0x1600, v192
	ds_read2_b32 v[6:7], v6 offset0:23 offset1:153
	v_mul_f32_e32 v15, v59, v15
	v_fmac_f32_e32 v15, v10, v14
	v_sub_f32_e32 v15, v17, v15
	v_sub_f32_e32 v14, v16, v36
	s_waitcnt lgkmcnt(0)
	v_mul_f32_e32 v10, v6, v15
	v_fma_f32 v10, v11, v14, -v10
	v_mul_f32_e32 v11, v11, v15
	v_fmac_f32_e32 v11, v6, v14
	scratch_store_dwordx2 off, v[10:11], off offset:88
	scratch_load_dwordx4 v[14:17], off, off offset:80
	scratch_load_dwordx4 v[58:61], off, off
	s_waitcnt vmcnt(8)
	v_mov_b32_e32 v66, v72
	v_mov_b32_e32 v67, v74
	;; [unrolled: 1-line block ×3, first 2 shown]
	v_pk_mul_f32 v[72:73], v[62:63], v[72:73]
	v_mov_b32_e32 v36, v63
	v_sub_f32_e32 v6, v72, v73
	v_mov_b32_e32 v72, v68
	v_mov_b32_e32 v73, v70
	;; [unrolled: 1-line block ×3, first 2 shown]
	ds_read2_b32 v[70:71], v82 offset0:7 offset1:8
	ds_read2_b32 v[78:79], v82 offset0:9 offset1:10
	;; [unrolled: 1-line block ×3, first 2 shown]
	v_mov_b32_e32 v63, v76
	v_mov_b32_e32 v37, v64
	v_pk_mul_f32 v[62:63], v[62:63], v[74:75]
	v_sub_f32_e32 v18, v18, v6
	v_pk_fma_f32 v[74:75], v[36:37], v[66:67], v[62:63] neg_lo:[0,0,1] neg_hi:[0,0,1]
	v_pk_fma_f32 v[36:37], v[36:37], v[66:67], v[62:63]
	v_pk_mul_f32 v[62:63], v[76:77], v[72:73]
	v_pk_mov_b32 v[36:37], v[74:75], v[36:37] op_sel:[1,0]
	s_waitcnt lgkmcnt(0)
	v_mov_b32_e32 v66, v80
	v_pk_add_f32 v[18:19], v[18:19], v[36:37] neg_lo:[0,1] neg_hi:[0,1]
	v_mov_b32_e32 v36, v20
	v_mov_b32_e32 v37, v22
	;; [unrolled: 1-line block ×4, first 2 shown]
	v_pk_fma_f32 v[64:65], v[80:81], v[68:69], v[62:63] op_sel:[0,0,1] op_sel_hi:[1,1,0] neg_lo:[1,0,0] neg_hi:[1,0,0]
	v_pk_fma_f32 v[62:63], v[66:67], v[68:69], v[62:63] op_sel:[0,0,1] op_sel_hi:[1,1,0]
	v_pk_mul_f32 v[36:37], v[80:81], v[36:37]
	v_mov_b32_e32 v76, v70
	v_mov_b32_e32 v65, v63
	v_pk_fma_f32 v[62:63], v[76:77], v[20:21], v[36:37] op_sel:[0,0,1] op_sel_hi:[1,1,0] neg_lo:[1,0,0] neg_hi:[1,0,0]
	v_pk_fma_f32 v[20:21], v[76:77], v[20:21], v[36:37] op_sel:[0,0,1] op_sel_hi:[1,1,0]
	v_pk_add_f32 v[18:19], v[18:19], v[64:65] neg_lo:[0,1] neg_hi:[0,1]
	v_mov_b32_e32 v63, v21
	v_pk_add_f32 v[18:19], v[18:19], v[62:63] neg_lo:[0,1] neg_hi:[0,1]
	scratch_load_dwordx4 v[62:65], off, off offset:8
	v_mul_f32_e32 v6, v81, v23
	v_fmac_f32_e32 v6, v70, v22
	v_sub_f32_e32 v6, v19, v6
	scratch_store_dwordx2 off, v[18:19], off offset:96
	v_mul_f32_e32 v19, v78, v33
	v_fma_f32 v19, v71, v32, -v19
	v_mul_f32_e32 v20, v71, v33
	scratch_load_dwordx4 v[68:71], off, off offset:16
	v_sub_f32_e32 v36, v18, v19
	ds_read2_b32 v[18:19], v82 offset0:11 offset1:12
	v_fmac_f32_e32 v20, v78, v32
	v_sub_f32_e32 v6, v6, v20
	ds_read2_b32 v[20:21], v82 offset0:13 offset1:14
	ds_read2_b32 v[22:23], v82 offset0:15 offset1:16
	;; [unrolled: 1-line block ×3, first 2 shown]
	v_mov_b32_e32 v72, s24
	s_waitcnt lgkmcnt(3)
	v_mul_f32_e32 v37, v18, v35
	v_mul_f32_e32 v35, v79, v35
	v_fma_f32 v37, v79, v34, -v37
	v_fmac_f32_e32 v35, v18, v34
	s_waitcnt lgkmcnt(2)
	v_mul_f32_e32 v34, v20, v51
	v_fma_f32 v34, v19, v50, -v34
	v_mul_f32_e32 v19, v19, v51
	v_sub_f32_e32 v6, v6, v35
	v_fmac_f32_e32 v19, v20, v50
	v_sub_f32_e32 v18, v36, v37
	v_sub_f32_e32 v6, v6, v19
	s_waitcnt lgkmcnt(1)
	v_mul_f32_e32 v19, v22, v53
	v_sub_f32_e32 v18, v18, v34
	v_fma_f32 v19, v21, v52, -v19
	v_mul_f32_e32 v20, v21, v53
	v_fmac_f32_e32 v20, v22, v52
	v_sub_f32_e32 v21, v18, v19
	s_waitcnt lgkmcnt(0)
	v_mul_f32_e32 v18, v32, v55
	v_sub_f32_e32 v6, v6, v20
	v_fma_f32 v20, v23, v54, -v18
	ds_read2_b32 v[18:19], v82 offset0:19 offset1:20
	v_mul_f32_e32 v22, v23, v55
	v_fmac_f32_e32 v22, v32, v54
	v_sub_f32_e32 v32, v21, v20
	v_sub_f32_e32 v6, v6, v22
	ds_read2_b32 v[20:21], v82 offset0:21 offset1:22
	ds_read2_b32 v[22:23], v82 offset0:23 offset1:24
	s_waitcnt lgkmcnt(2)
	v_mul_f32_e32 v34, v18, v57
	v_fma_f32 v34, v33, v56, -v34
	v_mul_f32_e32 v33, v33, v57
	v_fmac_f32_e32 v33, v18, v56
	v_sub_f32_e32 v18, v32, v34
	s_waitcnt vmcnt(4) lgkmcnt(1)
	v_mul_f32_e32 v32, v20, v15
	v_mul_f32_e32 v15, v19, v15
	v_sub_f32_e32 v6, v6, v33
	v_fmac_f32_e32 v15, v20, v14
	v_sub_f32_e32 v6, v6, v15
	s_waitcnt lgkmcnt(0)
	v_mul_f32_e32 v15, v22, v11
	v_mul_f32_e32 v11, v21, v11
	v_fma_f32 v32, v19, v14, -v32
	v_fmac_f32_e32 v11, v22, v10
	v_sub_f32_e32 v14, v18, v32
	v_fma_f32 v15, v21, v10, -v15
	v_sub_f32_e32 v6, v6, v11
	v_sub_f32_e32 v14, v14, v15
	v_mul_f32_e32 v11, v23, v6
	v_mul_f32_e32 v10, v7, v6
	ds_read_b96 v[54:56], v72
	v_fmac_f32_e32 v11, v7, v14
	ds_read2_b32 v[6:7], v72 offset0:3 offset1:4
	v_fma_f32 v10, v23, v14, -v10
	s_waitcnt vmcnt(3)
	v_mov_b32_e32 v23, v60
	s_waitcnt lgkmcnt(1)
	v_mov_b32_e32 v14, v55
	v_mov_b32_e32 v60, v59
	v_pk_mul_f32 v[32:33], v[54:55], v[58:59]
	s_waitcnt lgkmcnt(0)
	v_mov_b32_e32 v55, v6
	v_mov_b32_e32 v15, v56
	;; [unrolled: 1-line block ×3, first 2 shown]
	v_pk_mul_f32 v[54:55], v[54:55], v[60:61]
	v_sub_f32_e32 v32, v32, v33
	v_pk_fma_f32 v[58:59], v[14:15], v[22:23], v[54:55] neg_lo:[0,0,1] neg_hi:[0,0,1]
	v_pk_fma_f32 v[14:15], v[14:15], v[22:23], v[54:55]
	v_sub_f32_e32 v24, v24, v32
	v_pk_mov_b32 v[14:15], v[58:59], v[14:15] op_sel:[1,0]
	scratch_store_dwordx2 off, v[10:11], off offset:96
	v_pk_add_f32 v[14:15], v[24:25], v[14:15] neg_lo:[0,1] neg_hi:[0,1]
	s_waitcnt vmcnt(3)
	v_mov_b32_e32 v32, v62
	v_mov_b32_e32 v33, v64
	v_pk_mul_f32 v[24:25], v[6:7], v[32:33]
	ds_read2_b32 v[32:33], v72 offset0:5 offset1:6
	scratch_load_dwordx4 v[34:37], off, off offset:80
	scratch_load_dwordx4 v[18:21], off, off offset:88
	;; [unrolled: 1-line block ×3, first 2 shown]
	v_mov_b32_e32 v62, v65
	scratch_load_dwordx4 v[64:67], off, off offset:16
	ds_read2_b32 v[58:59], v72 offset0:9 offset1:10
	ds_read2_b32 v[60:61], v72 offset0:11 offset1:12
	;; [unrolled: 1-line block ×3, first 2 shown]
	s_waitcnt vmcnt(5)
	v_mov_b32_e32 v22, v68
	v_mov_b32_e32 v23, v70
	;; [unrolled: 1-line block ×3, first 2 shown]
	s_waitcnt lgkmcnt(3)
	v_mov_b32_e32 v70, v32
	v_mov_b32_e32 v71, v56
	v_pk_fma_f32 v[56:57], v[32:33], v[62:63], v[24:25] op_sel:[0,0,1] op_sel_hi:[1,1,0] neg_lo:[1,0,0] neg_hi:[1,0,0]
	v_pk_fma_f32 v[24:25], v[70:71], v[62:63], v[24:25] op_sel:[0,0,1] op_sel_hi:[1,1,0]
	v_pk_mul_f32 v[22:23], v[32:33], v[22:23]
	v_mov_b32_e32 v57, v25
	s_waitcnt lgkmcnt(0)
	v_mov_b32_e32 v6, v54
	v_pk_add_f32 v[14:15], v[14:15], v[56:57] neg_lo:[0,1] neg_hi:[0,1]
	v_pk_fma_f32 v[56:57], v[54:55], v[68:69], v[22:23] op_sel:[0,0,1] op_sel_hi:[1,1,0] neg_lo:[1,0,0] neg_hi:[1,0,0]
	v_pk_fma_f32 v[6:7], v[6:7], v[68:69], v[22:23] op_sel:[0,0,1] op_sel_hi:[1,1,0]
	v_mov_b32_e32 v24, v28
	v_mov_b32_e32 v25, v30
	;; [unrolled: 1-line block ×4, first 2 shown]
	v_pk_add_f32 v[6:7], v[14:15], v[56:57] neg_lo:[0,1] neg_hi:[0,1]
	v_pk_mul_f32 v[14:15], v[54:55], v[24:25]
	v_mov_b32_e32 v32, v58
	v_pk_fma_f32 v[22:23], v[32:33], v[28:29], v[14:15] op_sel:[0,0,1] op_sel_hi:[1,1,0] neg_lo:[1,0,0] neg_hi:[1,0,0]
	v_pk_fma_f32 v[14:15], v[32:33], v[28:29], v[14:15] op_sel:[0,0,1] op_sel_hi:[1,1,0]
	s_or_b32 s24, s11, 0x1c00
	v_mov_b32_e32 v23, v15
	v_mul_f32_e32 v14, v55, v31
	v_fmac_f32_e32 v14, v58, v30
	v_pk_add_f32 v[6:7], v[6:7], v[22:23] neg_lo:[0,1] neg_hi:[0,1]
	scratch_store_dwordx2 off, v[6:7], off offset:104
	v_sub_f32_e32 v14, v7, v14
	v_mul_f32_e32 v7, v60, v39
	v_fma_f32 v7, v59, v38, -v7
	v_sub_f32_e32 v28, v6, v7
	ds_read2_b32 v[6:7], v72 offset0:13 offset1:14
	scratch_load_dwordx4 v[54:57], off, off
	v_mul_f32_e32 v15, v59, v39
	v_fmac_f32_e32 v15, v60, v38
	v_sub_f32_e32 v29, v14, v15
	ds_read2_b32 v[14:15], v72 offset0:15 offset1:16
	ds_read2_b32 v[22:23], v72 offset0:17 offset1:18
	;; [unrolled: 1-line block ×3, first 2 shown]
	s_waitcnt lgkmcnt(3)
	v_mul_f32_e32 v30, v6, v41
	v_mul_f32_e32 v31, v61, v41
	v_fma_f32 v30, v61, v40, -v30
	v_fmac_f32_e32 v31, v6, v40
	v_sub_f32_e32 v6, v28, v30
	v_sub_f32_e32 v28, v29, v31
	s_waitcnt lgkmcnt(2)
	v_mul_f32_e32 v29, v14, v43
	v_fma_f32 v29, v7, v42, -v29
	v_mul_f32_e32 v7, v7, v43
	v_fmac_f32_e32 v7, v14, v42
	v_sub_f32_e32 v6, v6, v29
	v_sub_f32_e32 v7, v28, v7
	scratch_load_dwordx4 v[28:31], off, off offset:24
	s_waitcnt lgkmcnt(1)
	v_mul_f32_e32 v14, v22, v45
	scratch_load_dwordx4 v[38:41], off, off offset:32
	v_fma_f32 v14, v15, v44, -v14
	v_mul_f32_e32 v15, v15, v45
	v_fmac_f32_e32 v15, v22, v44
	v_sub_f32_e32 v6, v6, v14
	v_sub_f32_e32 v14, v7, v15
	s_waitcnt lgkmcnt(0)
	v_mul_f32_e32 v7, v24, v47
	v_fma_f32 v7, v23, v46, -v7
	v_mul_f32_e32 v15, v23, v47
	v_fmac_f32_e32 v15, v24, v46
	v_sub_f32_e32 v24, v6, v7
	ds_read2_b32 v[6:7], v72 offset0:21 offset1:22
	v_sub_f32_e32 v32, v14, v15
	ds_read2_b32 v[14:15], v72 offset0:23 offset1:24
	ds_read2_b32 v[22:23], v72 offset0:25 offset1:26
	scratch_load_dwordx4 v[42:45], off, off offset:48
	scratch_load_dwordx4 v[60:63], off, off
	s_waitcnt lgkmcnt(2)
	v_mul_f32_e32 v33, v6, v49
	v_fma_f32 v33, v25, v48, -v33
	v_mul_f32_e32 v25, v25, v49
	v_fmac_f32_e32 v25, v6, v48
	scratch_load_dwordx4 v[46:49], off, off offset:64
	v_sub_f32_e32 v6, v24, v33
	v_sub_f32_e32 v24, v32, v25
	s_waitcnt vmcnt(9) lgkmcnt(1)
	v_mul_f32_e32 v25, v14, v19
	v_fma_f32 v25, v7, v18, -v25
	v_mul_f32_e32 v7, v7, v19
	v_fmac_f32_e32 v7, v14, v18
	v_sub_f32_e32 v14, v6, v25
	s_waitcnt lgkmcnt(0)
	v_mul_f32_e32 v6, v22, v11
	v_fma_f32 v19, v15, v10, -v6
	v_add_u32_e32 v6, 0x1a00, v192
	v_sub_f32_e32 v18, v24, v7
	ds_read2_b32 v[6:7], v6 offset0:27 offset1:157
	v_mul_f32_e32 v11, v15, v11
	v_fmac_f32_e32 v11, v22, v10
	v_sub_f32_e32 v11, v18, v11
	s_add_i32 s25, s4, s24
	v_sub_f32_e32 v14, v14, v19
	s_waitcnt lgkmcnt(0)
	v_mul_f32_e32 v10, v6, v11
	v_mul_f32_e32 v11, v23, v11
	v_mov_b32_e32 v78, s25
	v_fma_f32 v10, v23, v14, -v10
	ds_read_b96 v[74:76], v78
	ds_read2_b32 v[58:59], v78 offset0:5 offset1:6
	v_fmac_f32_e32 v11, v6, v14
	ds_read2_b32 v[14:15], v78 offset0:3 offset1:4
	scratch_store_dwordx2 off, v[10:11], off offset:104
	s_waitcnt lgkmcnt(2)
	v_mov_b32_e32 v18, v75
	v_mov_b32_e32 v19, v76
	scratch_load_dwordx4 v[70:73], off, off offset:88
	scratch_load_dwordx4 v[22:25], off, off offset:96
	s_or_b32 s25, s11, 0x1e00
	s_add_i32 s26, s4, s25
	v_mov_b32_e32 v96, s26
	s_or_b32 s26, s11, 0x2000
	s_add_i32 s27, s4, s26
	s_waitcnt vmcnt(8)
	v_mov_b32_e32 v32, v54
	v_mov_b32_e32 v33, v56
	;; [unrolled: 1-line block ×3, first 2 shown]
	v_pk_mul_f32 v[54:55], v[74:75], v[54:55]
	s_waitcnt lgkmcnt(0)
	v_mov_b32_e32 v75, v14
	v_sub_f32_e32 v6, v54, v55
	v_mov_b32_e32 v54, v50
	v_mov_b32_e32 v55, v52
	;; [unrolled: 1-line block ×3, first 2 shown]
	v_pk_mul_f32 v[52:53], v[74:75], v[56:57]
	v_sub_f32_e32 v26, v26, v6
	v_pk_fma_f32 v[56:57], v[18:19], v[32:33], v[52:53] neg_lo:[0,0,1] neg_hi:[0,0,1]
	v_pk_fma_f32 v[18:19], v[18:19], v[32:33], v[52:53]
	v_pk_mul_f32 v[32:33], v[14:15], v[54:55]
	v_pk_mov_b32 v[18:19], v[56:57], v[18:19] op_sel:[1,0]
	v_mov_b32_e32 v52, v58
	v_pk_add_f32 v[18:19], v[26:27], v[18:19] neg_lo:[0,1] neg_hi:[0,1]
	v_mov_b32_e32 v26, v64
	v_mov_b32_e32 v27, v66
	;; [unrolled: 1-line block ×3, first 2 shown]
	ds_read2_b32 v[74:75], v78 offset0:11 offset1:12
	ds_read2_b32 v[66:67], v78 offset0:7 offset1:8
	;; [unrolled: 1-line block ×3, first 2 shown]
	v_mov_b32_e32 v53, v76
	v_pk_fma_f32 v[54:55], v[58:59], v[50:51], v[32:33] op_sel:[0,0,1] op_sel_hi:[1,1,0] neg_lo:[1,0,0] neg_hi:[1,0,0]
	v_pk_fma_f32 v[32:33], v[52:53], v[50:51], v[32:33] op_sel:[0,0,1] op_sel_hi:[1,1,0]
	v_pk_mul_f32 v[26:27], v[58:59], v[26:27]
	s_waitcnt lgkmcnt(1)
	v_mov_b32_e32 v14, v66
	v_mov_b32_e32 v55, v33
	s_waitcnt vmcnt(7)
	v_mov_b32_e32 v32, v28
	v_mov_b32_e32 v33, v30
	v_mov_b32_e32 v28, v31
	v_pk_fma_f32 v[30:31], v[66:67], v[64:65], v[26:27] op_sel:[0,0,1] op_sel_hi:[1,1,0] neg_lo:[1,0,0] neg_hi:[1,0,0]
	v_pk_fma_f32 v[14:15], v[14:15], v[64:65], v[26:27] op_sel:[0,0,1] op_sel_hi:[1,1,0]
	v_pk_add_f32 v[18:19], v[18:19], v[54:55] neg_lo:[0,1] neg_hi:[0,1]
	v_mov_b32_e32 v31, v15
	v_pk_add_f32 v[14:15], v[18:19], v[30:31] neg_lo:[0,1] neg_hi:[0,1]
	s_waitcnt vmcnt(6)
	v_mov_b32_e32 v18, v38
	v_mov_b32_e32 v19, v40
	v_pk_mul_f32 v[26:27], v[66:67], v[32:33]
	s_waitcnt lgkmcnt(0)
	v_mov_b32_e32 v58, v68
	v_mov_b32_e32 v38, v41
	v_pk_fma_f32 v[30:31], v[68:69], v[28:29], v[26:27] op_sel:[0,0,1] op_sel_hi:[1,1,0] neg_lo:[1,0,0] neg_hi:[1,0,0]
	v_pk_fma_f32 v[26:27], v[58:59], v[28:29], v[26:27] op_sel:[0,0,1] op_sel_hi:[1,1,0]
	v_pk_mul_f32 v[18:19], v[68:69], v[18:19]
	v_mov_b32_e32 v66, v74
	v_mov_b32_e32 v31, v27
	v_pk_fma_f32 v[26:27], v[66:67], v[38:39], v[18:19] op_sel:[0,0,1] op_sel_hi:[1,1,0] neg_lo:[1,0,0] neg_hi:[1,0,0]
	v_pk_fma_f32 v[18:19], v[66:67], v[38:39], v[18:19] op_sel:[0,0,1] op_sel_hi:[1,1,0]
	v_pk_add_f32 v[14:15], v[14:15], v[30:31] neg_lo:[0,1] neg_hi:[0,1]
	v_mov_b32_e32 v27, v19
	v_pk_add_f32 v[14:15], v[14:15], v[26:27] neg_lo:[0,1] neg_hi:[0,1]
	scratch_store_dwordx2 off, v[14:15], off offset:112
	scratch_load_dwordx4 v[54:57], off, off offset:24
	scratch_load_dwordx4 v[50:53], off, off offset:32
	v_mul_f32_e32 v6, v69, v41
	ds_read2_b32 v[18:19], v78 offset0:13 offset1:14
	ds_read2_b32 v[26:27], v78 offset0:15 offset1:16
	ds_read2_b32 v[28:29], v78 offset0:17 offset1:18
	ds_read2_b32 v[58:59], v78 offset0:19 offset1:20
	v_fmac_f32_e32 v6, v74, v40
	v_sub_f32_e32 v6, v15, v6
	s_waitcnt vmcnt(8) lgkmcnt(3)
	v_mul_f32_e32 v15, v18, v43
	v_fma_f32 v15, v75, v42, -v15
	v_sub_f32_e32 v14, v14, v15
	s_waitcnt lgkmcnt(2)
	v_mul_f32_e32 v15, v26, v45
	scratch_load_dwordx4 v[30:33], off, off offset:120
	scratch_load_dwordx4 v[66:69], off, off offset:8
	;; [unrolled: 1-line block ×3, first 2 shown]
	v_fma_f32 v15, v19, v44, -v15
	v_mul_f32_e32 v43, v75, v43
	v_sub_f32_e32 v14, v14, v15
	s_waitcnt vmcnt(9) lgkmcnt(1)
	v_mul_f32_e32 v15, v28, v47
	v_fmac_f32_e32 v43, v18, v42
	v_mul_f32_e32 v18, v19, v45
	scratch_load_dwordx4 v[74:77], off, off offset:16
	v_fma_f32 v15, v27, v46, -v15
	v_sub_f32_e32 v6, v6, v43
	v_fmac_f32_e32 v18, v26, v44
	v_sub_f32_e32 v14, v14, v15
	s_waitcnt lgkmcnt(0)
	v_mul_f32_e32 v15, v58, v49
	v_sub_f32_e32 v6, v6, v18
	v_mul_f32_e32 v18, v27, v47
	v_fma_f32 v15, v29, v48, -v15
	v_fmac_f32_e32 v18, v28, v46
	v_sub_f32_e32 v46, v14, v15
	ds_read2_b32 v[14:15], v78 offset0:21 offset1:22
	v_sub_f32_e32 v6, v6, v18
	v_mul_f32_e32 v18, v29, v49
	v_fmac_f32_e32 v18, v58, v48
	scratch_load_dwordx4 v[42:45], off, off offset:64
	s_waitcnt lgkmcnt(0)
	v_mul_f32_e32 v47, v14, v35
	v_fma_f32 v47, v59, v34, -v47
	v_mul_f32_e32 v35, v59, v35
	v_sub_f32_e32 v6, v6, v18
	ds_read2_b32 v[18:19], v78 offset0:23 offset1:24
	ds_read2_b32 v[26:27], v78 offset0:25 offset1:26
	;; [unrolled: 1-line block ×3, first 2 shown]
	v_fmac_f32_e32 v35, v14, v34
	v_sub_f32_e32 v14, v46, v47
	scratch_load_dwordx4 v[78:81], off, off offset:40
	scratch_load_dwordx4 v[46:49], off, off offset:96
	;; [unrolled: 1-line block ×4, first 2 shown]
	s_waitcnt lgkmcnt(2)
	v_mul_f32_e32 v34, v18, v37
	v_fma_f32 v34, v15, v36, -v34
	v_mul_f32_e32 v15, v15, v37
	v_sub_f32_e32 v6, v6, v35
	v_fmac_f32_e32 v15, v18, v36
	v_sub_f32_e32 v6, v6, v15
	s_waitcnt vmcnt(12) lgkmcnt(1)
	v_mul_f32_e32 v15, v26, v23
	v_sub_f32_e32 v14, v14, v34
	v_fma_f32 v15, v19, v22, -v15
	v_mul_f32_e32 v18, v19, v23
	v_fmac_f32_e32 v18, v26, v22
	v_sub_f32_e32 v14, v14, v15
	s_waitcnt lgkmcnt(0)
	v_mul_f32_e32 v15, v28, v11
	v_mul_f32_e32 v11, v27, v11
	v_sub_f32_e32 v6, v6, v18
	v_fmac_f32_e32 v11, v28, v10
	v_fma_f32 v15, v27, v10, -v15
	v_sub_f32_e32 v6, v6, v11
	v_sub_f32_e32 v14, v14, v15
	v_mul_f32_e32 v11, v29, v6
	v_mul_f32_e32 v10, v7, v6
	ds_read_b96 v[92:94], v96
	v_fmac_f32_e32 v11, v7, v14
	ds_read2_b32 v[6:7], v96 offset0:3 offset1:4
	v_fma_f32 v10, v29, v14, -v10
	scratch_store_dwordx2 off, v[10:11], off offset:112
	s_waitcnt lgkmcnt(1)
	v_mov_b32_e32 v10, v93
	ds_read2_b32 v[14:15], v96 offset0:13 offset1:14
	v_mov_b32_e32 v19, v62
	v_mov_b32_e32 v62, v61
	v_pk_mul_f32 v[22:23], v[92:93], v[60:61]
	s_waitcnt lgkmcnt(1)
	v_mov_b32_e32 v93, v6
	v_mov_b32_e32 v11, v94
	;; [unrolled: 1-line block ×3, first 2 shown]
	v_pk_mul_f32 v[62:63], v[92:93], v[62:63]
	v_sub_f32_e32 v22, v22, v23
	v_pk_fma_f32 v[64:65], v[10:11], v[18:19], v[62:63] neg_lo:[0,0,1] neg_hi:[0,0,1]
	v_pk_fma_f32 v[10:11], v[10:11], v[18:19], v[62:63]
	scratch_load_dwordx4 v[26:29], off, off offset:104
	v_pk_mov_b32 v[10:11], v[64:65], v[10:11] op_sel:[1,0]
	scratch_load_dwordx4 v[34:37], off, off offset:136
	scratch_load_dwordx4 v[58:61], off, off offset:8
	;; [unrolled: 1-line block ×3, first 2 shown]
	s_waitcnt vmcnt(13)
	v_sub_f32_e32 v30, v30, v22
	v_pk_add_f32 v[10:11], v[30:31], v[10:11] neg_lo:[0,1] neg_hi:[0,1]
	ds_read2_b32 v[30:31], v96 offset0:5 offset1:6
	s_waitcnt vmcnt(12)
	v_mov_b32_e32 v22, v66
	v_mov_b32_e32 v23, v68
	;; [unrolled: 1-line block ×3, first 2 shown]
	v_pk_mul_f32 v[22:23], v[6:7], v[22:23]
	s_waitcnt lgkmcnt(0)
	v_mov_b32_e32 v68, v30
	v_mov_b32_e32 v69, v94
	s_waitcnt vmcnt(10)
	v_mov_b32_e32 v18, v74
	v_mov_b32_e32 v19, v76
	;; [unrolled: 1-line block ×3, first 2 shown]
	ds_read2_b32 v[76:77], v96 offset0:7 offset1:8
	ds_read2_b32 v[86:87], v96 offset0:9 offset1:10
	;; [unrolled: 1-line block ×3, first 2 shown]
	v_pk_fma_f32 v[94:95], v[30:31], v[66:67], v[22:23] op_sel:[0,0,1] op_sel_hi:[1,1,0] neg_lo:[1,0,0] neg_hi:[1,0,0]
	v_pk_fma_f32 v[22:23], v[68:69], v[66:67], v[22:23] op_sel:[0,0,1] op_sel_hi:[1,1,0]
	v_pk_mul_f32 v[18:19], v[30:31], v[18:19]
	s_waitcnt lgkmcnt(2)
	v_mov_b32_e32 v6, v76
	v_mov_b32_e32 v95, v23
	;; [unrolled: 1-line block ×5, first 2 shown]
	v_pk_fma_f32 v[56:57], v[76:77], v[74:75], v[18:19] op_sel:[0,0,1] op_sel_hi:[1,1,0] neg_lo:[1,0,0] neg_hi:[1,0,0]
	v_pk_fma_f32 v[6:7], v[6:7], v[74:75], v[18:19] op_sel:[0,0,1] op_sel_hi:[1,1,0]
	v_pk_add_f32 v[10:11], v[10:11], v[94:95] neg_lo:[0,1] neg_hi:[0,1]
	v_mov_b32_e32 v57, v7
	v_pk_add_f32 v[6:7], v[10:11], v[56:57] neg_lo:[0,1] neg_hi:[0,1]
	v_pk_mul_f32 v[10:11], v[76:77], v[22:23]
	s_waitcnt lgkmcnt(1)
	v_mov_b32_e32 v30, v86
	v_mov_b32_e32 v18, v50
	;; [unrolled: 1-line block ×3, first 2 shown]
	v_pk_fma_f32 v[22:23], v[86:87], v[54:55], v[10:11] op_sel:[0,0,1] op_sel_hi:[1,1,0] neg_lo:[1,0,0] neg_hi:[1,0,0]
	v_pk_fma_f32 v[10:11], v[30:31], v[54:55], v[10:11] op_sel:[0,0,1] op_sel_hi:[1,1,0]
	v_mov_b32_e32 v50, v53
	v_mov_b32_e32 v23, v11
	scratch_load_dwordx2 v[10:11], off, off offset:112
	v_pk_mul_f32 v[18:19], v[86:87], v[18:19]
	s_waitcnt lgkmcnt(0)
	v_mov_b32_e32 v76, v92
	v_pk_add_f32 v[6:7], v[6:7], v[22:23] neg_lo:[0,1] neg_hi:[0,1]
	s_waitcnt vmcnt(9)
	v_mov_b32_e32 v22, v78
	v_mov_b32_e32 v23, v80
	v_pk_fma_f32 v[30:31], v[92:93], v[50:51], v[18:19] op_sel:[0,0,1] op_sel_hi:[1,1,0] neg_lo:[1,0,0] neg_hi:[1,0,0]
	v_pk_fma_f32 v[18:19], v[76:77], v[50:51], v[18:19] op_sel:[0,0,1] op_sel_hi:[1,1,0]
	v_mov_b32_e32 v78, v81
	v_mov_b32_e32 v31, v19
	v_pk_mul_f32 v[18:19], v[92:93], v[22:23]
	v_mov_b32_e32 v86, v14
	v_pk_fma_f32 v[50:51], v[86:87], v[78:79], v[18:19] op_sel:[0,0,1] op_sel_hi:[1,1,0] neg_lo:[1,0,0] neg_hi:[1,0,0]
	v_pk_fma_f32 v[18:19], v[86:87], v[78:79], v[18:19] op_sel:[0,0,1] op_sel_hi:[1,1,0]
	v_pk_add_f32 v[6:7], v[6:7], v[30:31] neg_lo:[0,1] neg_hi:[0,1]
	v_mov_b32_e32 v51, v19
	scratch_load_dwordx4 v[66:69], off, off offset:40
	ds_read2_b32 v[22:23], v96 offset0:15 offset1:16
	ds_read2_b32 v[30:31], v96 offset0:17 offset1:18
	;; [unrolled: 1-line block ×3, first 2 shown]
	scratch_load_dwordx4 v[74:77], off, off
	scratch_load_dwordx4 v[54:57], off, off offset:72
	v_pk_add_f32 v[18:19], v[6:7], v[50:51] neg_lo:[0,1] neg_hi:[0,1]
	scratch_load_dword v7, off, off offset:4
	v_mul_f32_e32 v52, v93, v81
	v_fmac_f32_e32 v52, v14, v80
	s_waitcnt vmcnt(11) lgkmcnt(2)
	v_mul_f32_e32 v14, v22, v83
	v_fma_f32 v14, v15, v82, -v14
	v_mul_f32_e32 v15, v15, v83
	v_sub_f32_e32 v6, v19, v52
	v_fmac_f32_e32 v15, v22, v82
	v_sub_f32_e32 v6, v6, v15
	s_waitcnt lgkmcnt(1)
	v_mul_f32_e32 v15, v30, v85
	scratch_store_dwordx2 off, v[18:19], off offset:120
	v_sub_f32_e32 v14, v18, v14
	v_fma_f32 v15, v23, v84, -v15
	v_mul_f32_e32 v18, v23, v85
	v_fmac_f32_e32 v18, v30, v84
	v_sub_f32_e32 v14, v14, v15
	s_waitcnt vmcnt(11) lgkmcnt(0)
	v_mul_f32_e32 v15, v94, v89
	v_mul_f32_e32 v22, v31, v89
	v_sub_f32_e32 v6, v6, v18
	v_fma_f32 v15, v31, v88, -v15
	v_fmac_f32_e32 v22, v94, v88
	scratch_load_dwordx4 v[50:53], off, off offset:56
	s_waitcnt vmcnt(4)
	v_sub_f32_e32 v75, v14, v15
	ds_read2_b32 v[18:19], v96 offset0:21 offset1:22
	v_sub_f32_e32 v6, v6, v22
	ds_read2_b32 v[22:23], v96 offset0:23 offset1:24
	ds_read2_b32 v[30:31], v96 offset0:25 offset1:26
	;; [unrolled: 1-line block ×3, first 2 shown]
	scratch_load_dwordx4 v[86:89], off, off offset:24
	scratch_load_dwordx4 v[98:101], off, off
	scratch_load_dwordx4 v[82:85], off, off offset:32
	s_waitcnt lgkmcnt(3)
	v_mul_f32_e32 v77, v18, v91
	v_fma_f32 v77, v95, v90, -v77
	v_mul_f32_e32 v78, v95, v91
	v_fmac_f32_e32 v78, v18, v90
	v_sub_f32_e32 v18, v75, v77
	s_waitcnt lgkmcnt(2)
	v_mul_f32_e32 v75, v22, v71
	v_fma_f32 v75, v19, v70, -v75
	v_mul_f32_e32 v19, v19, v71
	v_sub_f32_e32 v6, v6, v78
	v_fmac_f32_e32 v19, v22, v70
	v_sub_f32_e32 v6, v6, v19
	s_waitcnt lgkmcnt(1)
	v_mul_f32_e32 v19, v30, v73
	v_mul_f32_e32 v22, v23, v73
	v_sub_f32_e32 v18, v18, v75
	v_fma_f32 v19, v23, v72, -v19
	v_fmac_f32_e32 v22, v30, v72
	v_sub_f32_e32 v18, v18, v19
	v_sub_f32_e32 v19, v6, v22
	s_waitcnt lgkmcnt(0)
	v_mul_f32_e32 v6, v14, v27
	v_mul_f32_e32 v22, v31, v27
	v_fma_f32 v6, v31, v26, -v6
	v_fmac_f32_e32 v22, v14, v26
	v_sub_f32_e32 v6, v18, v6
	v_sub_f32_e32 v22, v19, v22
	ds_read2_b32 v[18:19], v96 offset0:29 offset1:30
	v_add_u32_e32 v26, 0x1e00, v192
	ds_read2_b32 v[26:27], v26 offset0:31 offset1:161
	v_mov_b32_e32 v14, s27
	ds_read_b96 v[94:96], v14
	scratch_load_dwordx4 v[70:73], off, off offset:104
	s_waitcnt lgkmcnt(2)
	v_mul_f32_e32 v23, v18, v11
	v_mul_f32_e32 v11, v15, v11
	v_fma_f32 v23, v15, v10, -v23
	v_fmac_f32_e32 v11, v18, v10
	v_sub_f32_e32 v6, v6, v23
	v_sub_f32_e32 v11, v22, v11
	ds_read2_b32 v[22:23], v14 offset0:3 offset1:4
	s_waitcnt lgkmcnt(2)
	v_mul_f32_e32 v10, v26, v11
	v_mul_f32_e32 v11, v19, v11
	v_fma_f32 v10, v19, v6, -v10
	v_fmac_f32_e32 v11, v26, v6
	scratch_store_dwordx2 off, v[10:11], off offset:120
	s_waitcnt lgkmcnt(1)
	v_mov_b32_e32 v10, v95
	v_mov_b32_e32 v11, v96
	;; [unrolled: 1-line block ×3, first 2 shown]
	s_waitcnt lgkmcnt(0)
	v_mov_b32_e32 v30, v22
	v_mov_b32_e32 v31, v94
	scratch_load_dwordx4 v[78:81], off, off offset:104
	v_mov_b32_e32 v18, v74
	v_mov_b32_e32 v75, v76
	v_pk_mul_f32 v[10:11], v[10:11], v[74:75]
	s_waitcnt vmcnt(8)
	v_mov_b32_e32 v19, v7
	v_pk_mul_f32 v[18:19], v[94:95], v[18:19]
	v_pk_fma_f32 v[6:7], v[30:31], v[6:7], v[10:11] op_sel:[0,0,1] op_sel_hi:[1,1,0]
	v_sub_f32_e32 v15, v18, v19
	v_mov_b32_e32 v19, v60
	v_mov_b32_e32 v60, v59
	;; [unrolled: 1-line block ×3, first 2 shown]
	v_pk_fma_f32 v[58:59], v[22:23], v[60:61], v[10:11] op_sel:[0,0,1] op_sel_hi:[1,1,0] neg_lo:[1,0,0] neg_hi:[1,0,0]
	v_sub_f32_e32 v32, v32, v15
	v_mov_b32_e32 v59, v7
	scratch_load_dwordx4 v[90:93], off, off offset:112
	ds_read2_b32 v[74:75], v14 offset0:5 offset1:6
	ds_read2_b32 v[76:77], v14 offset0:7 offset1:8
	;; [unrolled: 1-line block ×3, first 2 shown]
	v_pk_add_f32 v[6:7], v[32:33], v[58:59] neg_lo:[0,1] neg_hi:[0,1]
	scratch_load_dwordx4 v[30:33], off, off offset:80
	v_pk_mul_f32 v[18:19], v[22:23], v[18:19]
	s_waitcnt lgkmcnt(2)
	v_mov_b32_e32 v58, v74
	v_mov_b32_e32 v59, v96
	;; [unrolled: 1-line block ×5, first 2 shown]
	v_pk_fma_f32 v[64:65], v[74:75], v[60:61], v[18:19] op_sel:[0,1,1] op_sel_hi:[1,0,0] neg_lo:[1,0,0] neg_hi:[1,0,0]
	v_pk_fma_f32 v[18:19], v[58:59], v[60:61], v[18:19] op_sel:[0,1,1] op_sel_hi:[1,0,0]
	v_pk_mul_f32 v[10:11], v[74:75], v[10:11]
	v_mov_b32_e32 v65, v19
	s_waitcnt lgkmcnt(1)
	v_mov_b32_e32 v22, v76
	v_pk_add_f32 v[6:7], v[6:7], v[64:65] neg_lo:[0,1] neg_hi:[0,1]
	s_waitcnt vmcnt(7)
	v_mov_b32_e32 v18, v86
	v_mov_b32_e32 v19, v88
	;; [unrolled: 1-line block ×3, first 2 shown]
	v_pk_fma_f32 v[64:65], v[76:77], v[62:63], v[10:11] op_sel:[0,0,1] op_sel_hi:[1,1,0] neg_lo:[1,0,0] neg_hi:[1,0,0]
	v_pk_fma_f32 v[10:11], v[22:23], v[62:63], v[10:11] op_sel:[0,0,1] op_sel_hi:[1,1,0]
	v_pk_mul_f32 v[18:19], v[76:77], v[18:19]
	s_waitcnt lgkmcnt(0)
	v_mov_b32_e32 v74, v102
	v_mov_b32_e32 v65, v11
	v_pk_fma_f32 v[22:23], v[102:103], v[86:87], v[18:19] op_sel:[0,0,1] op_sel_hi:[1,1,0] neg_lo:[1,0,0] neg_hi:[1,0,0]
	v_pk_fma_f32 v[18:19], v[74:75], v[86:87], v[18:19] op_sel:[0,0,1] op_sel_hi:[1,1,0]
	scratch_load_dwordx2 v[74:75], off, off offset:120
	v_pk_add_f32 v[6:7], v[6:7], v[64:65] neg_lo:[0,1] neg_hi:[0,1]
	v_mov_b32_e32 v23, v19
	v_pk_add_f32 v[6:7], v[6:7], v[22:23] neg_lo:[0,1] neg_hi:[0,1]
	ds_read2_b32 v[22:23], v14 offset0:11 offset1:12
	scratch_load_dwordx4 v[58:61], off, off offset:24
	scratch_load_dwordx4 v[62:65], off, off offset:32
	s_waitcnt vmcnt(8)
	v_mov_b32_e32 v10, v82
	v_mov_b32_e32 v11, v84
	;; [unrolled: 1-line block ×6, first 2 shown]
	ds_read2_b32 v[84:85], v14 offset0:15 offset1:16
	ds_read2_b32 v[86:87], v14 offset0:17 offset1:18
	ds_read2_b32 v[68:69], v14 offset0:13 offset1:14
	v_pk_mul_f32 v[10:11], v[102:103], v[10:11]
	s_waitcnt lgkmcnt(3)
	v_mov_b32_e32 v76, v22
	v_pk_fma_f32 v[88:89], v[22:23], v[82:83], v[10:11] op_sel:[0,0,1] op_sel_hi:[1,1,0] neg_lo:[1,0,0] neg_hi:[1,0,0]
	v_pk_fma_f32 v[10:11], v[76:77], v[82:83], v[10:11] op_sel:[0,0,1] op_sel_hi:[1,1,0]
	v_pk_mul_f32 v[18:19], v[22:23], v[18:19]
	v_mov_b32_e32 v89, v11
	v_mov_b32_e32 v10, v38
	v_mov_b32_e32 v11, v40
	s_waitcnt lgkmcnt(0)
	v_mov_b32_e32 v102, v68
	v_mov_b32_e32 v38, v41
	v_pk_fma_f32 v[76:77], v[68:69], v[66:67], v[18:19] op_sel:[0,0,1] op_sel_hi:[1,1,0] neg_lo:[1,0,0] neg_hi:[1,0,0]
	v_pk_fma_f32 v[18:19], v[102:103], v[66:67], v[18:19] op_sel:[0,0,1] op_sel_hi:[1,1,0]
	v_pk_mul_f32 v[10:11], v[68:69], v[10:11]
	v_mov_b32_e32 v22, v84
	v_mov_b32_e32 v77, v19
	v_pk_fma_f32 v[18:19], v[22:23], v[38:39], v[10:11] op_sel:[0,0,1] op_sel_hi:[1,1,0] neg_lo:[1,0,0] neg_hi:[1,0,0]
	v_pk_fma_f32 v[10:11], v[22:23], v[38:39], v[10:11] op_sel:[0,0,1] op_sel_hi:[1,1,0]
	v_pk_add_f32 v[6:7], v[6:7], v[88:89] neg_lo:[0,1] neg_hi:[0,1]
	v_mul_f32_e32 v10, v69, v41
	scratch_load_dwordx4 v[66:69], off, off offset:16
	v_pk_add_f32 v[6:7], v[6:7], v[76:77] neg_lo:[0,1] neg_hi:[0,1]
	v_mov_b32_e32 v19, v11
	v_fmac_f32_e32 v10, v84, v40
	v_pk_add_f32 v[6:7], v[6:7], v[18:19] neg_lo:[0,1] neg_hi:[0,1]
	scratch_store_dwordx2 off, v[6:7], off offset:128
	v_sub_f32_e32 v10, v7, v10
	v_mul_f32_e32 v7, v86, v43
	v_fma_f32 v7, v85, v42, -v7
	v_sub_f32_e32 v15, v6, v7
	ds_read2_b32 v[6:7], v14 offset0:19 offset1:20
	v_mul_f32_e32 v11, v85, v43
	v_fmac_f32_e32 v11, v86, v42
	v_sub_f32_e32 v26, v10, v11
	ds_read2_b32 v[10:11], v14 offset0:21 offset1:22
	ds_read2_b32 v[18:19], v14 offset0:23 offset1:24
	;; [unrolled: 1-line block ×3, first 2 shown]
	s_waitcnt lgkmcnt(3)
	v_mul_f32_e32 v38, v6, v45
	v_mul_f32_e32 v39, v87, v45
	v_fma_f32 v38, v87, v44, -v38
	v_fmac_f32_e32 v39, v6, v44
	v_sub_f32_e32 v6, v15, v38
	v_sub_f32_e32 v15, v26, v39
	scratch_load_dwordx4 v[38:41], off, off offset:80
	s_or_b32 s27, s11, 0x2200
	s_add_i32 s30, s4, s27
	s_waitcnt vmcnt(6) lgkmcnt(2)
	v_mul_f32_e32 v26, v10, v31
	v_fma_f32 v26, v7, v30, -v26
	v_mul_f32_e32 v7, v7, v31
	v_fmac_f32_e32 v7, v10, v30
	s_waitcnt lgkmcnt(1)
	v_mul_f32_e32 v10, v18, v33
	v_sub_f32_e32 v6, v6, v26
	v_fma_f32 v10, v11, v32, -v10
	v_mul_f32_e32 v11, v11, v33
	v_sub_f32_e32 v7, v15, v7
	v_fmac_f32_e32 v11, v18, v32
	v_sub_f32_e32 v10, v6, v10
	s_waitcnt lgkmcnt(0)
	v_mul_f32_e32 v6, v22, v47
	v_sub_f32_e32 v11, v7, v11
	v_fma_f32 v15, v19, v46, -v6
	ds_read2_b32 v[6:7], v14 offset0:27 offset1:28
	v_mul_f32_e32 v18, v19, v47
	v_fmac_f32_e32 v18, v22, v46
	v_sub_f32_e32 v19, v10, v15
	v_sub_f32_e32 v18, v11, v18
	ds_read2_b32 v[10:11], v14 offset0:29 offset1:30
	ds_read2_b32 v[14:15], v14 offset0:31 offset1:32
	s_waitcnt lgkmcnt(2)
	v_mul_f32_e32 v22, v6, v49
	v_fma_f32 v22, v23, v48, -v22
	v_mul_f32_e32 v23, v23, v49
	v_fmac_f32_e32 v23, v6, v48
	v_sub_f32_e32 v6, v19, v22
	s_waitcnt lgkmcnt(1)
	v_mul_f32_e32 v19, v10, v91
	v_fma_f32 v19, v7, v90, -v19
	v_mul_f32_e32 v7, v7, v91
	v_fmac_f32_e32 v7, v10, v90
	s_waitcnt vmcnt(5) lgkmcnt(0)
	v_mul_f32_e32 v10, v14, v75
	v_sub_f32_e32 v18, v18, v23
	scratch_load_dwordx4 v[30:33], off, off offset:40
	scratch_load_dwordx4 v[42:45], off, off offset:112
	v_fma_f32 v10, v11, v74, -v10
	scratch_load_dwordx4 v[46:49], off, off offset:48
	v_mul_f32_e32 v11, v11, v75
	v_sub_f32_e32 v7, v18, v7
	v_fmac_f32_e32 v11, v14, v74
	v_sub_f32_e32 v6, v6, v19
	v_sub_f32_e32 v7, v7, v11
	;; [unrolled: 1-line block ×3, first 2 shown]
	v_mul_f32_e32 v6, v27, v7
	v_mul_f32_e32 v7, v15, v7
	v_mov_b32_e32 v102, s30
	v_fma_f32 v6, v15, v10, -v6
	ds_read_b96 v[88:90], v102
	v_fmac_f32_e32 v7, v27, v10
	scratch_store_dwordx2 off, v[6:7], off offset:128
	ds_read2_b32 v[6:7], v102 offset0:3 offset1:4
	v_mov_b32_e32 v18, v101
	s_waitcnt lgkmcnt(1)
	v_pk_mul_f32 v[22:23], v[88:89], v[98:99]
	v_mov_b32_e32 v19, v99
	v_sub_f32_e32 v22, v22, v23
	s_waitcnt lgkmcnt(0)
	v_mov_b32_e32 v26, v6
	v_mov_b32_e32 v27, v88
	;; [unrolled: 1-line block ×6, first 2 shown]
	v_sub_f32_e32 v34, v34, v22
	v_mov_b32_e32 v22, v100
	s_waitcnt vmcnt(6)
	v_mov_b32_e32 v23, v66
	v_pk_mul_f32 v[18:19], v[26:27], v[18:19]
	v_mov_b32_e32 v100, v67
	v_pk_fma_f32 v[26:27], v[10:11], v[22:23], v[18:19] op_sel:[1,0,0] op_sel_hi:[0,1,1] neg_lo:[0,0,1] neg_hi:[0,0,1]
	v_pk_fma_f32 v[10:11], v[10:11], v[14:15], v[18:19] op_sel:[1,0,0] op_sel_hi:[0,1,1]
	v_pk_mul_f32 v[18:19], v[6:7], v[22:23]
	ds_read2_b32 v[22:23], v102 offset0:5 offset1:6
	v_mov_b32_e32 v83, v90
	v_mov_b32_e32 v27, v11
	v_pk_add_f32 v[10:11], v[34:35], v[26:27] neg_lo:[0,1] neg_hi:[0,1]
	scratch_load_dwordx4 v[84:87], off, off offset:120
	s_waitcnt lgkmcnt(0)
	v_mov_b32_e32 v82, v22
	v_pk_fma_f32 v[88:89], v[22:23], v[100:101], v[18:19] op_sel:[0,0,1] op_sel_hi:[1,1,0] neg_lo:[1,0,0] neg_hi:[1,0,0]
	v_pk_fma_f32 v[18:19], v[82:83], v[100:101], v[18:19] op_sel:[0,0,1] op_sel_hi:[1,1,0]
	scratch_load_dwordx4 v[74:77], off, off offset:16
	v_mov_b32_e32 v89, v19
	v_mov_b32_e32 v14, v66
	;; [unrolled: 1-line block ×4, first 2 shown]
	ds_read2_b32 v[26:27], v102 offset0:7 offset1:8
	ds_read2_b32 v[34:35], v102 offset0:9 offset1:10
	;; [unrolled: 1-line block ×3, first 2 shown]
	v_pk_add_f32 v[10:11], v[10:11], v[88:89] neg_lo:[0,1] neg_hi:[0,1]
	scratch_load_dwordx4 v[88:91], off, off offset:88
	v_pk_mul_f32 v[14:15], v[22:23], v[14:15]
	s_waitcnt lgkmcnt(2)
	v_mov_b32_e32 v6, v26
	v_mov_b32_e32 v18, v58
	;; [unrolled: 1-line block ×4, first 2 shown]
	v_pk_fma_f32 v[60:61], v[26:27], v[66:67], v[14:15] op_sel:[0,0,1] op_sel_hi:[1,1,0] neg_lo:[1,0,0] neg_hi:[1,0,0]
	v_pk_fma_f32 v[6:7], v[6:7], v[66:67], v[14:15] op_sel:[0,0,1] op_sel_hi:[1,1,0]
	v_pk_mul_f32 v[14:15], v[26:27], v[18:19]
	v_mov_b32_e32 v61, v7
	s_waitcnt lgkmcnt(1)
	v_mov_b32_e32 v22, v34
	v_pk_add_f32 v[6:7], v[10:11], v[60:61] neg_lo:[0,1] neg_hi:[0,1]
	v_pk_fma_f32 v[18:19], v[34:35], v[58:59], v[14:15] op_sel:[0,0,1] op_sel_hi:[1,1,0] neg_lo:[1,0,0] neg_hi:[1,0,0]
	v_pk_fma_f32 v[14:15], v[22:23], v[58:59], v[14:15] op_sel:[0,0,1] op_sel_hi:[1,1,0]
	scratch_load_dwordx4 v[58:61], off, off offset:40
	scratch_load_dwordx2 v[22:23], off, off offset:128
	v_mov_b32_e32 v10, v62
	v_mov_b32_e32 v11, v64
	;; [unrolled: 1-line block ×4, first 2 shown]
	v_pk_mul_f32 v[10:11], v[34:35], v[10:11]
	s_waitcnt lgkmcnt(0)
	v_mov_b32_e32 v26, v68
	v_pk_add_f32 v[6:7], v[6:7], v[18:19] neg_lo:[0,1] neg_hi:[0,1]
	v_pk_fma_f32 v[18:19], v[68:69], v[62:63], v[10:11] op_sel:[0,0,1] op_sel_hi:[1,1,0] neg_lo:[1,0,0] neg_hi:[1,0,0]
	v_pk_fma_f32 v[10:11], v[26:27], v[62:63], v[10:11] op_sel:[0,0,1] op_sel_hi:[1,1,0]
	scratch_load_dwordx4 v[94:97], off, off offset:48
	v_mov_b32_e32 v19, v11
	v_pk_add_f32 v[6:7], v[6:7], v[18:19] neg_lo:[0,1] neg_hi:[0,1]
	ds_read2_b32 v[18:19], v102 offset0:13 offset1:14
	s_waitcnt vmcnt(9)
	v_mov_b32_e32 v14, v30
	v_mov_b32_e32 v15, v32
	;; [unrolled: 1-line block ×3, first 2 shown]
	s_waitcnt vmcnt(7)
	v_mov_b32_e32 v10, v46
	v_mov_b32_e32 v11, v48
	;; [unrolled: 1-line block ×3, first 2 shown]
	ds_read2_b32 v[26:27], v102 offset0:17 offset1:18
	ds_read2_b32 v[48:49], v102 offset0:19 offset1:20
	;; [unrolled: 1-line block ×3, first 2 shown]
	v_pk_mul_f32 v[14:15], v[68:69], v[14:15]
	s_waitcnt lgkmcnt(3)
	v_mov_b32_e32 v34, v18
	v_pk_fma_f32 v[32:33], v[18:19], v[30:31], v[14:15] op_sel:[0,0,1] op_sel_hi:[1,1,0] neg_lo:[1,0,0] neg_hi:[1,0,0]
	v_pk_fma_f32 v[14:15], v[34:35], v[30:31], v[14:15] op_sel:[0,0,1] op_sel_hi:[1,1,0]
	v_pk_mul_f32 v[10:11], v[18:19], v[10:11]
	s_waitcnt lgkmcnt(0)
	v_mov_b32_e32 v68, v62
	v_mov_b32_e32 v33, v15
	;; [unrolled: 1-line block ×4, first 2 shown]
	v_pk_fma_f32 v[30:31], v[62:63], v[46:47], v[10:11] op_sel:[0,0,1] op_sel_hi:[1,1,0] neg_lo:[1,0,0] neg_hi:[1,0,0]
	v_pk_fma_f32 v[10:11], v[68:69], v[46:47], v[10:11] op_sel:[0,0,1] op_sel_hi:[1,1,0]
	v_mov_b32_e32 v50, v53
	v_mov_b32_e32 v31, v11
	v_pk_mul_f32 v[10:11], v[62:63], v[14:15]
	v_mov_b32_e32 v18, v26
	v_pk_add_f32 v[6:7], v[6:7], v[32:33] neg_lo:[0,1] neg_hi:[0,1]
	v_pk_fma_f32 v[14:15], v[18:19], v[50:51], v[10:11] op_sel:[0,0,1] op_sel_hi:[1,1,0] neg_lo:[1,0,0] neg_hi:[1,0,0]
	v_pk_fma_f32 v[10:11], v[18:19], v[50:51], v[10:11] op_sel:[0,0,1] op_sel_hi:[1,1,0]
	v_pk_add_f32 v[6:7], v[6:7], v[30:31] neg_lo:[0,1] neg_hi:[0,1]
	v_mov_b32_e32 v15, v11
	v_mul_f32_e32 v10, v63, v53
	v_fmac_f32_e32 v10, v26, v52
	v_pk_add_f32 v[6:7], v[6:7], v[14:15] neg_lo:[0,1] neg_hi:[0,1]
	scratch_load_dwordx4 v[30:33], off, off
	v_sub_f32_e32 v10, v7, v10
	v_mul_f32_e32 v7, v48, v55
	v_fma_f32 v7, v27, v54, -v7
	v_sub_f32_e32 v26, v6, v7
	ds_read2_b32 v[6:7], v102 offset0:21 offset1:22
	v_mul_f32_e32 v11, v27, v55
	v_fmac_f32_e32 v11, v48, v54
	v_sub_f32_e32 v27, v10, v11
	ds_read2_b32 v[10:11], v102 offset0:23 offset1:24
	ds_read2_b32 v[14:15], v102 offset0:25 offset1:26
	;; [unrolled: 1-line block ×3, first 2 shown]
	s_waitcnt lgkmcnt(3)
	v_mul_f32_e32 v34, v6, v57
	v_fma_f32 v34, v49, v56, -v34
	v_mul_f32_e32 v35, v49, v57
	v_fmac_f32_e32 v35, v6, v56
	v_sub_f32_e32 v6, v26, v34
	v_sub_f32_e32 v27, v27, v35
	scratch_load_dwordx4 v[54:57], off, off offset:24
	scratch_load_dwordx4 v[46:49], off, off offset:88
	s_or_b32 s30, s11, 0x2400
	s_add_i32 s31, s4, s30
	v_mov_b32_e32 v98, s31
	s_waitcnt vmcnt(6) lgkmcnt(2)
	v_mul_f32_e32 v26, v10, v89
	v_fma_f32 v34, v7, v88, -v26
	v_mul_f32_e32 v7, v7, v89
	v_fmac_f32_e32 v7, v10, v88
	s_waitcnt lgkmcnt(1)
	v_mul_f32_e32 v10, v14, v91
	v_sub_f32_e32 v6, v6, v34
	v_fma_f32 v10, v11, v90, -v10
	v_mul_f32_e32 v11, v11, v91
	v_sub_f32_e32 v7, v27, v7
	v_fmac_f32_e32 v11, v14, v90
	v_sub_f32_e32 v10, v6, v10
	s_waitcnt lgkmcnt(0)
	v_mul_f32_e32 v6, v18, v71
	scratch_load_dword v26, off, off offset:20
	v_sub_f32_e32 v11, v7, v11
	v_fma_f32 v14, v15, v70, -v6
	ds_read2_b32 v[6:7], v102 offset0:29 offset1:30
	v_mul_f32_e32 v15, v15, v71
	v_fmac_f32_e32 v15, v18, v70
	v_sub_f32_e32 v18, v10, v14
	v_sub_f32_e32 v27, v11, v15
	ds_read2_b32 v[10:11], v102 offset0:31 offset1:32
	ds_read2_b32 v[14:15], v102 offset0:33 offset1:34
	s_waitcnt lgkmcnt(2)
	v_mul_f32_e32 v34, v6, v73
	scratch_load_dwordx4 v[88:91], off, off offset:32
	scratch_load_dwordx4 v[50:53], off, off offset:120
	v_fma_f32 v34, v19, v72, -v34
	v_mul_f32_e32 v19, v19, v73
	v_fmac_f32_e32 v19, v6, v72
	v_sub_f32_e32 v6, v18, v34
	v_sub_f32_e32 v18, v27, v19
	s_waitcnt lgkmcnt(1)
	v_mul_f32_e32 v19, v10, v85
	v_fma_f32 v19, v7, v84, -v19
	v_mul_f32_e32 v7, v7, v85
	v_fmac_f32_e32 v7, v10, v84
	v_sub_f32_e32 v10, v6, v19
	s_waitcnt vmcnt(7) lgkmcnt(0)
	v_mul_f32_e32 v6, v14, v23
	v_fma_f32 v19, v11, v22, -v6
	v_add_u32_e32 v6, 0x2200, v192
	v_sub_f32_e32 v18, v18, v7
	ds_read2_b32 v[6:7], v6 offset0:35 offset1:165
	v_mul_f32_e32 v11, v11, v23
	v_fmac_f32_e32 v11, v14, v22
	v_sub_f32_e32 v11, v18, v11
	v_sub_f32_e32 v14, v10, v19
	s_waitcnt lgkmcnt(0)
	v_mul_f32_e32 v10, v6, v11
	v_mul_f32_e32 v11, v15, v11
	v_fma_f32 v10, v15, v14, -v10
	v_fmac_f32_e32 v11, v6, v14
	scratch_store_dwordx2 off, v[10:11], off offset:136
	ds_read_b96 v[66:68], v98
	scratch_load_dwordx4 v[100:103], off, off offset:128
	ds_read2_b32 v[10:11], v98 offset0:3 offset1:4
	scratch_load_dwordx4 v[82:85], off, off offset:56
	scratch_load_dwordx4 v[62:65], off, off
	scratch_load_dwordx4 v[104:107], off, off offset:64
	scratch_load_dwordx2 v[168:169], off, off offset:16
	s_waitcnt lgkmcnt(1)
	v_mov_b32_e32 v14, v67
	v_mov_b32_e32 v15, v68
	s_or_b32 s31, s11, 0x2600
	s_add_i32 s33, s4, s31
	s_waitcnt vmcnt(11)
	v_mul_f32_e32 v6, v67, v31
	v_fma_f32 v6, v66, v30, -v6
	v_mov_b32_e32 v18, v30
	v_mov_b32_e32 v19, v32
	v_sub_f32_e32 v36, v36, v6
	v_pk_mul_f32 v[14:15], v[14:15], v[18:19]
	s_waitcnt lgkmcnt(0)
	v_mov_b32_e32 v18, v10
	v_mov_b32_e32 v19, v66
	;; [unrolled: 1-line block ×4, first 2 shown]
	v_pk_fma_f32 v[22:23], v[10:11], v[6:7], v[14:15] op_sel:[0,0,1] op_sel_hi:[1,1,0] neg_lo:[1,0,0] neg_hi:[1,0,0]
	v_pk_fma_f32 v[14:15], v[18:19], v[30:31], v[14:15] op_sel:[0,0,1] op_sel_hi:[1,1,0]
	v_mov_b32_e32 v75, v32
	v_mov_b32_e32 v23, v15
	v_pk_add_f32 v[14:15], v[36:37], v[22:23] neg_lo:[0,1] neg_hi:[0,1]
	ds_read2_b32 v[22:23], v98 offset0:5 offset1:6
	v_mov_b32_e32 v27, v33
	v_mov_b32_e32 v19, v76
	scratch_load_dwordx4 v[30:33], off, off offset:24
	ds_read2_b32 v[70:71], v98 offset0:7 offset1:8
	ds_read2_b32 v[72:73], v98 offset0:9 offset1:10
	;; [unrolled: 1-line block ×3, first 2 shown]
	s_waitcnt lgkmcnt(3)
	v_mov_b32_e32 v36, v22
	v_mov_b32_e32 v37, v68
	;; [unrolled: 1-line block ×3, first 2 shown]
	s_waitcnt vmcnt(11)
	v_mov_b32_e32 v34, v55
	scratch_load_dwordx4 v[66:69], off, off offset:32
	s_waitcnt vmcnt(10)
	v_mov_b32_e32 v35, v26
	v_pk_mul_f32 v[26:27], v[36:37], v[26:27]
	s_nop 0
	v_pk_fma_f32 v[36:37], v[10:11], v[18:19], v[26:27] op_sel:[1,0,0] op_sel_hi:[0,1,1] neg_lo:[0,0,1] neg_hi:[0,0,1]
	v_pk_fma_f32 v[26:27], v[10:11], v[74:75], v[26:27] op_sel:[1,0,0] op_sel_hi:[0,1,1]
	v_mov_b32_e32 v37, v27
	v_pk_mul_f32 v[18:19], v[22:23], v[18:19]
	s_waitcnt lgkmcnt(2)
	v_mov_b32_e32 v10, v70
	v_pk_add_f32 v[14:15], v[14:15], v[36:37] neg_lo:[0,1] neg_hi:[0,1]
	v_pk_fma_f32 v[36:37], v[70:71], v[34:35], v[18:19] op_sel:[0,0,1] op_sel_hi:[1,1,0] neg_lo:[1,0,0] neg_hi:[1,0,0]
	v_pk_fma_f32 v[10:11], v[10:11], v[34:35], v[18:19] op_sel:[0,0,1] op_sel_hi:[1,1,0]
	v_mov_b32_e32 v26, v54
	v_mov_b32_e32 v37, v11
	;; [unrolled: 1-line block ×3, first 2 shown]
	v_pk_add_f32 v[10:11], v[14:15], v[36:37] neg_lo:[0,1] neg_hi:[0,1]
	scratch_load_dwordx4 v[34:37], off, off offset:96
	v_mov_b32_e32 v54, v57
	s_waitcnt vmcnt(10)
	v_mov_b32_e32 v14, v88
	v_mov_b32_e32 v15, v90
	v_pk_mul_f32 v[18:19], v[70:71], v[26:27]
	s_waitcnt lgkmcnt(1)
	v_mov_b32_e32 v22, v72
	v_mov_b32_e32 v88, v91
	v_pk_fma_f32 v[26:27], v[72:73], v[54:55], v[18:19] op_sel:[0,0,1] op_sel_hi:[1,1,0] neg_lo:[1,0,0] neg_hi:[1,0,0]
	v_pk_fma_f32 v[18:19], v[22:23], v[54:55], v[18:19] op_sel:[0,0,1] op_sel_hi:[1,1,0]
	v_pk_mul_f32 v[14:15], v[72:73], v[14:15]
	s_waitcnt lgkmcnt(0)
	v_mov_b32_e32 v70, v76
	v_mov_b32_e32 v27, v19
	v_pk_fma_f32 v[22:23], v[76:77], v[88:89], v[14:15] op_sel:[0,0,1] op_sel_hi:[1,1,0] neg_lo:[1,0,0] neg_hi:[1,0,0]
	v_pk_fma_f32 v[14:15], v[70:71], v[88:89], v[14:15] op_sel:[0,0,1] op_sel_hi:[1,1,0]
	v_pk_add_f32 v[10:11], v[10:11], v[26:27] neg_lo:[0,1] neg_hi:[0,1]
	v_mov_b32_e32 v23, v15
	v_pk_add_f32 v[10:11], v[10:11], v[22:23] neg_lo:[0,1] neg_hi:[0,1]
	ds_read2_b32 v[22:23], v98 offset0:13 offset1:14
	ds_read2_b32 v[26:27], v98 offset0:19 offset1:20
	;; [unrolled: 1-line block ×4, first 2 shown]
	v_mov_b32_e32 v18, v58
	v_mov_b32_e32 v19, v60
	;; [unrolled: 1-line block ×3, first 2 shown]
	v_pk_mul_f32 v[18:19], v[76:77], v[18:19]
	s_waitcnt lgkmcnt(3)
	v_mov_b32_e32 v72, v22
	v_mov_b32_e32 v14, v94
	;; [unrolled: 1-line block ×3, first 2 shown]
	v_pk_fma_f32 v[60:61], v[22:23], v[58:59], v[18:19] op_sel:[0,0,1] op_sel_hi:[1,1,0] neg_lo:[1,0,0] neg_hi:[1,0,0]
	v_pk_fma_f32 v[18:19], v[72:73], v[58:59], v[18:19] op_sel:[0,0,1] op_sel_hi:[1,1,0]
	v_mov_b32_e32 v94, v97
	v_mov_b32_e32 v61, v19
	v_pk_mul_f32 v[14:15], v[22:23], v[14:15]
	s_waitcnt lgkmcnt(1)
	v_mov_b32_e32 v76, v54
	v_pk_add_f32 v[18:19], v[10:11], v[60:61] neg_lo:[0,1] neg_hi:[0,1]
	v_pk_fma_f32 v[60:61], v[54:55], v[94:95], v[14:15] op_sel:[0,0,1] op_sel_hi:[1,1,0] neg_lo:[1,0,0] neg_hi:[1,0,0]
	v_pk_fma_f32 v[14:15], v[76:77], v[94:95], v[14:15] op_sel:[0,0,1] op_sel_hi:[1,1,0]
	s_waitcnt vmcnt(6)
	v_mov_b32_e32 v58, v82
	v_mov_b32_e32 v59, v84
	scratch_load_dwordx2 v[10:11], off, off offset:136
	v_mov_b32_e32 v61, v15
	v_mov_b32_e32 v82, v85
	v_pk_add_f32 v[14:15], v[18:19], v[60:61] neg_lo:[0,1] neg_hi:[0,1]
	s_waitcnt vmcnt(5)
	v_mov_b32_e32 v18, v104
	v_mov_b32_e32 v19, v106
	v_pk_mul_f32 v[58:59], v[54:55], v[58:59]
	s_waitcnt lgkmcnt(0)
	v_mov_b32_e32 v22, v56
	v_mov_b32_e32 v104, v107
	v_pk_fma_f32 v[60:61], v[56:57], v[82:83], v[58:59] op_sel:[0,0,1] op_sel_hi:[1,1,0] neg_lo:[1,0,0] neg_hi:[1,0,0]
	v_pk_fma_f32 v[22:23], v[22:23], v[82:83], v[58:59] op_sel:[0,0,1] op_sel_hi:[1,1,0]
	v_pk_mul_f32 v[18:19], v[56:57], v[18:19]
	v_mov_b32_e32 v54, v26
	v_mov_b32_e32 v61, v23
	v_pk_fma_f32 v[22:23], v[54:55], v[104:105], v[18:19] op_sel:[0,0,1] op_sel_hi:[1,1,0] neg_lo:[1,0,0] neg_hi:[1,0,0]
	v_pk_fma_f32 v[18:19], v[54:55], v[104:105], v[18:19] op_sel:[0,0,1] op_sel_hi:[1,1,0]
	v_pk_add_f32 v[14:15], v[14:15], v[60:61] neg_lo:[0,1] neg_hi:[0,1]
	v_mov_b32_e32 v23, v19
	scratch_load_dwordx4 v[70:73], off, off offset:56
	scratch_load_dwordx4 v[74:77], off, off offset:64
	v_mul_f32_e32 v6, v57, v107
	v_pk_add_f32 v[14:15], v[14:15], v[22:23] neg_lo:[0,1] neg_hi:[0,1]
	scratch_load_dwordx4 v[58:61], off, off offset:152
	ds_read2_b32 v[18:19], v98 offset0:21 offset1:22
	ds_read2_b32 v[22:23], v98 offset0:23 offset1:24
	ds_read2_b32 v[54:55], v98 offset0:25 offset1:26
	ds_read2_b32 v[56:57], v98 offset0:27 offset1:28
	scratch_load_dwordx4 v[82:85], off, off offset:16
	v_fmac_f32_e32 v6, v26, v106
	v_sub_f32_e32 v6, v15, v6
	s_waitcnt lgkmcnt(3)
	v_mul_f32_e32 v15, v18, v39
	v_fma_f32 v15, v27, v38, -v15
	v_mul_f32_e32 v26, v27, v39
	v_fmac_f32_e32 v26, v18, v38
	v_sub_f32_e32 v14, v14, v15
	s_waitcnt lgkmcnt(2)
	v_mul_f32_e32 v15, v22, v41
	v_mul_f32_e32 v18, v19, v41
	v_sub_f32_e32 v6, v6, v26
	v_fma_f32 v15, v19, v40, -v15
	v_fmac_f32_e32 v18, v22, v40
	v_sub_f32_e32 v14, v14, v15
	v_sub_f32_e32 v6, v6, v18
	scratch_load_dwordx4 v[38:41], off, off offset:96
	v_mov_b32_e32 v104, s33
	s_or_b32 s33, s11, 0x2800
	s_waitcnt vmcnt(6) lgkmcnt(1)
	v_mul_f32_e32 v15, v54, v35
	v_mul_f32_e32 v18, v23, v35
	v_fma_f32 v15, v23, v34, -v15
	v_fmac_f32_e32 v18, v54, v34
	ds_read2_b32 v[22:23], v98 offset0:29 offset1:30
	v_sub_f32_e32 v14, v14, v15
	v_sub_f32_e32 v6, v6, v18
	s_waitcnt lgkmcnt(1)
	v_mul_f32_e32 v15, v56, v37
	v_mul_f32_e32 v18, v55, v37
	v_fma_f32 v15, v55, v36, -v15
	v_fmac_f32_e32 v18, v56, v36
	v_sub_f32_e32 v34, v14, v15
	v_sub_f32_e32 v6, v6, v18
	ds_read2_b32 v[26:27], v98 offset0:31 offset1:32
	ds_read2_b32 v[18:19], v98 offset0:33 offset1:34
	;; [unrolled: 1-line block ×3, first 2 shown]
	scratch_load_dwordx4 v[88:91], off, off offset:40
	scratch_load_dwordx4 v[114:117], off, off offset:16
	s_waitcnt lgkmcnt(3)
	v_mul_f32_e32 v35, v22, v43
	v_fma_f32 v35, v57, v42, -v35
	v_mul_f32_e32 v36, v57, v43
	v_fmac_f32_e32 v36, v22, v42
	v_sub_f32_e32 v22, v34, v35
	s_waitcnt lgkmcnt(2)
	v_mul_f32_e32 v34, v26, v45
	v_fma_f32 v34, v23, v44, -v34
	v_mul_f32_e32 v23, v23, v45
	v_sub_f32_e32 v6, v6, v36
	v_fmac_f32_e32 v23, v26, v44
	v_sub_f32_e32 v6, v6, v23
	s_waitcnt lgkmcnt(1)
	v_mul_f32_e32 v23, v18, v101
	v_mul_f32_e32 v26, v27, v101
	v_fma_f32 v23, v27, v100, -v23
	v_fmac_f32_e32 v26, v18, v100
	scratch_load_dwordx4 v[94:97], off, off offset:48
	scratch_load_dwordx4 v[110:113], off, off offset:72
	ds_read_b128 v[98:101], v104
	v_sub_f32_e32 v22, v22, v34
	v_sub_f32_e32 v18, v22, v23
	ds_read_b96 v[118:120], v104 offset:16
	s_waitcnt vmcnt(9) lgkmcnt(2)
	v_mul_f32_e32 v22, v14, v11
	v_mul_f32_e32 v11, v19, v11
	v_sub_f32_e32 v6, v6, v26
	v_fmac_f32_e32 v11, v14, v10
	v_sub_f32_e32 v6, v6, v11
	v_fma_f32 v22, v19, v10, -v22
	v_mul_f32_e32 v10, v7, v6
	v_mul_f32_e32 v11, v15, v6
	s_waitcnt lgkmcnt(1)
	v_mul_f32_e32 v6, v99, v63
	v_sub_f32_e32 v14, v18, v22
	v_fma_f32 v6, v98, v62, -v6
	v_fma_f32 v10, v15, v14, -v10
	v_fmac_f32_e32 v11, v7, v14
	v_mov_b32_e32 v18, v101
	s_waitcnt lgkmcnt(0)
	v_mov_b32_e32 v19, v118
	v_mov_b32_e32 v22, v64
	scratch_store_dwordx2 off, v[10:11], off offset:144
	v_mov_b32_e32 v10, v119
	v_mov_b32_e32 v11, v120
	v_mul_f32_e32 v7, v98, v63
	v_fmac_f32_e32 v7, v99, v62
	scratch_load_dwordx4 v[42:45], off, off offset:128
	s_waitcnt vmcnt(8)
	v_sub_f32_e32 v58, v58, v6
	v_mul_f32_e32 v6, v101, v65
	v_fma_f32 v6, v100, v64, -v6
	s_waitcnt vmcnt(7)
	v_mov_b32_e32 v23, v82
	v_pk_mul_f32 v[18:19], v[18:19], v[22:23]
	v_mov_b32_e32 v22, v119
	v_mov_b32_e32 v23, v100
	;; [unrolled: 1-line block ×4, first 2 shown]
	v_pk_fma_f32 v[26:27], v[10:11], v[26:27], v[18:19] op_sel:[0,0,1] op_sel_hi:[1,1,0] neg_lo:[1,0,0] neg_hi:[1,0,0]
	v_pk_fma_f32 v[18:19], v[22:23], v[64:65], v[18:19] op_sel:[0,0,1] op_sel_hi:[1,1,0]
	ds_read2_b32 v[22:23], v104 offset0:7 offset1:8
	v_pk_add_f32 v[6:7], v[58:59], v[6:7] neg_lo:[0,1] neg_hi:[0,1]
	v_mov_b32_e32 v27, v19
	scratch_load_dwordx4 v[34:37], off, off offset:128
	scratch_load_dwordx4 v[106:109], off, off offset:136
	scratch_load_dwordx4 v[54:57], off, off offset:168
	v_pk_add_f32 v[6:7], v[6:7], v[26:27] neg_lo:[0,1] neg_hi:[0,1]
	ds_read2_b32 v[26:27], v104 offset0:9 offset1:10
	ds_read2_b32 v[58:59], v104 offset0:11 offset1:12
	ds_read2_b32 v[98:99], v104 offset0:13 offset1:14
	v_mov_b32_e32 v15, v82
	v_mov_b32_e32 v82, v85
	s_waitcnt lgkmcnt(3)
	v_mov_b32_e32 v62, v22
	v_mov_b32_e32 v63, v118
	;; [unrolled: 1-line block ×5, first 2 shown]
	v_pk_mul_f32 v[62:63], v[62:63], v[82:83]
	v_mov_b32_e32 v84, v67
	v_pk_fma_f32 v[64:65], v[10:11], v[18:19], v[62:63] op_sel:[1,0,0] op_sel_hi:[0,1,1] neg_lo:[0,0,1] neg_hi:[0,0,1]
	v_pk_fma_f32 v[10:11], v[10:11], v[14:15], v[62:63] op_sel:[1,0,0] op_sel_hi:[0,1,1]
	v_pk_mul_f32 v[14:15], v[22:23], v[18:19]
	s_waitcnt lgkmcnt(2)
	v_mov_b32_e32 v18, v26
	v_mov_b32_e32 v19, v120
	;; [unrolled: 1-line block ×3, first 2 shown]
	v_pk_fma_f32 v[62:63], v[26:27], v[84:85], v[14:15] op_sel:[0,0,1] op_sel_hi:[1,1,0] neg_lo:[1,0,0] neg_hi:[1,0,0]
	v_pk_fma_f32 v[14:15], v[18:19], v[84:85], v[14:15] op_sel:[0,0,1] op_sel_hi:[1,1,0]
	v_pk_add_f32 v[6:7], v[6:7], v[64:65] neg_lo:[0,1] neg_hi:[0,1]
	v_mov_b32_e32 v63, v15
	v_pk_add_f32 v[6:7], v[6:7], v[62:63] neg_lo:[0,1] neg_hi:[0,1]
	scratch_load_dwordx4 v[62:65], off, off offset:104
	scratch_load_dwordx4 v[82:85], off, off offset:40
	v_mov_b32_e32 v10, v66
	v_mov_b32_e32 v11, v68
	;; [unrolled: 1-line block ×3, first 2 shown]
	v_pk_mul_f32 v[10:11], v[26:27], v[10:11]
	s_waitcnt lgkmcnt(1)
	v_mov_b32_e32 v22, v58
	s_waitcnt vmcnt(10)
	v_mov_b32_e32 v14, v88
	v_mov_b32_e32 v15, v90
	v_pk_fma_f32 v[18:19], v[58:59], v[66:67], v[10:11] op_sel:[0,0,1] op_sel_hi:[1,1,0] neg_lo:[1,0,0] neg_hi:[1,0,0]
	v_pk_fma_f32 v[10:11], v[22:23], v[66:67], v[10:11] op_sel:[0,0,1] op_sel_hi:[1,1,0]
	v_mov_b32_e32 v88, v91
	v_mov_b32_e32 v19, v11
	v_pk_mul_f32 v[14:15], v[58:59], v[14:15]
	s_waitcnt lgkmcnt(0)
	v_mov_b32_e32 v26, v98
	v_pk_add_f32 v[6:7], v[6:7], v[18:19] neg_lo:[0,1] neg_hi:[0,1]
	v_pk_fma_f32 v[18:19], v[98:99], v[88:89], v[14:15] op_sel:[0,0,1] op_sel_hi:[1,1,0] neg_lo:[1,0,0] neg_hi:[1,0,0]
	v_pk_fma_f32 v[14:15], v[26:27], v[88:89], v[14:15] op_sel:[0,0,1] op_sel_hi:[1,1,0]
	scratch_load_dwordx4 v[66:69], off, off offset:48
	v_mov_b32_e32 v19, v15
	v_pk_add_f32 v[6:7], v[6:7], v[18:19] neg_lo:[0,1] neg_hi:[0,1]
	ds_read2_b32 v[18:19], v104 offset0:15 offset1:16
	ds_read2_b32 v[22:23], v104 offset0:21 offset1:22
	ds_read2_b32 v[26:27], v104 offset0:17 offset1:18
	ds_read2_b32 v[88:89], v104 offset0:19 offset1:20
	s_waitcnt vmcnt(9)
	v_mov_b32_e32 v10, v94
	v_mov_b32_e32 v11, v96
	v_mov_b32_e32 v94, v97
	v_mov_b32_e32 v14, v70
	v_mov_b32_e32 v15, v72
	v_pk_mul_f32 v[10:11], v[98:99], v[10:11]
	s_waitcnt lgkmcnt(3)
	v_mov_b32_e32 v58, v18
	scratch_load_dwordx2 v[90:91], off, off offset:144
	v_mov_b32_e32 v70, v73
	v_pk_fma_f32 v[72:73], v[18:19], v[94:95], v[10:11] op_sel:[0,0,1] op_sel_hi:[1,1,0] neg_lo:[1,0,0] neg_hi:[1,0,0]
	v_pk_fma_f32 v[10:11], v[58:59], v[94:95], v[10:11] op_sel:[0,0,1] op_sel_hi:[1,1,0]
	v_pk_mul_f32 v[14:15], v[18:19], v[14:15]
	s_waitcnt lgkmcnt(1)
	v_mov_b32_e32 v98, v26
	v_mov_b32_e32 v73, v11
	;; [unrolled: 1-line block ×4, first 2 shown]
	v_pk_fma_f32 v[58:59], v[26:27], v[70:71], v[14:15] op_sel:[0,0,1] op_sel_hi:[1,1,0] neg_lo:[1,0,0] neg_hi:[1,0,0]
	v_pk_fma_f32 v[14:15], v[98:99], v[70:71], v[14:15] op_sel:[0,0,1] op_sel_hi:[1,1,0]
	v_pk_add_f32 v[6:7], v[6:7], v[72:73] neg_lo:[0,1] neg_hi:[0,1]
	v_mov_b32_e32 v74, v77
	v_mov_b32_e32 v59, v15
	v_pk_mul_f32 v[10:11], v[26:27], v[10:11]
	s_waitcnt lgkmcnt(0)
	v_mov_b32_e32 v18, v88
	v_pk_add_f32 v[6:7], v[6:7], v[58:59] neg_lo:[0,1] neg_hi:[0,1]
	s_waitcnt vmcnt(9)
	v_mov_b32_e32 v14, v110
	v_mov_b32_e32 v15, v112
	v_pk_fma_f32 v[58:59], v[88:89], v[74:75], v[10:11] op_sel:[0,0,1] op_sel_hi:[1,1,0] neg_lo:[1,0,0] neg_hi:[1,0,0]
	v_pk_fma_f32 v[10:11], v[18:19], v[74:75], v[10:11] op_sel:[0,0,1] op_sel_hi:[1,1,0]
	v_mov_b32_e32 v110, v113
	v_mov_b32_e32 v59, v11
	v_pk_mul_f32 v[10:11], v[88:89], v[14:15]
	v_mov_b32_e32 v26, v22
	v_pk_fma_f32 v[14:15], v[26:27], v[110:111], v[10:11] op_sel:[0,0,1] op_sel_hi:[1,1,0] neg_lo:[1,0,0] neg_hi:[1,0,0]
	v_pk_fma_f32 v[10:11], v[26:27], v[110:111], v[10:11] op_sel:[0,0,1] op_sel_hi:[1,1,0]
	scratch_load_dwordx4 v[74:77], off, off
	v_mov_b32_e32 v15, v11
	ds_read2_b32 v[10:11], v104 offset0:23 offset1:24
	v_pk_add_f32 v[6:7], v[6:7], v[58:59] neg_lo:[0,1] neg_hi:[0,1]
	v_mul_f32_e32 v18, v89, v113
	v_fmac_f32_e32 v18, v22, v112
	v_pk_add_f32 v[6:7], v[6:7], v[14:15] neg_lo:[0,1] neg_hi:[0,1]
	scratch_load_dwordx4 v[70:73], off, off offset:72
	v_sub_f32_e32 v7, v7, v18
	ds_read2_b32 v[14:15], v104 offset0:25 offset1:26
	ds_read2_b32 v[18:19], v104 offset0:27 offset1:28
	;; [unrolled: 1-line block ×3, first 2 shown]
	s_waitcnt lgkmcnt(3)
	v_mul_f32_e32 v22, v10, v47
	v_fma_f32 v22, v23, v46, -v22
	v_mul_f32_e32 v23, v23, v47
	v_fmac_f32_e32 v23, v10, v46
	s_waitcnt lgkmcnt(2)
	v_mul_f32_e32 v10, v14, v49
	v_fma_f32 v10, v11, v48, -v10
	v_mul_f32_e32 v11, v11, v49
	v_sub_f32_e32 v6, v6, v22
	v_sub_f32_e32 v7, v7, v23
	v_fmac_f32_e32 v11, v14, v48
	v_sub_f32_e32 v6, v6, v10
	v_sub_f32_e32 v7, v7, v11
	scratch_load_dwordx4 v[46:49], off, off offset:104
	s_waitcnt vmcnt(6) lgkmcnt(1)
	v_mul_f32_e32 v10, v18, v63
	v_mul_f32_e32 v11, v15, v63
	v_fma_f32 v10, v15, v62, -v10
	v_fmac_f32_e32 v11, v18, v62
	v_sub_f32_e32 v6, v6, v10
	v_sub_f32_e32 v7, v7, v11
	s_waitcnt lgkmcnt(0)
	v_mul_f32_e32 v10, v26, v65
	v_mul_f32_e32 v11, v19, v65
	v_fma_f32 v10, v19, v64, -v10
	v_fmac_f32_e32 v11, v26, v64
	v_sub_f32_e32 v23, v6, v10
	v_sub_f32_e32 v26, v7, v11
	ds_read2_b32 v[6:7], v104 offset0:31 offset1:32
	ds_read2_b32 v[10:11], v104 offset0:33 offset1:34
	;; [unrolled: 1-line block ×4, first 2 shown]
	scratch_load_dwordx4 v[62:65], off, off offset:32
	s_waitcnt lgkmcnt(3)
	v_mul_f32_e32 v22, v6, v51
	v_fma_f32 v58, v27, v50, -v22
	scratch_load_dword v22, off, off offset:36
	v_mul_f32_e32 v27, v27, v51
	v_fmac_f32_e32 v27, v6, v50
	v_sub_f32_e32 v6, v23, v58
	v_sub_f32_e32 v23, v26, v27
	s_waitcnt lgkmcnt(2)
	v_mul_f32_e32 v26, v10, v53
	v_fma_f32 v26, v7, v52, -v26
	v_mul_f32_e32 v7, v7, v53
	v_fmac_f32_e32 v7, v10, v52
	s_waitcnt lgkmcnt(1)
	v_mul_f32_e32 v10, v14, v107
	v_sub_f32_e32 v6, v6, v26
	v_fma_f32 v10, v11, v106, -v10
	v_mul_f32_e32 v11, v11, v107
	v_fmac_f32_e32 v11, v14, v106
	v_sub_f32_e32 v14, v6, v10
	s_waitcnt vmcnt(5) lgkmcnt(0)
	v_mul_f32_e32 v10, v18, v91
	v_sub_f32_e32 v7, v23, v7
	v_fma_f32 v26, v15, v90, -v10
	v_add_u32_e32 v10, 0x2600, v192
	s_add_i32 s34, s4, s33
	scratch_load_dwordx4 v[50:53], off, off offset:136
	v_sub_f32_e32 v23, v7, v11
	scratch_load_dwordx2 v[6:7], off, off offset:144
	scratch_load_dwordx2 v[176:177], off, off offset:144
	ds_read2_b32 v[10:11], v10 offset0:39 offset1:169
	v_mul_f32_e32 v15, v15, v91
	v_mov_b32_e32 v121, s34
	v_fmac_f32_e32 v15, v18, v90
	scratch_load_dwordx4 v[88:91], off, off offset:56
	ds_read_b128 v[94:97], v121
	ds_read_b96 v[118:120], v121 offset:16
	scratch_load_dwordx4 v[104:107], off, off
	scratch_load_dwordx4 v[98:101], off, off offset:64
	v_sub_f32_e32 v15, v23, v15
	v_sub_f32_e32 v18, v14, v26
	s_waitcnt lgkmcnt(2)
	v_mul_f32_e32 v14, v10, v15
	v_mul_f32_e32 v15, v19, v15
	v_fmac_f32_e32 v15, v10, v18
	v_fma_f32 v14, v19, v18, -v14
	scratch_store_dwordx2 off, v[14:15], off offset:152
	v_mov_b32_e32 v58, v114
	v_mov_b32_e32 v59, v116
	s_waitcnt vmcnt(11) lgkmcnt(1)
	v_mul_f32_e32 v10, v95, v75
	v_fma_f32 v10, v94, v74, -v10
	v_mul_f32_e32 v15, v94, v75
	v_sub_f32_e32 v60, v60, v10
	v_mul_f32_e32 v10, v97, v77
	v_fmac_f32_e32 v15, v95, v74
	v_fma_f32 v14, v96, v76, -v10
	v_mul_f32_e32 v19, v96, v77
	s_waitcnt lgkmcnt(0)
	v_mul_f32_e32 v10, v119, v115
	v_fmac_f32_e32 v19, v97, v76
	v_pk_add_f32 v[14:15], v[60:61], v[14:15] neg_lo:[0,1] neg_hi:[0,1]
	v_fma_f32 v18, v118, v114, -v10
	v_pk_add_f32 v[14:15], v[14:15], v[18:19] neg_lo:[0,1] neg_hi:[0,1]
	v_mov_b32_e32 v18, v119
	v_mov_b32_e32 v19, v120
	v_pk_mul_f32 v[18:19], v[18:19], v[58:59]
	scratch_load_dwordx4 v[58:61], off, off offset:80
	ds_read2_b32 v[94:95], v121 offset0:7 offset1:8
	scratch_load_dwordx4 v[110:113], off, off offset:144
	ds_read2_b32 v[26:27], v121 offset0:23 offset1:24
	scratch_load_dwordx4 v[74:77], off, off offset:32
	ds_read2_b32 v[96:97], v121 offset0:9 offset1:10
	ds_read2_b32 v[122:123], v121 offset0:11 offset1:12
	ds_read2_b32 v[124:125], v121 offset0:13 offset1:14
	s_waitcnt lgkmcnt(4)
	v_mov_b32_e32 v126, v94
	v_mov_b32_e32 v127, v118
	;; [unrolled: 1-line block ×4, first 2 shown]
	s_waitcnt vmcnt(11)
	v_mov_b32_e32 v63, v116
	v_mov_b32_e32 v23, v117
	v_pk_fma_f32 v[116:117], v[94:95], v[10:11], v[18:19] op_sel:[0,0,1] op_sel_hi:[1,1,0] neg_lo:[1,0,0] neg_hi:[1,0,0]
	v_pk_fma_f32 v[18:19], v[126:127], v[114:115], v[18:19] op_sel:[0,0,1] op_sel_hi:[1,1,0]
	s_waitcnt lgkmcnt(2)
	v_mov_b32_e32 v114, v96
	v_mov_b32_e32 v115, v120
	;; [unrolled: 1-line block ×3, first 2 shown]
	v_pk_add_f32 v[14:15], v[14:15], v[116:117] neg_lo:[0,1] neg_hi:[0,1]
	scratch_load_dwordx2 v[170:171], off, off offset:32
	s_or_b32 s34, s11, 0x2a00
	v_mov_b32_e32 v18, v62
	v_mov_b32_e32 v19, v64
	;; [unrolled: 1-line block ×3, first 2 shown]
	s_waitcnt vmcnt(11)
	v_mov_b32_e32 v65, v22
	v_pk_mul_f32 v[22:23], v[114:115], v[22:23]
	s_add_i32 s35, s4, s34
	v_pk_fma_f32 v[114:115], v[94:95], v[18:19], v[22:23] op_sel:[1,0,0] op_sel_hi:[0,1,1] neg_lo:[0,0,1] neg_hi:[0,0,1]
	v_pk_fma_f32 v[22:23], v[94:95], v[62:63], v[22:23] op_sel:[1,0,0] op_sel_hi:[0,1,1]
	v_pk_mul_f32 v[18:19], v[96:97], v[18:19]
	s_waitcnt lgkmcnt(1)
	v_mov_b32_e32 v94, v122
	v_mov_b32_e32 v115, v23
	v_pk_fma_f32 v[62:63], v[122:123], v[64:65], v[18:19] op_sel:[0,0,1] op_sel_hi:[1,1,0] neg_lo:[1,0,0] neg_hi:[1,0,0]
	v_pk_fma_f32 v[18:19], v[94:95], v[64:65], v[18:19] op_sel:[0,0,1] op_sel_hi:[1,1,0]
	v_pk_add_f32 v[14:15], v[14:15], v[114:115] neg_lo:[0,1] neg_hi:[0,1]
	v_mov_b32_e32 v63, v19
	v_pk_add_f32 v[14:15], v[14:15], v[62:63] neg_lo:[0,1] neg_hi:[0,1]
	scratch_load_dwordx4 v[62:65], off, off offset:112
	v_mov_b32_e32 v22, v82
	v_mov_b32_e32 v23, v84
	v_mov_b32_e32 v82, v85
	v_pk_mul_f32 v[22:23], v[122:123], v[22:23]
	s_waitcnt lgkmcnt(0)
	v_mov_b32_e32 v96, v124
	v_mov_b32_e32 v18, v66
	;; [unrolled: 1-line block ×4, first 2 shown]
	v_pk_fma_f32 v[68:69], v[124:125], v[82:83], v[22:23] op_sel:[0,0,1] op_sel_hi:[1,1,0] neg_lo:[1,0,0] neg_hi:[1,0,0]
	v_pk_fma_f32 v[22:23], v[96:97], v[82:83], v[22:23] op_sel:[0,0,1] op_sel_hi:[1,1,0]
	scratch_load_dwordx4 v[82:85], off, off offset:56
	v_mov_b32_e32 v69, v23
	v_pk_add_f32 v[14:15], v[14:15], v[68:69] neg_lo:[0,1] neg_hi:[0,1]
	ds_read2_b32 v[68:69], v121 offset0:15 offset1:16
	ds_read2_b32 v[114:115], v121 offset0:17 offset1:18
	;; [unrolled: 1-line block ×4, first 2 shown]
	s_waitcnt vmcnt(9)
	v_mov_b32_e32 v22, v88
	v_mov_b32_e32 v23, v90
	v_pk_mul_f32 v[18:19], v[124:125], v[18:19]
	s_waitcnt lgkmcnt(3)
	v_mov_b32_e32 v122, v68
	v_mov_b32_e32 v88, v91
	v_pk_fma_f32 v[90:91], v[68:69], v[66:67], v[18:19] op_sel:[0,0,1] op_sel_hi:[1,1,0] neg_lo:[1,0,0] neg_hi:[1,0,0]
	v_pk_fma_f32 v[18:19], v[122:123], v[66:67], v[18:19] op_sel:[0,0,1] op_sel_hi:[1,1,0]
	v_pk_mul_f32 v[22:23], v[68:69], v[22:23]
	s_waitcnt lgkmcnt(2)
	v_mov_b32_e32 v124, v114
	v_mov_b32_e32 v91, v19
	s_waitcnt vmcnt(7)
	v_mov_b32_e32 v18, v98
	v_mov_b32_e32 v19, v100
	v_pk_fma_f32 v[66:67], v[114:115], v[88:89], v[22:23] op_sel:[0,0,1] op_sel_hi:[1,1,0] neg_lo:[1,0,0] neg_hi:[1,0,0]
	v_pk_fma_f32 v[22:23], v[124:125], v[88:89], v[22:23] op_sel:[0,0,1] op_sel_hi:[1,1,0]
	v_pk_add_f32 v[14:15], v[14:15], v[90:91] neg_lo:[0,1] neg_hi:[0,1]
	v_mov_b32_e32 v98, v101
	v_mov_b32_e32 v67, v23
	v_pk_mul_f32 v[18:19], v[114:115], v[18:19]
	s_waitcnt lgkmcnt(1)
	v_mov_b32_e32 v68, v116
	v_pk_add_f32 v[14:15], v[14:15], v[66:67] neg_lo:[0,1] neg_hi:[0,1]
	v_pk_fma_f32 v[66:67], v[116:117], v[98:99], v[18:19] op_sel:[0,0,1] op_sel_hi:[1,1,0] neg_lo:[1,0,0] neg_hi:[1,0,0]
	v_pk_fma_f32 v[18:19], v[68:69], v[98:99], v[18:19] op_sel:[0,0,1] op_sel_hi:[1,1,0]
	scratch_load_dwordx4 v[94:97], off, off offset:64
	v_mov_b32_e32 v67, v19
	scratch_load_dwordx2 v[18:19], off, off offset:152
	scratch_load_dwordx4 v[88:91], off, off offset:80
	v_mov_b32_e32 v22, v70
	v_mov_b32_e32 v23, v72
	;; [unrolled: 1-line block ×3, first 2 shown]
	v_pk_mul_f32 v[22:23], v[116:117], v[22:23]
	s_waitcnt lgkmcnt(0)
	v_mov_b32_e32 v114, v118
	v_pk_add_f32 v[14:15], v[14:15], v[66:67] neg_lo:[0,1] neg_hi:[0,1]
	s_waitcnt vmcnt(8)
	v_mov_b32_e32 v66, v58
	v_mov_b32_e32 v67, v60
	v_pk_fma_f32 v[68:69], v[118:119], v[70:71], v[22:23] op_sel:[0,0,1] op_sel_hi:[1,1,0] neg_lo:[1,0,0] neg_hi:[1,0,0]
	v_pk_fma_f32 v[22:23], v[114:115], v[70:71], v[22:23] op_sel:[0,0,1] op_sel_hi:[1,1,0]
	v_mov_b32_e32 v58, v61
	v_mov_b32_e32 v69, v23
	v_pk_mul_f32 v[22:23], v[118:119], v[66:67]
	v_mov_b32_e32 v116, v26
	v_pk_fma_f32 v[66:67], v[116:117], v[58:59], v[22:23] op_sel:[0,0,1] op_sel_hi:[1,1,0] neg_lo:[1,0,0] neg_hi:[1,0,0]
	v_pk_fma_f32 v[22:23], v[116:117], v[58:59], v[22:23] op_sel:[0,0,1] op_sel_hi:[1,1,0]
	v_pk_add_f32 v[14:15], v[14:15], v[68:69] neg_lo:[0,1] neg_hi:[0,1]
	v_mov_b32_e32 v67, v23
	ds_read2_b32 v[70:71], v121 offset0:25 offset1:26
	ds_read2_b32 v[72:73], v121 offset0:27 offset1:28
	;; [unrolled: 1-line block ×3, first 2 shown]
	v_pk_add_f32 v[14:15], v[14:15], v[66:67] neg_lo:[0,1] neg_hi:[0,1]
	scratch_load_dwordx4 v[66:69], off, off offset:16
	v_mul_f32_e32 v10, v119, v61
	v_fmac_f32_e32 v10, v26, v60
	v_sub_f32_e32 v10, v15, v10
	s_waitcnt lgkmcnt(2)
	v_mul_f32_e32 v15, v70, v39
	v_mul_f32_e32 v22, v27, v39
	v_fma_f32 v15, v27, v38, -v15
	v_fmac_f32_e32 v22, v70, v38
	v_sub_f32_e32 v14, v14, v15
	v_sub_f32_e32 v10, v10, v22
	s_waitcnt lgkmcnt(1)
	v_mul_f32_e32 v15, v72, v41
	v_mul_f32_e32 v22, v71, v41
	v_fma_f32 v15, v71, v40, -v15
	v_fmac_f32_e32 v22, v72, v40
	v_sub_f32_e32 v14, v14, v15
	v_sub_f32_e32 v10, v10, v22
	scratch_load_dwordx4 v[38:41], off, off offset:112
	s_waitcnt vmcnt(6) lgkmcnt(0)
	v_mul_f32_e32 v15, v98, v63
	v_mul_f32_e32 v22, v73, v63
	v_fma_f32 v15, v73, v62, -v15
	v_fmac_f32_e32 v22, v98, v62
	v_sub_f32_e32 v60, v14, v15
	ds_read2_b32 v[14:15], v121 offset0:31 offset1:32
	v_sub_f32_e32 v10, v10, v22
	ds_read2_b32 v[22:23], v121 offset0:33 offset1:34
	ds_read2_b32 v[26:27], v121 offset0:35 offset1:36
	;; [unrolled: 1-line block ×3, first 2 shown]
	scratch_load_dwordx4 v[70:73], off, off offset:48
	v_mul_f32_e32 v62, v99, v65
	s_waitcnt lgkmcnt(3)
	v_mul_f32_e32 v61, v14, v65
	v_fma_f32 v61, v99, v64, -v61
	v_fmac_f32_e32 v62, v14, v64
	v_sub_f32_e32 v14, v60, v61
	s_waitcnt lgkmcnt(2)
	v_mul_f32_e32 v60, v22, v43
	v_fma_f32 v60, v15, v42, -v60
	v_mul_f32_e32 v15, v15, v43
	v_sub_f32_e32 v10, v10, v62
	v_fmac_f32_e32 v15, v22, v42
	v_sub_f32_e32 v10, v10, v15
	s_waitcnt lgkmcnt(1)
	v_mul_f32_e32 v15, v26, v45
	v_sub_f32_e32 v14, v14, v60
	v_fma_f32 v15, v23, v44, -v15
	v_mul_f32_e32 v22, v23, v45
	v_fmac_f32_e32 v22, v26, v44
	v_sub_f32_e32 v14, v14, v15
	s_waitcnt lgkmcnt(0)
	v_mul_f32_e32 v15, v58, v111
	v_sub_f32_e32 v10, v10, v22
	v_fma_f32 v15, v27, v110, -v15
	v_mul_f32_e32 v22, v27, v111
	scratch_load_dwordx4 v[98:101], off, off offset:144
	v_fmac_f32_e32 v22, v58, v110
	v_sub_f32_e32 v23, v14, v15
	v_mov_b32_e32 v110, s35
	ds_read2_b32 v[14:15], v121 offset0:39 offset1:40
	ds_read_b128 v[42:45], v110
	v_sub_f32_e32 v10, v10, v22
	scratch_load_dwordx2 v[184:185], off, off offset:152
	scratch_load_dwordx2 v[180:181], off, off offset:152
	;; [unrolled: 1-line block ×3, first 2 shown]
	s_or_b32 s35, s11, 0x2c00
	s_add_i32 s36, s4, s35
	s_waitcnt vmcnt(8) lgkmcnt(1)
	v_mul_f32_e32 v22, v14, v19
	v_mul_f32_e32 v19, v59, v19
	v_fmac_f32_e32 v19, v14, v18
	v_fma_f32 v22, v59, v18, -v22
	v_sub_f32_e32 v10, v10, v19
	v_sub_f32_e32 v18, v23, v22
	v_mul_f32_e32 v14, v11, v10
	v_fma_f32 v14, v15, v18, -v14
	v_mul_f32_e32 v15, v15, v10
	v_fmac_f32_e32 v15, v11, v18
	scratch_store_dwordx2 off, v[14:15], off offset:160
	scratch_load_dwordx4 v[116:119], off, off offset:152
	ds_read_b128 v[62:65], v110 offset:16
	ds_read_b96 v[124:126], v110 offset:32
	s_waitcnt lgkmcnt(2)
	v_mul_f32_e32 v10, v43, v105
	v_fma_f32 v10, v42, v104, -v10
	v_mul_f32_e32 v14, v45, v107
	v_mul_f32_e32 v11, v42, v105
	v_sub_f32_e32 v10, v54, v10
	v_fma_f32 v14, v44, v106, -v14
	v_fmac_f32_e32 v11, v43, v104
	v_mul_f32_e32 v15, v44, v107
	v_sub_f32_e32 v10, v10, v14
	s_waitcnt vmcnt(8) lgkmcnt(1)
	v_mul_f32_e32 v14, v63, v67
	scratch_load_dwordx4 v[120:123], off, off offset:72
	scratch_load_dwordx4 v[58:61], off, off offset:16
	v_sub_f32_e32 v11, v55, v11
	v_fmac_f32_e32 v15, v45, v106
	v_fma_f32 v14, v62, v66, -v14
	v_mul_f32_e32 v19, v62, v67
	v_pk_add_f32 v[10:11], v[10:11], v[14:15] neg_lo:[0,1] neg_hi:[0,1]
	v_mul_f32_e32 v14, v65, v69
	v_fmac_f32_e32 v19, v63, v66
	v_fma_f32 v18, v64, v68, -v14
	v_pk_add_f32 v[10:11], v[10:11], v[18:19] neg_lo:[0,1] neg_hi:[0,1]
	v_mov_b32_e32 v18, v65
	s_waitcnt lgkmcnt(0)
	v_mov_b32_e32 v19, v124
	v_mov_b32_e32 v54, v68
	;; [unrolled: 1-line block ×3, first 2 shown]
	scratch_load_dwordx4 v[42:45], off, off offset:88
	v_mov_b32_e32 v22, v125
	v_mov_b32_e32 v23, v126
	v_pk_mul_f32 v[18:19], v[18:19], v[54:55]
	v_mov_b32_e32 v54, v125
	v_mov_b32_e32 v55, v64
	v_mov_b32_e32 v62, v75
	v_mov_b32_e32 v68, v75
	v_pk_fma_f32 v[62:63], v[22:23], v[62:63], v[18:19] op_sel:[0,0,1] op_sel_hi:[1,1,0] neg_lo:[1,0,0] neg_hi:[1,0,0]
	v_pk_fma_f32 v[18:19], v[54:55], v[68:69], v[18:19] op_sel:[0,0,1] op_sel_hi:[1,1,0]
	ds_read2_b32 v[54:55], v110 offset0:11 offset1:12
	v_mov_b32_e32 v63, v19
	v_mov_b32_e32 v15, v74
	;; [unrolled: 1-line block ×3, first 2 shown]
	v_pk_add_f32 v[10:11], v[10:11], v[62:63] neg_lo:[0,1] neg_hi:[0,1]
	scratch_load_dwordx4 v[62:65], off, off offset:48
	ds_read2_b32 v[66:67], v110 offset0:13 offset1:14
	ds_read2_b32 v[104:105], v110 offset0:15 offset1:16
	;; [unrolled: 1-line block ×3, first 2 shown]
	s_waitcnt lgkmcnt(3)
	v_mov_b32_e32 v68, v54
	v_mov_b32_e32 v69, v124
	;; [unrolled: 1-line block ×4, first 2 shown]
	s_waitcnt vmcnt(10)
	v_mov_b32_e32 v19, v70
	v_pk_mul_f32 v[68:69], v[68:69], v[74:75]
	v_mov_b32_e32 v76, v71
	v_pk_fma_f32 v[74:75], v[22:23], v[18:19], v[68:69] op_sel:[1,0,0] op_sel_hi:[0,1,1] neg_lo:[0,0,1] neg_hi:[0,0,1]
	v_pk_fma_f32 v[14:15], v[22:23], v[14:15], v[68:69] op_sel:[1,0,0] op_sel_hi:[0,1,1]
	v_mov_b32_e32 v75, v15
	v_pk_mul_f32 v[18:19], v[54:55], v[18:19]
	s_waitcnt lgkmcnt(2)
	v_mov_b32_e32 v22, v66
	v_pk_add_f32 v[10:11], v[10:11], v[74:75] neg_lo:[0,1] neg_hi:[0,1]
	v_pk_fma_f32 v[68:69], v[66:67], v[76:77], v[18:19] op_sel:[0,0,1] op_sel_hi:[1,1,0] neg_lo:[1,0,0] neg_hi:[1,0,0]
	v_pk_fma_f32 v[18:19], v[22:23], v[76:77], v[18:19] op_sel:[0,0,1] op_sel_hi:[1,1,0]
	scratch_load_dwordx4 v[74:77], off, off offset:120
	v_mov_b32_e32 v14, v70
	v_mov_b32_e32 v15, v72
	;; [unrolled: 1-line block ×3, first 2 shown]
	v_pk_mul_f32 v[14:15], v[66:67], v[14:15]
	s_waitcnt lgkmcnt(1)
	v_mov_b32_e32 v54, v104
	v_mov_b32_e32 v69, v19
	;; [unrolled: 1-line block ×4, first 2 shown]
	v_pk_fma_f32 v[22:23], v[104:105], v[70:71], v[14:15] op_sel:[0,0,1] op_sel_hi:[1,1,0] neg_lo:[1,0,0] neg_hi:[1,0,0]
	v_pk_fma_f32 v[14:15], v[54:55], v[70:71], v[14:15] op_sel:[0,0,1] op_sel_hi:[1,1,0]
	v_pk_add_f32 v[10:11], v[10:11], v[68:69] neg_lo:[0,1] neg_hi:[0,1]
	v_mov_b32_e32 v82, v85
	v_mov_b32_e32 v23, v15
	v_pk_mul_f32 v[18:19], v[104:105], v[18:19]
	s_waitcnt lgkmcnt(0)
	v_mov_b32_e32 v66, v106
	v_pk_add_f32 v[10:11], v[10:11], v[22:23] neg_lo:[0,1] neg_hi:[0,1]
	v_pk_fma_f32 v[22:23], v[106:107], v[82:83], v[18:19] op_sel:[0,0,1] op_sel_hi:[1,1,0] neg_lo:[1,0,0] neg_hi:[1,0,0]
	v_pk_fma_f32 v[18:19], v[66:67], v[82:83], v[18:19] op_sel:[0,0,1] op_sel_hi:[1,1,0]
	v_mov_b32_e32 v14, v94
	v_mov_b32_e32 v23, v19
	v_pk_add_f32 v[10:11], v[10:11], v[22:23] neg_lo:[0,1] neg_hi:[0,1]
	ds_read2_b32 v[22:23], v110 offset0:19 offset1:20
	v_mov_b32_e32 v15, v96
	v_mov_b32_e32 v94, v97
	v_pk_mul_f32 v[14:15], v[106:107], v[14:15]
	scratch_load_dwordx4 v[66:69], off, off offset:72
	s_waitcnt lgkmcnt(0)
	v_mov_b32_e32 v104, v22
	ds_read2_b32 v[54:55], v110 offset0:25 offset1:26
	ds_read2_b32 v[82:83], v110 offset0:21 offset1:22
	ds_read2_b32 v[84:85], v110 offset0:23 offset1:24
	v_pk_fma_f32 v[70:71], v[22:23], v[94:95], v[14:15] op_sel:[0,0,1] op_sel_hi:[1,1,0] neg_lo:[1,0,0] neg_hi:[1,0,0]
	v_pk_fma_f32 v[14:15], v[104:105], v[94:95], v[14:15] op_sel:[0,0,1] op_sel_hi:[1,1,0]
	scratch_load_dwordx2 v[104:105], off, off offset:160
	v_mov_b32_e32 v71, v15
	s_waitcnt vmcnt(6)
	v_mov_b32_e32 v18, v120
	v_mov_b32_e32 v19, v122
	;; [unrolled: 1-line block ×5, first 2 shown]
	v_pk_mul_f32 v[18:19], v[22:23], v[18:19]
	s_waitcnt lgkmcnt(1)
	v_mov_b32_e32 v106, v82
	v_pk_add_f32 v[10:11], v[10:11], v[70:71] neg_lo:[0,1] neg_hi:[0,1]
	v_mov_b32_e32 v88, v91
	v_pk_fma_f32 v[70:71], v[82:83], v[120:121], v[18:19] op_sel:[0,0,1] op_sel_hi:[1,1,0] neg_lo:[1,0,0] neg_hi:[1,0,0]
	v_pk_fma_f32 v[18:19], v[106:107], v[120:121], v[18:19] op_sel:[0,0,1] op_sel_hi:[1,1,0]
	v_pk_mul_f32 v[14:15], v[82:83], v[14:15]
	s_waitcnt lgkmcnt(0)
	v_mov_b32_e32 v22, v84
	v_mov_b32_e32 v71, v19
	v_pk_fma_f32 v[90:91], v[84:85], v[88:89], v[14:15] op_sel:[0,0,1] op_sel_hi:[1,1,0] neg_lo:[1,0,0] neg_hi:[1,0,0]
	s_waitcnt vmcnt(4)
	v_mov_b32_e32 v18, v42
	v_mov_b32_e32 v19, v44
	v_pk_fma_f32 v[14:15], v[22:23], v[88:89], v[14:15] op_sel:[0,0,1] op_sel_hi:[1,1,0]
	v_mov_b32_e32 v42, v45
	v_mov_b32_e32 v91, v15
	v_pk_mul_f32 v[14:15], v[84:85], v[18:19]
	v_mov_b32_e32 v82, v54
	v_pk_add_f32 v[10:11], v[10:11], v[70:71] neg_lo:[0,1] neg_hi:[0,1]
	v_pk_fma_f32 v[18:19], v[82:83], v[42:43], v[14:15] op_sel:[0,0,1] op_sel_hi:[1,1,0] neg_lo:[1,0,0] neg_hi:[1,0,0]
	v_pk_fma_f32 v[14:15], v[82:83], v[42:43], v[14:15] op_sel:[0,0,1] op_sel_hi:[1,1,0]
	v_pk_add_f32 v[10:11], v[10:11], v[90:91] neg_lo:[0,1] neg_hi:[0,1]
	v_mov_b32_e32 v19, v15
	v_mul_f32_e32 v22, v85, v45
	ds_read2_b32 v[14:15], v110 offset0:27 offset1:28
	v_fmac_f32_e32 v22, v54, v44
	v_pk_add_f32 v[10:11], v[10:11], v[18:19] neg_lo:[0,1] neg_hi:[0,1]
	scratch_load_dwordx4 v[70:73], off, off offset:88
	scratch_load_dwordx4 v[82:85], off, off
	v_sub_f32_e32 v11, v11, v22
	ds_read2_b32 v[18:19], v110 offset0:29 offset1:30
	ds_read2_b32 v[22:23], v110 offset0:31 offset1:32
	;; [unrolled: 1-line block ×3, first 2 shown]
	v_mul_f32_e32 v45, v55, v47
	s_waitcnt lgkmcnt(3)
	v_mul_f32_e32 v44, v14, v47
	v_fmac_f32_e32 v45, v14, v46
	s_waitcnt lgkmcnt(2)
	v_mul_f32_e32 v14, v18, v49
	v_fma_f32 v44, v55, v46, -v44
	v_fma_f32 v14, v15, v48, -v14
	v_mul_f32_e32 v15, v15, v49
	v_sub_f32_e32 v10, v10, v44
	v_sub_f32_e32 v11, v11, v45
	v_fmac_f32_e32 v15, v18, v48
	v_sub_f32_e32 v10, v10, v14
	v_sub_f32_e32 v11, v11, v15
	s_waitcnt vmcnt(4) lgkmcnt(1)
	v_mul_f32_e32 v14, v22, v75
	v_mul_f32_e32 v15, v19, v75
	v_fma_f32 v14, v19, v74, -v14
	v_fmac_f32_e32 v15, v22, v74
	v_sub_f32_e32 v10, v10, v14
	v_sub_f32_e32 v14, v11, v15
	s_waitcnt lgkmcnt(0)
	v_mul_f32_e32 v11, v42, v77
	scratch_load_dwordx4 v[94:97], off, off offset:32
	v_fma_f32 v11, v23, v76, -v11
	v_mul_f32_e32 v15, v23, v77
	v_fmac_f32_e32 v15, v42, v76
	v_sub_f32_e32 v42, v10, v11
	ds_read2_b32 v[10:11], v110 offset0:35 offset1:36
	scratch_load_dwordx4 v[46:49], off, off offset:120
	v_sub_f32_e32 v44, v14, v15
	ds_read2_b32 v[14:15], v110 offset0:37 offset1:38
	ds_read2_b32 v[18:19], v110 offset0:39 offset1:40
	;; [unrolled: 1-line block ×3, first 2 shown]
	v_mov_b32_e32 v178, s36
	s_waitcnt lgkmcnt(3)
	v_mul_f32_e32 v45, v10, v51
	v_fma_f32 v45, v43, v50, -v45
	v_mul_f32_e32 v43, v43, v51
	v_fmac_f32_e32 v43, v10, v50
	v_sub_f32_e32 v10, v42, v45
	v_sub_f32_e32 v42, v44, v43
	s_waitcnt lgkmcnt(2)
	v_mul_f32_e32 v43, v14, v53
	v_fma_f32 v43, v11, v52, -v43
	v_mul_f32_e32 v11, v11, v53
	v_fmac_f32_e32 v11, v14, v52
	v_sub_f32_e32 v14, v10, v43
	scratch_load_dwordx4 v[74:77], off, off offset:56
	scratch_load_dword v10, off, off offset:52
	scratch_load_dwordx4 v[88:91], off, off offset:152
	v_sub_f32_e32 v11, v42, v11
	s_waitcnt lgkmcnt(1)
	v_mul_f32_e32 v42, v18, v117
	v_fma_f32 v42, v15, v116, -v42
	v_mul_f32_e32 v15, v15, v117
	v_fmac_f32_e32 v15, v18, v116
	v_sub_f32_e32 v18, v14, v42
	s_waitcnt vmcnt(7) lgkmcnt(0)
	v_mul_f32_e32 v14, v22, v105
	v_fma_f32 v50, v19, v104, -v14
	v_mul_f32_e32 v19, v19, v105
	v_fmac_f32_e32 v19, v22, v104
	scratch_load_dwordx4 v[104:107], off, off offset:64
	v_add_u32_e32 v14, 0x2a00, v192
	v_sub_f32_e32 v11, v11, v15
	ds_read2_b32 v[14:15], v14 offset0:43 offset1:173
	v_sub_f32_e32 v11, v11, v19
	ds_read_b128 v[114:117], v178
	v_sub_f32_e32 v22, v18, v50
	v_mul_f32_e32 v19, v23, v11
	s_waitcnt lgkmcnt(1)
	v_mul_f32_e32 v18, v14, v11
	v_fma_f32 v18, v23, v22, -v18
	v_fmac_f32_e32 v19, v14, v22
	scratch_store_dwordx2 off, v[18:19], off offset:168
	scratch_load_dwordx4 v[42:45], off, off offset:152
	scratch_load_dwordx4 v[132:135], off, off offset:160
	ds_read_b128 v[120:123], v178 offset:16
	ds_read_b96 v[124:126], v178 offset:32
	scratch_load_dwordx4 v[172:175], off, off offset:96
	scratch_load_dwordx4 v[50:53], off, off
	scratch_load_dwordx2 v[110:111], off, off offset:48
	s_waitcnt lgkmcnt(1)
	v_mul_f32_e32 v23, v120, v59
	v_fmac_f32_e32 v23, v121, v58
	s_waitcnt vmcnt(12)
	v_mul_f32_e32 v14, v114, v83
	v_mul_f32_e32 v11, v115, v83
	v_fmac_f32_e32 v14, v115, v82
	v_mul_f32_e32 v19, v116, v85
	v_fma_f32 v11, v114, v82, -v11
	v_sub_f32_e32 v14, v57, v14
	v_mul_f32_e32 v18, v117, v85
	v_fmac_f32_e32 v19, v117, v84
	v_sub_f32_e32 v11, v56, v11
	v_fma_f32 v18, v116, v84, -v18
	v_sub_f32_e32 v19, v14, v19
	v_mul_f32_e32 v14, v121, v59
	v_sub_f32_e32 v11, v11, v18
	v_fma_f32 v14, v120, v58, -v14
	scratch_load_dwordx4 v[82:85], off, off offset:80
	v_sub_f32_e32 v18, v11, v14
	v_mul_f32_e32 v11, v123, v61
	v_fma_f32 v22, v122, v60, -v11
	v_pk_add_f32 v[18:19], v[18:19], v[22:23] neg_lo:[0,1] neg_hi:[0,1]
	ds_read2_b32 v[22:23], v178 offset0:11 offset1:12
	v_mul_f32_e32 v59, v122, v61
	v_fmac_f32_e32 v59, v123, v60
	s_waitcnt vmcnt(12) lgkmcnt(1)
	v_mul_f32_e32 v11, v125, v95
	v_fma_f32 v58, v124, v94, -v11
	v_pk_add_f32 v[18:19], v[18:19], v[58:59] neg_lo:[0,1] neg_hi:[0,1]
	v_mov_b32_e32 v58, v125
	v_mov_b32_e32 v59, v126
	;; [unrolled: 1-line block ×4, first 2 shown]
	v_pk_mul_f32 v[58:59], v[58:59], v[60:61]
	s_waitcnt lgkmcnt(0)
	v_mov_b32_e32 v60, v22
	v_mov_b32_e32 v61, v124
	;; [unrolled: 1-line block ×6, first 2 shown]
	v_pk_fma_f32 v[96:97], v[22:23], v[14:15], v[58:59] op_sel:[0,0,1] op_sel_hi:[1,1,0] neg_lo:[1,0,0] neg_hi:[1,0,0]
	v_pk_fma_f32 v[58:59], v[60:61], v[94:95], v[58:59] op_sel:[0,0,1] op_sel_hi:[1,1,0]
	v_mov_b32_e32 v95, v64
	ds_read2_b32 v[64:65], v178 offset0:13 offset1:14
	v_mov_b32_e32 v97, v59
	v_mov_b32_e32 v115, v126
	v_pk_add_f32 v[18:19], v[18:19], v[96:97] neg_lo:[0,1] neg_hi:[0,1]
	v_mov_b32_e32 v94, v62
	s_waitcnt lgkmcnt(0)
	v_mov_b32_e32 v114, v64
	s_waitcnt vmcnt(9)
	v_mov_b32_e32 v97, v10
	v_pk_mul_f32 v[10:11], v[114:115], v[10:11]
	scratch_load_dwordx4 v[54:57], off, off offset:32
	v_pk_fma_f32 v[114:115], v[22:23], v[94:95], v[10:11] op_sel:[1,0,0] op_sel_hi:[0,1,1] neg_lo:[0,0,1] neg_hi:[0,0,1]
	v_pk_fma_f32 v[10:11], v[22:23], v[62:63], v[10:11] op_sel:[1,0,0] op_sel_hi:[0,1,1]
	scratch_load_dwordx4 v[58:61], off, off offset:56
	ds_read2_b32 v[120:121], v178 offset0:15 offset1:16
	ds_read2_b32 v[128:129], v178 offset0:17 offset1:18
	;; [unrolled: 1-line block ×3, first 2 shown]
	v_mov_b32_e32 v115, v11
	v_pk_add_f32 v[10:11], v[18:19], v[114:115] neg_lo:[0,1] neg_hi:[0,1]
	scratch_load_dwordx4 v[114:117], off, off offset:128
	scratch_load_dwordx4 v[124:127], off, off offset:64
	v_mov_b32_e32 v96, v75
	v_mov_b32_e32 v18, v74
	;; [unrolled: 1-line block ×3, first 2 shown]
	v_pk_mul_f32 v[62:63], v[64:65], v[94:95]
	s_waitcnt lgkmcnt(2)
	v_mov_b32_e32 v22, v120
	v_mov_b32_e32 v74, v77
	v_pk_fma_f32 v[76:77], v[120:121], v[96:97], v[62:63] op_sel:[0,0,1] op_sel_hi:[1,1,0] neg_lo:[1,0,0] neg_hi:[1,0,0]
	v_pk_fma_f32 v[22:23], v[22:23], v[96:97], v[62:63] op_sel:[0,0,1] op_sel_hi:[1,1,0]
	v_pk_mul_f32 v[18:19], v[120:121], v[18:19]
	s_waitcnt lgkmcnt(1)
	v_mov_b32_e32 v64, v128
	v_mov_b32_e32 v77, v23
	s_waitcnt vmcnt(11)
	v_mov_b32_e32 v22, v104
	v_mov_b32_e32 v23, v106
	v_pk_fma_f32 v[62:63], v[128:129], v[74:75], v[18:19] op_sel:[0,0,1] op_sel_hi:[1,1,0] neg_lo:[1,0,0] neg_hi:[1,0,0]
	v_pk_fma_f32 v[18:19], v[64:65], v[74:75], v[18:19] op_sel:[0,0,1] op_sel_hi:[1,1,0]
	v_pk_add_f32 v[10:11], v[10:11], v[76:77] neg_lo:[0,1] neg_hi:[0,1]
	v_mov_b32_e32 v104, v107
	v_mov_b32_e32 v63, v19
	v_pk_mul_f32 v[22:23], v[128:129], v[22:23]
	s_waitcnt lgkmcnt(0)
	v_mov_b32_e32 v120, v130
	v_pk_add_f32 v[10:11], v[10:11], v[62:63] neg_lo:[0,1] neg_hi:[0,1]
	v_pk_fma_f32 v[62:63], v[130:131], v[104:105], v[22:23] op_sel:[0,0,1] op_sel_hi:[1,1,0] neg_lo:[1,0,0] neg_hi:[1,0,0]
	v_pk_fma_f32 v[22:23], v[120:121], v[104:105], v[22:23] op_sel:[0,0,1] op_sel_hi:[1,1,0]
	v_mov_b32_e32 v18, v66
	v_mov_b32_e32 v63, v23
	v_pk_add_f32 v[10:11], v[10:11], v[62:63] neg_lo:[0,1] neg_hi:[0,1]
	ds_read2_b32 v[62:63], v178 offset0:21 offset1:22
	v_mov_b32_e32 v19, v68
	v_mov_b32_e32 v66, v69
	v_pk_mul_f32 v[18:19], v[130:131], v[18:19]
	scratch_load_dwordx4 v[120:123], off, off offset:80
	s_waitcnt lgkmcnt(0)
	v_mov_b32_e32 v128, v62
	ds_read2_b32 v[64:65], v178 offset0:27 offset1:28
	ds_read2_b32 v[68:69], v178 offset0:23 offset1:24
	;; [unrolled: 1-line block ×3, first 2 shown]
	v_pk_fma_f32 v[76:77], v[62:63], v[66:67], v[18:19] op_sel:[0,0,1] op_sel_hi:[1,1,0] neg_lo:[1,0,0] neg_hi:[1,0,0]
	v_pk_fma_f32 v[18:19], v[128:129], v[66:67], v[18:19] op_sel:[0,0,1] op_sel_hi:[1,1,0]
	scratch_load_dwordx2 v[66:67], off, off offset:168
	s_waitcnt lgkmcnt(1)
	v_mov_b32_e32 v130, v68
	v_mov_b32_e32 v77, v19
	v_mov_b32_e32 v18, v70
	s_waitcnt vmcnt(6)
	v_mov_b32_e32 v22, v82
	v_mov_b32_e32 v23, v84
	;; [unrolled: 1-line block ×3, first 2 shown]
	v_pk_mul_f32 v[22:23], v[62:63], v[22:23]
	v_mov_b32_e32 v19, v72
	v_mov_b32_e32 v70, v73
	v_pk_fma_f32 v[72:73], v[68:69], v[82:83], v[22:23] op_sel:[0,0,1] op_sel_hi:[1,1,0] neg_lo:[1,0,0] neg_hi:[1,0,0]
	v_pk_fma_f32 v[22:23], v[130:131], v[82:83], v[22:23] op_sel:[0,0,1] op_sel_hi:[1,1,0]
	v_pk_add_f32 v[10:11], v[10:11], v[76:77] neg_lo:[0,1] neg_hi:[0,1]
	v_mov_b32_e32 v73, v23
	v_pk_mul_f32 v[18:19], v[68:69], v[18:19]
	s_waitcnt lgkmcnt(0)
	v_mov_b32_e32 v62, v74
	v_pk_add_f32 v[10:11], v[10:11], v[72:73] neg_lo:[0,1] neg_hi:[0,1]
	v_mov_b32_e32 v22, v172
	v_mov_b32_e32 v23, v174
	v_pk_fma_f32 v[72:73], v[74:75], v[70:71], v[18:19] op_sel:[0,0,1] op_sel_hi:[1,1,0] neg_lo:[1,0,0] neg_hi:[1,0,0]
	v_pk_fma_f32 v[18:19], v[62:63], v[70:71], v[18:19] op_sel:[0,0,1] op_sel_hi:[1,1,0]
	v_mov_b32_e32 v172, v175
	v_mov_b32_e32 v73, v19
	v_pk_mul_f32 v[18:19], v[74:75], v[22:23]
	v_mov_b32_e32 v68, v64
	v_pk_fma_f32 v[22:23], v[68:69], v[172:173], v[18:19] op_sel:[0,0,1] op_sel_hi:[1,1,0] neg_lo:[1,0,0] neg_hi:[1,0,0]
	v_pk_fma_f32 v[18:19], v[68:69], v[172:173], v[18:19] op_sel:[0,0,1] op_sel_hi:[1,1,0]
	v_pk_add_f32 v[10:11], v[10:11], v[72:73] neg_lo:[0,1] neg_hi:[0,1]
	v_mov_b32_e32 v23, v19
	ds_read2_b32 v[18:19], v178 offset0:29 offset1:30
	v_mul_f32_e32 v14, v75, v175
	scratch_load_dwordx4 v[128:131], off, off offset:96
	v_fmac_f32_e32 v14, v64, v174
	v_pk_add_f32 v[10:11], v[10:11], v[22:23] neg_lo:[0,1] neg_hi:[0,1]
	ds_read2_b32 v[22:23], v178 offset0:31 offset1:32
	ds_read2_b32 v[62:63], v178 offset0:33 offset1:34
	;; [unrolled: 1-line block ×3, first 2 shown]
	v_sub_f32_e32 v11, v11, v14
	s_waitcnt lgkmcnt(3)
	v_mul_f32_e32 v14, v18, v39
	v_fma_f32 v14, v65, v38, -v14
	v_mul_f32_e32 v64, v65, v39
	v_fmac_f32_e32 v64, v18, v38
	v_sub_f32_e32 v10, v10, v14
	s_waitcnt lgkmcnt(2)
	v_mul_f32_e32 v14, v22, v41
	v_mul_f32_e32 v18, v19, v41
	v_sub_f32_e32 v11, v11, v64
	v_fma_f32 v14, v19, v40, -v14
	v_fmac_f32_e32 v18, v22, v40
	v_sub_f32_e32 v10, v10, v14
	v_sub_f32_e32 v11, v11, v18
	s_waitcnt vmcnt(4) lgkmcnt(1)
	v_mul_f32_e32 v14, v62, v115
	v_mul_f32_e32 v18, v23, v115
	v_fma_f32 v14, v23, v114, -v14
	v_fmac_f32_e32 v18, v62, v114
	v_sub_f32_e32 v10, v10, v14
	v_sub_f32_e32 v14, v11, v18
	s_waitcnt lgkmcnt(0)
	v_mul_f32_e32 v11, v68, v117
	v_fma_f32 v11, v63, v116, -v11
	v_sub_f32_e32 v64, v10, v11
	ds_read2_b32 v[10:11], v178 offset0:37 offset1:38
	v_mul_f32_e32 v18, v63, v117
	v_fmac_f32_e32 v18, v68, v116
	scratch_load_dwordx4 v[104:107], off, off offset:128
	v_sub_f32_e32 v14, v14, v18
	ds_read2_b32 v[18:19], v178 offset0:39 offset1:40
	ds_read2_b32 v[22:23], v178 offset0:41 offset1:42
	;; [unrolled: 1-line block ×3, first 2 shown]
	s_waitcnt lgkmcnt(3)
	v_mul_f32_e32 v65, v10, v99
	v_fma_f32 v65, v69, v98, -v65
	v_mul_f32_e32 v68, v69, v99
	v_fmac_f32_e32 v68, v10, v98
	v_sub_f32_e32 v10, v64, v65
	s_waitcnt lgkmcnt(2)
	v_mul_f32_e32 v64, v18, v101
	v_fma_f32 v64, v11, v100, -v64
	v_mul_f32_e32 v11, v11, v101
	v_sub_f32_e32 v14, v14, v68
	v_fmac_f32_e32 v11, v18, v100
	v_mul_f32_e32 v18, v19, v133
	v_sub_f32_e32 v11, v14, v11
	s_waitcnt lgkmcnt(1)
	v_mul_f32_e32 v14, v22, v133
	v_fmac_f32_e32 v18, v22, v132
	v_sub_f32_e32 v10, v10, v64
	v_fma_f32 v14, v19, v132, -v14
	v_sub_f32_e32 v11, v11, v18
	s_waitcnt vmcnt(2)
	v_mul_f32_e32 v18, v23, v67
	v_sub_f32_e32 v10, v10, v14
	s_waitcnt lgkmcnt(0)
	v_mul_f32_e32 v14, v62, v67
	v_fmac_f32_e32 v18, v62, v66
	v_fma_f32 v14, v23, v66, -v14
	v_sub_f32_e32 v11, v11, v18
	v_sub_f32_e32 v10, v10, v14
	v_mul_f32_e32 v14, v15, v11
	v_mul_f32_e32 v19, v63, v11
	v_fma_f32 v18, v63, v10, -v14
	v_fmac_f32_e32 v19, v15, v10
	scratch_load_dwordx4 v[94:97], off, off offset:160
	scratch_load_dwordx2 v[188:189], off, off offset:168
	scratch_load_dwordx2 v[186:187], off, off offset:168
	;; [unrolled: 1-line block ×3, first 2 shown]
	v_add_u32_e32 v10, s13, v1
	scratch_store_dwordx2 off, v[18:19], off offset:176
	scratch_load_dwordx4 v[82:85], off, off offset:168
	scratch_load_dwordx2 v[194:195], off, off
	scratch_load_dwordx4 v[66:69], off, off offset:8
	scratch_load_dwordx2 v[174:175], off, off offset:16
	scratch_load_dwordx2 v[178:179], off, off offset:32
	;; [unrolled: 1-line block ×4, first 2 shown]
	scratch_load_dwordx4 v[70:73], off, off offset:16
	scratch_load_dwordx4 v[74:77], off, off offset:40
	;; [unrolled: 1-line block ×3, first 2 shown]
	ds_write_b64 v10, v[156:157]
	v_add_u32_e32 v10, s12, v1
	ds_write_b64 v10, v[158:159]
	v_add_u32_e32 v10, s5, v1
	;; [unrolled: 2-line block ×19, first 2 shown]
	s_or_b32 s5, s11, 0x2e00
	ds_write_b64 v2, v[118:119]
	v_add_u32_e32 v2, s34, v1
	v_add_u32_e32 v8, s35, v1
	s_add_i32 s12, s4, s5
	ds_write_b64 v191, v[154:155]
	ds_write_b64 v2, v[134:135]
	v_mov_b32_e32 v134, s12
	scratch_load_dwordx4 v[2:5], off, off offset:168
	s_or_b32 s12, s11, 0x3000
	s_waitcnt vmcnt(10)
	ds_write_b64 v8, v[84:85]
	ds_read_b128 v[8:11], v134
	ds_read_b128 v[12:15], v134 offset:16
	ds_read_b128 v[20:23], v134 offset:32
	ds_read_b96 v[162:164], v134 offset:48
	scratch_load_dwordx2 v[28:29], off, off
	scratch_load_dwordx2 v[86:87], off, off
	;; [unrolled: 1-line block ×3, first 2 shown]
	s_waitcnt vmcnt(12) lgkmcnt(3)
	v_mul_f32_e32 v16, v9, v195
	scratch_load_dwordx4 v[154:157], off, off offset:72
	v_fma_f32 v16, v8, v194, -v16
	v_mul_f32_e32 v8, v8, v195
	v_fmac_f32_e32 v8, v9, v194
	v_sub_f32_e32 v9, v152, v16
	v_mul_f32_e32 v16, v11, v53
	v_fma_f32 v16, v10, v52, -v16
	v_mul_f32_e32 v10, v10, v53
	v_fmac_f32_e32 v10, v11, v52
	v_sub_f32_e32 v11, v9, v16
	s_waitcnt vmcnt(12) lgkmcnt(2)
	v_mul_f32_e32 v16, v13, v69
	v_sub_f32_e32 v8, v153, v8
	v_fma_f32 v16, v12, v68, -v16
	v_mul_f32_e32 v12, v12, v69
	v_sub_f32_e32 v10, v8, v10
	v_fmac_f32_e32 v12, v13, v68
	v_sub_f32_e32 v16, v11, v16
	v_sub_f32_e32 v11, v10, v12
	s_waitcnt vmcnt(7)
	v_mul_f32_e32 v10, v15, v73
	v_fma_f32 v10, v14, v72, -v10
	v_mul_f32_e32 v13, v14, v73
	s_waitcnt lgkmcnt(1)
	v_mul_f32_e32 v12, v21, v33
	scratch_load_dwordx2 v[8:9], off, off offset:16
	scratch_load_dwordx4 v[158:161], off, off offset:88
	scratch_load_dwordx2 v[52:53], off, off offset:24
	v_fmac_f32_e32 v13, v15, v72
	v_sub_f32_e32 v10, v16, v10
	v_fma_f32 v12, v20, v32, -v12
	v_mul_f32_e32 v15, v20, v33
	v_pk_add_f32 v[10:11], v[10:11], v[12:13] neg_lo:[0,1] neg_hi:[0,1]
	v_mul_f32_e32 v12, v23, v57
	v_fmac_f32_e32 v15, v21, v32
	v_fma_f32 v14, v22, v56, -v12
	v_pk_add_f32 v[10:11], v[10:11], v[14:15] neg_lo:[0,1] neg_hi:[0,1]
	scratch_load_dwordx4 v[14:17], off, off offset:104
	v_mov_b32_e32 v24, v23
	s_waitcnt lgkmcnt(0)
	v_mov_b32_e32 v25, v162
	v_mov_b32_e32 v32, v56
	s_waitcnt vmcnt(10)
	v_mov_b32_e32 v33, v76
	v_mov_b32_e32 v20, v163
	;; [unrolled: 1-line block ×3, first 2 shown]
	v_pk_mul_f32 v[24:25], v[24:25], v[32:33]
	v_mov_b32_e32 v32, v163
	v_mov_b32_e32 v33, v22
	v_mov_b32_e32 v22, v77
	v_mov_b32_e32 v56, v77
	v_pk_fma_f32 v[22:23], v[20:21], v[22:23], v[24:25] op_sel:[0,0,1] op_sel_hi:[1,1,0] neg_lo:[1,0,0] neg_hi:[1,0,0]
	v_pk_fma_f32 v[24:25], v[32:33], v[56:57], v[24:25] op_sel:[0,0,1] op_sel_hi:[1,1,0]
	ds_read2_b32 v[32:33], v134 offset0:15 offset1:16
	scratch_load_dwordx2 v[72:73], off, off offset:56
	scratch_load_dwordx2 v[108:109], off, off offset:48
	ds_read2_b32 v[56:57], v134 offset0:17 offset1:18
	ds_read2_b32 v[68:69], v134 offset0:19 offset1:20
	;; [unrolled: 1-line block ×3, first 2 shown]
	v_mov_b32_e32 v13, v76
	s_waitcnt vmcnt(11)
	v_mov_b32_e32 v76, v65
	v_mov_b32_e32 v23, v25
	s_waitcnt lgkmcnt(3)
	v_mov_b32_e32 v24, v32
	v_mov_b32_e32 v25, v162
	;; [unrolled: 1-line block ×3, first 2 shown]
	v_pk_add_f32 v[10:11], v[10:11], v[22:23] neg_lo:[0,1] neg_hi:[0,1]
	v_mov_b32_e32 v22, v64
	v_mov_b32_e32 v23, v124
	v_pk_mul_f32 v[24:25], v[24:25], v[76:77]
	v_mov_b32_e32 v64, v125
	v_pk_fma_f32 v[76:77], v[20:21], v[22:23], v[24:25] op_sel:[1,0,0] op_sel_hi:[0,1,1] neg_lo:[0,0,1] neg_hi:[0,0,1]
	v_pk_fma_f32 v[12:13], v[20:21], v[12:13], v[24:25] op_sel:[1,0,0] op_sel_hi:[0,1,1]
	v_pk_mul_f32 v[20:21], v[32:33], v[22:23]
	s_waitcnt lgkmcnt(2)
	v_mov_b32_e32 v22, v56
	v_mov_b32_e32 v23, v164
	;; [unrolled: 1-line block ×3, first 2 shown]
	v_pk_fma_f32 v[24:25], v[56:57], v[64:65], v[20:21] op_sel:[0,0,1] op_sel_hi:[1,1,0] neg_lo:[1,0,0] neg_hi:[1,0,0]
	v_pk_fma_f32 v[20:21], v[22:23], v[64:65], v[20:21] op_sel:[0,0,1] op_sel_hi:[1,1,0]
	v_pk_add_f32 v[10:11], v[10:11], v[76:77] neg_lo:[0,1] neg_hi:[0,1]
	v_mov_b32_e32 v12, v124
	v_mov_b32_e32 v13, v126
	;; [unrolled: 1-line block ×3, first 2 shown]
	v_pk_add_f32 v[20:21], v[10:11], v[24:25] neg_lo:[0,1] neg_hi:[0,1]
	v_pk_mul_f32 v[76:77], v[56:57], v[12:13]
	scratch_load_dwordx4 v[10:13], off, off offset:136
	v_mov_b32_e32 v124, v127
	s_waitcnt lgkmcnt(1)
	v_mov_b32_e32 v32, v68
	v_pk_fma_f32 v[102:103], v[68:69], v[124:125], v[76:77] op_sel:[0,0,1] op_sel_hi:[1,1,0] neg_lo:[1,0,0] neg_hi:[1,0,0]
	s_waitcnt vmcnt(7)
	v_mov_b32_e32 v64, v154
	v_mov_b32_e32 v65, v156
	;; [unrolled: 1-line block ×3, first 2 shown]
	v_pk_fma_f32 v[32:33], v[32:33], v[124:125], v[76:77] op_sel:[0,0,1] op_sel_hi:[1,1,0]
	v_pk_mul_f32 v[64:65], v[68:69], v[64:65]
	s_waitcnt lgkmcnt(0)
	v_mov_b32_e32 v56, v92
	v_mov_b32_e32 v103, v33
	v_pk_fma_f32 v[76:77], v[92:93], v[154:155], v[64:65] op_sel:[0,0,1] op_sel_hi:[1,1,0] neg_lo:[1,0,0] neg_hi:[1,0,0]
	v_pk_fma_f32 v[56:57], v[56:57], v[154:155], v[64:65] op_sel:[0,0,1] op_sel_hi:[1,1,0]
	ds_read2_b32 v[64:65], v134 offset0:23 offset1:24
	v_pk_add_f32 v[20:21], v[20:21], v[102:103] neg_lo:[0,1] neg_hi:[0,1]
	v_mov_b32_e32 v77, v57
	scratch_load_dwordx4 v[22:25], off, off offset:72
	v_mov_b32_e32 v32, v120
	v_mov_b32_e32 v33, v122
	;; [unrolled: 1-line block ×3, first 2 shown]
	v_pk_add_f32 v[20:21], v[20:21], v[76:77] neg_lo:[0,1] neg_hi:[0,1]
	scratch_load_dwordx4 v[122:125], off, off offset:88
	ds_read2_b32 v[76:77], v134 offset0:29 offset1:30
	ds_read2_b32 v[102:103], v134 offset0:25 offset1:26
	;; [unrolled: 1-line block ×3, first 2 shown]
	v_pk_mul_f32 v[32:33], v[92:93], v[32:33]
	s_waitcnt lgkmcnt(3)
	v_mov_b32_e32 v68, v64
	v_pk_fma_f32 v[118:119], v[64:65], v[120:121], v[32:33] op_sel:[0,0,1] op_sel_hi:[1,1,0] neg_lo:[1,0,0] neg_hi:[1,0,0]
	s_waitcnt vmcnt(7)
	v_mov_b32_e32 v56, v158
	v_mov_b32_e32 v57, v160
	;; [unrolled: 1-line block ×3, first 2 shown]
	v_pk_fma_f32 v[32:33], v[68:69], v[120:121], v[32:33] op_sel:[0,0,1] op_sel_hi:[1,1,0]
	v_pk_mul_f32 v[56:57], v[64:65], v[56:57]
	s_waitcnt lgkmcnt(1)
	v_mov_b32_e32 v92, v102
	v_mov_b32_e32 v119, v33
	;; [unrolled: 1-line block ×4, first 2 shown]
	v_pk_fma_f32 v[68:69], v[102:103], v[158:159], v[56:57] op_sel:[0,0,1] op_sel_hi:[1,1,0] neg_lo:[1,0,0] neg_hi:[1,0,0]
	v_pk_fma_f32 v[56:57], v[92:93], v[158:159], v[56:57] op_sel:[0,0,1] op_sel_hi:[1,1,0]
	v_pk_add_f32 v[20:21], v[20:21], v[118:119] neg_lo:[0,1] neg_hi:[0,1]
	v_mov_b32_e32 v128, v131
	v_mov_b32_e32 v69, v57
	v_pk_mul_f32 v[32:33], v[102:103], v[32:33]
	s_waitcnt lgkmcnt(0)
	v_mov_b32_e32 v64, v112
	v_pk_add_f32 v[20:21], v[20:21], v[68:69] neg_lo:[0,1] neg_hi:[0,1]
	s_waitcnt vmcnt(5)
	v_mov_b32_e32 v56, v14
	v_mov_b32_e32 v57, v16
	v_pk_fma_f32 v[68:69], v[112:113], v[128:129], v[32:33] op_sel:[0,0,1] op_sel_hi:[1,1,0] neg_lo:[1,0,0] neg_hi:[1,0,0]
	v_pk_fma_f32 v[32:33], v[64:65], v[128:129], v[32:33] op_sel:[0,0,1] op_sel_hi:[1,1,0]
	v_mov_b32_e32 v14, v17
	v_mov_b32_e32 v69, v33
	v_pk_mul_f32 v[32:33], v[112:113], v[56:57]
	v_mov_b32_e32 v102, v76
	v_pk_fma_f32 v[56:57], v[102:103], v[14:15], v[32:33] op_sel:[0,0,1] op_sel_hi:[1,1,0] neg_lo:[1,0,0] neg_hi:[1,0,0]
	v_pk_fma_f32 v[14:15], v[102:103], v[14:15], v[32:33] op_sel:[0,0,1] op_sel_hi:[1,1,0]
	v_pk_add_f32 v[20:21], v[20:21], v[68:69] neg_lo:[0,1] neg_hi:[0,1]
	v_mov_b32_e32 v57, v15
	v_mul_f32_e32 v17, v113, v17
	v_fmac_f32_e32 v17, v76, v16
	v_pk_add_f32 v[14:15], v[20:21], v[56:57] neg_lo:[0,1] neg_hi:[0,1]
	scratch_load_dwordx4 v[118:121], off, off offset:104
	v_sub_f32_e32 v15, v15, v17
	ds_read2_b32 v[16:17], v134 offset0:31 offset1:32
	ds_read2_b32 v[20:21], v134 offset0:33 offset1:34
	ds_read2_b32 v[32:33], v134 offset0:35 offset1:36
	ds_read2_b32 v[56:57], v134 offset0:37 offset1:38
	scratch_load_dwordx2 v[64:65], off, off offset:8
	s_waitcnt lgkmcnt(3)
	v_mul_f32_e32 v68, v16, v41
	v_mul_f32_e32 v41, v77, v41
	v_fmac_f32_e32 v41, v16, v40
	s_waitcnt lgkmcnt(2)
	v_mul_f32_e32 v16, v20, v49
	v_fma_f32 v68, v77, v40, -v68
	v_fma_f32 v16, v17, v48, -v16
	v_mul_f32_e32 v17, v17, v49
	v_sub_f32_e32 v14, v14, v68
	v_sub_f32_e32 v15, v15, v41
	v_fmac_f32_e32 v17, v20, v48
	v_sub_f32_e32 v14, v14, v16
	v_sub_f32_e32 v15, v15, v17
	s_waitcnt lgkmcnt(1)
	v_mul_f32_e32 v16, v32, v117
	v_mul_f32_e32 v17, v21, v117
	v_fma_f32 v16, v21, v116, -v16
	v_fmac_f32_e32 v17, v32, v116
	scratch_load_dwordx2 v[40:41], off, off offset:32
	v_sub_f32_e32 v20, v14, v16
	s_waitcnt vmcnt(5) lgkmcnt(0)
	v_mul_f32_e32 v32, v56, v13
	v_mul_f32_e32 v13, v33, v13
	v_sub_f32_e32 v21, v15, v17
	v_fma_f32 v32, v33, v12, -v32
	v_fmac_f32_e32 v13, v56, v12
	scratch_load_dwordx4 v[14:17], off, off offset:136
	v_sub_f32_e32 v56, v20, v32
	v_sub_f32_e32 v68, v21, v13
	ds_read2_b32 v[12:13], v134 offset0:39 offset1:40
	ds_read2_b32 v[20:21], v134 offset0:41 offset1:42
	;; [unrolled: 1-line block ×4, first 2 shown]
	scratch_load_dwordx2 v[76:77], off, off offset:40
	s_waitcnt lgkmcnt(3)
	v_mul_f32_e32 v69, v12, v101
	v_fma_f32 v69, v57, v100, -v69
	v_mul_f32_e32 v57, v57, v101
	v_fmac_f32_e32 v57, v12, v100
	v_sub_f32_e32 v12, v56, v69
	v_sub_f32_e32 v56, v68, v57
	s_waitcnt lgkmcnt(2)
	v_mul_f32_e32 v57, v20, v91
	v_fma_f32 v57, v13, v90, -v57
	v_mul_f32_e32 v13, v13, v91
	v_fmac_f32_e32 v13, v20, v90
	s_waitcnt lgkmcnt(1)
	v_mul_f32_e32 v20, v32, v97
	v_fma_f32 v20, v21, v96, -v20
	v_mul_f32_e32 v21, v21, v97
	v_sub_f32_e32 v13, v56, v13
	v_fmac_f32_e32 v21, v32, v96
	v_sub_f32_e32 v13, v13, v21
	v_add_u32_e32 v21, 0x2e00, v192
	ds_read2_b32 v[112:113], v21 offset0:47 offset1:177
	v_sub_f32_e32 v12, v12, v57
	v_sub_f32_e32 v12, v12, v20
	s_waitcnt lgkmcnt(1)
	v_mul_f32_e32 v20, v48, v19
	v_mul_f32_e32 v19, v33, v19
	v_fmac_f32_e32 v19, v48, v18
	v_fma_f32 v20, v33, v18, -v20
	v_sub_f32_e32 v13, v13, v19
	v_sub_f32_e32 v12, v12, v20
	s_waitcnt lgkmcnt(0)
	v_mul_f32_e32 v18, v112, v13
	v_mul_f32_e32 v33, v49, v13
	v_fma_f32 v32, v49, v12, -v18
	v_fmac_f32_e32 v33, v112, v12
	v_add_u32_e32 v12, s5, v1
	s_add_i32 s5, s4, s12
	v_mov_b32_e32 v155, s5
	ds_read_b128 v[18:21], v155
	ds_write_b64 v12, v[32:33]
	ds_read_b128 v[90:93], v155 offset:16
	ds_read_b128 v[100:103], v155 offset:32
	ds_read_b96 v[152:154], v155 offset:48
	v_mov_b32_e32 v112, v73
	s_or_b32 s5, s11, 0x3200
	s_waitcnt lgkmcnt(4)
	v_mul_f32_e32 v12, v19, v29
	v_mul_f32_e32 v13, v18, v29
	v_fma_f32 v12, v18, v28, -v12
	v_fmac_f32_e32 v13, v19, v28
	v_sub_f32_e32 v18, v150, v12
	v_sub_f32_e32 v19, v151, v13
	scratch_load_dwordx2 v[48:49], off, off offset:8
	scratch_load_dwordx2 v[12:13], off, off offset:8
	;; [unrolled: 1-line block ×3, first 2 shown]
	scratch_load_dwordx4 v[126:129], off, off offset:80
	s_waitcnt lgkmcnt(0)
	v_mov_b32_e32 v157, v152
	s_add_i32 s13, s4, s5
	v_mov_b32_e32 v191, s13
	s_waitcnt vmcnt(7)
	v_mul_f32_e32 v56, v21, v65
	v_fma_f32 v56, v20, v64, -v56
	v_mul_f32_e32 v20, v20, v65
	v_fmac_f32_e32 v20, v21, v64
	v_sub_f32_e32 v19, v19, v20
	v_mul_f32_e32 v20, v91, v9
	v_mul_f32_e32 v9, v90, v9
	v_sub_f32_e32 v18, v18, v56
	v_fma_f32 v20, v90, v8, -v20
	v_fmac_f32_e32 v9, v91, v8
	v_sub_f32_e32 v8, v18, v20
	v_sub_f32_e32 v9, v19, v9
	v_mul_f32_e32 v18, v93, v53
	v_mul_f32_e32 v19, v92, v53
	v_fma_f32 v18, v92, v52, -v18
	v_fmac_f32_e32 v19, v93, v52
	scratch_load_dwordx2 v[130:131], off, off offset:32
	scratch_load_dwordx2 v[52:53], off, off offset:32
	;; [unrolled: 1-line block ×3, first 2 shown]
	scratch_load_dwordx4 v[90:93], off, off offset:96
	v_sub_f32_e32 v8, v8, v18
	s_waitcnt vmcnt(10)
	v_mul_f32_e32 v18, v101, v41
	v_fma_f32 v18, v100, v40, -v18
	v_sub_f32_e32 v9, v9, v19
	v_mul_f32_e32 v19, v100, v41
	v_sub_f32_e32 v8, v8, v18
	v_fmac_f32_e32 v19, v101, v40
	scratch_load_dwordx2 v[134:135], off, off offset:40
	scratch_load_dwordx2 v[64:65], off, off offset:40
	;; [unrolled: 1-line block ×3, first 2 shown]
	ds_read2_b32 v[40:41], v155 offset0:31 offset1:32
	s_waitcnt vmcnt(11)
	v_mul_f32_e32 v18, v103, v77
	v_fma_f32 v18, v102, v76, -v18
	v_mul_f32_e32 v21, v102, v77
	v_pk_add_f32 v[8:9], v[8:9], v[18:19] neg_lo:[0,1] neg_hi:[0,1]
	v_mul_f32_e32 v18, v153, v109
	v_fmac_f32_e32 v21, v103, v76
	v_fma_f32 v20, v152, v108, -v18
	v_pk_add_f32 v[8:9], v[8:9], v[20:21] neg_lo:[0,1] neg_hi:[0,1]
	v_mov_b32_e32 v20, v153
	v_mov_b32_e32 v21, v154
	;; [unrolled: 1-line block ×4, first 2 shown]
	v_pk_mul_f32 v[20:21], v[20:21], v[76:77]
	ds_read2_b32 v[76:77], v155 offset0:15 offset1:16
	scratch_load_dwordx4 v[100:103], off, off offset:112
	ds_read2_b32 v[96:97], v155 offset0:17 offset1:18
	ds_read2_b32 v[116:117], v155 offset0:19 offset1:20
	;; [unrolled: 1-line block ×3, first 2 shown]
	v_mov_b32_e32 v108, v73
	v_mov_b32_e32 v19, v72
	s_waitcnt lgkmcnt(3)
	v_mov_b32_e32 v156, v76
	v_mov_b32_e32 v72, v61
	v_pk_fma_f32 v[152:153], v[76:77], v[112:113], v[20:21] op_sel:[0,0,1] op_sel_hi:[1,1,0] neg_lo:[1,0,0] neg_hi:[1,0,0]
	v_pk_fma_f32 v[20:21], v[156:157], v[108:109], v[20:21] op_sel:[0,0,1] op_sel_hi:[1,1,0]
	s_waitcnt lgkmcnt(2)
	v_mov_b32_e32 v108, v96
	v_mov_b32_e32 v109, v154
	;; [unrolled: 1-line block ×6, first 2 shown]
	v_pk_mul_f32 v[72:73], v[108:109], v[72:73]
	v_pk_add_f32 v[8:9], v[8:9], v[152:153] neg_lo:[0,1] neg_hi:[0,1]
	v_pk_fma_f32 v[108:109], v[76:77], v[20:21], v[72:73] op_sel:[1,0,0] op_sel_hi:[0,1,1] neg_lo:[0,0,1] neg_hi:[0,0,1]
	v_pk_fma_f32 v[18:19], v[76:77], v[18:19], v[72:73] op_sel:[1,0,0] op_sel_hi:[0,1,1]
	v_mov_b32_e32 v109, v19
	v_pk_add_f32 v[8:9], v[8:9], v[108:109] neg_lo:[0,1] neg_hi:[0,1]
	scratch_load_dwordx2 v[108:109], off, off offset:136
	v_mov_b32_e32 v60, v23
	v_mov_b32_e32 v72, v22
	;; [unrolled: 1-line block ×3, first 2 shown]
	v_pk_mul_f32 v[18:19], v[96:97], v[20:21]
	s_waitcnt lgkmcnt(1)
	v_mov_b32_e32 v76, v116
	v_mov_b32_e32 v22, v25
	v_pk_fma_f32 v[20:21], v[116:117], v[60:61], v[18:19] op_sel:[0,0,1] op_sel_hi:[1,1,0] neg_lo:[1,0,0] neg_hi:[1,0,0]
	v_pk_fma_f32 v[18:19], v[76:77], v[60:61], v[18:19] op_sel:[0,0,1] op_sel_hi:[1,1,0]
	v_pk_mul_f32 v[60:61], v[116:117], v[72:73]
	s_waitcnt lgkmcnt(0)
	v_mov_b32_e32 v96, v150
	v_mov_b32_e32 v21, v19
	v_pk_fma_f32 v[72:73], v[150:151], v[22:23], v[60:61] op_sel:[0,0,1] op_sel_hi:[1,1,0] neg_lo:[1,0,0] neg_hi:[1,0,0]
	v_pk_fma_f32 v[22:23], v[96:97], v[22:23], v[60:61] op_sel:[0,0,1] op_sel_hi:[1,1,0]
	v_pk_add_f32 v[8:9], v[8:9], v[20:21] neg_lo:[0,1] neg_hi:[0,1]
	v_mov_b32_e32 v73, v23
	v_pk_add_f32 v[8:9], v[8:9], v[72:73] neg_lo:[0,1] neg_hi:[0,1]
	ds_read2_b32 v[72:73], v155 offset0:23 offset1:24
	scratch_load_dwordx4 v[18:21], off, off offset:80
	s_waitcnt vmcnt(10)
	v_mov_b32_e32 v24, v126
	v_mov_b32_e32 v25, v128
	;; [unrolled: 1-line block ×3, first 2 shown]
	ds_read2_b32 v[76:77], v155 offset0:25 offset1:26
	ds_read2_b32 v[96:97], v155 offset0:27 offset1:28
	;; [unrolled: 1-line block ×3, first 2 shown]
	v_mov_b32_e32 v60, v122
	v_mov_b32_e32 v61, v124
	v_pk_mul_f32 v[22:23], v[150:151], v[24:25]
	s_waitcnt lgkmcnt(3)
	v_mov_b32_e32 v116, v72
	scratch_load_dwordx2 v[152:153], off, off offset:160
	v_mov_b32_e32 v122, v125
	v_pk_fma_f32 v[24:25], v[72:73], v[126:127], v[22:23] op_sel:[0,0,1] op_sel_hi:[1,1,0] neg_lo:[1,0,0] neg_hi:[1,0,0]
	v_pk_fma_f32 v[22:23], v[116:117], v[126:127], v[22:23] op_sel:[0,0,1] op_sel_hi:[1,1,0]
	v_pk_mul_f32 v[60:61], v[72:73], v[60:61]
	s_waitcnt lgkmcnt(2)
	v_mov_b32_e32 v150, v76
	v_mov_b32_e32 v25, v23
	v_pk_add_f32 v[8:9], v[8:9], v[24:25] neg_lo:[0,1] neg_hi:[0,1]
	s_waitcnt vmcnt(7)
	v_mov_b32_e32 v116, v90
	v_mov_b32_e32 v117, v92
	;; [unrolled: 1-line block ×3, first 2 shown]
	v_pk_fma_f32 v[92:93], v[76:77], v[122:123], v[60:61] op_sel:[0,0,1] op_sel_hi:[1,1,0] neg_lo:[1,0,0] neg_hi:[1,0,0]
	v_pk_fma_f32 v[60:61], v[150:151], v[122:123], v[60:61] op_sel:[0,0,1] op_sel_hi:[1,1,0]
	v_pk_mul_f32 v[116:117], v[76:77], v[116:117]
	v_mov_b32_e32 v93, v61
	v_pk_add_f32 v[8:9], v[8:9], v[92:93] neg_lo:[0,1] neg_hi:[0,1]
	scratch_load_dwordx2 v[92:93], off, off offset:176
	v_mov_b32_e32 v60, v118
	v_mov_b32_e32 v61, v120
	s_waitcnt lgkmcnt(1)
	v_mov_b32_e32 v72, v96
	v_mov_b32_e32 v118, v121
	v_pk_fma_f32 v[120:121], v[96:97], v[90:91], v[116:117] op_sel:[0,0,1] op_sel_hi:[1,1,0] neg_lo:[1,0,0] neg_hi:[1,0,0]
	v_pk_fma_f32 v[72:73], v[72:73], v[90:91], v[116:117] op_sel:[0,0,1] op_sel_hi:[1,1,0]
	v_pk_mul_f32 v[60:61], v[96:97], v[60:61]
	s_waitcnt lgkmcnt(0)
	v_mov_b32_e32 v76, v128
	v_mov_b32_e32 v121, v73
	v_pk_fma_f32 v[90:91], v[128:129], v[118:119], v[60:61] op_sel:[0,0,1] op_sel_hi:[1,1,0] neg_lo:[1,0,0] neg_hi:[1,0,0]
	v_pk_fma_f32 v[60:61], v[76:77], v[118:119], v[60:61] op_sel:[0,0,1] op_sel_hi:[1,1,0]
	v_pk_add_f32 v[8:9], v[8:9], v[120:121] neg_lo:[0,1] neg_hi:[0,1]
	v_mov_b32_e32 v91, v61
	scratch_load_dwordx4 v[22:25], off, off offset:96
	scratch_load_dwordx4 v[122:125], off, off offset:112
	v_pk_add_f32 v[8:9], v[8:9], v[90:91] neg_lo:[0,1] neg_hi:[0,1]
	s_waitcnt vmcnt(6)
	v_mov_b32_e32 v72, v100
	v_mov_b32_e32 v73, v102
	;; [unrolled: 1-line block ×3, first 2 shown]
	v_pk_mul_f32 v[60:61], v[128:129], v[72:73]
	ds_read2_b32 v[72:73], v155 offset0:33 offset1:34
	ds_read2_b32 v[76:77], v155 offset0:35 offset1:36
	;; [unrolled: 1-line block ×3, first 2 shown]
	v_mov_b32_e32 v96, v40
	v_pk_fma_f32 v[116:117], v[96:97], v[100:101], v[60:61] op_sel:[0,0,1] op_sel_hi:[1,1,0] neg_lo:[1,0,0] neg_hi:[1,0,0]
	v_pk_fma_f32 v[60:61], v[96:97], v[100:101], v[60:61] op_sel:[0,0,1] op_sel_hi:[1,1,0]
	s_nop 0
	v_mul_f32_e32 v60, v129, v103
	v_mov_b32_e32 v117, v61
	v_fmac_f32_e32 v60, v40, v102
	s_waitcnt lgkmcnt(2)
	v_mul_f32_e32 v40, v72, v115
	v_pk_add_f32 v[8:9], v[8:9], v[116:117] neg_lo:[0,1] neg_hi:[0,1]
	v_fma_f32 v40, v41, v114, -v40
	v_mul_f32_e32 v41, v41, v115
	v_sub_f32_e32 v9, v9, v60
	v_fmac_f32_e32 v41, v72, v114
	v_sub_f32_e32 v8, v8, v40
	v_sub_f32_e32 v9, v9, v41
	s_waitcnt vmcnt(5) lgkmcnt(1)
	v_mul_f32_e32 v40, v76, v109
	v_fma_f32 v40, v73, v108, -v40
	v_mul_f32_e32 v41, v73, v109
	scratch_load_dwordx2 v[72:73], off, off offset:16
	v_fmac_f32_e32 v41, v76, v108
	v_sub_f32_e32 v8, v8, v40
	s_waitcnt lgkmcnt(0)
	v_mul_f32_e32 v40, v90, v7
	v_mul_f32_e32 v7, v77, v7
	v_sub_f32_e32 v9, v9, v41
	v_fma_f32 v40, v77, v6, -v40
	v_fmac_f32_e32 v7, v90, v6
	scratch_load_dwordx2 v[76:77], off, off offset:24
	v_sub_f32_e32 v96, v9, v7
	ds_read2_b32 v[6:7], v155 offset0:39 offset1:40
	v_sub_f32_e32 v90, v8, v40
	ds_read2_b32 v[8:9], v155 offset0:41 offset1:42
	ds_read2_b32 v[40:41], v155 offset0:43 offset1:44
	;; [unrolled: 1-line block ×3, first 2 shown]
	s_waitcnt lgkmcnt(3)
	v_mul_f32_e32 v97, v6, v185
	v_fma_f32 v97, v91, v184, -v97
	v_mul_f32_e32 v91, v91, v185
	v_fmac_f32_e32 v91, v6, v184
	v_sub_f32_e32 v6, v90, v97
	v_sub_f32_e32 v90, v96, v91
	scratch_load_dwordx2 v[160:161], off, off offset:160
	scratch_load_dwordx2 v[114:115], off, off offset:160
	;; [unrolled: 1-line block ×9, first 2 shown]
	s_waitcnt vmcnt(14) lgkmcnt(2)
	v_mul_f32_e32 v91, v8, v153
	v_fma_f32 v91, v7, v152, -v91
	v_mul_f32_e32 v7, v7, v153
	v_fmac_f32_e32 v7, v8, v152
	s_waitcnt lgkmcnt(1)
	v_mul_f32_e32 v8, v40, v189
	v_sub_f32_e32 v6, v6, v91
	v_fma_f32 v8, v9, v188, -v8
	v_mul_f32_e32 v9, v9, v189
	v_sub_f32_e32 v7, v90, v7
	v_fmac_f32_e32 v9, v40, v188
	v_sub_f32_e32 v6, v6, v8
	v_sub_f32_e32 v7, v7, v9
	s_waitcnt vmcnt(13) lgkmcnt(0)
	v_mul_f32_e32 v8, v60, v93
	v_fma_f32 v8, v41, v92, -v8
	v_mul_f32_e32 v9, v41, v93
	ds_read2_b32 v[40:41], v155 offset0:47 offset1:48
	v_fmac_f32_e32 v9, v60, v92
	v_sub_f32_e32 v102, v7, v9
	v_sub_f32_e32 v60, v6, v8
	ds_read_b128 v[90:93], v191
	s_waitcnt lgkmcnt(1)
	v_mul_f32_e32 v103, v40, v33
	v_fma_f32 v103, v61, v32, -v103
	v_mul_f32_e32 v61, v61, v33
	v_fmac_f32_e32 v61, v40, v32
	v_sub_f32_e32 v61, v102, v61
	v_sub_f32_e32 v60, v60, v103
	v_mul_f32_e32 v40, v113, v61
	v_fma_f32 v40, v41, v60, -v40
	v_mul_f32_e32 v41, v41, v61
	v_fmac_f32_e32 v41, v113, v60
	v_add_u32_e32 v60, s12, v1
	ds_write_b64 v60, v[40:41]
	scratch_load_dwordx4 v[6:9], off, off offset:64
	ds_read_b128 v[118:121], v191 offset:16
	ds_read_b128 v[126:129], v191 offset:32
	s_waitcnt lgkmcnt(3)
	v_mul_f32_e32 v60, v91, v87
	v_mul_f32_e32 v61, v90, v87
	v_fma_f32 v60, v90, v86, -v60
	v_fmac_f32_e32 v61, v91, v86
	v_mul_f32_e32 v86, v93, v49
	v_sub_f32_e32 v60, v148, v60
	v_fma_f32 v86, v92, v48, -v86
	v_mul_f32_e32 v49, v92, v49
	v_fmac_f32_e32 v49, v93, v48
	v_sub_f32_e32 v48, v60, v86
	v_sub_f32_e32 v61, v149, v61
	;; [unrolled: 1-line block ×3, first 2 shown]
	scratch_load_dwordx2 v[184:185], off, off offset:16
	scratch_load_dwordx2 v[86:87], off, off offset:16
	scratch_load_dwordx2 v[60:61], off, off offset:16
	s_waitcnt lgkmcnt(0)
	v_mul_f32_e32 v91, v128, v135
	v_fmac_f32_e32 v91, v129, v134
	s_waitcnt vmcnt(14)
	v_mul_f32_e32 v90, v119, v73
	v_fma_f32 v90, v118, v72, -v90
	v_mul_f32_e32 v73, v118, v73
	v_sub_f32_e32 v48, v48, v90
	v_fmac_f32_e32 v73, v119, v72
	v_sub_f32_e32 v49, v49, v73
	scratch_load_dwordx2 v[188:189], off, off offset:24
	scratch_load_dwordx2 v[102:103], off, off offset:24
	;; [unrolled: 1-line block ×3, first 2 shown]
	scratch_load_dwordx4 v[148:151], off, off offset:88
	s_waitcnt vmcnt(17)
	v_mul_f32_e32 v90, v121, v77
	v_mul_f32_e32 v77, v120, v77
	v_fma_f32 v90, v120, v76, -v90
	v_fmac_f32_e32 v77, v121, v76
	v_mul_f32_e32 v76, v127, v131
	v_sub_f32_e32 v48, v48, v90
	v_fma_f32 v76, v126, v130, -v76
	v_sub_f32_e32 v49, v49, v77
	v_mul_f32_e32 v77, v126, v131
	v_sub_f32_e32 v48, v48, v76
	v_mul_f32_e32 v76, v129, v135
	v_fmac_f32_e32 v77, v127, v130
	v_fma_f32 v76, v128, v134, -v76
	ds_read_b128 v[126:129], v191 offset:48
	ds_read_b96 v[206:208], v191 offset:64
	v_sub_f32_e32 v49, v49, v77
	v_sub_f32_e32 v48, v48, v76
	scratch_load_dwordx4 v[152:155], off, off offset:104
	scratch_load_dwordx2 v[130:131], off, off offset:48
	scratch_load_dwordx2 v[108:109], off, off offset:48
	scratch_load_dwordx2 v[76:77], off, off offset:48
	s_waitcnt vmcnt(17) lgkmcnt(1)
	v_mul_f32_e32 v90, v127, v157
	v_fma_f32 v90, v126, v156, -v90
	v_mul_f32_e32 v93, v126, v157
	s_waitcnt vmcnt(13)
	v_mul_f32_e32 v92, v129, v165
	v_fmac_f32_e32 v93, v127, v156
	v_pk_add_f32 v[48:49], v[48:49], v[90:91] neg_lo:[0,1] neg_hi:[0,1]
	v_fma_f32 v92, v128, v164, -v92
	scratch_load_dwordx2 v[134:135], off, off offset:56
	scratch_load_dwordx2 v[112:113], off, off offset:56
	;; [unrolled: 1-line block ×3, first 2 shown]
	v_pk_add_f32 v[48:49], v[48:49], v[92:93] neg_lo:[0,1] neg_hi:[0,1]
	scratch_load_dwordx2 v[120:121], off, off offset:72
	scratch_load_dwordx2 v[196:197], off, off offset:64
	scratch_load_dwordx2 v[118:119], off, off offset:64
	scratch_load_dwordx2 v[92:93], off, off offset:64
	scratch_load_dwordx4 v[156:159], off, off offset:120
	v_mov_b32_e32 v198, v129
	s_waitcnt lgkmcnt(0)
	v_mov_b32_e32 v199, v206
	v_mov_b32_e32 v200, v164
	s_waitcnt vmcnt(20)
	v_mov_b32_e32 v201, v166
	v_mov_b32_e32 v126, v207
	v_mov_b32_e32 v127, v208
	v_pk_mul_f32 v[198:199], v[198:199], v[200:201]
	v_mov_b32_e32 v200, v207
	v_mov_b32_e32 v201, v128
	;; [unrolled: 1-line block ×4, first 2 shown]
	v_pk_fma_f32 v[128:129], v[126:127], v[128:129], v[198:199] op_sel:[0,0,1] op_sel_hi:[1,1,0] neg_lo:[1,0,0] neg_hi:[1,0,0]
	v_pk_fma_f32 v[164:165], v[200:201], v[164:165], v[198:199] op_sel:[0,0,1] op_sel_hi:[1,1,0]
	v_mov_b32_e32 v195, v166
	v_mov_b32_e32 v129, v165
	ds_read2_b32 v[164:165], v191 offset0:19 offset1:20
	ds_read2_b32 v[198:199], v191 offset0:21 offset1:22
	;; [unrolled: 1-line block ×4, first 2 shown]
	v_mov_b32_e32 v205, v206
	v_pk_add_f32 v[48:49], v[48:49], v[128:129] neg_lo:[0,1] neg_hi:[0,1]
	v_mov_b32_e32 v129, v18
	s_waitcnt lgkmcnt(3)
	v_mov_b32_e32 v204, v164
	s_waitcnt vmcnt(19)
	v_mov_b32_e32 v166, v9
	v_mov_b32_e32 v194, v8
	v_mov_b32_e32 v128, v8
	v_pk_mul_f32 v[166:167], v[204:205], v[166:167]
	v_mov_b32_e32 v8, v19
	v_pk_fma_f32 v[204:205], v[126:127], v[128:129], v[166:167] op_sel:[1,0,0] op_sel_hi:[0,1,1] neg_lo:[0,0,1] neg_hi:[0,0,1]
	v_pk_fma_f32 v[126:127], v[126:127], v[194:195], v[166:167] op_sel:[1,0,0] op_sel_hi:[0,1,1]
	v_mov_b32_e32 v205, v127
	v_mov_b32_e32 v166, v18
	;; [unrolled: 1-line block ×3, first 2 shown]
	v_pk_mul_f32 v[126:127], v[164:165], v[128:129]
	v_mov_b32_e32 v18, v21
	s_waitcnt lgkmcnt(2)
	v_mov_b32_e32 v20, v198
	v_mov_b32_e32 v21, v208
	v_pk_fma_f32 v[128:129], v[198:199], v[8:9], v[126:127] op_sel:[0,0,1] op_sel_hi:[1,1,0] neg_lo:[1,0,0] neg_hi:[1,0,0]
	v_pk_fma_f32 v[8:9], v[20:21], v[8:9], v[126:127] op_sel:[0,0,1] op_sel_hi:[1,1,0]
	v_pk_add_f32 v[48:49], v[48:49], v[204:205] neg_lo:[0,1] neg_hi:[0,1]
	v_mov_b32_e32 v129, v9
	v_pk_add_f32 v[8:9], v[48:49], v[128:129] neg_lo:[0,1] neg_hi:[0,1]
	v_pk_mul_f32 v[48:49], v[198:199], v[166:167]
	s_waitcnt lgkmcnt(1)
	v_mov_b32_e32 v164, v200
	s_waitcnt lgkmcnt(0)
	v_mov_b32_e32 v198, v202
	scratch_load_dwordx4 v[126:129], off, off offset:88
	s_waitcnt vmcnt(13)
	v_mov_b32_e32 v20, v148
	v_mov_b32_e32 v21, v150
	;; [unrolled: 1-line block ×3, first 2 shown]
	v_pk_fma_f32 v[150:151], v[200:201], v[18:19], v[48:49] op_sel:[0,0,1] op_sel_hi:[1,1,0] neg_lo:[1,0,0] neg_hi:[1,0,0]
	v_pk_fma_f32 v[18:19], v[164:165], v[18:19], v[48:49] op_sel:[0,0,1] op_sel_hi:[1,1,0]
	ds_read2_b32 v[48:49], v191 offset0:27 offset1:28
	v_pk_mul_f32 v[20:21], v[200:201], v[20:21]
	v_mov_b32_e32 v151, v19
	v_mov_b32_e32 v18, v22
	;; [unrolled: 1-line block ×4, first 2 shown]
	v_pk_fma_f32 v[24:25], v[202:203], v[148:149], v[20:21] op_sel:[0,0,1] op_sel_hi:[1,1,0] neg_lo:[1,0,0] neg_hi:[1,0,0]
	v_pk_fma_f32 v[20:21], v[198:199], v[148:149], v[20:21] op_sel:[0,0,1] op_sel_hi:[1,1,0]
	v_pk_add_f32 v[8:9], v[8:9], v[150:151] neg_lo:[0,1] neg_hi:[0,1]
	v_mov_b32_e32 v25, v21
	scratch_load_dwordx4 v[148:151], off, off offset:104
	s_waitcnt vmcnt(13)
	v_mov_b32_e32 v20, v152
	v_mov_b32_e32 v21, v154
	;; [unrolled: 1-line block ×3, first 2 shown]
	ds_read2_b32 v[154:155], v191 offset0:33 offset1:34
	ds_read2_b32 v[164:165], v191 offset0:29 offset1:30
	;; [unrolled: 1-line block ×3, first 2 shown]
	v_pk_mul_f32 v[18:19], v[202:203], v[18:19]
	s_waitcnt lgkmcnt(3)
	v_mov_b32_e32 v200, v48
	v_pk_add_f32 v[8:9], v[8:9], v[24:25] neg_lo:[0,1] neg_hi:[0,1]
	v_pk_fma_f32 v[24:25], v[48:49], v[22:23], v[18:19] op_sel:[0,0,1] op_sel_hi:[1,1,0] neg_lo:[1,0,0] neg_hi:[1,0,0]
	v_pk_fma_f32 v[18:19], v[200:201], v[22:23], v[18:19] op_sel:[0,0,1] op_sel_hi:[1,1,0]
	v_pk_mul_f32 v[20:21], v[48:49], v[20:21]
	v_mov_b32_e32 v25, v19
	v_mov_b32_e32 v18, v122
	;; [unrolled: 1-line block ×3, first 2 shown]
	s_waitcnt lgkmcnt(1)
	v_mov_b32_e32 v202, v164
	v_mov_b32_e32 v122, v125
	v_pk_fma_f32 v[22:23], v[164:165], v[152:153], v[20:21] op_sel:[0,0,1] op_sel_hi:[1,1,0] neg_lo:[1,0,0] neg_hi:[1,0,0]
	v_pk_fma_f32 v[20:21], v[202:203], v[152:153], v[20:21] op_sel:[0,0,1] op_sel_hi:[1,1,0]
	v_pk_mul_f32 v[18:19], v[164:165], v[18:19]
	s_waitcnt lgkmcnt(0)
	v_mov_b32_e32 v48, v166
	v_mov_b32_e32 v23, v21
	s_waitcnt vmcnt(2)
	v_mov_b32_e32 v20, v156
	v_mov_b32_e32 v21, v158
	v_pk_fma_f32 v[124:125], v[166:167], v[122:123], v[18:19] op_sel:[0,0,1] op_sel_hi:[1,1,0] neg_lo:[1,0,0] neg_hi:[1,0,0]
	v_pk_fma_f32 v[18:19], v[48:49], v[122:123], v[18:19] op_sel:[0,0,1] op_sel_hi:[1,1,0]
	v_mov_b32_e32 v156, v159
	v_mov_b32_e32 v125, v19
	v_pk_mul_f32 v[18:19], v[166:167], v[20:21]
	v_mov_b32_e32 v164, v154
	v_pk_fma_f32 v[20:21], v[164:165], v[156:157], v[18:19] op_sel:[0,0,1] op_sel_hi:[1,1,0] neg_lo:[1,0,0] neg_hi:[1,0,0]
	v_pk_fma_f32 v[18:19], v[164:165], v[156:157], v[18:19] op_sel:[0,0,1] op_sel_hi:[1,1,0]
	v_pk_add_f32 v[8:9], v[8:9], v[24:25] neg_lo:[0,1] neg_hi:[0,1]
	v_mov_b32_e32 v21, v19
	ds_read2_b32 v[18:19], v191 offset0:35 offset1:36
	v_pk_add_f32 v[8:9], v[8:9], v[22:23] neg_lo:[0,1] neg_hi:[0,1]
	v_mul_f32_e32 v48, v167, v159
	v_pk_add_f32 v[8:9], v[8:9], v[124:125] neg_lo:[0,1] neg_hi:[0,1]
	v_fmac_f32_e32 v48, v154, v158
	v_pk_add_f32 v[8:9], v[8:9], v[20:21] neg_lo:[0,1] neg_hi:[0,1]
	scratch_load_dwordx4 v[22:25], off, off offset:120
	v_sub_f32_e32 v9, v9, v48
	ds_read2_b32 v[20:21], v191 offset0:37 offset1:38
	ds_read2_b32 v[48:49], v191 offset0:39 offset1:40
	ds_read2_b32 v[122:123], v191 offset0:41 offset1:42
	s_waitcnt lgkmcnt(3)
	v_mul_f32_e32 v124, v18, v11
	v_mul_f32_e32 v11, v155, v11
	v_fmac_f32_e32 v11, v18, v10
	v_fma_f32 v124, v155, v10, -v124
	v_sub_f32_e32 v9, v9, v11
	s_waitcnt lgkmcnt(2)
	v_mul_f32_e32 v10, v20, v177
	v_mul_f32_e32 v11, v19, v177
	v_sub_f32_e32 v8, v8, v124
	v_fma_f32 v10, v19, v176, -v10
	v_fmac_f32_e32 v11, v20, v176
	v_sub_f32_e32 v8, v8, v10
	v_sub_f32_e32 v9, v9, v11
	s_waitcnt lgkmcnt(1)
	v_mul_f32_e32 v10, v48, v181
	v_mul_f32_e32 v11, v21, v181
	v_fma_f32 v10, v21, v180, -v10
	v_fmac_f32_e32 v11, v48, v180
	v_sub_f32_e32 v8, v8, v10
	v_sub_f32_e32 v10, v9, v11
	s_waitcnt lgkmcnt(0)
	v_mul_f32_e32 v9, v122, v161
	v_fma_f32 v9, v49, v160, -v9
	v_mul_f32_e32 v11, v49, v161
	v_fmac_f32_e32 v11, v122, v160
	v_sub_f32_e32 v122, v8, v9
	ds_read2_b32 v[8:9], v191 offset0:43 offset1:44
	ds_read2_b32 v[18:19], v191 offset0:45 offset1:46
	;; [unrolled: 1-line block ×4, first 2 shown]
	v_sub_f32_e32 v10, v10, v11
	s_waitcnt lgkmcnt(3)
	v_mul_f32_e32 v11, v8, v187
	v_fma_f32 v11, v123, v186, -v11
	v_mul_f32_e32 v123, v123, v187
	v_fmac_f32_e32 v123, v8, v186
	v_sub_f32_e32 v8, v122, v11
	s_waitcnt lgkmcnt(2)
	v_mul_f32_e32 v11, v18, v163
	v_fma_f32 v11, v9, v162, -v11
	v_mul_f32_e32 v9, v9, v163
	v_fmac_f32_e32 v9, v18, v162
	v_sub_f32_e32 v18, v8, v11
	s_waitcnt lgkmcnt(1)
	v_mul_f32_e32 v8, v20, v33
	v_sub_f32_e32 v10, v10, v123
	v_fma_f32 v123, v19, v32, -v8
	v_mul_f32_e32 v19, v19, v33
	v_sub_f32_e32 v122, v10, v9
	v_fmac_f32_e32 v19, v20, v32
	v_sub_f32_e32 v19, v122, v19
	v_add_u32_e32 v122, 0x3200, v192
	ds_read2_b32 v[164:165], v122 offset0:51 offset1:181
	s_waitcnt lgkmcnt(1)
	v_mul_f32_e32 v20, v48, v41
	v_fma_f32 v20, v21, v40, -v20
	v_mul_f32_e32 v21, v21, v41
	v_fmac_f32_e32 v21, v48, v40
	v_sub_f32_e32 v18, v18, v123
	v_sub_f32_e32 v19, v19, v21
	;; [unrolled: 1-line block ×3, first 2 shown]
	s_waitcnt lgkmcnt(0)
	v_mul_f32_e32 v20, v164, v19
	v_add_u32_e32 v122, s5, v1
	s_or_b32 s5, s11, 0x3400
	v_fma_f32 v48, v49, v18, -v20
	v_mul_f32_e32 v49, v49, v19
	s_add_i32 s11, s4, s5
	v_fmac_f32_e32 v49, v164, v18
	v_mov_b32_e32 v164, s11
	ds_read_b128 v[18:21], v164
	scratch_load_dwordx4 v[8:11], off, off offset:72
	ds_write_b64 v122, v[48:49]
	ds_read_b128 v[122:125], v164 offset:16
	ds_read_b128 v[152:155], v164 offset:32
	;; [unrolled: 1-line block ×3, first 2 shown]
	s_waitcnt lgkmcnt(4)
	v_mul_f32_e32 v160, v19, v85
	v_fma_f32 v160, v18, v84, -v160
	v_mul_f32_e32 v18, v18, v85
	v_fmac_f32_e32 v18, v19, v84
	v_sub_f32_e32 v19, v146, v160
	scratch_load_dwordx4 v[160:163], off, off offset:96
	v_mul_f32_e32 v84, v21, v13
	v_mul_f32_e32 v13, v20, v13
	v_sub_f32_e32 v18, v147, v18
	v_fma_f32 v84, v20, v12, -v84
	v_fmac_f32_e32 v13, v21, v12
	v_sub_f32_e32 v12, v19, v84
	v_sub_f32_e32 v13, v18, v13
	s_waitcnt lgkmcnt(2)
	v_mul_f32_e32 v18, v123, v185
	v_mul_f32_e32 v19, v122, v185
	v_fma_f32 v18, v122, v184, -v18
	v_fmac_f32_e32 v19, v123, v184
	v_sub_f32_e32 v12, v12, v18
	v_sub_f32_e32 v13, v13, v19
	v_mul_f32_e32 v18, v125, v189
	v_mul_f32_e32 v19, v124, v189
	v_fma_f32 v18, v124, v188, -v18
	v_fmac_f32_e32 v19, v125, v188
	scratch_load_dwordx4 v[122:125], off, off offset:112
	v_sub_f32_e32 v12, v12, v18
	s_waitcnt lgkmcnt(1)
	v_mul_f32_e32 v18, v153, v53
	v_fma_f32 v18, v152, v52, -v18
	v_sub_f32_e32 v13, v13, v19
	v_mul_f32_e32 v19, v152, v53
	v_sub_f32_e32 v12, v12, v18
	v_mul_f32_e32 v18, v155, v65
	v_fmac_f32_e32 v19, v153, v52
	v_fma_f32 v18, v154, v64, -v18
	v_sub_f32_e32 v13, v13, v19
	v_mul_f32_e32 v19, v154, v65
	v_sub_f32_e32 v12, v12, v18
	s_waitcnt lgkmcnt(0)
	v_mul_f32_e32 v18, v157, v131
	v_fmac_f32_e32 v19, v155, v64
	v_fma_f32 v18, v156, v130, -v18
	v_sub_f32_e32 v13, v13, v19
	v_mul_f32_e32 v19, v156, v131
	v_sub_f32_e32 v12, v12, v18
	v_mul_f32_e32 v18, v159, v135
	v_fmac_f32_e32 v19, v157, v130
	v_fma_f32 v18, v158, v134, -v18
	ds_read_b96 v[152:154], v164 offset:64
	v_pk_add_f32 v[12:13], v[12:13], v[18:19] neg_lo:[0,1] neg_hi:[0,1]
	ds_read2_b32 v[18:19], v164 offset0:19 offset1:20
	v_mov_b32_e32 v84, v196
	v_mov_b32_e32 v85, v120
	s_waitcnt lgkmcnt(1)
	v_mul_f32_e32 v20, v153, v197
	v_mov_b32_e32 v64, v153
	v_mov_b32_e32 v65, v154
	v_fma_f32 v20, v152, v196, -v20
	v_pk_mul_f32 v[64:65], v[64:65], v[84:85]
	s_waitcnt lgkmcnt(0)
	v_mov_b32_e32 v84, v18
	v_mov_b32_e32 v85, v152
	;; [unrolled: 1-line block ×4, first 2 shown]
	v_pk_fma_f32 v[130:131], v[18:19], v[130:131], v[64:65] op_sel:[0,0,1] op_sel_hi:[1,1,0] neg_lo:[1,0,0] neg_hi:[1,0,0]
	v_pk_fma_f32 v[64:65], v[84:85], v[196:197], v[64:65] op_sel:[0,0,1] op_sel_hi:[1,1,0]
	ds_read2_b32 v[84:85], v164 offset0:21 offset1:22
	v_mul_f32_e32 v21, v158, v135
	v_fmac_f32_e32 v21, v159, v134
	v_pk_add_f32 v[12:13], v[12:13], v[20:21] neg_lo:[0,1] neg_hi:[0,1]
	scratch_load_dwordx2 v[20:21], off, off offset:80
	v_mov_b32_e32 v131, v65
	ds_read2_b32 v[134:135], v164 offset0:23 offset1:24
	ds_read2_b32 v[146:147], v164 offset0:25 offset1:26
	;; [unrolled: 1-line block ×3, first 2 shown]
	v_mov_b32_e32 v53, v120
	v_pk_add_f32 v[12:13], v[12:13], v[130:131] neg_lo:[0,1] neg_hi:[0,1]
	s_waitcnt lgkmcnt(3)
	v_mov_b32_e32 v130, v84
	v_mov_b32_e32 v131, v154
	s_waitcnt vmcnt(6)
	v_mov_b32_e32 v65, v126
	s_waitcnt vmcnt(3)
	v_mov_b32_e32 v120, v11
	v_mov_b32_e32 v52, v10
	;; [unrolled: 1-line block ×3, first 2 shown]
	v_pk_mul_f32 v[120:121], v[130:131], v[120:121]
	v_mov_b32_e32 v10, v127
	v_pk_fma_f32 v[130:131], v[18:19], v[64:65], v[120:121] op_sel:[1,0,0] op_sel_hi:[0,1,1] neg_lo:[0,0,1] neg_hi:[0,0,1]
	v_pk_fma_f32 v[52:53], v[18:19], v[52:53], v[120:121] op_sel:[1,0,0] op_sel_hi:[0,1,1]
	v_pk_mul_f32 v[64:65], v[84:85], v[64:65]
	s_waitcnt lgkmcnt(2)
	v_mov_b32_e32 v18, v134
	v_mov_b32_e32 v131, v53
	;; [unrolled: 1-line block ×4, first 2 shown]
	v_pk_fma_f32 v[120:121], v[134:135], v[10:11], v[64:65] op_sel:[0,0,1] op_sel_hi:[1,1,0] neg_lo:[1,0,0] neg_hi:[1,0,0]
	v_pk_fma_f32 v[10:11], v[18:19], v[10:11], v[64:65] op_sel:[0,0,1] op_sel_hi:[1,1,0]
	v_pk_add_f32 v[12:13], v[12:13], v[130:131] neg_lo:[0,1] neg_hi:[0,1]
	v_mov_b32_e32 v126, v129
	v_mov_b32_e32 v121, v11
	v_pk_mul_f32 v[18:19], v[134:135], v[52:53]
	s_waitcnt lgkmcnt(1)
	v_mov_b32_e32 v84, v146
	v_pk_add_f32 v[10:11], v[12:13], v[120:121] neg_lo:[0,1] neg_hi:[0,1]
	s_waitcnt vmcnt(2)
	v_mov_b32_e32 v12, v160
	v_mov_b32_e32 v13, v162
	v_pk_fma_f32 v[52:53], v[146:147], v[126:127], v[18:19] op_sel:[0,0,1] op_sel_hi:[1,1,0] neg_lo:[1,0,0] neg_hi:[1,0,0]
	v_pk_fma_f32 v[18:19], v[84:85], v[126:127], v[18:19] op_sel:[0,0,1] op_sel_hi:[1,1,0]
	v_mov_b32_e32 v160, v163
	v_mov_b32_e32 v53, v19
	v_pk_mul_f32 v[12:13], v[146:147], v[12:13]
	s_waitcnt lgkmcnt(0)
	v_mov_b32_e32 v134, v156
	v_pk_add_f32 v[10:11], v[10:11], v[52:53] neg_lo:[0,1] neg_hi:[0,1]
	v_pk_fma_f32 v[52:53], v[156:157], v[160:161], v[12:13] op_sel:[0,0,1] op_sel_hi:[1,1,0] neg_lo:[1,0,0] neg_hi:[1,0,0]
	v_pk_fma_f32 v[12:13], v[134:135], v[160:161], v[12:13] op_sel:[0,0,1] op_sel_hi:[1,1,0]
	scratch_load_dwordx4 v[128:131], off, off offset:96
	v_mov_b32_e32 v53, v13
	v_pk_add_f32 v[10:11], v[10:11], v[52:53] neg_lo:[0,1] neg_hi:[0,1]
	ds_read2_b32 v[52:53], v164 offset0:29 offset1:30
	v_mov_b32_e32 v18, v148
	v_mov_b32_e32 v19, v150
	;; [unrolled: 1-line block ×3, first 2 shown]
	scratch_load_dwordx4 v[150:153], off, off offset:112
	ds_read2_b32 v[64:65], v164 offset0:35 offset1:36
	ds_read2_b32 v[84:85], v164 offset0:31 offset1:32
	;; [unrolled: 1-line block ×3, first 2 shown]
	s_waitcnt vmcnt(3)
	v_mov_b32_e32 v12, v122
	v_mov_b32_e32 v13, v124
	v_pk_mul_f32 v[18:19], v[156:157], v[18:19]
	s_waitcnt lgkmcnt(3)
	v_mov_b32_e32 v146, v52
	v_mov_b32_e32 v122, v125
	v_pk_fma_f32 v[124:125], v[52:53], v[148:149], v[18:19] op_sel:[0,0,1] op_sel_hi:[1,1,0] neg_lo:[1,0,0] neg_hi:[1,0,0]
	v_pk_fma_f32 v[18:19], v[146:147], v[148:149], v[18:19] op_sel:[0,0,1] op_sel_hi:[1,1,0]
	v_pk_mul_f32 v[12:13], v[52:53], v[12:13]
	s_waitcnt lgkmcnt(1)
	v_mov_b32_e32 v156, v84
	v_mov_b32_e32 v125, v19
	v_mov_b32_e32 v18, v22
	v_mov_b32_e32 v19, v24
	v_mov_b32_e32 v22, v25
	v_pk_fma_f32 v[24:25], v[84:85], v[122:123], v[12:13] op_sel:[0,0,1] op_sel_hi:[1,1,0] neg_lo:[1,0,0] neg_hi:[1,0,0]
	v_pk_fma_f32 v[12:13], v[156:157], v[122:123], v[12:13] op_sel:[0,0,1] op_sel_hi:[1,1,0]
	v_pk_add_f32 v[10:11], v[10:11], v[124:125] neg_lo:[0,1] neg_hi:[0,1]
	v_mov_b32_e32 v25, v13
	v_mov_b32_e32 v12, v104
	;; [unrolled: 1-line block ×3, first 2 shown]
	v_pk_mul_f32 v[18:19], v[84:85], v[18:19]
	s_waitcnt lgkmcnt(0)
	v_mov_b32_e32 v52, v120
	v_pk_add_f32 v[10:11], v[10:11], v[24:25] neg_lo:[0,1] neg_hi:[0,1]
	v_mov_b32_e32 v104, v107
	v_pk_fma_f32 v[24:25], v[120:121], v[22:23], v[18:19] op_sel:[0,0,1] op_sel_hi:[1,1,0] neg_lo:[1,0,0] neg_hi:[1,0,0]
	v_pk_fma_f32 v[18:19], v[52:53], v[22:23], v[18:19] op_sel:[0,0,1] op_sel_hi:[1,1,0]
	v_pk_mul_f32 v[12:13], v[120:121], v[12:13]
	v_mov_b32_e32 v84, v64
	v_mov_b32_e32 v25, v19
	v_pk_fma_f32 v[18:19], v[84:85], v[104:105], v[12:13] op_sel:[0,0,1] op_sel_hi:[1,1,0] neg_lo:[1,0,0] neg_hi:[1,0,0]
	v_pk_fma_f32 v[12:13], v[84:85], v[104:105], v[12:13] op_sel:[0,0,1] op_sel_hi:[1,1,0]
	v_pk_add_f32 v[10:11], v[10:11], v[24:25] neg_lo:[0,1] neg_hi:[0,1]
	v_mov_b32_e32 v19, v13
	scratch_load_dwordx2 v[84:85], off, off
	v_mul_f32_e32 v22, v121, v107
	ds_read2_b32 v[12:13], v164 offset0:37 offset1:38
	v_fmac_f32_e32 v22, v64, v106
	v_pk_add_f32 v[10:11], v[10:11], v[18:19] neg_lo:[0,1] neg_hi:[0,1]
	v_mul_f32_e32 v53, v65, v99
	v_sub_f32_e32 v11, v11, v22
	ds_read2_b32 v[18:19], v164 offset0:39 offset1:40
	ds_read2_b32 v[22:23], v164 offset0:41 offset1:42
	ds_read2_b32 v[24:25], v164 offset0:43 offset1:44
	s_waitcnt lgkmcnt(3)
	v_mul_f32_e32 v52, v12, v99
	v_fmac_f32_e32 v53, v12, v98
	s_waitcnt lgkmcnt(2)
	v_mul_f32_e32 v12, v18, v27
	v_fma_f32 v52, v65, v98, -v52
	v_fma_f32 v12, v13, v26, -v12
	v_mul_f32_e32 v13, v13, v27
	v_sub_f32_e32 v10, v10, v52
	v_sub_f32_e32 v11, v11, v53
	v_fmac_f32_e32 v13, v18, v26
	v_sub_f32_e32 v10, v10, v12
	v_sub_f32_e32 v11, v11, v13
	s_waitcnt lgkmcnt(1)
	v_mul_f32_e32 v12, v22, v115
	v_mul_f32_e32 v13, v19, v115
	v_fma_f32 v12, v19, v114, -v12
	v_fmac_f32_e32 v13, v22, v114
	v_sub_f32_e32 v10, v10, v12
	v_sub_f32_e32 v12, v11, v13
	s_waitcnt lgkmcnt(0)
	v_mul_f32_e32 v11, v24, v183
	v_fma_f32 v11, v23, v182, -v11
	v_mul_f32_e32 v13, v23, v183
	v_fmac_f32_e32 v13, v24, v182
	v_sub_f32_e32 v24, v10, v11
	ds_read2_b32 v[10:11], v164 offset0:45 offset1:46
	v_sub_f32_e32 v26, v12, v13
	ds_read2_b32 v[12:13], v164 offset0:47 offset1:48
	ds_read2_b32 v[18:19], v164 offset0:49 offset1:50
	;; [unrolled: 1-line block ×3, first 2 shown]
	scratch_load_dwordx2 v[124:125], off, off offset:72
	s_waitcnt lgkmcnt(3)
	v_mul_f32_e32 v27, v10, v117
	v_fma_f32 v27, v25, v116, -v27
	v_mul_f32_e32 v25, v25, v117
	v_fmac_f32_e32 v25, v10, v116
	v_sub_f32_e32 v10, v24, v27
	v_sub_f32_e32 v24, v26, v25
	s_waitcnt lgkmcnt(2)
	v_mul_f32_e32 v25, v12, v33
	v_fma_f32 v25, v11, v32, -v25
	v_mul_f32_e32 v11, v11, v33
	v_fmac_f32_e32 v11, v12, v32
	s_waitcnt lgkmcnt(1)
	v_mul_f32_e32 v12, v18, v41
	v_fma_f32 v12, v13, v40, -v12
	v_mul_f32_e32 v13, v13, v41
	v_sub_f32_e32 v11, v24, v11
	v_fmac_f32_e32 v13, v18, v40
	v_sub_f32_e32 v10, v10, v25
	v_sub_f32_e32 v11, v11, v13
	v_mul_f32_e32 v13, v19, v49
	v_sub_f32_e32 v10, v10, v12
	s_waitcnt lgkmcnt(0)
	v_mul_f32_e32 v12, v22, v49
	v_fmac_f32_e32 v13, v22, v48
	v_fma_f32 v12, v19, v48, -v12
	v_sub_f32_e32 v11, v11, v13
	v_sub_f32_e32 v10, v10, v12
	v_mul_f32_e32 v12, v165, v11
	v_mul_f32_e32 v53, v23, v11
	v_fma_f32 v52, v23, v10, -v12
	v_fmac_f32_e32 v53, v165, v10
	scratch_load_dwordx4 v[10:13], off, off offset:80
	v_add_u32_e32 v18, s5, v1
	s_or_b32 s5, s10, 27
	s_lshl_b32 s12, s5, 9
	s_add_i32 s11, s4, s12
	ds_write_b64 v18, v[52:53]
	v_mov_b32_e32 v134, s11
	ds_read_b128 v[22:25], v134
	ds_read_b128 v[104:107], v134 offset:16
	ds_read_b128 v[114:117], v134 offset:32
	;; [unrolled: 1-line block ×3, first 2 shown]
	scratch_load_dwordx2 v[126:127], off, off
	scratch_load_dwordx2 v[98:99], off, off
	;; [unrolled: 1-line block ×3, first 2 shown]
	s_mulk_i32 s5, 0x208
	s_waitcnt lgkmcnt(1)
	v_mul_f32_e32 v27, v114, v57
	v_fmac_f32_e32 v27, v115, v56
	s_waitcnt vmcnt(5)
	v_mul_f32_e32 v18, v23, v85
	v_fma_f32 v18, v22, v84, -v18
	v_mul_f32_e32 v19, v22, v85
	v_mul_f32_e32 v22, v25, v29
	v_sub_f32_e32 v18, v144, v18
	v_fma_f32 v22, v24, v28, -v22
	v_fmac_f32_e32 v19, v23, v84
	v_mul_f32_e32 v23, v24, v29
	v_sub_f32_e32 v18, v18, v22
	v_mul_f32_e32 v22, v105, v87
	v_sub_f32_e32 v19, v145, v19
	v_fmac_f32_e32 v23, v25, v28
	v_fma_f32 v22, v104, v86, -v22
	v_sub_f32_e32 v19, v19, v23
	v_mul_f32_e32 v23, v104, v87
	v_sub_f32_e32 v18, v18, v22
	v_mul_f32_e32 v22, v107, v103
	v_fmac_f32_e32 v23, v105, v86
	v_fma_f32 v22, v106, v102, -v22
	v_sub_f32_e32 v19, v19, v23
	v_mul_f32_e32 v23, v106, v103
	v_sub_f32_e32 v18, v18, v22
	v_mul_f32_e32 v22, v115, v57
	v_fmac_f32_e32 v23, v107, v102
	v_fma_f32 v26, v114, v56, -v22
	v_sub_f32_e32 v19, v19, v23
	v_sub_f32_e32 v18, v18, v26
	v_mul_f32_e32 v26, v117, v69
	v_sub_f32_e32 v19, v19, v27
	v_fma_f32 v26, v116, v68, -v26
	v_mul_f32_e32 v27, v116, v69
	v_fmac_f32_e32 v27, v117, v68
	v_sub_f32_e32 v18, v18, v26
	s_waitcnt lgkmcnt(0)
	v_mul_f32_e32 v26, v121, v109
	scratch_load_dwordx4 v[22:25], off, off offset:104
	v_sub_f32_e32 v19, v19, v27
	v_fma_f32 v26, v120, v108, -v26
	v_mul_f32_e32 v27, v120, v109
	v_fmac_f32_e32 v27, v121, v108
	v_sub_f32_e32 v18, v18, v26
	v_mul_f32_e32 v26, v123, v113
	v_sub_f32_e32 v19, v19, v27
	v_fma_f32 v56, v122, v112, -v26
	ds_read_b128 v[26:29], v134 offset:64
	ds_read_b96 v[144:146], v134 offset:80
	scratch_load_dwordx4 v[104:107], off, off offset:120
	v_mul_f32_e32 v57, v122, v113
	v_sub_f32_e32 v18, v18, v56
	s_waitcnt lgkmcnt(1)
	v_mul_f32_e32 v56, v27, v119
	v_fmac_f32_e32 v57, v123, v112
	v_fma_f32 v56, v26, v118, -v56
	v_mul_f32_e32 v85, v26, v119
	v_pk_add_f32 v[18:19], v[18:19], v[56:57] neg_lo:[0,1] neg_hi:[0,1]
	s_waitcnt vmcnt(6)
	v_mul_f32_e32 v56, v29, v125
	v_mov_b32_e32 v86, v29
	s_waitcnt lgkmcnt(0)
	v_mov_b32_e32 v87, v144
	v_mov_b32_e32 v116, v124
	;; [unrolled: 1-line block ×3, first 2 shown]
	v_fmac_f32_e32 v85, v27, v118
	v_mov_b32_e32 v26, v145
	v_mov_b32_e32 v27, v146
	v_fma_f32 v84, v28, v124, -v56
	v_pk_mul_f32 v[86:87], v[86:87], v[116:117]
	v_mov_b32_e32 v116, v145
	v_mov_b32_e32 v117, v28
	;; [unrolled: 1-line block ×4, first 2 shown]
	v_pk_fma_f32 v[28:29], v[26:27], v[28:29], v[86:87] op_sel:[0,0,1] op_sel_hi:[1,1,0] neg_lo:[1,0,0] neg_hi:[1,0,0]
	v_pk_fma_f32 v[86:87], v[116:117], v[124:125], v[86:87] op_sel:[0,0,1] op_sel_hi:[1,1,0]
	scratch_load_dwordx4 v[112:115], off, off offset:128
	scratch_load_dwordx2 v[108:109], off, off offset:72
	scratch_load_dwordx2 v[102:103], off, off offset:72
	;; [unrolled: 1-line block ×3, first 2 shown]
	v_mov_b32_e32 v29, v87
	ds_read2_b32 v[86:87], v134 offset0:23 offset1:24
	v_pk_add_f32 v[56:57], v[18:19], v[84:85] neg_lo:[0,1] neg_hi:[0,1]
	v_mov_b32_e32 v85, v20
	s_waitcnt vmcnt(9)
	v_mov_b32_e32 v20, v13
	v_mov_b32_e32 v123, v144
	s_waitcnt lgkmcnt(0)
	v_mov_b32_e32 v122, v86
	scratch_load_dwordx2 v[18:19], off, off offset:88
	v_mov_b32_e32 v84, v12
	v_pk_add_f32 v[28:29], v[56:57], v[28:29] neg_lo:[0,1] neg_hi:[0,1]
	v_mov_b32_e32 v56, v12
	v_mov_b32_e32 v57, v128
	ds_read2_b32 v[116:117], v134 offset0:25 offset1:26
	ds_read2_b32 v[118:119], v134 offset0:27 offset1:28
	;; [unrolled: 1-line block ×3, first 2 shown]
	v_pk_mul_f32 v[20:21], v[122:123], v[20:21]
	v_mov_b32_e32 v12, v129
	v_pk_fma_f32 v[122:123], v[26:27], v[56:57], v[20:21] op_sel:[1,0,0] op_sel_hi:[0,1,1] neg_lo:[0,0,1] neg_hi:[0,0,1]
	v_pk_fma_f32 v[20:21], v[26:27], v[84:85], v[20:21] op_sel:[1,0,0] op_sel_hi:[0,1,1]
	v_mov_b32_e32 v123, v21
	v_pk_add_f32 v[20:21], v[28:29], v[122:123] neg_lo:[0,1] neg_hi:[0,1]
	v_pk_mul_f32 v[26:27], v[86:87], v[56:57]
	s_waitcnt lgkmcnt(2)
	v_mov_b32_e32 v28, v116
	v_mov_b32_e32 v29, v146
	v_pk_fma_f32 v[56:57], v[116:117], v[12:13], v[26:27] op_sel:[0,0,1] op_sel_hi:[1,1,0] neg_lo:[1,0,0] neg_hi:[1,0,0]
	v_pk_fma_f32 v[12:13], v[28:29], v[12:13], v[26:27] op_sel:[0,0,1] op_sel_hi:[1,1,0]
	v_mov_b32_e32 v84, v128
	v_mov_b32_e32 v57, v13
	v_pk_add_f32 v[12:13], v[20:21], v[56:57] neg_lo:[0,1] neg_hi:[0,1]
	scratch_load_dwordx2 v[20:21], off, off offset:168
	scratch_load_dwordx4 v[26:29], off, off offset:104
	v_mov_b32_e32 v85, v130
	v_mov_b32_e32 v128, v131
	v_pk_mul_f32 v[84:85], v[116:117], v[84:85]
	s_waitcnt lgkmcnt(1)
	v_mov_b32_e32 v86, v118
	s_waitcnt lgkmcnt(0)
	v_mov_b32_e32 v116, v120
	s_waitcnt vmcnt(8)
	v_mov_b32_e32 v56, v22
	v_mov_b32_e32 v57, v24
	;; [unrolled: 1-line block ×3, first 2 shown]
	v_pk_fma_f32 v[24:25], v[118:119], v[128:129], v[84:85] op_sel:[0,0,1] op_sel_hi:[1,1,0] neg_lo:[1,0,0] neg_hi:[1,0,0]
	v_pk_fma_f32 v[84:85], v[86:87], v[128:129], v[84:85] op_sel:[0,0,1] op_sel_hi:[1,1,0]
	s_nop 0
	v_mov_b32_e32 v25, v85
	v_pk_add_f32 v[12:13], v[12:13], v[24:25] neg_lo:[0,1] neg_hi:[0,1]
	v_pk_mul_f32 v[24:25], v[118:119], v[56:57]
	v_mov_b32_e32 v84, v150
	v_pk_fma_f32 v[56:57], v[120:121], v[22:23], v[24:25] op_sel:[0,0,1] op_sel_hi:[1,1,0] neg_lo:[1,0,0] neg_hi:[1,0,0]
	v_pk_fma_f32 v[22:23], v[116:117], v[22:23], v[24:25] op_sel:[0,0,1] op_sel_hi:[1,1,0]
	ds_read2_b32 v[116:117], v134 offset0:31 offset1:32
	v_mov_b32_e32 v57, v23
	v_pk_add_f32 v[12:13], v[12:13], v[56:57] neg_lo:[0,1] neg_hi:[0,1]
	scratch_load_dwordx4 v[22:25], off, off offset:120
	s_waitcnt vmcnt(8)
	v_mov_b32_e32 v56, v104
	v_mov_b32_e32 v57, v106
	;; [unrolled: 1-line block ×3, first 2 shown]
	ds_read2_b32 v[106:107], v134 offset0:37 offset1:38
	ds_read2_b32 v[122:123], v134 offset0:33 offset1:34
	;; [unrolled: 1-line block ×3, first 2 shown]
	v_mov_b32_e32 v85, v152
	v_mov_b32_e32 v150, v153
	v_pk_mul_f32 v[84:85], v[120:121], v[84:85]
	s_waitcnt lgkmcnt(3)
	v_mov_b32_e32 v118, v116
	v_pk_fma_f32 v[86:87], v[116:117], v[150:151], v[84:85] op_sel:[0,0,1] op_sel_hi:[1,1,0] neg_lo:[1,0,0] neg_hi:[1,0,0]
	v_pk_fma_f32 v[84:85], v[118:119], v[150:151], v[84:85] op_sel:[0,0,1] op_sel_hi:[1,1,0]
	v_pk_mul_f32 v[56:57], v[116:117], v[56:57]
	s_waitcnt lgkmcnt(1)
	v_mov_b32_e32 v120, v122
	v_mov_b32_e32 v87, v85
	v_pk_add_f32 v[12:13], v[12:13], v[86:87] neg_lo:[0,1] neg_hi:[0,1]
	s_waitcnt lgkmcnt(0)
	v_mov_b32_e32 v116, v124
	scratch_load_dwordx4 v[84:87], off, off offset:128
	s_waitcnt vmcnt(8)
	v_mov_b32_e32 v118, v112
	v_mov_b32_e32 v119, v114
	;; [unrolled: 1-line block ×3, first 2 shown]
	v_pk_fma_f32 v[114:115], v[122:123], v[104:105], v[56:57] op_sel:[0,0,1] op_sel_hi:[1,1,0] neg_lo:[1,0,0] neg_hi:[1,0,0]
	v_pk_fma_f32 v[56:57], v[120:121], v[104:105], v[56:57] op_sel:[0,0,1] op_sel_hi:[1,1,0]
	v_pk_mul_f32 v[104:105], v[122:123], v[118:119]
	v_mov_b32_e32 v115, v57
	v_mov_b32_e32 v56, v14
	;; [unrolled: 1-line block ×3, first 2 shown]
	v_pk_add_f32 v[12:13], v[12:13], v[114:115] neg_lo:[0,1] neg_hi:[0,1]
	v_mov_b32_e32 v14, v17
	v_pk_fma_f32 v[114:115], v[124:125], v[112:113], v[104:105] op_sel:[0,0,1] op_sel_hi:[1,1,0] neg_lo:[1,0,0] neg_hi:[1,0,0]
	v_pk_fma_f32 v[104:105], v[116:117], v[112:113], v[104:105] op_sel:[0,0,1] op_sel_hi:[1,1,0]
	v_pk_mul_f32 v[56:57], v[124:125], v[56:57]
	v_mov_b32_e32 v122, v106
	v_mov_b32_e32 v115, v105
	v_pk_fma_f32 v[104:105], v[122:123], v[14:15], v[56:57] op_sel:[0,0,1] op_sel_hi:[1,1,0] neg_lo:[1,0,0] neg_hi:[1,0,0]
	v_pk_fma_f32 v[14:15], v[122:123], v[14:15], v[56:57] op_sel:[0,0,1] op_sel_hi:[1,1,0]
	v_pk_add_f32 v[12:13], v[12:13], v[114:115] neg_lo:[0,1] neg_hi:[0,1]
	v_mov_b32_e32 v105, v15
	ds_read2_b32 v[14:15], v134 offset0:39 offset1:40
	v_mul_f32_e32 v17, v125, v17
	v_fmac_f32_e32 v17, v106, v16
	v_pk_add_f32 v[12:13], v[12:13], v[104:105] neg_lo:[0,1] neg_hi:[0,1]
	s_waitcnt lgkmcnt(0)
	v_mul_f32_e32 v106, v14, v89
	v_sub_f32_e32 v13, v13, v17
	ds_read2_b32 v[16:17], v134 offset0:41 offset1:42
	ds_read2_b32 v[56:57], v134 offset0:43 offset1:44
	;; [unrolled: 1-line block ×3, first 2 shown]
	v_mul_f32_e32 v89, v107, v89
	scratch_load_dwordx2 v[124:125], off, off offset:8
	scratch_load_dwordx2 v[128:129], off, off offset:168
	v_fmac_f32_e32 v89, v14, v88
	s_waitcnt lgkmcnt(2)
	v_mul_f32_e32 v14, v16, v97
	v_fma_f32 v106, v107, v88, -v106
	v_fma_f32 v14, v15, v96, -v14
	v_mul_f32_e32 v15, v15, v97
	v_sub_f32_e32 v12, v12, v106
	v_sub_f32_e32 v13, v13, v89
	v_fmac_f32_e32 v15, v16, v96
	v_sub_f32_e32 v12, v12, v14
	v_sub_f32_e32 v13, v13, v15
	s_waitcnt vmcnt(5) lgkmcnt(1)
	v_mul_f32_e32 v14, v56, v21
	v_mul_f32_e32 v15, v17, v21
	v_fma_f32 v14, v17, v20, -v14
	v_fmac_f32_e32 v15, v56, v20
	v_sub_f32_e32 v12, v12, v14
	v_sub_f32_e32 v13, v13, v15
	s_waitcnt lgkmcnt(0)
	v_mul_f32_e32 v14, v104, v101
	v_mul_f32_e32 v15, v57, v101
	v_fma_f32 v14, v57, v100, -v14
	v_fmac_f32_e32 v15, v104, v100
	v_sub_f32_e32 v88, v12, v14
	v_sub_f32_e32 v89, v13, v15
	ds_read2_b32 v[12:13], v134 offset0:47 offset1:48
	scratch_load_dwordx2 v[16:17], off, off offset:40
	ds_read2_b32 v[14:15], v134 offset0:49 offset1:50
	ds_read2_b32 v[20:21], v134 offset0:51 offset1:52
	;; [unrolled: 1-line block ×3, first 2 shown]
	v_mul_f32_e32 v97, v105, v33
	s_waitcnt lgkmcnt(3)
	v_mul_f32_e32 v96, v12, v33
	v_fma_f32 v96, v105, v32, -v96
	v_fmac_f32_e32 v97, v12, v32
	v_sub_f32_e32 v12, v88, v96
	v_sub_f32_e32 v88, v89, v97
	s_waitcnt lgkmcnt(2)
	v_mul_f32_e32 v89, v14, v41
	v_fma_f32 v89, v13, v40, -v89
	v_mul_f32_e32 v13, v13, v41
	v_fmac_f32_e32 v13, v14, v40
	s_waitcnt lgkmcnt(1)
	v_mul_f32_e32 v14, v20, v49
	v_fma_f32 v14, v15, v48, -v14
	v_mul_f32_e32 v15, v15, v49
	v_sub_f32_e32 v12, v12, v89
	v_sub_f32_e32 v13, v88, v13
	v_fmac_f32_e32 v15, v20, v48
	v_sub_f32_e32 v12, v12, v14
	v_sub_f32_e32 v13, v13, v15
	s_waitcnt lgkmcnt(0)
	v_mul_f32_e32 v14, v56, v53
	v_mul_f32_e32 v15, v21, v53
	v_fma_f32 v14, v21, v52, -v14
	v_fmac_f32_e32 v15, v56, v52
	v_sub_f32_e32 v88, v12, v14
	v_sub_f32_e32 v12, v13, v15
	v_mov_b32_e32 v13, s5
	scratch_load_dwordx2 v[20:21], off, off offset:80
	ds_read_b32 v89, v13 offset:4
	s_or_b32 s5, s10, 28
	s_lshl_b32 s11, s5, 9
	s_add_i32 s13, s4, s11
	v_mov_b32_e32 v144, s13
	s_waitcnt lgkmcnt(0)
	v_mul_f32_e32 v13, v89, v12
	v_fma_f32 v56, v57, v88, -v13
	v_mul_f32_e32 v57, v57, v12
	scratch_load_dwordx4 v[12:15], off, off offset:88
	ds_read_b128 v[104:107], v144
	v_fmac_f32_e32 v57, v89, v88
	v_add_u32_e32 v88, s12, v1
	ds_write_b64 v88, v[56:57]
	ds_read_b128 v[112:115], v144 offset:16
	ds_read_b128 v[116:119], v144 offset:32
	;; [unrolled: 1-line block ×3, first 2 shown]
	s_waitcnt lgkmcnt(4)
	v_mul_f32_e32 v88, v105, v127
	v_fma_f32 v88, v104, v126, -v88
	v_mul_f32_e32 v89, v104, v127
	v_sub_f32_e32 v88, v142, v88
	v_fmac_f32_e32 v89, v105, v126
	v_sub_f32_e32 v89, v143, v89
	scratch_load_dwordx2 v[100:101], off, off offset:8
	scratch_load_dwordx2 v[96:97], off, off offset:8
	s_mulk_i32 s5, 0x208
	s_or_b32 s12, s10, 29
	s_waitcnt vmcnt(6)
	v_mul_f32_e32 v104, v107, v125
	v_fma_f32 v104, v106, v124, -v104
	v_mul_f32_e32 v105, v106, v125
	v_sub_f32_e32 v88, v88, v104
	s_waitcnt lgkmcnt(2)
	v_mul_f32_e32 v104, v113, v61
	v_fmac_f32_e32 v105, v107, v124
	v_fma_f32 v104, v112, v60, -v104
	v_mul_f32_e32 v61, v112, v61
	v_sub_f32_e32 v89, v89, v105
	v_fmac_f32_e32 v61, v113, v60
	v_sub_f32_e32 v60, v88, v104
	v_mul_f32_e32 v88, v115, v73
	v_mul_f32_e32 v73, v114, v73
	v_sub_f32_e32 v61, v89, v61
	v_fmac_f32_e32 v73, v115, v72
	v_fma_f32 v88, v114, v72, -v88
	v_sub_f32_e32 v61, v61, v73
	s_waitcnt lgkmcnt(1)
	v_mul_f32_e32 v72, v117, v179
	v_mul_f32_e32 v73, v116, v179
	v_sub_f32_e32 v60, v60, v88
	v_fma_f32 v72, v116, v178, -v72
	v_fmac_f32_e32 v73, v117, v178
	v_sub_f32_e32 v60, v60, v72
	v_sub_f32_e32 v61, v61, v73
	scratch_load_dwordx2 v[106:107], off, off offset:40
	scratch_load_dwordx2 v[72:73], off, off offset:40
	s_waitcnt vmcnt(6)
	v_mul_f32_e32 v88, v119, v17
	v_mul_f32_e32 v17, v118, v17
	scratch_load_dwordx4 v[112:115], off, off offset:112
	v_fma_f32 v88, v118, v16, -v88
	v_fmac_f32_e32 v17, v119, v16
	ds_read_b128 v[116:119], v144 offset:64
	v_sub_f32_e32 v16, v60, v88
	s_waitcnt lgkmcnt(1)
	v_mul_f32_e32 v60, v121, v77
	v_fma_f32 v60, v120, v76, -v60
	v_sub_f32_e32 v17, v61, v17
	v_mul_f32_e32 v61, v120, v77
	v_sub_f32_e32 v16, v16, v60
	v_mul_f32_e32 v60, v123, v91
	v_fmac_f32_e32 v61, v121, v76
	v_fma_f32 v60, v122, v90, -v60
	v_sub_f32_e32 v17, v17, v61
	v_mul_f32_e32 v61, v122, v91
	v_sub_f32_e32 v16, v16, v60
	s_waitcnt lgkmcnt(0)
	v_mul_f32_e32 v60, v117, v93
	v_fmac_f32_e32 v61, v123, v90
	v_fma_f32 v60, v116, v92, -v60
	v_sub_f32_e32 v17, v17, v61
	v_mul_f32_e32 v61, v116, v93
	v_sub_f32_e32 v16, v16, v60
	v_mul_f32_e32 v60, v119, v109
	v_fmac_f32_e32 v61, v117, v92
	v_fma_f32 v60, v118, v108, -v60
	v_mul_f32_e32 v89, v118, v109
	v_fmac_f32_e32 v89, v119, v108
	v_pk_add_f32 v[16:17], v[16:17], v[60:61] neg_lo:[0,1] neg_hi:[0,1]
	ds_read_b96 v[124:126], v144 offset:80
	ds_read2_b32 v[60:61], v144 offset0:23 offset1:24
	scratch_load_dwordx4 v[116:119], off, off offset:136
	scratch_load_dwordx2 v[90:91], off, off offset:80
	scratch_load_dwordx2 v[76:77], off, off offset:80
	scratch_load_dwordx4 v[120:123], off, off offset:144
	s_waitcnt vmcnt(10)
	v_mov_b32_e32 v108, v20
	s_waitcnt lgkmcnt(1)
	v_mul_f32_e32 v88, v125, v21
	v_mov_b32_e32 v104, v125
	v_mov_b32_e32 v105, v126
	;; [unrolled: 1-line block ×3, first 2 shown]
	v_fma_f32 v88, v124, v20, -v88
	v_pk_mul_f32 v[104:105], v[104:105], v[108:109]
	s_waitcnt lgkmcnt(0)
	v_mov_b32_e32 v108, v60
	v_mov_b32_e32 v109, v124
	;; [unrolled: 1-line block ×4, first 2 shown]
	v_pk_fma_f32 v[124:125], v[60:61], v[124:125], v[104:105] op_sel:[0,0,1] op_sel_hi:[1,1,0] neg_lo:[1,0,0] neg_hi:[1,0,0]
	v_pk_fma_f32 v[20:21], v[108:109], v[20:21], v[104:105] op_sel:[0,0,1] op_sel_hi:[1,1,0]
	ds_read2_b32 v[104:105], v144 offset0:25 offset1:26
	v_pk_add_f32 v[16:17], v[16:17], v[88:89] neg_lo:[0,1] neg_hi:[0,1]
	v_mov_b32_e32 v125, v21
	scratch_load_dwordx2 v[88:89], off, off offset:96
	v_mov_b32_e32 v93, v18
	s_waitcnt vmcnt(10)
	v_mov_b32_e32 v18, v15
	v_pk_add_f32 v[16:17], v[16:17], v[124:125] neg_lo:[0,1] neg_hi:[0,1]
	ds_read2_b32 v[108:109], v144 offset0:27 offset1:28
	ds_read2_b32 v[124:125], v144 offset0:29 offset1:30
	ds_read2_b32 v[130:131], v144 offset0:31 offset1:32
	s_waitcnt lgkmcnt(3)
	v_mov_b32_e32 v134, v104
	v_mov_b32_e32 v135, v126
	;; [unrolled: 1-line block ×5, first 2 shown]
	v_pk_mul_f32 v[18:19], v[134:135], v[18:19]
	v_mov_b32_e32 v14, v27
	v_pk_fma_f32 v[126:127], v[60:61], v[20:21], v[18:19] op_sel:[1,0,0] op_sel_hi:[0,1,1] neg_lo:[0,0,1] neg_hi:[0,0,1]
	v_pk_fma_f32 v[18:19], v[60:61], v[92:93], v[18:19] op_sel:[1,0,0] op_sel_hi:[0,1,1]
	v_mov_b32_e32 v127, v19
	v_pk_mul_f32 v[18:19], v[104:105], v[20:21]
	s_waitcnt lgkmcnt(2)
	v_mov_b32_e32 v60, v108
	v_pk_fma_f32 v[20:21], v[108:109], v[14:15], v[18:19] op_sel:[0,0,1] op_sel_hi:[1,1,0] neg_lo:[1,0,0] neg_hi:[1,0,0]
	v_pk_fma_f32 v[14:15], v[60:61], v[14:15], v[18:19] op_sel:[0,0,1] op_sel_hi:[1,1,0]
	v_pk_add_f32 v[16:17], v[16:17], v[126:127] neg_lo:[0,1] neg_hi:[0,1]
	v_mov_b32_e32 v21, v15
	v_pk_add_f32 v[14:15], v[16:17], v[20:21] neg_lo:[0,1] neg_hi:[0,1]
	scratch_load_dwordx2 v[16:17], off, off offset:176
	scratch_load_dwordx4 v[18:21], off, off offset:112
	v_mov_b32_e32 v92, v26
	v_mov_b32_e32 v93, v28
	;; [unrolled: 1-line block ×3, first 2 shown]
	v_pk_mul_f32 v[60:61], v[108:109], v[92:93]
	s_waitcnt lgkmcnt(1)
	v_mov_b32_e32 v104, v124
	v_pk_fma_f32 v[92:93], v[124:125], v[26:27], v[60:61] op_sel:[0,0,1] op_sel_hi:[1,1,0] neg_lo:[1,0,0] neg_hi:[1,0,0]
	v_pk_fma_f32 v[26:27], v[104:105], v[26:27], v[60:61] op_sel:[0,0,1] op_sel_hi:[1,1,0]
	ds_read2_b32 v[60:61], v144 offset0:33 offset1:34
	s_waitcnt lgkmcnt(1)
	v_mov_b32_e32 v108, v130
	v_mov_b32_e32 v93, v27
	s_waitcnt vmcnt(7)
	v_mov_b32_e32 v28, v112
	v_mov_b32_e32 v29, v114
	;; [unrolled: 1-line block ×3, first 2 shown]
	v_pk_mul_f32 v[28:29], v[124:125], v[28:29]
	v_mov_b32_e32 v26, v22
	v_mov_b32_e32 v27, v24
	v_mov_b32_e32 v22, v25
	v_pk_fma_f32 v[24:25], v[130:131], v[112:113], v[28:29] op_sel:[0,0,1] op_sel_hi:[1,1,0] neg_lo:[1,0,0] neg_hi:[1,0,0]
	v_pk_fma_f32 v[28:29], v[108:109], v[112:113], v[28:29] op_sel:[0,0,1] op_sel_hi:[1,1,0]
	v_pk_add_f32 v[14:15], v[14:15], v[92:93] neg_lo:[0,1] neg_hi:[0,1]
	v_mov_b32_e32 v25, v29
	v_mov_b32_e32 v28, v84
	;; [unrolled: 1-line block ×4, first 2 shown]
	ds_read2_b32 v[86:87], v144 offset0:39 offset1:40
	ds_read2_b32 v[92:93], v144 offset0:35 offset1:36
	ds_read2_b32 v[104:105], v144 offset0:37 offset1:38
	v_pk_add_f32 v[14:15], v[14:15], v[24:25] neg_lo:[0,1] neg_hi:[0,1]
	v_pk_mul_f32 v[24:25], v[130:131], v[26:27]
	s_waitcnt lgkmcnt(3)
	v_mov_b32_e32 v124, v60
	v_pk_fma_f32 v[26:27], v[60:61], v[22:23], v[24:25] op_sel:[0,0,1] op_sel_hi:[1,1,0] neg_lo:[1,0,0] neg_hi:[1,0,0]
	v_pk_fma_f32 v[22:23], v[124:125], v[22:23], v[24:25] op_sel:[0,0,1] op_sel_hi:[1,1,0]
	s_waitcnt lgkmcnt(1)
	v_mov_b32_e32 v130, v92
	v_mov_b32_e32 v27, v23
	v_pk_add_f32 v[14:15], v[14:15], v[26:27] neg_lo:[0,1] neg_hi:[0,1]
	v_pk_mul_f32 v[26:27], v[60:61], v[28:29]
	s_waitcnt lgkmcnt(0)
	v_mov_b32_e32 v60, v104
	v_pk_fma_f32 v[28:29], v[92:93], v[84:85], v[26:27] op_sel:[0,0,1] op_sel_hi:[1,1,0] neg_lo:[1,0,0] neg_hi:[1,0,0]
	v_pk_fma_f32 v[26:27], v[130:131], v[84:85], v[26:27] op_sel:[0,0,1] op_sel_hi:[1,1,0]
	s_waitcnt vmcnt(6)
	v_mov_b32_e32 v108, v116
	v_mov_b32_e32 v109, v118
	;; [unrolled: 1-line block ×3, first 2 shown]
	v_pk_mul_f32 v[108:109], v[92:93], v[108:109]
	s_waitcnt vmcnt(3)
	v_mov_b32_e32 v84, v120
	v_mov_b32_e32 v85, v122
	v_pk_fma_f32 v[112:113], v[104:105], v[116:117], v[108:109] op_sel:[0,0,1] op_sel_hi:[1,1,0] neg_lo:[1,0,0] neg_hi:[1,0,0]
	v_pk_fma_f32 v[60:61], v[60:61], v[116:117], v[108:109] op_sel:[0,0,1] op_sel_hi:[1,1,0]
	v_mov_b32_e32 v120, v123
	v_mov_b32_e32 v113, v61
	v_pk_mul_f32 v[60:61], v[104:105], v[84:85]
	v_mov_b32_e32 v92, v86
	v_pk_fma_f32 v[84:85], v[92:93], v[120:121], v[60:61] op_sel:[0,0,1] op_sel_hi:[1,1,0] neg_lo:[1,0,0] neg_hi:[1,0,0]
	v_pk_fma_f32 v[60:61], v[92:93], v[120:121], v[60:61] op_sel:[0,0,1] op_sel_hi:[1,1,0]
	v_mov_b32_e32 v29, v27
	v_mov_b32_e32 v85, v61
	ds_read2_b32 v[60:61], v144 offset0:41 offset1:42
	v_pk_add_f32 v[14:15], v[14:15], v[28:29] neg_lo:[0,1] neg_hi:[0,1]
	v_mul_f32_e32 v92, v105, v123
	v_pk_add_f32 v[14:15], v[14:15], v[112:113] neg_lo:[0,1] neg_hi:[0,1]
	v_fmac_f32_e32 v92, v86, v122
	s_waitcnt lgkmcnt(0)
	v_mul_f32_e32 v86, v60, v95
	v_pk_add_f32 v[14:15], v[14:15], v[84:85] neg_lo:[0,1] neg_hi:[0,1]
	v_fma_f32 v86, v87, v94, -v86
	v_mul_f32_e32 v87, v87, v95
	scratch_load_dwordx4 v[22:25], off, off offset:136
	scratch_load_dwordx4 v[26:29], off, off offset:144
	v_sub_f32_e32 v15, v15, v92
	ds_read2_b32 v[84:85], v144 offset0:43 offset1:44
	ds_read2_b32 v[108:109], v144 offset0:45 offset1:46
	;; [unrolled: 1-line block ×3, first 2 shown]
	v_fmac_f32_e32 v87, v60, v94
	scratch_load_dwordx2 v[104:105], off, off offset:176
	scratch_load_dwordx2 v[92:93], off, off offset:176
	;; [unrolled: 1-line block ×3, first 2 shown]
	s_waitcnt lgkmcnt(2)
	v_mul_f32_e32 v60, v84, v129
	v_sub_f32_e32 v14, v14, v86
	v_fma_f32 v60, v61, v128, -v60
	v_mul_f32_e32 v61, v61, v129
	v_sub_f32_e32 v15, v15, v87
	v_fmac_f32_e32 v61, v84, v128
	v_sub_f32_e32 v14, v14, v60
	v_sub_f32_e32 v15, v15, v61
	s_waitcnt lgkmcnt(0)
	v_mul_f32_e32 v87, v113, v41
	s_waitcnt vmcnt(6)
	v_mul_f32_e32 v60, v108, v17
	v_mul_f32_e32 v17, v85, v17
	v_fmac_f32_e32 v17, v108, v16
	v_fma_f32 v60, v85, v16, -v60
	v_sub_f32_e32 v16, v15, v17
	v_mul_f32_e32 v15, v112, v33
	v_mul_f32_e32 v17, v109, v33
	v_sub_f32_e32 v14, v14, v60
	v_fma_f32 v15, v109, v32, -v15
	v_fmac_f32_e32 v17, v112, v32
	v_sub_f32_e32 v84, v14, v15
	ds_read2_b32 v[14:15], v144 offset0:49 offset1:50
	v_sub_f32_e32 v85, v16, v17
	ds_read2_b32 v[16:17], v144 offset0:51 offset1:52
	ds_read2_b32 v[60:61], v144 offset0:53 offset1:54
	;; [unrolled: 1-line block ×3, first 2 shown]
	scratch_load_dwordx2 v[124:125], off, off offset:56
	scratch_load_dwordx2 v[126:127], off, off offset:64
	;; [unrolled: 1-line block ×3, first 2 shown]
	s_waitcnt lgkmcnt(3)
	v_mul_f32_e32 v86, v14, v41
	v_fma_f32 v86, v113, v40, -v86
	v_fmac_f32_e32 v87, v14, v40
	v_sub_f32_e32 v14, v84, v86
	v_sub_f32_e32 v84, v85, v87
	s_waitcnt lgkmcnt(2)
	v_mul_f32_e32 v85, v16, v49
	v_fma_f32 v85, v15, v48, -v85
	v_mul_f32_e32 v15, v15, v49
	v_fmac_f32_e32 v15, v16, v48
	s_waitcnt lgkmcnt(1)
	v_mul_f32_e32 v16, v60, v53
	v_sub_f32_e32 v14, v14, v85
	v_fma_f32 v16, v17, v52, -v16
	v_sub_f32_e32 v14, v14, v16
	s_waitcnt lgkmcnt(0)
	v_mul_f32_e32 v16, v108, v57
	v_fma_f32 v16, v61, v56, -v16
	v_sub_f32_e32 v14, v14, v16
	v_mov_b32_e32 v16, s5
	s_lshl_b32 s5, s12, 9
	s_add_i32 s13, s4, s5
	v_mul_f32_e32 v17, v17, v53
	ds_read_b32 v16, v16 offset:4
	v_mov_b32_e32 v134, s13
	v_sub_f32_e32 v15, v84, v15
	v_fmac_f32_e32 v17, v60, v52
	ds_read_b128 v[84:87], v134
	v_sub_f32_e32 v15, v15, v17
	v_mul_f32_e32 v17, v61, v57
	v_fmac_f32_e32 v17, v108, v56
	v_sub_f32_e32 v15, v15, v17
	s_waitcnt lgkmcnt(1)
	v_mul_f32_e32 v17, v16, v15
	v_mul_f32_e32 v61, v109, v15
	v_fma_f32 v60, v109, v14, -v17
	v_fmac_f32_e32 v61, v16, v14
	v_add_u32_e32 v14, s11, v1
	s_waitcnt lgkmcnt(0)
	v_mul_f32_e32 v108, v85, v99
	ds_write_b64 v14, v[60:61]
	v_fma_f32 v108, v84, v98, -v108
	v_mul_f32_e32 v84, v84, v99
	ds_read_b128 v[112:115], v134 offset:16
	ds_read_b128 v[116:119], v134 offset:32
	;; [unrolled: 1-line block ×3, first 2 shown]
	v_fmac_f32_e32 v84, v85, v98
	v_mul_f32_e32 v98, v87, v101
	v_fma_f32 v98, v86, v100, -v98
	v_mul_f32_e32 v86, v86, v101
	v_sub_f32_e32 v84, v141, v84
	v_fmac_f32_e32 v86, v87, v100
	v_sub_f32_e32 v85, v140, v108
	v_sub_f32_e32 v84, v84, v86
	s_waitcnt lgkmcnt(2)
	v_mul_f32_e32 v86, v113, v175
	v_mul_f32_e32 v87, v112, v175
	scratch_load_dwordx4 v[14:17], off, off offset:96
	v_sub_f32_e32 v85, v85, v98
	v_fma_f32 v86, v112, v174, -v86
	v_fmac_f32_e32 v87, v113, v174
	v_sub_f32_e32 v85, v85, v86
	v_sub_f32_e32 v84, v84, v87
	s_waitcnt vmcnt(4)
	v_mul_f32_e32 v86, v115, v95
	v_mul_f32_e32 v87, v114, v95
	v_fma_f32 v86, v114, v94, -v86
	v_fmac_f32_e32 v87, v115, v94
	v_sub_f32_e32 v85, v85, v86
	v_sub_f32_e32 v84, v84, v87
	s_waitcnt lgkmcnt(1)
	v_mul_f32_e32 v86, v117, v173
	v_mul_f32_e32 v87, v116, v173
	v_fma_f32 v86, v116, v172, -v86
	v_fmac_f32_e32 v87, v117, v172
	v_sub_f32_e32 v85, v85, v86
	v_sub_f32_e32 v84, v84, v87
	v_mul_f32_e32 v86, v119, v107
	v_mul_f32_e32 v87, v118, v107
	v_fma_f32 v86, v118, v106, -v86
	v_fmac_f32_e32 v87, v119, v106
	scratch_load_dwordx4 v[106:109], off, off offset:120
	v_sub_f32_e32 v94, v85, v86
	v_sub_f32_e32 v95, v84, v87
	ds_read_b128 v[84:87], v134 offset:64
	s_waitcnt lgkmcnt(1)
	v_mul_f32_e32 v100, v121, v133
	v_fma_f32 v100, v120, v132, -v100
	scratch_load_dwordx4 v[112:115], off, off offset:128
	v_mul_f32_e32 v101, v120, v133
	v_sub_f32_e32 v94, v94, v100
	s_waitcnt vmcnt(5)
	v_mul_f32_e32 v100, v123, v125
	v_fmac_f32_e32 v101, v121, v132
	v_fma_f32 v100, v122, v124, -v100
	v_sub_f32_e32 v95, v95, v101
	v_mul_f32_e32 v101, v122, v125
	v_sub_f32_e32 v94, v94, v100
	s_waitcnt vmcnt(4) lgkmcnt(0)
	v_mul_f32_e32 v100, v85, v127
	v_fmac_f32_e32 v101, v123, v124
	v_fma_f32 v100, v84, v126, -v100
	v_mul_f32_e32 v84, v84, v127
	v_sub_f32_e32 v95, v95, v101
	v_fmac_f32_e32 v84, v85, v126
	v_sub_f32_e32 v85, v95, v84
	v_mul_f32_e32 v84, v87, v103
	v_mul_f32_e32 v95, v86, v103
	v_sub_f32_e32 v94, v94, v100
	v_fma_f32 v84, v86, v102, -v84
	v_fmac_f32_e32 v95, v87, v102
	scratch_load_dwordx4 v[100:103], off, off offset:152
	scratch_load_dwordx2 v[98:99], off, off offset:24
	ds_read_b128 v[116:119], v134 offset:80
	ds_read_b96 v[140:142], v134 offset:96
	scratch_load_dwordx2 v[120:121], off, off offset:56
	v_sub_f32_e32 v84, v94, v84
	s_waitcnt vmcnt(6)
	v_mov_b32_e32 v126, v128
	s_waitcnt lgkmcnt(1)
	v_mul_f32_e32 v86, v117, v91
	v_fma_f32 v94, v116, v90, -v86
	v_mul_f32_e32 v87, v116, v91
	v_mul_f32_e32 v86, v119, v129
	v_mov_b32_e32 v124, v119
	s_waitcnt lgkmcnt(0)
	v_mov_b32_e32 v125, v140
	v_mov_b32_e32 v127, v88
	v_fmac_f32_e32 v87, v117, v90
	v_mov_b32_e32 v90, v141
	v_mov_b32_e32 v91, v142
	v_fma_f32 v86, v118, v128, -v86
	v_pk_mul_f32 v[124:125], v[124:125], v[126:127]
	v_mov_b32_e32 v126, v141
	v_mov_b32_e32 v127, v118
	;; [unrolled: 1-line block ×4, first 2 shown]
	v_pk_fma_f32 v[118:119], v[90:91], v[118:119], v[124:125] op_sel:[0,0,1] op_sel_hi:[1,1,0] neg_lo:[1,0,0] neg_hi:[1,0,0]
	v_pk_fma_f32 v[124:125], v[126:127], v[128:129], v[124:125] op_sel:[0,0,1] op_sel_hi:[1,1,0]
	v_pk_add_f32 v[84:85], v[84:85], v[94:95] neg_lo:[0,1] neg_hi:[0,1]
	v_mov_b32_e32 v119, v125
	ds_read2_b32 v[124:125], v134 offset0:27 offset1:28
	scratch_load_dwordx2 v[122:123], off, off offset:64
	scratch_load_dwordx2 v[116:117], off, off offset:88
	v_pk_add_f32 v[84:85], v[84:85], v[86:87] neg_lo:[0,1] neg_hi:[0,1]
	scratch_load_dwordx2 v[94:95], off, off offset:104
	v_mov_b32_e32 v87, v88
	s_waitcnt vmcnt(8)
	v_mov_b32_e32 v88, v17
	ds_read2_b32 v[126:127], v134 offset0:29 offset1:30
	ds_read2_b32 v[128:129], v134 offset0:31 offset1:32
	;; [unrolled: 1-line block ×3, first 2 shown]
	s_waitcnt lgkmcnt(3)
	v_mov_b32_e32 v132, v124
	v_mov_b32_e32 v133, v140
	;; [unrolled: 1-line block ×3, first 2 shown]
	v_pk_add_f32 v[84:85], v[84:85], v[118:119] neg_lo:[0,1] neg_hi:[0,1]
	v_mov_b32_e32 v118, v16
	v_mov_b32_e32 v119, v18
	v_pk_mul_f32 v[88:89], v[132:133], v[88:89]
	v_mov_b32_e32 v16, v19
	v_pk_fma_f32 v[132:133], v[90:91], v[118:119], v[88:89] op_sel:[1,0,0] op_sel_hi:[0,1,1] neg_lo:[0,0,1] neg_hi:[0,0,1]
	v_pk_fma_f32 v[86:87], v[90:91], v[86:87], v[88:89] op_sel:[1,0,0] op_sel_hi:[0,1,1]
	v_mov_b32_e32 v133, v87
	v_mov_b32_e32 v86, v18
	;; [unrolled: 1-line block ×3, first 2 shown]
	v_pk_mul_f32 v[88:89], v[124:125], v[118:119]
	v_mov_b32_e32 v18, v21
	s_waitcnt lgkmcnt(2)
	v_mov_b32_e32 v20, v126
	v_mov_b32_e32 v21, v142
	v_pk_fma_f32 v[90:91], v[126:127], v[16:17], v[88:89] op_sel:[0,0,1] op_sel_hi:[1,1,0] neg_lo:[1,0,0] neg_hi:[1,0,0]
	v_pk_fma_f32 v[16:17], v[20:21], v[16:17], v[88:89] op_sel:[0,0,1] op_sel_hi:[1,1,0]
	v_pk_add_f32 v[84:85], v[84:85], v[132:133] neg_lo:[0,1] neg_hi:[0,1]
	v_mov_b32_e32 v91, v17
	v_pk_add_f32 v[16:17], v[84:85], v[90:91] neg_lo:[0,1] neg_hi:[0,1]
	s_waitcnt vmcnt(7)
	v_mov_b32_e32 v20, v106
	v_mov_b32_e32 v21, v108
	v_pk_mul_f32 v[84:85], v[126:127], v[86:87]
	s_waitcnt lgkmcnt(1)
	v_mov_b32_e32 v124, v128
	v_mov_b32_e32 v106, v109
	v_pk_fma_f32 v[86:87], v[128:129], v[18:19], v[84:85] op_sel:[0,0,1] op_sel_hi:[1,1,0] neg_lo:[1,0,0] neg_hi:[1,0,0]
	v_pk_fma_f32 v[18:19], v[124:125], v[18:19], v[84:85] op_sel:[0,0,1] op_sel_hi:[1,1,0]
	v_pk_mul_f32 v[20:21], v[128:129], v[20:21]
	s_waitcnt lgkmcnt(0)
	v_mov_b32_e32 v126, v130
	v_mov_b32_e32 v87, v19
	v_pk_fma_f32 v[108:109], v[130:131], v[106:107], v[20:21] op_sel:[0,0,1] op_sel_hi:[1,1,0] neg_lo:[1,0,0] neg_hi:[1,0,0]
	v_pk_fma_f32 v[20:21], v[126:127], v[106:107], v[20:21] op_sel:[0,0,1] op_sel_hi:[1,1,0]
	ds_read2_b32 v[106:107], v134 offset0:35 offset1:36
	v_pk_add_f32 v[84:85], v[16:17], v[86:87] neg_lo:[0,1] neg_hi:[0,1]
	v_mov_b32_e32 v109, v21
	scratch_load_dwordx4 v[88:91], off, off offset:120
	scratch_load_dwordx4 v[16:19], off, off offset:128
	s_waitcnt vmcnt(8)
	v_mov_b32_e32 v86, v112
	v_mov_b32_e32 v87, v114
	;; [unrolled: 1-line block ×3, first 2 shown]
	v_pk_add_f32 v[20:21], v[84:85], v[108:109] neg_lo:[0,1] neg_hi:[0,1]
	v_mov_b32_e32 v84, v22
	v_mov_b32_e32 v85, v24
	;; [unrolled: 1-line block ×3, first 2 shown]
	ds_read2_b32 v[24:25], v134 offset0:41 offset1:42
	ds_read2_b32 v[108:109], v134 offset0:37 offset1:38
	ds_read2_b32 v[114:115], v134 offset0:39 offset1:40
	v_pk_mul_f32 v[86:87], v[130:131], v[86:87]
	s_waitcnt lgkmcnt(3)
	v_mov_b32_e32 v128, v106
	v_pk_fma_f32 v[118:119], v[106:107], v[112:113], v[86:87] op_sel:[0,0,1] op_sel_hi:[1,1,0] neg_lo:[1,0,0] neg_hi:[1,0,0]
	v_pk_fma_f32 v[86:87], v[128:129], v[112:113], v[86:87] op_sel:[0,0,1] op_sel_hi:[1,1,0]
	v_pk_mul_f32 v[84:85], v[106:107], v[84:85]
	s_waitcnt lgkmcnt(1)
	v_mov_b32_e32 v130, v108
	v_mov_b32_e32 v119, v87
	;; [unrolled: 1-line block ×5, first 2 shown]
	v_pk_fma_f32 v[28:29], v[108:109], v[22:23], v[84:85] op_sel:[0,0,1] op_sel_hi:[1,1,0] neg_lo:[1,0,0] neg_hi:[1,0,0]
	v_pk_fma_f32 v[22:23], v[130:131], v[22:23], v[84:85] op_sel:[0,0,1] op_sel_hi:[1,1,0]
	v_pk_add_f32 v[20:21], v[20:21], v[118:119] neg_lo:[0,1] neg_hi:[0,1]
	v_mov_b32_e32 v29, v23
	v_pk_add_f32 v[20:21], v[20:21], v[28:29] neg_lo:[0,1] neg_hi:[0,1]
	s_waitcnt vmcnt(7)
	v_mov_b32_e32 v22, v100
	v_mov_b32_e32 v23, v102
	v_pk_mul_f32 v[28:29], v[108:109], v[112:113]
	s_waitcnt lgkmcnt(0)
	v_mov_b32_e32 v106, v114
	v_mov_b32_e32 v100, v103
	v_pk_fma_f32 v[112:113], v[114:115], v[26:27], v[28:29] op_sel:[0,0,1] op_sel_hi:[1,1,0] neg_lo:[1,0,0] neg_hi:[1,0,0]
	v_pk_fma_f32 v[26:27], v[106:107], v[26:27], v[28:29] op_sel:[0,0,1] op_sel_hi:[1,1,0]
	v_pk_mul_f32 v[22:23], v[114:115], v[22:23]
	v_mov_b32_e32 v108, v24
	v_mov_b32_e32 v113, v27
	v_pk_fma_f32 v[26:27], v[108:109], v[100:101], v[22:23] op_sel:[0,0,1] op_sel_hi:[1,1,0] neg_lo:[1,0,0] neg_hi:[1,0,0]
	v_pk_fma_f32 v[22:23], v[108:109], v[100:101], v[22:23] op_sel:[0,0,1] op_sel_hi:[1,1,0]
	v_pk_add_f32 v[20:21], v[20:21], v[112:113] neg_lo:[0,1] neg_hi:[0,1]
	v_mov_b32_e32 v27, v23
	ds_read2_b32 v[22:23], v134 offset0:43 offset1:44
	v_mul_f32_e32 v28, v115, v103
	v_fmac_f32_e32 v28, v24, v102
	v_pk_add_f32 v[20:21], v[20:21], v[26:27] neg_lo:[0,1] neg_hi:[0,1]
	scratch_load_dwordx4 v[84:87], off, off offset:152
	v_sub_f32_e32 v21, v21, v28
	ds_read2_b32 v[26:27], v134 offset0:45 offset1:46
	ds_read2_b32 v[28:29], v134 offset0:47 offset1:48
	;; [unrolled: 1-line block ×3, first 2 shown]
	s_waitcnt lgkmcnt(3)
	v_mul_f32_e32 v24, v22, v83
	v_fma_f32 v24, v25, v82, -v24
	v_mul_f32_e32 v25, v25, v83
	v_fmac_f32_e32 v25, v22, v82
	s_waitcnt lgkmcnt(2)
	v_mul_f32_e32 v22, v26, v105
	v_fma_f32 v22, v23, v104, -v22
	v_mul_f32_e32 v23, v23, v105
	v_sub_f32_e32 v20, v20, v24
	v_sub_f32_e32 v21, v21, v25
	v_fmac_f32_e32 v23, v26, v104
	v_sub_f32_e32 v20, v20, v22
	v_sub_f32_e32 v21, v21, v23
	s_waitcnt lgkmcnt(1)
	v_mul_f32_e32 v22, v28, v33
	v_mul_f32_e32 v23, v27, v33
	v_fma_f32 v22, v27, v32, -v22
	v_fmac_f32_e32 v23, v28, v32
	v_sub_f32_e32 v20, v20, v22
	v_sub_f32_e32 v22, v21, v23
	s_waitcnt lgkmcnt(0)
	v_mul_f32_e32 v21, v100, v41
	v_fma_f32 v21, v29, v40, -v21
	v_sub_f32_e32 v28, v20, v21
	ds_read2_b32 v[20:21], v134 offset0:51 offset1:52
	v_mul_f32_e32 v23, v29, v41
	v_fmac_f32_e32 v23, v100, v40
	v_sub_f32_e32 v29, v22, v23
	ds_read2_b32 v[22:23], v134 offset0:53 offset1:54
	ds_read2_b32 v[24:25], v134 offset0:55 offset1:56
	;; [unrolled: 1-line block ×3, first 2 shown]
	s_waitcnt lgkmcnt(3)
	v_mul_f32_e32 v82, v20, v49
	v_mul_f32_e32 v83, v101, v49
	v_fma_f32 v82, v101, v48, -v82
	v_fmac_f32_e32 v83, v20, v48
	v_sub_f32_e32 v20, v28, v82
	v_sub_f32_e32 v28, v29, v83
	s_waitcnt lgkmcnt(2)
	v_mul_f32_e32 v29, v22, v53
	v_fma_f32 v29, v21, v52, -v29
	v_mul_f32_e32 v21, v21, v53
	v_fmac_f32_e32 v21, v22, v52
	s_waitcnt lgkmcnt(1)
	v_mul_f32_e32 v22, v24, v57
	v_sub_f32_e32 v20, v20, v29
	v_fma_f32 v22, v23, v56, -v22
	v_sub_f32_e32 v20, v20, v22
	s_waitcnt lgkmcnt(0)
	v_mul_f32_e32 v22, v26, v61
	scratch_load_dwordx2 v[82:83], off, off offset:96
	v_mul_f32_e32 v23, v23, v57
	v_fma_f32 v22, v25, v60, -v22
	s_mul_i32 s11, s12, 0x208
	s_or_b32 s12, s10, 30
	v_sub_f32_e32 v21, v28, v21
	v_fmac_f32_e32 v23, v24, v56
	v_sub_f32_e32 v24, v20, v22
	v_mov_b32_e32 v20, s11
	s_lshl_b32 s11, s12, 9
	v_sub_f32_e32 v21, v21, v23
	v_mul_f32_e32 v23, v25, v61
	s_add_i32 s13, s4, s11
	v_fmac_f32_e32 v23, v26, v60
	ds_read_b32 v26, v20 offset:4
	v_mov_b32_e32 v114, s13
	v_sub_f32_e32 v25, v21, v23
	ds_read_b128 v[20:23], v114
	v_mul_f32_e32 v29, v27, v25
	s_waitcnt lgkmcnt(1)
	v_mul_f32_e32 v28, v26, v25
	v_fma_f32 v28, v27, v24, -v28
	v_fmac_f32_e32 v29, v26, v24
	v_add_u32_e32 v24, s5, v1
	s_waitcnt lgkmcnt(0)
	v_mul_f32_e32 v108, v21, v65
	ds_write_b64 v24, v[28:29]
	v_fma_f32 v108, v20, v64, -v108
	v_mul_f32_e32 v20, v20, v65
	ds_read_b128 v[24:27], v114 offset:16
	ds_read_b128 v[100:103], v114 offset:32
	;; [unrolled: 1-line block ×3, first 2 shown]
	v_fmac_f32_e32 v20, v21, v64
	v_mul_f32_e32 v64, v23, v97
	v_fma_f32 v64, v22, v96, -v64
	v_mul_f32_e32 v22, v22, v97
	v_sub_f32_e32 v20, v139, v20
	v_fmac_f32_e32 v22, v23, v96
	v_sub_f32_e32 v21, v138, v108
	v_sub_f32_e32 v20, v20, v22
	s_waitcnt lgkmcnt(2)
	v_mul_f32_e32 v22, v25, v169
	v_mul_f32_e32 v23, v24, v169
	v_sub_f32_e32 v21, v21, v64
	v_fma_f32 v22, v24, v168, -v22
	v_fmac_f32_e32 v23, v25, v168
	v_sub_f32_e32 v21, v21, v22
	v_sub_f32_e32 v20, v20, v23
	s_waitcnt vmcnt(8)
	v_mul_f32_e32 v22, v27, v99
	v_mul_f32_e32 v23, v26, v99
	v_fma_f32 v22, v26, v98, -v22
	v_fmac_f32_e32 v23, v27, v98
	v_sub_f32_e32 v21, v21, v22
	v_sub_f32_e32 v20, v20, v23
	s_waitcnt lgkmcnt(1)
	v_mul_f32_e32 v22, v101, v171
	v_mul_f32_e32 v23, v100, v171
	scratch_load_dwordx4 v[96:99], off, off offset:136
	v_fma_f32 v22, v100, v170, -v22
	v_fmac_f32_e32 v23, v101, v170
	v_sub_f32_e32 v21, v21, v22
	v_sub_f32_e32 v20, v20, v23
	v_mul_f32_e32 v22, v103, v73
	v_mul_f32_e32 v23, v102, v73
	v_fma_f32 v22, v102, v72, -v22
	v_fmac_f32_e32 v23, v103, v72
	scratch_load_dwordx4 v[100:103], off, off offset:144
	s_waitcnt lgkmcnt(0)
	v_mul_f32_e32 v26, v105, v111
	v_mul_f32_e32 v27, v104, v111
	v_sub_f32_e32 v24, v21, v22
	v_sub_f32_e32 v25, v20, v23
	v_fma_f32 v26, v104, v110, -v26
	v_fmac_f32_e32 v27, v105, v110
	v_sub_f32_e32 v24, v24, v26
	v_sub_f32_e32 v25, v25, v27
	s_waitcnt vmcnt(9)
	v_mul_f32_e32 v26, v107, v121
	v_mul_f32_e32 v27, v106, v121
	v_fma_f32 v26, v106, v120, -v26
	v_fmac_f32_e32 v27, v107, v120
	scratch_load_dwordx4 v[104:107], off, off offset:160
	ds_read_b128 v[20:23], v114 offset:64
	v_sub_f32_e32 v24, v24, v26
	v_sub_f32_e32 v25, v25, v27
	ds_read2_b32 v[72:73], v114 offset0:43 offset1:44
	s_mul_i32 s5, s12, 0x208
	s_waitcnt vmcnt(9) lgkmcnt(1)
	v_mul_f32_e32 v26, v21, v123
	v_fma_f32 v26, v20, v122, -v26
	v_mul_f32_e32 v20, v20, v123
	v_fmac_f32_e32 v20, v21, v122
	v_sub_f32_e32 v25, v25, v20
	v_mul_f32_e32 v20, v23, v69
	v_mul_f32_e32 v27, v22, v69
	v_sub_f32_e32 v24, v24, v26
	v_fma_f32 v26, v22, v68, -v20
	v_fmac_f32_e32 v27, v23, v68
	ds_read_b128 v[20:23], v114 offset:80
	v_sub_f32_e32 v64, v24, v26
	v_sub_f32_e32 v65, v25, v27
	ds_read_b96 v[24:26], v114 offset:96
	s_waitcnt lgkmcnt(1)
	v_mul_f32_e32 v27, v21, v77
	v_fma_f32 v27, v20, v76, -v27
	v_mul_f32_e32 v69, v20, v77
	s_waitcnt vmcnt(8)
	v_mul_f32_e32 v20, v23, v117
	v_fmac_f32_e32 v69, v21, v76
	v_sub_f32_e32 v64, v64, v27
	v_fma_f32 v68, v22, v116, -v20
	v_mul_f32_e32 v21, v22, v117
	v_fmac_f32_e32 v21, v23, v116
	v_pk_add_f32 v[22:23], v[64:65], v[68:69] neg_lo:[0,1] neg_hi:[0,1]
	s_waitcnt lgkmcnt(0)
	v_mov_b32_e32 v64, v25
	v_mov_b32_e32 v65, v26
	s_waitcnt vmcnt(3)
	v_mov_b32_e32 v68, v82
	v_mov_b32_e32 v69, v94
	v_pk_mul_f32 v[64:65], v[64:65], v[68:69]
	ds_read2_b32 v[68:69], v114 offset0:27 offset1:28
	v_mul_f32_e32 v20, v25, v83
	ds_read2_b32 v[76:77], v114 offset0:29 offset1:30
	ds_read2_b32 v[108:109], v114 offset0:31 offset1:32
	;; [unrolled: 1-line block ×3, first 2 shown]
	v_fma_f32 v20, v24, v82, -v20
	v_mov_b32_e32 v113, v24
	s_waitcnt lgkmcnt(3)
	v_mov_b32_e32 v112, v68
	v_mov_b32_e32 v24, v95
	;; [unrolled: 1-line block ×3, first 2 shown]
	v_pk_fma_f32 v[24:25], v[68:69], v[24:25], v[64:65] op_sel:[0,0,1] op_sel_hi:[1,1,0] neg_lo:[1,0,0] neg_hi:[1,0,0]
	v_pk_fma_f32 v[64:65], v[112:113], v[82:83], v[64:65] op_sel:[0,0,1] op_sel_hi:[1,1,0]
	v_pk_add_f32 v[20:21], v[22:23], v[20:21] neg_lo:[0,1] neg_hi:[0,1]
	v_mov_b32_e32 v23, v94
	v_mov_b32_e32 v94, v81
	;; [unrolled: 1-line block ×3, first 2 shown]
	s_waitcnt lgkmcnt(2)
	v_mov_b32_e32 v64, v76
	v_mov_b32_e32 v65, v26
	v_mov_b32_e32 v22, v80
	v_pk_add_f32 v[20:21], v[20:21], v[24:25] neg_lo:[0,1] neg_hi:[0,1]
	v_mov_b32_e32 v24, v80
	v_mov_b32_e32 v25, v88
	v_pk_mul_f32 v[26:27], v[64:65], v[94:95]
	v_mov_b32_e32 v80, v89
	v_pk_fma_f32 v[64:65], v[68:69], v[24:25], v[26:27] op_sel:[1,0,0] op_sel_hi:[0,1,1] neg_lo:[0,0,1] neg_hi:[0,0,1]
	v_pk_fma_f32 v[22:23], v[68:69], v[22:23], v[26:27] op_sel:[1,0,0] op_sel_hi:[0,1,1]
	v_mov_b32_e32 v65, v23
	v_mov_b32_e32 v22, v88
	;; [unrolled: 1-line block ×3, first 2 shown]
	v_pk_mul_f32 v[24:25], v[76:77], v[24:25]
	v_mov_b32_e32 v88, v91
	s_waitcnt lgkmcnt(1)
	v_pk_mul_f32 v[22:23], v[108:109], v[22:23]
	s_waitcnt lgkmcnt(0)
	v_mov_b32_e32 v76, v110
	v_pk_add_f32 v[20:21], v[20:21], v[64:65] neg_lo:[0,1] neg_hi:[0,1]
	v_mov_b32_e32 v64, v16
	v_mov_b32_e32 v65, v18
	;; [unrolled: 1-line block ×3, first 2 shown]
	v_pk_fma_f32 v[18:19], v[110:111], v[88:89], v[22:23] op_sel:[0,0,1] op_sel_hi:[1,1,0] neg_lo:[1,0,0] neg_hi:[1,0,0]
	v_pk_fma_f32 v[22:23], v[76:77], v[88:89], v[22:23] op_sel:[0,0,1] op_sel_hi:[1,1,0]
	v_mov_b32_e32 v68, v108
	v_mov_b32_e32 v19, v23
	v_pk_mul_f32 v[22:23], v[110:111], v[64:65]
	ds_read2_b32 v[64:65], v114 offset0:35 offset1:36
	v_pk_fma_f32 v[26:27], v[108:109], v[80:81], v[24:25] op_sel:[0,0,1] op_sel_hi:[1,1,0] neg_lo:[1,0,0] neg_hi:[1,0,0]
	v_pk_fma_f32 v[24:25], v[68:69], v[80:81], v[24:25] op_sel:[0,0,1] op_sel_hi:[1,1,0]
	s_waitcnt lgkmcnt(0)
	v_mov_b32_e32 v108, v64
	v_mov_b32_e32 v27, v25
	v_pk_add_f32 v[20:21], v[20:21], v[26:27] neg_lo:[0,1] neg_hi:[0,1]
	scratch_load_dwordx4 v[24:27], off, off offset:136
	ds_read2_b32 v[68:69], v114 offset0:37 offset1:38
	ds_read2_b32 v[76:77], v114 offset0:39 offset1:40
	ds_read2_b32 v[80:81], v114 offset0:41 offset1:42
	v_pk_add_f32 v[18:19], v[20:21], v[18:19] neg_lo:[0,1] neg_hi:[0,1]
	s_waitcnt vmcnt(3)
	v_mov_b32_e32 v20, v96
	v_mov_b32_e32 v21, v98
	v_mov_b32_e32 v96, v99
	v_pk_fma_f32 v[82:83], v[64:65], v[16:17], v[22:23] op_sel:[0,0,1] op_sel_hi:[1,1,0] neg_lo:[1,0,0] neg_hi:[1,0,0]
	v_pk_fma_f32 v[16:17], v[108:109], v[16:17], v[22:23] op_sel:[0,0,1] op_sel_hi:[1,1,0]
	v_pk_mul_f32 v[20:21], v[64:65], v[20:21]
	s_waitcnt lgkmcnt(2)
	v_mov_b32_e32 v110, v68
	v_mov_b32_e32 v83, v17
	v_pk_fma_f32 v[88:89], v[68:69], v[96:97], v[20:21] op_sel:[0,0,1] op_sel_hi:[1,1,0] neg_lo:[1,0,0] neg_hi:[1,0,0]
	v_pk_fma_f32 v[20:21], v[110:111], v[96:97], v[20:21] op_sel:[0,0,1] op_sel_hi:[1,1,0]
	v_pk_add_f32 v[22:23], v[18:19], v[82:83] neg_lo:[0,1] neg_hi:[0,1]
	s_waitcnt vmcnt(2)
	v_mov_b32_e32 v82, v100
	v_mov_b32_e32 v83, v102
	;; [unrolled: 1-line block ×4, first 2 shown]
	v_pk_add_f32 v[20:21], v[22:23], v[88:89] neg_lo:[0,1] neg_hi:[0,1]
	v_pk_mul_f32 v[22:23], v[68:69], v[82:83]
	s_waitcnt lgkmcnt(1)
	v_mov_b32_e32 v64, v76
	v_mov_b32_e32 v88, v84
	;; [unrolled: 1-line block ×3, first 2 shown]
	v_pk_fma_f32 v[82:83], v[76:77], v[100:101], v[22:23] op_sel:[0,0,1] op_sel_hi:[1,1,0] neg_lo:[1,0,0] neg_hi:[1,0,0]
	v_pk_fma_f32 v[22:23], v[64:65], v[100:101], v[22:23] op_sel:[0,0,1] op_sel_hi:[1,1,0]
	v_mov_b32_e32 v84, v87
	v_mov_b32_e32 v83, v23
	v_pk_mul_f32 v[86:87], v[76:77], v[88:89]
	s_waitcnt lgkmcnt(0)
	v_mov_b32_e32 v68, v80
	v_pk_add_f32 v[64:65], v[20:21], v[82:83] neg_lo:[0,1] neg_hi:[0,1]
	s_waitcnt vmcnt(1)
	v_mov_b32_e32 v82, v104
	v_mov_b32_e32 v83, v106
	v_pk_fma_f32 v[88:89], v[80:81], v[84:85], v[86:87] op_sel:[0,0,1] op_sel_hi:[1,1,0] neg_lo:[1,0,0] neg_hi:[1,0,0]
	v_pk_fma_f32 v[68:69], v[68:69], v[84:85], v[86:87] op_sel:[0,0,1] op_sel_hi:[1,1,0]
	v_mov_b32_e32 v104, v107
	v_mov_b32_e32 v89, v69
	v_pk_mul_f32 v[68:69], v[80:81], v[82:83]
	v_mov_b32_e32 v76, v72
	scratch_load_dwordx4 v[16:19], off, off offset:144
	scratch_load_dwordx4 v[20:23], off, off offset:160
	v_pk_add_f32 v[64:65], v[64:65], v[88:89] neg_lo:[0,1] neg_hi:[0,1]
	ds_read2_b32 v[82:83], v114 offset0:45 offset1:46
	ds_read2_b32 v[84:85], v114 offset0:47 offset1:48
	ds_read2_b32 v[86:87], v114 offset0:49 offset1:50
	v_pk_fma_f32 v[88:89], v[76:77], v[104:105], v[68:69] op_sel:[0,0,1] op_sel_hi:[1,1,0] neg_lo:[1,0,0] neg_hi:[1,0,0]
	v_pk_fma_f32 v[68:69], v[76:77], v[104:105], v[68:69] op_sel:[0,0,1] op_sel_hi:[1,1,0]
	s_nop 0
	v_mov_b32_e32 v89, v69
	v_mul_f32_e32 v68, v81, v107
	v_fmac_f32_e32 v68, v72, v106
	v_pk_add_f32 v[64:65], v[64:65], v[88:89] neg_lo:[0,1] neg_hi:[0,1]
	v_mul_f32_e32 v69, v73, v93
	v_sub_f32_e32 v65, v65, v68
	s_waitcnt lgkmcnt(2)
	v_mul_f32_e32 v68, v82, v93
	v_fma_f32 v68, v73, v92, -v68
	v_fmac_f32_e32 v69, v82, v92
	v_sub_f32_e32 v64, v64, v68
	v_sub_f32_e32 v65, v65, v69
	s_waitcnt lgkmcnt(1)
	v_mul_f32_e32 v68, v84, v33
	v_mul_f32_e32 v69, v83, v33
	v_fma_f32 v68, v83, v32, -v68
	v_fmac_f32_e32 v69, v84, v32
	v_sub_f32_e32 v64, v64, v68
	v_sub_f32_e32 v68, v65, v69
	s_waitcnt lgkmcnt(0)
	v_mul_f32_e32 v65, v86, v41
	v_fma_f32 v65, v85, v40, -v65
	v_sub_f32_e32 v80, v64, v65
	ds_read2_b32 v[64:65], v114 offset0:51 offset1:52
	v_mul_f32_e32 v69, v85, v41
	v_fmac_f32_e32 v69, v86, v40
	v_sub_f32_e32 v81, v68, v69
	ds_read2_b32 v[68:69], v114 offset0:53 offset1:54
	ds_read2_b32 v[72:73], v114 offset0:55 offset1:56
	;; [unrolled: 1-line block ×3, first 2 shown]
	s_waitcnt lgkmcnt(3)
	v_mul_f32_e32 v82, v64, v49
	v_mul_f32_e32 v83, v87, v49
	v_fma_f32 v82, v87, v48, -v82
	v_fmac_f32_e32 v83, v64, v48
	v_sub_f32_e32 v64, v80, v82
	v_sub_f32_e32 v80, v81, v83
	s_waitcnt lgkmcnt(2)
	v_mul_f32_e32 v81, v68, v53
	v_fma_f32 v81, v65, v52, -v81
	v_mul_f32_e32 v65, v65, v53
	v_fmac_f32_e32 v65, v68, v52
	s_waitcnt lgkmcnt(1)
	v_mul_f32_e32 v68, v72, v57
	v_fma_f32 v68, v69, v56, -v68
	v_mul_f32_e32 v69, v69, v57
	v_sub_f32_e32 v64, v64, v81
	v_sub_f32_e32 v65, v80, v65
	v_fmac_f32_e32 v69, v72, v56
	v_sub_f32_e32 v64, v64, v68
	v_sub_f32_e32 v68, v65, v69
	s_waitcnt lgkmcnt(0)
	v_mul_f32_e32 v65, v76, v61
	v_fma_f32 v65, v73, v60, -v65
	v_mul_f32_e32 v69, v73, v61
	v_fmac_f32_e32 v69, v76, v60
	v_sub_f32_e32 v72, v64, v65
	ds_read2_b32 v[64:65], v114 offset0:59 offset1:60
	v_sub_f32_e32 v68, v68, v69
	v_mov_b32_e32 v69, s5
	ds_read_b32 v69, v69 offset:4
	v_mul_f32_e32 v76, v77, v29
	s_waitcnt lgkmcnt(1)
	v_mul_f32_e32 v73, v64, v29
	v_fmac_f32_e32 v76, v64, v28
	v_fma_f32 v73, v77, v28, -v73
	v_sub_f32_e32 v68, v68, v76
	v_sub_f32_e32 v72, v72, v73
	s_waitcnt lgkmcnt(0)
	v_mul_f32_e32 v64, v69, v68
	v_fma_f32 v64, v65, v72, -v64
	v_mul_f32_e32 v65, v65, v68
	v_add_u32_e32 v68, s11, v1
	s_or_b32 s11, s10, 31
	s_lshl_b32 s5, s11, 9
	s_add_i32 s4, s4, s5
	v_mov_b32_e32 v76, s4
	ds_read_b128 v[80:83], v76
	v_fmac_f32_e32 v65, v69, v72
	ds_write_b64 v68, v[64:65]
	ds_read_b128 v[84:87], v76 offset:16
	ds_read_b128 v[88:91], v76 offset:32
	;; [unrolled: 1-line block ×3, first 2 shown]
	s_mul_i32 s4, s11, 0x208
	s_waitcnt lgkmcnt(4)
	v_mul_f32_e32 v68, v81, v51
	v_fma_f32 v68, v80, v50, -v68
	v_mul_f32_e32 v51, v80, v51
	v_fmac_f32_e32 v51, v81, v50
	v_sub_f32_e32 v50, v136, v68
	v_mul_f32_e32 v68, v83, v67
	v_mul_f32_e32 v67, v82, v67
	v_fma_f32 v68, v82, v66, -v68
	v_fmac_f32_e32 v67, v83, v66
	s_waitcnt lgkmcnt(2)
	v_mul_f32_e32 v66, v85, v71
	v_sub_f32_e32 v50, v50, v68
	v_fma_f32 v66, v84, v70, -v66
	v_sub_f32_e32 v51, v137, v51
	v_sub_f32_e32 v50, v50, v66
	v_mul_f32_e32 v66, v87, v31
	v_sub_f32_e32 v51, v51, v67
	v_mul_f32_e32 v67, v84, v71
	v_fma_f32 v66, v86, v30, -v66
	v_mul_f32_e32 v31, v86, v31
	v_fmac_f32_e32 v67, v85, v70
	v_fmac_f32_e32 v31, v87, v30
	v_sub_f32_e32 v30, v50, v66
	s_waitcnt lgkmcnt(1)
	v_mul_f32_e32 v50, v89, v55
	v_sub_f32_e32 v51, v51, v67
	v_fma_f32 v50, v88, v54, -v50
	v_sub_f32_e32 v31, v51, v31
	v_mul_f32_e32 v51, v88, v55
	v_sub_f32_e32 v30, v30, v50
	v_mul_f32_e32 v50, v91, v75
	v_fmac_f32_e32 v51, v89, v54
	v_fma_f32 v50, v90, v74, -v50
	ds_read_b128 v[66:69], v76 offset:64
	v_sub_f32_e32 v31, v31, v51
	v_mul_f32_e32 v51, v90, v75
	v_sub_f32_e32 v30, v30, v50
	s_waitcnt lgkmcnt(1)
	v_mul_f32_e32 v50, v93, v63
	v_fmac_f32_e32 v51, v91, v74
	v_fma_f32 v50, v92, v62, -v50
	v_sub_f32_e32 v31, v31, v51
	v_mul_f32_e32 v51, v92, v63
	v_sub_f32_e32 v30, v30, v50
	v_mul_f32_e32 v50, v95, v59
	ds_read_b128 v[70:73], v76 offset:80
	v_fmac_f32_e32 v51, v93, v62
	v_fma_f32 v50, v94, v58, -v50
	v_sub_f32_e32 v31, v31, v51
	v_mul_f32_e32 v51, v94, v59
	v_sub_f32_e32 v30, v30, v50
	s_waitcnt lgkmcnt(1)
	v_mul_f32_e32 v50, v67, v7
	v_fmac_f32_e32 v51, v95, v58
	v_fma_f32 v50, v66, v6, -v50
	v_mul_f32_e32 v7, v66, v7
	v_sub_f32_e32 v31, v31, v51
	v_fmac_f32_e32 v7, v67, v6
	v_sub_f32_e32 v6, v30, v50
	v_mul_f32_e32 v30, v69, v9
	v_mul_f32_e32 v9, v68, v9
	v_sub_f32_e32 v7, v31, v7
	v_fma_f32 v30, v68, v8, -v30
	v_fmac_f32_e32 v9, v69, v8
	s_waitcnt lgkmcnt(0)
	v_mul_f32_e32 v8, v71, v11
	v_sub_f32_e32 v6, v6, v30
	v_sub_f32_e32 v7, v7, v9
	v_fma_f32 v8, v70, v10, -v8
	v_mul_f32_e32 v9, v70, v11
	v_fmac_f32_e32 v9, v71, v10
	v_sub_f32_e32 v10, v6, v8
	v_mul_f32_e32 v6, v73, v13
	v_sub_f32_e32 v11, v7, v9
	v_fma_f32 v30, v72, v12, -v6
	ds_read_b128 v[6:9], v76 offset:96
	v_mul_f32_e32 v13, v72, v13
	ds_read_b96 v[66:68], v76 offset:112
	v_fmac_f32_e32 v13, v73, v12
	v_sub_f32_e32 v10, v10, v30
	s_waitcnt lgkmcnt(1)
	v_mul_f32_e32 v12, v7, v15
	v_fma_f32 v12, v6, v14, -v12
	v_mul_f32_e32 v15, v6, v15
	v_pk_add_f32 v[10:11], v[10:11], v[12:13] neg_lo:[0,1] neg_hi:[0,1]
	v_mul_f32_e32 v12, v9, v79
	v_fmac_f32_e32 v15, v7, v14
	v_fma_f32 v14, v8, v78, -v12
	v_pk_add_f32 v[10:11], v[10:11], v[14:15] neg_lo:[0,1] neg_hi:[0,1]
	v_mov_b32_e32 v14, v9
	s_waitcnt lgkmcnt(0)
	v_mov_b32_e32 v15, v66
	v_mov_b32_e32 v30, v78
	;; [unrolled: 1-line block ×5, first 2 shown]
	v_pk_mul_f32 v[14:15], v[14:15], v[30:31]
	v_mov_b32_e32 v30, v67
	v_mov_b32_e32 v31, v8
	;; [unrolled: 1-line block ×4, first 2 shown]
	v_pk_fma_f32 v[8:9], v[6:7], v[8:9], v[14:15] op_sel:[0,0,1] op_sel_hi:[1,1,0] neg_lo:[1,0,0] neg_hi:[1,0,0]
	v_pk_fma_f32 v[14:15], v[30:31], v[78:79], v[14:15] op_sel:[0,0,1] op_sel_hi:[1,1,0]
	v_mov_b32_e32 v13, v38
	v_mov_b32_e32 v9, v15
	ds_read2_b32 v[14:15], v76 offset0:31 offset1:32
	v_mov_b32_e32 v38, v47
	v_mov_b32_e32 v59, v66
	;; [unrolled: 1-line block ×3, first 2 shown]
	v_pk_add_f32 v[8:9], v[10:11], v[8:9] neg_lo:[0,1] neg_hi:[0,1]
	s_waitcnt lgkmcnt(0)
	v_mov_b32_e32 v58, v14
	v_mov_b32_e32 v10, v46
	;; [unrolled: 1-line block ×3, first 2 shown]
	ds_read2_b32 v[30:31], v76 offset0:33 offset1:34
	ds_read2_b32 v[50:51], v76 offset0:35 offset1:36
	;; [unrolled: 1-line block ×3, first 2 shown]
	v_pk_mul_f32 v[38:39], v[58:59], v[38:39]
	v_mov_b32_e32 v46, v35
	v_pk_fma_f32 v[58:59], v[6:7], v[10:11], v[38:39] op_sel:[1,0,0] op_sel_hi:[0,1,1] neg_lo:[0,0,1] neg_hi:[0,0,1]
	v_pk_fma_f32 v[6:7], v[6:7], v[12:13], v[38:39] op_sel:[1,0,0] op_sel_hi:[0,1,1]
	v_mov_b32_e32 v59, v7
	v_pk_add_f32 v[6:7], v[8:9], v[58:59] neg_lo:[0,1] neg_hi:[0,1]
	v_mov_b32_e32 v8, v34
	v_mov_b32_e32 v9, v36
	v_pk_mul_f32 v[10:11], v[14:15], v[10:11]
	s_waitcnt lgkmcnt(2)
	v_mov_b32_e32 v12, v30
	v_mov_b32_e32 v13, v68
	;; [unrolled: 1-line block ×3, first 2 shown]
	v_pk_fma_f32 v[36:37], v[30:31], v[46:47], v[10:11] op_sel:[0,0,1] op_sel_hi:[1,1,0] neg_lo:[1,0,0] neg_hi:[1,0,0]
	v_pk_fma_f32 v[10:11], v[12:13], v[46:47], v[10:11] op_sel:[0,0,1] op_sel_hi:[1,1,0]
	v_pk_mul_f32 v[8:9], v[30:31], v[8:9]
	s_waitcnt lgkmcnt(1)
	v_mov_b32_e32 v14, v50
	v_mov_b32_e32 v37, v11
	s_waitcnt vmcnt(2)
	v_mov_b32_e32 v10, v24
	v_mov_b32_e32 v11, v26
	v_pk_fma_f32 v[12:13], v[50:51], v[34:35], v[8:9] op_sel:[0,0,1] op_sel_hi:[1,1,0] neg_lo:[1,0,0] neg_hi:[1,0,0]
	v_pk_fma_f32 v[8:9], v[14:15], v[34:35], v[8:9] op_sel:[0,0,1] op_sel_hi:[1,1,0]
	v_pk_add_f32 v[6:7], v[6:7], v[36:37] neg_lo:[0,1] neg_hi:[0,1]
	v_mov_b32_e32 v24, v27
	v_mov_b32_e32 v13, v9
	v_pk_mul_f32 v[10:11], v[50:51], v[10:11]
	s_waitcnt lgkmcnt(0)
	v_mov_b32_e32 v30, v54
	v_pk_add_f32 v[6:7], v[6:7], v[12:13] neg_lo:[0,1] neg_hi:[0,1]
	v_pk_fma_f32 v[12:13], v[54:55], v[24:25], v[10:11] op_sel:[0,0,1] op_sel_hi:[1,1,0] neg_lo:[1,0,0] neg_hi:[1,0,0]
	v_pk_fma_f32 v[10:11], v[30:31], v[24:25], v[10:11] op_sel:[0,0,1] op_sel_hi:[1,1,0]
	s_waitcnt vmcnt(1)
	v_mov_b32_e32 v8, v16
	v_mov_b32_e32 v13, v11
	v_pk_add_f32 v[6:7], v[6:7], v[12:13] neg_lo:[0,1] neg_hi:[0,1]
	ds_read2_b32 v[12:13], v76 offset0:39 offset1:40
	v_mov_b32_e32 v9, v18
	v_mov_b32_e32 v16, v19
	ds_read2_b32 v[14:15], v76 offset0:41 offset1:42
	ds_read2_b32 v[18:19], v76 offset0:43 offset1:44
	;; [unrolled: 1-line block ×3, first 2 shown]
	v_mov_b32_e32 v10, v42
	v_mov_b32_e32 v11, v44
	v_pk_mul_f32 v[8:9], v[54:55], v[8:9]
	s_waitcnt lgkmcnt(3)
	v_mov_b32_e32 v50, v12
	v_mov_b32_e32 v42, v45
	v_pk_fma_f32 v[26:27], v[12:13], v[16:17], v[8:9] op_sel:[0,0,1] op_sel_hi:[1,1,0] neg_lo:[1,0,0] neg_hi:[1,0,0]
	v_pk_fma_f32 v[8:9], v[50:51], v[16:17], v[8:9] op_sel:[0,0,1] op_sel_hi:[1,1,0]
	v_pk_mul_f32 v[10:11], v[12:13], v[10:11]
	s_waitcnt lgkmcnt(2)
	v_mov_b32_e32 v54, v14
	v_mov_b32_e32 v27, v9
	s_waitcnt vmcnt(0)
	v_mov_b32_e32 v8, v20
	v_mov_b32_e32 v9, v22
	v_pk_fma_f32 v[16:17], v[14:15], v[42:43], v[10:11] op_sel:[0,0,1] op_sel_hi:[1,1,0] neg_lo:[1,0,0] neg_hi:[1,0,0]
	v_pk_fma_f32 v[10:11], v[54:55], v[42:43], v[10:11] op_sel:[0,0,1] op_sel_hi:[1,1,0]
	v_pk_add_f32 v[6:7], v[6:7], v[26:27] neg_lo:[0,1] neg_hi:[0,1]
	v_mov_b32_e32 v20, v23
	v_mov_b32_e32 v17, v11
	v_pk_mul_f32 v[8:9], v[14:15], v[8:9]
	s_waitcnt lgkmcnt(1)
	v_mov_b32_e32 v12, v18
	v_pk_add_f32 v[6:7], v[6:7], v[16:17] neg_lo:[0,1] neg_hi:[0,1]
	v_pk_fma_f32 v[16:17], v[18:19], v[20:21], v[8:9] op_sel:[0,0,1] op_sel_hi:[1,1,0] neg_lo:[1,0,0] neg_hi:[1,0,0]
	v_pk_fma_f32 v[8:9], v[12:13], v[20:21], v[8:9] op_sel:[0,0,1] op_sel_hi:[1,1,0]
	v_mov_b32_e32 v10, v2
	v_mov_b32_e32 v11, v4
	;; [unrolled: 1-line block ×3, first 2 shown]
	ds_read2_b32 v[8:9], v76 offset0:47 offset1:48
	v_mov_b32_e32 v2, v5
	v_pk_mul_f32 v[10:11], v[18:19], v[10:11]
	s_waitcnt lgkmcnt(1)
	v_mov_b32_e32 v14, v24
	v_pk_fma_f32 v[22:23], v[24:25], v[2:3], v[10:11] op_sel:[0,0,1] op_sel_hi:[1,1,0] neg_lo:[1,0,0] neg_hi:[1,0,0]
	v_pk_fma_f32 v[2:3], v[14:15], v[2:3], v[10:11] op_sel:[0,0,1] op_sel_hi:[1,1,0]
	v_pk_add_f32 v[6:7], v[6:7], v[16:17] neg_lo:[0,1] neg_hi:[0,1]
	v_mov_b32_e32 v23, v3
	v_pk_add_f32 v[2:3], v[6:7], v[22:23] neg_lo:[0,1] neg_hi:[0,1]
	v_mov_b32_e32 v6, v19
	v_mov_b32_e32 v7, v25
	;; [unrolled: 1-line block ×4, first 2 shown]
	ds_read2_b32 v[12:13], v76 offset0:49 offset1:50
	ds_read2_b32 v[16:17], v76 offset0:51 offset1:52
	;; [unrolled: 1-line block ×3, first 2 shown]
	v_pk_mul_f32 v[6:7], v[6:7], v[10:11]
	v_mov_b32_e32 v10, v24
	s_waitcnt lgkmcnt(3)
	v_mov_b32_e32 v11, v8
	v_mov_b32_e32 v5, v32
	v_pk_fma_f32 v[4:5], v[10:11], v[4:5], v[6:7]
	v_mul_f32_e32 v18, v8, v33
	v_sub_f32_e32 v3, v3, v4
	v_fma_f32 v6, v25, v32, -v18
	v_sub_f32_e32 v3, v3, v5
	s_waitcnt lgkmcnt(2)
	v_mul_f32_e32 v4, v12, v41
	v_mul_f32_e32 v5, v9, v41
	v_sub_f32_e32 v2, v2, v6
	v_fma_f32 v4, v9, v40, -v4
	v_fmac_f32_e32 v5, v12, v40
	v_sub_f32_e32 v2, v2, v4
	v_sub_f32_e32 v3, v3, v5
	s_waitcnt lgkmcnt(1)
	v_mul_f32_e32 v4, v16, v49
	v_mul_f32_e32 v5, v13, v49
	v_fma_f32 v4, v13, v48, -v4
	v_fmac_f32_e32 v5, v16, v48
	v_sub_f32_e32 v2, v2, v4
	v_sub_f32_e32 v4, v3, v5
	s_waitcnt lgkmcnt(0)
	v_mul_f32_e32 v3, v20, v53
	v_fma_f32 v3, v17, v52, -v3
	v_sub_f32_e32 v8, v2, v3
	ds_read2_b32 v[2:3], v76 offset0:55 offset1:56
	v_mul_f32_e32 v5, v17, v53
	v_fmac_f32_e32 v5, v20, v52
	v_sub_f32_e32 v9, v4, v5
	ds_read2_b32 v[4:5], v76 offset0:57 offset1:58
	ds_read2_b32 v[6:7], v76 offset0:59 offset1:60
	ds_read_b32 v10, v76 offset:244
	s_waitcnt lgkmcnt(3)
	v_mul_f32_e32 v11, v2, v57
	v_mul_f32_e32 v12, v21, v57
	v_fma_f32 v11, v21, v56, -v11
	v_fmac_f32_e32 v12, v2, v56
	v_sub_f32_e32 v2, v8, v11
	v_sub_f32_e32 v8, v9, v12
	s_waitcnt lgkmcnt(2)
	v_mul_f32_e32 v9, v4, v61
	v_fma_f32 v9, v3, v60, -v9
	v_mul_f32_e32 v3, v3, v61
	v_fmac_f32_e32 v3, v4, v60
	s_waitcnt lgkmcnt(1)
	v_mul_f32_e32 v4, v6, v29
	v_sub_f32_e32 v2, v2, v9
	v_fma_f32 v4, v5, v28, -v4
	v_mul_f32_e32 v5, v5, v29
	v_sub_f32_e32 v4, v2, v4
	s_waitcnt lgkmcnt(0)
	v_mul_f32_e32 v2, v10, v65
	v_sub_f32_e32 v3, v8, v3
	v_fmac_f32_e32 v5, v6, v28
	v_fma_f32 v6, v7, v64, -v2
	v_mov_b32_e32 v2, s4
	v_sub_f32_e32 v5, v3, v5
	ds_read_b64 v[2:3], v2
	v_mul_f32_e32 v7, v7, v65
	v_fmac_f32_e32 v7, v10, v64
	v_sub_f32_e32 v4, v4, v6
	v_sub_f32_e32 v6, v5, v7
	s_waitcnt lgkmcnt(0)
	v_pk_mul_f32 v[6:7], v[2:3], v[6:7] op_sel:[1,0] op_sel_hi:[0,0]
	v_pk_fma_f32 v[8:9], v[2:3], v[4:5], v[6:7] neg_lo:[0,0,1] neg_hi:[0,0,1]
	v_pk_fma_f32 v[2:3], v[2:3], v[4:5], v[6:7] op_sel_hi:[1,0,1]
	s_add_i32 s4, s10, 32
	v_add_u32_e32 v2, s5, v1
	s_add_i32 s5, s10, 63
	v_mov_b32_e32 v9, v3
	s_cmp_ge_i32 s5, s28
	ds_write_b64 v2, v[8:9]
	s_cbranch_scc1 .LBB173_34
; %bb.32:                               ;   in Loop: Header=BB173_26 Depth=1
	s_mov_b32 s10, s4
	s_branch .LBB173_26
.LBB173_33:                             ;   in Loop: Header=BB173_26 Depth=1
                                        ; implicit-def: $vgpr152_vgpr153
                                        ; implicit-def: $vgpr150_vgpr151
                                        ; implicit-def: $vgpr148_vgpr149
                                        ; implicit-def: $vgpr146_vgpr147
                                        ; implicit-def: $vgpr144_vgpr145
                                        ; implicit-def: $vgpr142_vgpr143
                                        ; implicit-def: $vgpr140_vgpr141
                                        ; implicit-def: $vgpr138_vgpr139
                                        ; implicit-def: $vgpr136_vgpr137
                                        ; implicit-def: $vgpr3
                                        ; implicit-def: $vgpr6
	s_cbranch_execnz .LBB173_30
	s_branch .LBB173_31
.LBB173_34:
	s_cmp_lt_i32 s4, s28
	s_cbranch_scc0 .LBB173_56
; %bb.35:
	s_add_i32 s5, s4, 3
	s_cmp_ge_i32 s5, s28
	s_cbranch_scc1 .LBB173_48
; %bb.36:
	v_mov_b32_e32 v2, 0x8000
	s_add_i32 s5, s4, -1
	s_lshl_b32 s7, s4, 9
	v_lshl_or_b32 v10, v0, 3, v2
	s_and_b32 s10, s4, -4
	s_and_b32 s11, s4, 3
	s_mov_b32 s12, 0
.LBB173_37:                             ; =>This Loop Header: Depth=1
                                        ;     Child Loop BB173_40 Depth 2
                                        ;     Child Loop BB173_44 Depth 2
	s_lshl_b32 s13, s4, 9
	v_add_u32_e32 v11, s13, v1
	ds_read2st64_b64 v[6:9], v11 offset1:1
	ds_read2st64_b64 v[2:5], v11 offset0:2 offset1:3
	s_cmp_eq_u32 s4, 0
	s_waitcnt lgkmcnt(1)
	scratch_store_dwordx4 off, v[6:9], off
	s_waitcnt lgkmcnt(0)
	scratch_store_dwordx4 off, v[2:5], off offset:16
	s_cbranch_scc1 .LBB173_46
; %bb.38:                               ;   in Loop: Header=BB173_37 Depth=1
	s_lshl_b32 s14, s12, 2
	s_add_i32 s14, s5, s14
	s_cmp_lt_u32 s14, 3
	s_mov_b32 s15, 0
	s_cbranch_scc1 .LBB173_42
; %bb.39:                               ;   in Loop: Header=BB173_37 Depth=1
	s_mov_b32 s14, 0
	v_mov_b32_e32 v12, v10
	s_mov_b32 s15, s7
.LBB173_40:                             ;   Parent Loop BB173_37 Depth=1
                                        ; =>  This Inner Loop Header: Depth=2
	v_mov_b32_e32 v13, s15
	ds_read2st64_b64 v[14:17], v12 offset1:1
	ds_read2st64_b64 v[18:21], v12 offset0:2 offset1:3
	ds_read_b128 v[22:25], v13
	ds_read_b128 v[26:29], v13 offset:16
	ds_read_b128 v[30:33], v13 offset:512
	;; [unrolled: 1-line block ×7, first 2 shown]
	s_add_i32 s14, s14, 4
	s_add_i32 s15, s15, 32
	s_waitcnt lgkmcnt(7)
	v_pk_mul_f32 v[54:55], v[22:23], v[14:15] op_sel:[0,1]
	s_waitcnt lgkmcnt(5)
	v_pk_mul_f32 v[56:57], v[30:31], v[14:15] op_sel:[0,1]
	;; [unrolled: 2-line block ×4, first 2 shown]
	v_pk_mul_f32 v[62:63], v[24:25], v[16:17] op_sel:[0,1]
	v_pk_mul_f32 v[64:65], v[32:33], v[16:17] op_sel:[0,1]
	;; [unrolled: 1-line block ×4, first 2 shown]
	v_pk_fma_f32 v[86:87], v[22:23], v[14:15], v[54:55] op_sel:[0,0,1] op_sel_hi:[1,1,0] neg_lo:[0,0,1] neg_hi:[0,0,1]
	v_pk_fma_f32 v[22:23], v[22:23], v[14:15], v[54:55] op_sel:[0,0,1] op_sel_hi:[1,0,0]
	v_pk_fma_f32 v[54:55], v[30:31], v[14:15], v[56:57] op_sel:[0,0,1] op_sel_hi:[1,1,0] neg_lo:[0,0,1] neg_hi:[0,0,1]
	v_pk_fma_f32 v[30:31], v[30:31], v[14:15], v[56:57] op_sel:[0,0,1] op_sel_hi:[1,0,0]
	;; [unrolled: 2-line block ×4, first 2 shown]
	v_pk_mul_f32 v[70:71], v[26:27], v[18:19] op_sel:[0,1]
	v_pk_mul_f32 v[72:73], v[34:35], v[18:19] op_sel:[0,1]
	;; [unrolled: 1-line block ×3, first 2 shown]
	s_waitcnt lgkmcnt(0)
	v_pk_mul_f32 v[76:77], v[50:51], v[18:19] op_sel:[0,1]
	v_pk_fma_f32 v[46:47], v[24:25], v[16:17], v[62:63] op_sel:[0,0,1] op_sel_hi:[1,1,0] neg_lo:[0,0,1] neg_hi:[0,0,1]
	v_pk_fma_f32 v[24:25], v[24:25], v[16:17], v[62:63] op_sel:[0,0,1] op_sel_hi:[1,0,0]
	v_pk_fma_f32 v[60:61], v[32:33], v[16:17], v[64:65] op_sel:[0,0,1] op_sel_hi:[1,1,0] neg_lo:[0,0,1] neg_hi:[0,0,1]
	v_pk_fma_f32 v[32:33], v[32:33], v[16:17], v[64:65] op_sel:[0,0,1] op_sel_hi:[1,0,0]
	;; [unrolled: 2-line block ×4, first 2 shown]
	v_mov_b32_e32 v87, v23
	v_mov_b32_e32 v55, v31
	;; [unrolled: 1-line block ×4, first 2 shown]
	v_pk_mul_f32 v[78:79], v[28:29], v[20:21] op_sel:[0,1]
	v_pk_mul_f32 v[80:81], v[36:37], v[20:21] op_sel:[0,1]
	;; [unrolled: 1-line block ×4, first 2 shown]
	v_pk_fma_f32 v[48:49], v[26:27], v[18:19], v[70:71] op_sel:[0,0,1] op_sel_hi:[1,1,0] neg_lo:[0,0,1] neg_hi:[0,0,1]
	v_pk_fma_f32 v[26:27], v[26:27], v[18:19], v[70:71] op_sel:[0,0,1] op_sel_hi:[1,0,0]
	v_pk_fma_f32 v[66:67], v[34:35], v[18:19], v[72:73] op_sel:[0,0,1] op_sel_hi:[1,1,0] neg_lo:[0,0,1] neg_hi:[0,0,1]
	v_pk_fma_f32 v[34:35], v[34:35], v[18:19], v[72:73] op_sel:[0,0,1] op_sel_hi:[1,0,0]
	;; [unrolled: 2-line block ×4, first 2 shown]
	v_mov_b32_e32 v47, v25
	v_mov_b32_e32 v61, v33
	;; [unrolled: 1-line block ×4, first 2 shown]
	v_pk_add_f32 v[6:7], v[6:7], v[86:87] neg_lo:[0,1] neg_hi:[0,1]
	v_pk_add_f32 v[8:9], v[8:9], v[54:55] neg_lo:[0,1] neg_hi:[0,1]
	;; [unrolled: 1-line block ×4, first 2 shown]
	v_pk_fma_f32 v[50:51], v[28:29], v[20:21], v[78:79] op_sel:[0,0,1] op_sel_hi:[1,1,0] neg_lo:[0,0,1] neg_hi:[0,0,1]
	v_pk_fma_f32 v[28:29], v[28:29], v[20:21], v[78:79] op_sel:[0,0,1] op_sel_hi:[1,0,0]
	v_pk_fma_f32 v[72:73], v[36:37], v[20:21], v[80:81] op_sel:[0,0,1] op_sel_hi:[1,1,0] neg_lo:[0,0,1] neg_hi:[0,0,1]
	v_pk_fma_f32 v[36:37], v[36:37], v[20:21], v[80:81] op_sel:[0,0,1] op_sel_hi:[1,0,0]
	;; [unrolled: 2-line block ×4, first 2 shown]
	v_mov_b32_e32 v49, v27
	v_mov_b32_e32 v67, v35
	;; [unrolled: 1-line block ×4, first 2 shown]
	v_pk_add_f32 v[6:7], v[6:7], v[46:47] neg_lo:[0,1] neg_hi:[0,1]
	v_pk_add_f32 v[8:9], v[8:9], v[60:61] neg_lo:[0,1] neg_hi:[0,1]
	;; [unrolled: 1-line block ×4, first 2 shown]
	v_mov_b32_e32 v51, v29
	v_mov_b32_e32 v73, v37
	;; [unrolled: 1-line block ×4, first 2 shown]
	v_pk_add_f32 v[6:7], v[6:7], v[48:49] neg_lo:[0,1] neg_hi:[0,1]
	v_pk_add_f32 v[8:9], v[8:9], v[66:67] neg_lo:[0,1] neg_hi:[0,1]
	;; [unrolled: 1-line block ×4, first 2 shown]
	v_add_u32_e32 v12, 0x800, v12
	s_cmp_lg_u32 s10, s14
	v_pk_add_f32 v[6:7], v[6:7], v[50:51] neg_lo:[0,1] neg_hi:[0,1]
	v_pk_add_f32 v[8:9], v[8:9], v[72:73] neg_lo:[0,1] neg_hi:[0,1]
	;; [unrolled: 1-line block ×4, first 2 shown]
	s_cbranch_scc1 .LBB173_40
; %bb.41:                               ;   in Loop: Header=BB173_37 Depth=1
	s_mov_b32 s15, s10
.LBB173_42:                             ;   in Loop: Header=BB173_37 Depth=1
	s_and_b32 s14, s4, 3
	s_cmp_eq_u32 s14, 0
	s_cbranch_scc1 .LBB173_45
; %bb.43:                               ;   in Loop: Header=BB173_37 Depth=1
	s_lshl_b32 s14, s15, 3
	v_lshl_add_u32 v12, s15, 9, v10
	s_mov_b32 s15, s11
.LBB173_44:                             ;   Parent Loop BB173_37 Depth=1
                                        ; =>  This Inner Loop Header: Depth=2
	s_add_i32 s16, s7, s14
	v_mov_b32_e32 v13, s16
	ds_read_b64 v[22:23], v12
	ds_read2st64_b64 v[14:17], v13 offset1:1
	ds_read2st64_b64 v[18:21], v13 offset0:2 offset1:3
	s_add_i32 s14, s14, 8
	s_add_i32 s15, s15, -1
	v_add_u32_e32 v12, 0x200, v12
	s_waitcnt lgkmcnt(1)
	v_pk_mul_f32 v[24:25], v[14:15], v[22:23] op_sel:[0,1]
	v_pk_mul_f32 v[26:27], v[16:17], v[22:23] op_sel:[0,1]
	s_waitcnt lgkmcnt(0)
	v_pk_mul_f32 v[28:29], v[18:19], v[22:23] op_sel:[0,1]
	v_pk_mul_f32 v[30:31], v[20:21], v[22:23] op_sel:[0,1]
	v_pk_fma_f32 v[32:33], v[14:15], v[22:23], v[24:25] op_sel:[0,0,1] op_sel_hi:[1,1,0] neg_lo:[0,0,1] neg_hi:[0,0,1]
	v_pk_fma_f32 v[14:15], v[14:15], v[22:23], v[24:25] op_sel:[0,0,1] op_sel_hi:[1,0,0]
	v_pk_fma_f32 v[24:25], v[16:17], v[22:23], v[26:27] op_sel:[0,0,1] op_sel_hi:[1,1,0] neg_lo:[0,0,1] neg_hi:[0,0,1]
	v_pk_fma_f32 v[16:17], v[16:17], v[22:23], v[26:27] op_sel:[0,0,1] op_sel_hi:[1,0,0]
	;; [unrolled: 2-line block ×4, first 2 shown]
	v_mov_b32_e32 v33, v15
	v_mov_b32_e32 v25, v17
	;; [unrolled: 1-line block ×4, first 2 shown]
	s_cmp_lg_u32 s15, 0
	v_pk_add_f32 v[6:7], v[6:7], v[32:33] neg_lo:[0,1] neg_hi:[0,1]
	v_pk_add_f32 v[8:9], v[8:9], v[24:25] neg_lo:[0,1] neg_hi:[0,1]
	;; [unrolled: 1-line block ×4, first 2 shown]
	s_cbranch_scc1 .LBB173_44
.LBB173_45:                             ;   in Loop: Header=BB173_37 Depth=1
	scratch_store_dwordx4 off, v[6:9], off
	scratch_store_dwordx4 off, v[2:5], off offset:16
.LBB173_46:                             ;   in Loop: Header=BB173_37 Depth=1
	s_lshl_b32 s14, s4, 3
	s_add_i32 s15, s14, s13
	v_mov_b32_e32 v12, s15
	ds_read2_b64 v[12:15], v12 offset1:130
	v_mov_b32_e32 v16, v7
	s_add_i32 s15, s13, 0x200
	s_add_i32 s16, s14, s15
	;; [unrolled: 1-line block ×3, first 2 shown]
	s_waitcnt lgkmcnt(0)
	v_pk_mul_f32 v[18:19], v[12:13], v[16:17] op_sel:[1,0] op_sel_hi:[0,0]
	v_pk_fma_f32 v[16:17], v[12:13], v[6:7], v[18:19] op_sel_hi:[1,0,1] neg_lo:[0,0,1] neg_hi:[0,0,1]
	v_pk_fma_f32 v[26:27], v[12:13], v[6:7], v[18:19] op_sel_hi:[1,0,1]
	v_mov_b32_e32 v6, s16
	ds_read2_b64 v[18:21], v6 offset1:1
	s_add_i32 s16, s13, 0x400
	s_add_i32 s17, s14, s16
	v_mov_b32_e32 v6, s17
	ds_read2_b64 v[22:25], v6 offset1:1
	s_waitcnt lgkmcnt(1)
	v_mul_f32_e32 v6, v19, v27
	v_mul_f32_e32 v7, v18, v27
	v_fma_f32 v6, v18, v16, -v6
	v_fmac_f32_e32 v7, v19, v16
	v_sub_f32_e32 v6, v8, v6
	v_sub_f32_e32 v8, v9, v7
	v_pk_mul_f32 v[8:9], v[20:21], v[8:9] op_sel:[1,0] op_sel_hi:[0,0]
	v_pk_fma_f32 v[28:29], v[20:21], v[6:7], v[8:9] op_sel_hi:[1,0,1] neg_lo:[0,0,1] neg_hi:[0,0,1]
	v_pk_fma_f32 v[18:19], v[20:21], v[6:7], v[8:9] op_sel_hi:[1,0,1]
	v_add_u32_e32 v6, s15, v1
	v_mov_b32_e32 v29, v19
	ds_write_b64 v6, v[28:29]
	s_waitcnt lgkmcnt(1)
	v_mul_f32_e32 v6, v23, v27
	v_mul_f32_e32 v7, v22, v27
	v_fma_f32 v6, v22, v16, -v6
	v_fmac_f32_e32 v7, v23, v16
	v_sub_f32_e32 v2, v2, v6
	v_sub_f32_e32 v3, v3, v7
	v_mul_f32_e32 v6, v25, v19
	v_mul_f32_e32 v7, v24, v19
	v_fma_f32 v6, v24, v28, -v6
	v_fmac_f32_e32 v7, v25, v28
	s_addk_i32 s13, 0x600
	v_mov_b32_e32 v17, v27
	v_sub_f32_e32 v6, v2, v6
	v_sub_f32_e32 v2, v3, v7
	s_add_i32 s14, s14, s13
	ds_write_b64 v11, v[16:17]
	v_pk_mul_f32 v[8:9], v[14:15], v[2:3] op_sel:[1,0] op_sel_hi:[0,0]
	v_mov_b32_e32 v11, s14
	v_pk_fma_f32 v[2:3], v[14:15], v[6:7], v[8:9] op_sel_hi:[1,0,1] neg_lo:[0,0,1] neg_hi:[0,0,1]
	v_pk_fma_f32 v[20:21], v[14:15], v[6:7], v[8:9] op_sel_hi:[1,0,1]
	ds_read2_b64 v[6:9], v11 offset1:1
	v_mov_b32_e32 v3, v21
	v_add_u32_e32 v12, s16, v1
	ds_write_b64 v12, v[2:3]
	ds_read2_b64 v[12:15], v11 offset0:2 offset1:3
	s_waitcnt lgkmcnt(2)
	v_mul_f32_e32 v3, v7, v27
	v_fma_f32 v3, v6, v16, -v3
	v_mul_f32_e32 v6, v6, v27
	v_fmac_f32_e32 v6, v7, v16
	v_sub_f32_e32 v3, v4, v3
	v_sub_f32_e32 v4, v5, v6
	v_mul_f32_e32 v5, v9, v19
	v_mul_f32_e32 v6, v8, v19
	v_fma_f32 v5, v8, v28, -v5
	v_fmac_f32_e32 v6, v9, v28
	v_sub_f32_e32 v3, v3, v5
	v_sub_f32_e32 v5, v4, v6
	s_waitcnt lgkmcnt(0)
	v_mul_f32_e32 v6, v12, v21
	v_mul_f32_e32 v4, v13, v21
	v_fmac_f32_e32 v6, v13, v2
	v_fma_f32 v4, v12, v2, -v4
	v_sub_f32_e32 v6, v5, v6
	v_sub_f32_e32 v4, v3, v4
	v_pk_mul_f32 v[6:7], v[14:15], v[6:7] op_sel:[1,0] op_sel_hi:[0,0]
	v_pk_fma_f32 v[8:9], v[14:15], v[4:5], v[6:7] neg_lo:[0,0,1] neg_hi:[0,0,1]
	v_pk_fma_f32 v[4:5], v[14:15], v[4:5], v[6:7] op_sel_hi:[1,0,1]
	v_mov_b32_e32 v3, v21
	v_mov_b32_e32 v4, v8
	scratch_store_dwordx4 off, v[2:5], off offset:16
	s_addk_i32 s7, 0x800
	s_add_i32 s10, s10, 4
	v_add_u32_e32 v2, s13, v1
	s_add_i32 s13, s4, 4
	s_add_i32 s4, s4, 7
	v_mov_b32_e32 v18, v28
	v_mov_b32_e32 v9, v5
	s_cmp_lt_i32 s4, s28
	scratch_store_dwordx4 off, v[16:19], off
	ds_write_b64 v2, v[8:9]
	s_cbranch_scc0 .LBB173_49
; %bb.47:                               ;   in Loop: Header=BB173_37 Depth=1
	s_mov_b32 s4, s13
	s_branch .LBB173_37
.LBB173_48:
	s_mov_b32 s13, s4
.LBB173_49:
	s_cmp_ge_i32 s13, s28
	s_cbranch_scc1 .LBB173_56
; %bb.50:
	v_mov_b32_e32 v2, 0x8000
	s_lshl_b32 s4, s13, 9
	v_lshl_or_b32 v5, v0, 3, v2
	s_branch .LBB173_53
.LBB173_51:                             ;   in Loop: Header=BB173_53 Depth=1
	scratch_store_dwordx2 off, v[2:3], off
.LBB173_52:                             ;   in Loop: Header=BB173_53 Depth=1
	s_mul_i32 s5, s13, 0x208
	v_mov_b32_e32 v4, v3
	v_mov_b32_e32 v3, s5
	ds_read_b64 v[8:9], v3
	s_add_i32 s13, s13, 1
	s_addk_i32 s4, 0x200
	s_cmp_ge_i32 s13, s28
	s_waitcnt lgkmcnt(0)
	v_pk_mul_f32 v[10:11], v[8:9], v[4:5] op_sel:[1,0] op_sel_hi:[0,0]
	v_pk_fma_f32 v[12:13], v[8:9], v[2:3], v[10:11] op_sel_hi:[1,0,1] neg_lo:[0,0,1] neg_hi:[0,0,1]
	v_pk_fma_f32 v[2:3], v[8:9], v[2:3], v[10:11] op_sel_hi:[1,0,1]
	s_nop 0
	v_mov_b32_e32 v13, v3
	scratch_store_dwordx2 off, v[12:13], off
	ds_write_b64 v6, v[12:13]
	s_cbranch_scc1 .LBB173_56
.LBB173_53:                             ; =>This Loop Header: Depth=1
                                        ;     Child Loop BB173_55 Depth 2
	s_lshl_b32 s5, s13, 9
	v_add_u32_e32 v6, s5, v1
	ds_read_b64 v[2:3], v6
	s_cmp_eq_u32 s13, 0
	s_waitcnt lgkmcnt(0)
	scratch_store_dwordx2 off, v[2:3], off
	s_cbranch_scc1 .LBB173_52
; %bb.54:                               ;   in Loop: Header=BB173_53 Depth=1
	v_mov_b32_e32 v4, v5
	s_mov_b32 s5, s13
	s_mov_b32 s7, s4
.LBB173_55:                             ;   Parent Loop BB173_53 Depth=1
                                        ; =>  This Inner Loop Header: Depth=2
	v_mov_b32_e32 v7, s7
	ds_read_b64 v[8:9], v4
	ds_read_b64 v[10:11], v7
	s_add_i32 s7, s7, 8
	s_add_i32 s5, s5, -1
	v_add_u32_e32 v4, 0x200, v4
	s_cmp_lg_u32 s5, 0
	s_waitcnt lgkmcnt(0)
	v_pk_mul_f32 v[12:13], v[10:11], v[8:9] op_sel:[1,1] op_sel_hi:[0,1]
	v_pk_fma_f32 v[14:15], v[10:11], v[8:9], v[12:13] neg_lo:[0,0,1] neg_hi:[0,0,1]
	v_pk_fma_f32 v[8:9], v[10:11], v[8:9], v[12:13] op_sel_hi:[1,0,1]
	s_nop 0
	v_mov_b32_e32 v15, v9
	v_pk_add_f32 v[2:3], v[2:3], v[14:15] neg_lo:[0,1] neg_hi:[0,1]
	s_cbranch_scc1 .LBB173_55
	s_branch .LBB173_51
.LBB173_56:
	s_mov_b64 s[4:5], 0
.LBB173_57:
	s_and_b64 vcc, exec, s[4:5]
	s_cbranch_vccz .LBB173_96
; %bb.58:
	s_add_i32 s7, s28, -1
	s_cmp_gt_i32 s6, 31
	s_mov_b32 s4, s7
	s_cbranch_scc0 .LBB173_68
; %bb.59:
	s_lshl_b32 s6, s28, 9
	v_lshl_or_b32 v2, v0, 3, s6
	v_add_u32_e32 v204, 0x7e00, v2
	s_addk_i32 s6, 0xfd08
	s_mov_b32 s41, s7
	s_branch .LBB173_61
.LBB173_60:                             ;   in Loop: Header=BB173_61 Depth=1
	scratch_load_dwordx4 v[2:5], off, off offset:24
	scratch_load_dwordx4 v[6:9], off, off offset:40
	s_add_i32 s5, s10, -1
	s_add_i32 s13, s10, -3
	s_add_i32 s4, s11, 0xfffffc00
	s_lshl_b32 s15, s5, 3
	s_lshl_b32 s12, s5, 9
	;; [unrolled: 1-line block ×4, first 2 shown]
	s_add_i32 s13, s15, s11
	s_add_i32 s15, s15, s12
	;; [unrolled: 1-line block ×6, first 2 shown]
	v_mov_b32_e32 v10, s13
	v_mov_b32_e32 v14, s15
	;; [unrolled: 1-line block ×6, first 2 shown]
	ds_read2_b64 v[10:13], v10 offset1:1
	ds_read_b64 v[26:27], v14
	ds_read2_b64 v[14:17], v15 offset1:1
	ds_read2_b64 v[18:21], v18 offset1:1
	;; [unrolled: 1-line block ×3, first 2 shown]
	ds_read_b64 v[28:29], v28
	s_waitcnt vmcnt(3) lgkmcnt(5)
	v_mul_f32_e32 v173, v12, v47
	v_mul_f32_e32 v30, v13, v47
	v_fmac_f32_e32 v173, v13, v46
	v_fma_f32 v172, v12, v46, -v30
	v_mul_f32_e32 v13, v10, v173
	v_mul_f32_e32 v12, v11, v173
	v_fmac_f32_e32 v13, v11, v172
	v_fma_f32 v10, v10, v172, -v12
	v_sub_f32_e32 v13, v49, v13
	s_waitcnt lgkmcnt(3)
	v_mul_f32_e32 v33, v14, v173
	v_sub_f32_e32 v10, v48, v10
	v_mul_f32_e32 v177, v26, v13
	v_mul_f32_e32 v30, v17, v173
	;; [unrolled: 1-line block ×4, first 2 shown]
	v_fmac_f32_e32 v33, v15, v172
	v_mul_f32_e32 v15, v27, v13
	v_fmac_f32_e32 v177, v27, v10
	v_fma_f32 v11, v16, v172, -v30
	v_fmac_f32_e32 v31, v17, v172
	v_fma_f32 v176, v26, v10, -v15
	s_waitcnt lgkmcnt(2)
	v_mul_f32_e32 v10, v21, v177
	v_mul_f32_e32 v13, v20, v177
	v_fma_f32 v12, v14, v172, -v32
	s_waitcnt vmcnt(2)
	v_sub_f32_e32 v11, v52, v11
	v_sub_f32_e32 v14, v53, v31
	v_fma_f32 v10, v20, v176, -v10
	v_fmac_f32_e32 v13, v21, v176
	v_sub_f32_e32 v10, v11, v10
	v_sub_f32_e32 v11, v14, v13
	s_waitcnt lgkmcnt(1)
	v_mul_f32_e32 v179, v24, v11
	v_mul_f32_e32 v16, v18, v177
	;; [unrolled: 1-line block ×3, first 2 shown]
	v_fmac_f32_e32 v179, v25, v10
	v_mul_f32_e32 v15, v19, v177
	v_fmac_f32_e32 v16, v19, v176
	v_fma_f32 v178, v24, v10, -v13
	v_mul_f32_e32 v11, v22, v179
	s_add_i32 s14, s10, -5
	v_fma_f32 v15, v18, v176, -v15
	v_mul_f32_e32 v10, v23, v179
	v_fmac_f32_e32 v11, v23, v178
	s_lshl_b32 s17, s14, 3
	v_fma_f32 v10, v22, v178, -v10
	s_add_i32 s21, s17, s11
	s_add_i32 s13, s17, s12
	s_lshl_b32 s14, s14, 9
	s_add_i32 s16, s10, -7
	scratch_store_dwordx2 off, v[172:173], off
	scratch_store_dwordx2 off, v[176:177], off offset:8
	scratch_store_dwordx2 off, v[178:179], off offset:16
	scratch_load_dwordx4 v[60:63], off, off
	scratch_load_dwordx4 v[98:101], off, off
	scratch_load_dwordx4 v[78:81], off, off offset:8
	scratch_load_dwordx4 v[94:97], off, off offset:8
	s_sub_i32 s34, s10, 21
	s_lshl_b32 s35, s34, 3
	s_sub_i32 s36, s10, 23
	s_waitcnt vmcnt(8)
	v_sub_f32_e32 v3, v3, v33
	v_sub_f32_e32 v2, v2, v12
	;; [unrolled: 1-line block ×6, first 2 shown]
	s_waitcnt lgkmcnt(0)
	v_mul_f32_e32 v10, v29, v3
	v_mul_f32_e32 v181, v28, v3
	v_fma_f32 v180, v28, v2, -v10
	v_fmac_f32_e32 v181, v29, v2
	v_mov_b32_e32 v2, s21
	ds_read2_b64 v[10:13], v2 offset1:1
	v_mov_b32_e32 v2, s13
	ds_read2_b64 v[14:17], v2 offset1:1
	s_add_i32 s13, s17, s4
	scratch_load_dwordx4 v[32:35], off, off
	s_waitcnt lgkmcnt(1)
	v_mul_f32_e32 v3, v12, v173
	v_mul_f32_e32 v2, v13, v173
	v_fmac_f32_e32 v3, v13, v172
	v_fma_f32 v2, v12, v172, -v2
	v_sub_f32_e32 v12, v5, v3
	s_waitcnt lgkmcnt(0)
	v_mul_f32_e32 v3, v17, v177
	v_sub_f32_e32 v2, v4, v2
	v_fma_f32 v3, v16, v176, -v3
	v_sub_f32_e32 v20, v2, v3
	v_mov_b32_e32 v2, s13
	v_mul_f32_e32 v13, v16, v177
	ds_read2_b64 v[2:5], v2 offset1:1
	v_fmac_f32_e32 v13, v17, v176
	s_add_i32 s13, s17, s5
	v_sub_f32_e32 v12, v12, v13
	v_mov_b32_e32 v13, s13
	ds_read2_b64 v[16:19], v13 offset1:1
	s_waitcnt lgkmcnt(1)
	v_mul_f32_e32 v13, v5, v179
	v_fma_f32 v13, v4, v178, -v13
	v_mul_f32_e32 v4, v4, v179
	v_fmac_f32_e32 v4, v5, v178
	v_sub_f32_e32 v4, v12, v4
	s_waitcnt lgkmcnt(0)
	v_mul_f32_e32 v12, v19, v181
	s_add_i32 s13, s11, 0xfffff800
	v_sub_f32_e32 v5, v20, v13
	v_fma_f32 v12, v18, v180, -v12
	s_add_i32 s15, s17, s13
	v_mul_f32_e32 v13, v18, v181
	v_sub_f32_e32 v5, v5, v12
	v_mov_b32_e32 v12, s15
	v_fmac_f32_e32 v13, v19, v180
	ds_read2_b64 v[18:21], v12 offset1:1
	v_sub_f32_e32 v4, v4, v13
	s_add_i32 s15, s17, s14
	v_mov_b32_e32 v12, s15
	ds_read_b64 v[12:13], v12
	s_waitcnt lgkmcnt(1)
	v_mul_f32_e32 v22, v21, v4
	v_mul_f32_e32 v183, v20, v4
	;; [unrolled: 1-line block ×3, first 2 shown]
	v_fma_f32 v4, v10, v172, -v4
	v_fma_f32 v182, v20, v5, -v22
	v_fmac_f32_e32 v183, v21, v5
	v_mul_f32_e32 v5, v10, v173
	s_waitcnt vmcnt(8)
	v_sub_f32_e32 v4, v6, v4
	v_mul_f32_e32 v6, v15, v177
	v_fmac_f32_e32 v5, v11, v172
	v_fma_f32 v6, v14, v176, -v6
	v_sub_f32_e32 v5, v7, v5
	v_mul_f32_e32 v7, v14, v177
	v_sub_f32_e32 v4, v4, v6
	v_mul_f32_e32 v6, v3, v179
	v_fmac_f32_e32 v7, v15, v176
	v_fma_f32 v6, v2, v178, -v6
	v_mul_f32_e32 v2, v2, v179
	v_sub_f32_e32 v5, v5, v7
	v_fmac_f32_e32 v2, v3, v178
	v_sub_f32_e32 v3, v4, v6
	v_sub_f32_e32 v2, v5, v2
	v_mul_f32_e32 v4, v17, v181
	v_mul_f32_e32 v5, v16, v181
	v_fma_f32 v4, v16, v180, -v4
	v_fmac_f32_e32 v5, v17, v180
	v_sub_f32_e32 v3, v3, v4
	v_sub_f32_e32 v2, v2, v5
	v_mul_f32_e32 v4, v19, v183
	v_mul_f32_e32 v5, v18, v183
	v_fma_f32 v4, v18, v182, -v4
	v_fmac_f32_e32 v5, v19, v182
	v_sub_f32_e32 v3, v3, v4
	v_sub_f32_e32 v2, v2, v5
	scratch_load_dwordx4 v[4:7], off, off offset:56
	s_lshl_b32 s17, s16, 3
	s_add_i32 s15, s17, s11
	s_waitcnt lgkmcnt(0)
	v_mul_f32_e32 v10, v13, v2
	v_mul_f32_e32 v185, v12, v2
	v_mov_b32_e32 v2, s15
	v_fma_f32 v184, v12, v3, -v10
	v_fmac_f32_e32 v185, v13, v3
	ds_read2_b64 v[10:13], v2 offset1:1
	s_add_i32 s15, s17, s12
	v_mov_b32_e32 v2, s15
	ds_read2_b64 v[14:17], v2 offset1:1
	s_add_i32 s15, s17, s4
	s_waitcnt lgkmcnt(1)
	v_mul_f32_e32 v2, v13, v173
	v_fma_f32 v2, v12, v172, -v2
	v_mul_f32_e32 v3, v12, v173
	v_sub_f32_e32 v2, v8, v2
	s_waitcnt lgkmcnt(0)
	v_mul_f32_e32 v8, v17, v177
	v_fmac_f32_e32 v3, v13, v172
	v_fma_f32 v8, v16, v176, -v8
	v_sub_f32_e32 v3, v9, v3
	v_mul_f32_e32 v9, v16, v177
	v_sub_f32_e32 v2, v2, v8
	v_mov_b32_e32 v8, s15
	v_fmac_f32_e32 v9, v17, v176
	ds_read2_b64 v[16:19], v8 offset1:1
	s_add_i32 s15, s17, s5
	v_mov_b32_e32 v8, s15
	ds_read2_b64 v[20:23], v8 offset1:1
	v_sub_f32_e32 v3, v3, v9
	s_waitcnt lgkmcnt(1)
	v_mul_f32_e32 v8, v19, v179
	v_fma_f32 v8, v18, v178, -v8
	v_mul_f32_e32 v9, v18, v179
	v_sub_f32_e32 v2, v2, v8
	s_waitcnt lgkmcnt(0)
	v_mul_f32_e32 v8, v23, v181
	v_fmac_f32_e32 v9, v19, v178
	v_fma_f32 v8, v22, v180, -v8
	s_add_i32 s15, s17, s13
	v_sub_f32_e32 v3, v3, v9
	v_mul_f32_e32 v9, v22, v181
	v_sub_f32_e32 v2, v2, v8
	v_mov_b32_e32 v8, s15
	v_fmac_f32_e32 v9, v23, v180
	ds_read2_b64 v[22:25], v8 offset1:1
	s_add_i32 s15, s17, s14
	v_mov_b32_e32 v8, s15
	ds_read2_b64 v[26:29], v8 offset1:1
	v_sub_f32_e32 v3, v3, v9
	s_waitcnt lgkmcnt(1)
	v_mul_f32_e32 v8, v25, v183
	v_fma_f32 v8, v24, v182, -v8
	v_mul_f32_e32 v9, v24, v183
	v_sub_f32_e32 v2, v2, v8
	s_waitcnt lgkmcnt(0)
	v_mul_f32_e32 v8, v29, v185
	s_add_i32 s15, s11, 0xfffff400
	v_fmac_f32_e32 v9, v25, v182
	v_fma_f32 v8, v28, v184, -v8
	s_add_i32 s18, s17, s15
	v_sub_f32_e32 v3, v3, v9
	v_mul_f32_e32 v9, v28, v185
	v_sub_f32_e32 v8, v2, v8
	v_mov_b32_e32 v2, s18
	v_fmac_f32_e32 v9, v29, v184
	ds_read2_b64 v[28:31], v2 offset1:1
	v_sub_f32_e32 v9, v3, v9
	v_mul_f32_e32 v13, v10, v173
	scratch_store_dwordx2 off, v[180:181], off offset:24
	v_fmac_f32_e32 v13, v11, v172
	s_waitcnt lgkmcnt(0)
	v_mul_f32_e32 v12, v31, v9
	v_mul_f32_e32 v187, v30, v9
	v_fma_f32 v186, v30, v8, -v12
	v_fmac_f32_e32 v187, v31, v8
	v_mul_f32_e32 v8, v11, v173
	v_fma_f32 v12, v10, v172, -v8
	v_mul_f32_e32 v18, v14, v177
	v_fmac_f32_e32 v18, v15, v176
	s_lshl_b32 s16, s16, 9
	scratch_store_dwordx2 off, v[182:183], off offset:32
	scratch_store_dwordx2 off, v[184:185], off offset:40
	s_add_i32 s17, s17, s16
	v_mov_b32_e32 v2, s17
	s_waitcnt vmcnt(3)
	v_sub_f32_e32 v4, v4, v12
	v_mul_f32_e32 v12, v15, v177
	v_fma_f32 v12, v14, v176, -v12
	v_sub_f32_e32 v5, v5, v13
	v_sub_f32_e32 v4, v4, v12
	scratch_load_dwordx4 v[12:15], off, off offset:16
	v_sub_f32_e32 v5, v5, v18
	v_mul_f32_e32 v18, v17, v179
	v_fma_f32 v18, v16, v178, -v18
	v_mul_f32_e32 v16, v16, v179
	v_fmac_f32_e32 v16, v17, v178
	v_sub_f32_e32 v5, v5, v16
	v_mul_f32_e32 v16, v21, v181
	v_sub_f32_e32 v4, v4, v18
	v_fma_f32 v16, v20, v180, -v16
	v_mul_f32_e32 v17, v20, v181
	v_sub_f32_e32 v4, v4, v16
	v_mul_f32_e32 v16, v23, v183
	v_fmac_f32_e32 v17, v21, v180
	v_fma_f32 v16, v22, v182, -v16
	v_sub_f32_e32 v5, v5, v17
	v_mul_f32_e32 v20, v22, v183
	v_sub_f32_e32 v4, v4, v16
	scratch_load_dwordx4 v[16:19], off, off offset:32
	ds_read_b64 v[2:3], v2
	v_fmac_f32_e32 v20, v23, v182
	v_mul_f32_e32 v21, v26, v185
	v_sub_f32_e32 v5, v5, v20
	v_mul_f32_e32 v20, v27, v185
	v_fmac_f32_e32 v21, v27, v184
	v_fma_f32 v20, v26, v184, -v20
	v_sub_f32_e32 v5, v5, v21
	v_mul_f32_e32 v21, v28, v187
	v_sub_f32_e32 v4, v4, v20
	v_mul_f32_e32 v20, v29, v187
	v_fmac_f32_e32 v21, v29, v186
	v_fma_f32 v20, v28, v186, -v20
	v_sub_f32_e32 v5, v5, v21
	v_sub_f32_e32 v4, v4, v20
	s_waitcnt lgkmcnt(0)
	v_mul_f32_e32 v20, v3, v5
	v_mul_f32_e32 v59, v2, v5
	s_add_i32 s18, s10, -9
	v_fma_f32 v58, v2, v4, -v20
	v_fmac_f32_e32 v59, v3, v4
	s_lshl_b32 s19, s18, 3
	scratch_store_dwordx2 off, v[186:187], off offset:48
	scratch_store_dwordx2 off, v[58:59], off offset:56
	s_add_i32 s17, s19, s11
	scratch_load_dwordx4 v[2:5], off, off offset:48
	scratch_load_dwordx4 v[50:53], off, off offset:48
	v_mov_b32_e32 v20, s17
	ds_read2_b64 v[20:23], v20 offset1:1
	s_add_i32 s17, s19, s12
	v_mov_b32_e32 v24, s17
	ds_read2_b64 v[24:27], v24 offset1:1
	s_add_i32 s17, s19, s4
	s_waitcnt lgkmcnt(1)
	v_mul_f32_e32 v36, v23, v33
	v_fma_f32 v36, v22, v32, -v36
	v_mul_f32_e32 v22, v22, v33
	v_fmac_f32_e32 v22, v23, v32
	v_sub_f32_e32 v7, v7, v22
	s_waitcnt lgkmcnt(0)
	v_mul_f32_e32 v22, v27, v35
	v_sub_f32_e32 v6, v6, v36
	v_fma_f32 v22, v26, v34, -v22
	scratch_load_dwordx4 v[28:31], off, off
	v_mul_f32_e32 v23, v26, v35
	v_sub_f32_e32 v6, v6, v22
	v_mov_b32_e32 v22, s17
	s_add_i32 s17, s19, s5
	v_fmac_f32_e32 v23, v27, v34
	ds_read2_b64 v[32:35], v22 offset1:1
	v_mov_b32_e32 v22, s17
	scratch_load_dwordx4 v[8:11], off, off offset:72
	ds_read2_b64 v[40:43], v22 offset1:1
	scratch_load_dwordx4 v[36:39], off, off offset:16
	v_sub_f32_e32 v7, v7, v23
	s_add_i32 s17, s19, s13
	s_lshl_b32 s18, s18, 9
	scratch_load_dwordx4 v[82:85], off, off offset:24
	scratch_load_dwordx4 v[86:89], off, off offset:40
	;; [unrolled: 1-line block ×3, first 2 shown]
	s_lshl_b32 s34, s34, 9
	s_lshl_b32 s37, s36, 3
	s_sub_i32 s38, s10, 25
	s_lshl_b32 s39, s38, 3
	s_waitcnt vmcnt(11) lgkmcnt(1)
	v_mul_f32_e32 v22, v35, v13
	v_mul_f32_e32 v13, v34, v13
	v_fma_f32 v22, v34, v12, -v22
	v_fmac_f32_e32 v13, v35, v12
	s_waitcnt lgkmcnt(0)
	v_mul_f32_e32 v12, v43, v15
	v_mul_f32_e32 v23, v42, v15
	v_sub_f32_e32 v6, v6, v22
	v_sub_f32_e32 v7, v7, v13
	v_fma_f32 v22, v42, v14, -v12
	v_fmac_f32_e32 v23, v43, v14
	scratch_load_dwordx4 v[12:15], off, off offset:32
	v_sub_f32_e32 v6, v6, v22
	v_mov_b32_e32 v22, s17
	s_add_i32 s17, s19, s14
	ds_read2_b64 v[42:45], v22 offset1:1
	v_mov_b32_e32 v22, s17
	ds_read2_b64 v[46:49], v22 offset1:1
	s_add_i32 s17, s19, s15
	v_sub_f32_e32 v7, v7, v23
	s_waitcnt vmcnt(11) lgkmcnt(1)
	v_mul_f32_e32 v22, v45, v17
	v_mul_f32_e32 v17, v44, v17
	v_fma_f32 v22, v44, v16, -v22
	v_fmac_f32_e32 v17, v45, v16
	s_waitcnt lgkmcnt(0)
	v_mul_f32_e32 v16, v49, v19
	v_sub_f32_e32 v6, v6, v22
	v_fma_f32 v16, v48, v18, -v16
	v_mul_f32_e32 v22, v48, v19
	v_sub_f32_e32 v6, v6, v16
	v_mov_b32_e32 v16, s17
	v_sub_f32_e32 v7, v7, v17
	v_fmac_f32_e32 v22, v49, v18
	ds_read2_b64 v[16:19], v16 offset1:1
	s_add_i32 s17, s19, s16
	v_sub_f32_e32 v7, v7, v22
	v_mov_b32_e32 v22, s17
	ds_read2_b64 v[54:57], v22 offset1:1
	s_add_i32 s17, s11, 0xfffff000
	s_add_i32 s20, s19, s17
	;; [unrolled: 1-line block ×3, first 2 shown]
	s_lshl_b32 s36, s36, 9
	s_sub_i32 s40, s10, 27
	s_lshl_b32 s38, s38, 9
	s_lshl_b32 s41, s40, 3
	s_waitcnt vmcnt(8) lgkmcnt(1)
	v_mul_f32_e32 v22, v19, v3
	v_fma_f32 v22, v18, v2, -v22
	v_mul_f32_e32 v3, v18, v3
	v_fmac_f32_e32 v3, v19, v2
	v_sub_f32_e32 v2, v6, v22
	s_waitcnt lgkmcnt(0)
	v_mul_f32_e32 v6, v57, v59
	v_fma_f32 v6, v56, v58, -v6
	v_sub_f32_e32 v3, v7, v3
	v_mul_f32_e32 v7, v56, v59
	v_sub_f32_e32 v18, v2, v6
	v_mov_b32_e32 v2, s20
	v_fmac_f32_e32 v7, v57, v58
	ds_read2_b64 v[56:59], v2 offset1:1
	v_sub_f32_e32 v3, v3, v7
	v_mov_b32_e32 v2, s19
	ds_read_b64 v[6:7], v2
	s_waitcnt vmcnt(6)
	v_mul_f32_e32 v19, v20, v29
	s_waitcnt lgkmcnt(1)
	v_mul_f32_e32 v2, v59, v3
	v_mul_f32_e32 v3, v58, v3
	v_fma_f32 v2, v58, v18, -v2
	v_fmac_f32_e32 v3, v59, v18
	v_mul_f32_e32 v18, v21, v29
	v_fma_f32 v18, v20, v28, -v18
	v_fmac_f32_e32 v19, v21, v28
	scratch_load_dwordx4 v[26:29], off, off offset:16
	s_waitcnt vmcnt(6)
	v_sub_f32_e32 v8, v8, v18
	v_mul_f32_e32 v18, v25, v31
	v_sub_f32_e32 v9, v9, v19
	v_fma_f32 v18, v24, v30, -v18
	v_mul_f32_e32 v19, v24, v31
	scratch_store_dword off, v8, off offset:72
	v_fmac_f32_e32 v19, v25, v30
	v_sub_f32_e32 v8, v8, v18
	s_waitcnt vmcnt(6)
	v_mul_f32_e32 v18, v33, v37
	v_sub_f32_e32 v9, v9, v19
	v_fma_f32 v18, v32, v36, -v18
	v_mul_f32_e32 v19, v32, v37
	v_fmac_f32_e32 v19, v33, v36
	v_sub_f32_e32 v8, v8, v18
	v_mul_f32_e32 v18, v41, v39
	v_sub_f32_e32 v9, v9, v19
	v_fma_f32 v18, v40, v38, -v18
	v_mul_f32_e32 v19, v40, v39
	v_fmac_f32_e32 v19, v41, v38
	v_sub_f32_e32 v8, v8, v18
	v_sub_f32_e32 v9, v9, v19
	scratch_store_dwordx2 off, v[2:3], off offset:64
	s_waitcnt vmcnt(3)
	v_mul_f32_e32 v18, v43, v13
	v_mul_f32_e32 v13, v42, v13
	v_fmac_f32_e32 v13, v43, v12
	v_fma_f32 v18, v42, v12, -v18
	v_sub_f32_e32 v9, v9, v13
	v_mul_f32_e32 v12, v47, v15
	v_mul_f32_e32 v13, v46, v15
	v_fma_f32 v12, v46, v14, -v12
	v_fmac_f32_e32 v13, v47, v14
	scratch_load_dwordx4 v[44:47], off, off offset:32
	v_sub_f32_e32 v8, v8, v18
	v_sub_f32_e32 v8, v8, v12
	;; [unrolled: 1-line block ×3, first 2 shown]
	v_mul_f32_e32 v12, v17, v51
	v_mul_f32_e32 v13, v16, v51
	v_fma_f32 v12, v16, v50, -v12
	v_fmac_f32_e32 v13, v17, v50
	v_sub_f32_e32 v8, v8, v12
	v_sub_f32_e32 v9, v9, v13
	v_mul_f32_e32 v12, v55, v53
	v_mul_f32_e32 v13, v54, v53
	v_fma_f32 v12, v54, v52, -v12
	v_fmac_f32_e32 v13, v55, v52
	v_sub_f32_e32 v8, v8, v12
	v_sub_f32_e32 v9, v9, v13
	v_mul_f32_e32 v12, v57, v3
	v_mul_f32_e32 v13, v56, v3
	v_fma_f32 v12, v56, v2, -v12
	v_fmac_f32_e32 v13, v57, v2
	scratch_load_dwordx4 v[56:59], off, off offset:48
	v_sub_f32_e32 v9, v9, v13
	v_sub_f32_e32 v8, v8, v12
	s_waitcnt lgkmcnt(0)
	v_mul_f32_e32 v12, v7, v9
	v_mul_f32_e32 v13, v6, v9
	v_fma_f32 v12, v6, v8, -v12
	v_fmac_f32_e32 v13, v7, v8
	scratch_store_dwordx2 off, v[12:13], off offset:72
	scratch_load_dwordx4 v[6:9], off, off offset:64
	s_add_i32 s20, s10, -11
	s_lshl_b32 s21, s20, 3
	s_add_i32 s19, s21, s11
	v_mov_b32_e32 v14, s19
	ds_read2_b64 v[14:17], v14 offset1:1
	s_add_i32 s19, s21, s12
	v_mov_b32_e32 v22, s19
	ds_read2_b64 v[22:25], v22 offset1:1
	v_mov_b32_e32 v20, v61
	s_waitcnt lgkmcnt(1)
	v_pk_mul_f32 v[30:31], v[16:17], v[60:61]
	v_mov_b32_e32 v21, v63
	v_sub_f32_e32 v30, v30, v31
	v_sub_f32_e32 v10, v10, v30
	v_mov_b32_e32 v30, v17
	s_waitcnt lgkmcnt(0)
	v_mov_b32_e32 v17, v25
	v_mov_b32_e32 v18, v60
	;; [unrolled: 1-line block ×4, first 2 shown]
	v_pk_mul_f32 v[16:17], v[16:17], v[20:21]
	s_add_i32 s19, s21, s4
	v_pk_fma_f32 v[20:21], v[30:31], v[18:19], v[16:17] neg_lo:[0,0,1] neg_hi:[0,0,1]
	v_pk_fma_f32 v[16:17], v[30:31], v[18:19], v[16:17]
	scratch_load_dwordx4 v[32:35], off, off
	v_pk_mov_b32 v[16:17], v[20:21], v[16:17] op_sel:[1,0]
	s_lshl_b32 s20, s20, 9
	v_pk_add_f32 v[10:11], v[10:11], v[16:17] neg_lo:[0,1] neg_hi:[0,1]
	v_mul_f32_e32 v16, v25, v62
	v_fmac_f32_e32 v16, v24, v63
	v_sub_f32_e32 v16, v11, v16
	scratch_store_dwordx2 off, v[10:11], off offset:80
	v_mov_b32_e32 v11, s19
	ds_read2_b64 v[40:43], v11 offset1:1
	s_add_i32 s19, s21, s5
	v_mov_b32_e32 v11, s19
	ds_read2_b64 v[36:39], v11 offset1:1
	s_add_i32 s19, s21, s13
	s_waitcnt vmcnt(8) lgkmcnt(1)
	v_mul_f32_e32 v11, v43, v27
	v_mul_f32_e32 v17, v42, v27
	v_fma_f32 v11, v42, v26, -v11
	v_fmac_f32_e32 v17, v43, v26
	v_sub_f32_e32 v10, v10, v11
	v_sub_f32_e32 v11, v16, v17
	s_waitcnt lgkmcnt(0)
	v_mul_f32_e32 v16, v39, v29
	v_fma_f32 v16, v38, v28, -v16
	v_sub_f32_e32 v10, v10, v16
	v_mov_b32_e32 v16, s19
	ds_read2_b64 v[70:73], v16 offset1:1
	s_add_i32 s19, s21, s14
	v_mov_b32_e32 v16, s19
	ds_read2_b64 v[48:51], v16 offset1:1
	v_mul_f32_e32 v17, v38, v29
	s_waitcnt vmcnt(5) lgkmcnt(1)
	v_mul_f32_e32 v16, v73, v45
	v_fmac_f32_e32 v17, v39, v28
	v_fma_f32 v16, v72, v44, -v16
	v_sub_f32_e32 v11, v11, v17
	v_mul_f32_e32 v17, v72, v45
	v_sub_f32_e32 v10, v10, v16
	s_waitcnt lgkmcnt(0)
	v_mul_f32_e32 v16, v51, v47
	v_fmac_f32_e32 v17, v73, v44
	v_fma_f32 v16, v50, v46, -v16
	s_add_i32 s19, s21, s15
	v_sub_f32_e32 v11, v11, v17
	v_mul_f32_e32 v17, v50, v47
	v_sub_f32_e32 v10, v10, v16
	v_mov_b32_e32 v16, s19
	v_fmac_f32_e32 v17, v51, v46
	ds_read2_b64 v[44:47], v16 offset1:1
	s_add_i32 s19, s21, s16
	v_mov_b32_e32 v16, s19
	ds_read2_b64 v[64:67], v16 offset1:1
	s_add_i32 s19, s21, s17
	s_waitcnt vmcnt(4) lgkmcnt(1)
	v_mul_f32_e32 v16, v47, v57
	v_fma_f32 v16, v46, v56, -v16
	v_sub_f32_e32 v10, v10, v16
	s_waitcnt lgkmcnt(0)
	v_mul_f32_e32 v16, v67, v59
	v_fma_f32 v16, v66, v58, -v16
	v_sub_f32_e32 v11, v11, v17
	v_mul_f32_e32 v17, v46, v57
	v_sub_f32_e32 v10, v10, v16
	v_mov_b32_e32 v16, s19
	v_fmac_f32_e32 v17, v47, v56
	ds_read2_b64 v[72:75], v16 offset1:1
	s_add_i32 s19, s21, s18
	scratch_load_dwordx4 v[60:63], off, off offset:88
	v_sub_f32_e32 v11, v11, v17
	v_mul_f32_e32 v17, v66, v59
	v_mov_b32_e32 v16, s19
	v_fmac_f32_e32 v17, v67, v58
	ds_read2_b64 v[66:69], v16 offset1:1
	s_waitcnt vmcnt(3) lgkmcnt(1)
	v_mul_f32_e32 v16, v75, v7
	v_fma_f32 v16, v74, v6, -v16
	v_mul_f32_e32 v7, v74, v7
	v_fmac_f32_e32 v7, v75, v6
	v_sub_f32_e32 v6, v10, v16
	s_waitcnt lgkmcnt(0)
	v_mul_f32_e32 v10, v69, v13
	s_add_i32 s19, s11, 0xffffec00
	v_fma_f32 v10, v68, v12, -v10
	s_add_i32 s22, s21, s19
	v_sub_f32_e32 v10, v6, v10
	v_mov_b32_e32 v6, s22
	ds_read2_b64 v[74:77], v6 offset1:1
	v_sub_f32_e32 v11, v11, v17
	v_sub_f32_e32 v7, v11, v7
	v_mul_f32_e32 v11, v68, v13
	v_fmac_f32_e32 v11, v69, v12
	s_add_i32 s21, s21, s20
	v_sub_f32_e32 v7, v7, v11
	scratch_load_dwordx4 v[90:93], off, off offset:56
	v_mov_b32_e32 v6, s21
	ds_read_b64 v[16:17], v6
	s_waitcnt lgkmcnt(1)
	v_mul_f32_e32 v6, v77, v7
	v_mul_f32_e32 v7, v76, v7
	v_fma_f32 v6, v76, v10, -v6
	v_fmac_f32_e32 v7, v77, v10
	scratch_store_dwordx2 off, v[6:7], off offset:80
	scratch_load_dwordx4 v[10:13], off, off offset:72
	scratch_load_dwordx4 v[18:21], off, off offset:16
	;; [unrolled: 1-line block ×3, first 2 shown]
	s_waitcnt vmcnt(7)
	v_mov_b32_e32 v39, v34
	v_mov_b32_e32 v34, v33
	v_pk_mul_f32 v[24:25], v[14:15], v[32:33]
	v_mov_b32_e32 v42, v15
	v_mov_b32_e32 v15, v23
	;; [unrolled: 1-line block ×4, first 2 shown]
	v_pk_mul_f32 v[14:15], v[14:15], v[34:35]
	v_sub_f32_e32 v32, v24, v25
	v_pk_fma_f32 v[34:35], v[42:43], v[38:39], v[14:15] neg_lo:[0,0,1] neg_hi:[0,0,1]
	v_pk_fma_f32 v[14:15], v[42:43], v[38:39], v[14:15]
	v_mov_b32_e32 v46, v79
	v_mov_b32_e32 v47, v81
	v_pk_mov_b32 v[14:15], v[34:35], v[14:15] op_sel:[1,0]
	v_mov_b32_e32 v34, v23
	v_mov_b32_e32 v23, v41
	v_mov_b32_e32 v33, v80
	v_mov_b32_e32 v35, v40
	v_pk_mul_f32 v[22:23], v[22:23], v[46:47]
	scratch_load_dwordx4 v[52:55], off, off offset:48
	scratch_load_dwordx4 v[56:59], off, off offset:64
	s_add_i32 s22, s10, -13
	s_lshl_b32 s23, s22, 3
	s_add_i32 s21, s23, s11
	scratch_load_dwordx4 v[24:27], off, off offset:104
	s_lshl_b32 s22, s22, 9
	s_lshl_b32 s40, s40, 9
	s_waitcnt vmcnt(8)
	v_sub_f32_e32 v60, v60, v32
	v_mov_b32_e32 v32, v78
	v_pk_fma_f32 v[38:39], v[34:35], v[32:33], v[22:23] neg_lo:[0,0,1] neg_hi:[0,0,1]
	v_pk_fma_f32 v[22:23], v[34:35], v[32:33], v[22:23]
	v_pk_add_f32 v[14:15], v[60:61], v[14:15] neg_lo:[0,1] neg_hi:[0,1]
	v_pk_mov_b32 v[22:23], v[38:39], v[22:23] op_sel:[1,0]
	scratch_load_dwordx4 v[32:35], off, off offset:24
	v_pk_add_f32 v[14:15], v[14:15], v[22:23] neg_lo:[0,1] neg_hi:[0,1]
	v_mul_f32_e32 v22, v41, v80
	v_fmac_f32_e32 v22, v40, v81
	v_sub_f32_e32 v22, v15, v22
	scratch_store_dwordx2 off, v[14:15], off offset:88
	v_mul_f32_e32 v15, v37, v83
	v_mul_f32_e32 v23, v36, v83
	v_fma_f32 v15, v36, v82, -v15
	v_fmac_f32_e32 v23, v37, v82
	v_sub_f32_e32 v14, v14, v15
	v_sub_f32_e32 v15, v22, v23
	v_mul_f32_e32 v22, v71, v85
	v_fma_f32 v22, v70, v84, -v22
	v_mul_f32_e32 v23, v70, v85
	v_sub_f32_e32 v14, v14, v22
	v_mul_f32_e32 v22, v49, v87
	v_fmac_f32_e32 v23, v71, v84
	v_fma_f32 v22, v48, v86, -v22
	v_sub_f32_e32 v15, v15, v23
	v_mul_f32_e32 v23, v48, v87
	v_sub_f32_e32 v14, v14, v22
	v_mul_f32_e32 v22, v45, v89
	v_fmac_f32_e32 v23, v49, v86
	v_fma_f32 v22, v44, v88, -v22
	v_sub_f32_e32 v15, v15, v23
	v_mul_f32_e32 v23, v44, v89
	v_sub_f32_e32 v14, v14, v22
	s_waitcnt vmcnt(9)
	v_mul_f32_e32 v22, v65, v91
	v_fmac_f32_e32 v23, v45, v88
	v_fma_f32 v22, v64, v90, -v22
	v_sub_f32_e32 v15, v15, v23
	v_mul_f32_e32 v23, v64, v91
	v_sub_f32_e32 v14, v14, v22
	v_mul_f32_e32 v22, v73, v93
	v_fmac_f32_e32 v23, v65, v90
	v_fma_f32 v22, v72, v92, -v22
	v_sub_f32_e32 v15, v15, v23
	v_mul_f32_e32 v23, v72, v93
	v_sub_f32_e32 v14, v14, v22
	s_waitcnt vmcnt(7)
	v_mul_f32_e32 v22, v67, v11
	v_fmac_f32_e32 v23, v73, v92
	v_fma_f32 v22, v66, v10, -v22
	v_mul_f32_e32 v11, v66, v11
	v_sub_f32_e32 v15, v15, v23
	v_fmac_f32_e32 v11, v67, v10
	v_sub_f32_e32 v10, v14, v22
	v_mul_f32_e32 v14, v75, v7
	v_mul_f32_e32 v7, v74, v7
	v_sub_f32_e32 v11, v15, v11
	v_fmac_f32_e32 v7, v75, v6
	v_fma_f32 v14, v74, v6, -v14
	v_sub_f32_e32 v7, v11, v7
	v_sub_f32_e32 v10, v10, v14
	s_waitcnt lgkmcnt(0)
	v_mul_f32_e32 v6, v17, v7
	v_mul_f32_e32 v7, v16, v7
	v_fma_f32 v6, v16, v10, -v6
	v_fmac_f32_e32 v7, v17, v10
	scratch_store_dwordx2 off, v[6:7], off offset:88
	scratch_load_dwordx4 v[14:17], off, off offset:80
	v_mov_b32_e32 v10, s21
	s_add_i32 s21, s23, s12
	v_mov_b32_e32 v22, s21
	ds_read2_b64 v[68:71], v10 offset1:1
	ds_read2_b64 v[64:67], v22 offset1:1
	scratch_load_dwordx4 v[74:77], off, off
	v_mov_b32_e32 v11, v100
	v_mov_b32_e32 v100, v99
	s_waitcnt lgkmcnt(1)
	v_pk_mul_f32 v[22:23], v[70:71], v[98:99]
	v_mov_b32_e32 v36, v71
	s_waitcnt lgkmcnt(0)
	v_mov_b32_e32 v71, v67
	v_mov_b32_e32 v10, v98
	v_pk_mul_f32 v[38:39], v[70:71], v[100:101]
	scratch_load_dwordx4 v[98:101], off, off offset:8
	v_mov_b32_e32 v37, v66
	s_add_i32 s21, s23, s4
	v_pk_fma_f32 v[60:61], v[36:37], v[10:11], v[38:39] neg_lo:[0,0,1] neg_hi:[0,0,1]
	v_pk_fma_f32 v[10:11], v[36:37], v[10:11], v[38:39]
	v_mov_b32_e32 v36, s21
	ds_read2_b64 v[70:73], v36 offset1:1
	v_sub_f32_e32 v22, v22, v23
	s_add_i32 s21, s23, s5
	scratch_load_dwordx4 v[40:43], off, off offset:40
	v_sub_f32_e32 v62, v62, v22
	v_pk_mov_b32 v[10:11], v[60:61], v[10:11] op_sel:[1,0]
	s_waitcnt vmcnt(11)
	v_mov_b32_e32 v36, v18
	v_mov_b32_e32 v18, s21
	v_pk_add_f32 v[10:11], v[62:63], v[10:11] neg_lo:[0,1] neg_hi:[0,1]
	ds_read2_b64 v[60:63], v18 offset1:1
	v_mov_b32_e32 v23, v96
	v_mov_b32_e32 v96, v95
	;; [unrolled: 1-line block ×3, first 2 shown]
	s_waitcnt lgkmcnt(1)
	v_mov_b32_e32 v67, v73
	v_mov_b32_e32 v22, v94
	;; [unrolled: 1-line block ×3, first 2 shown]
	v_pk_mul_f32 v[66:67], v[66:67], v[96:97]
	v_mov_b32_e32 v18, v19
	v_pk_fma_f32 v[78:79], v[38:39], v[22:23], v[66:67] neg_lo:[0,0,1] neg_hi:[0,0,1]
	v_pk_fma_f32 v[22:23], v[38:39], v[22:23], v[66:67]
	v_mov_b32_e32 v19, v21
	v_pk_mov_b32 v[22:23], v[78:79], v[22:23] op_sel:[1,0]
	v_mov_b32_e32 v37, v20
	v_pk_add_f32 v[10:11], v[10:11], v[22:23] neg_lo:[0,1] neg_hi:[0,1]
	v_mov_b32_e32 v22, v73
	s_waitcnt lgkmcnt(0)
	v_mov_b32_e32 v73, v63
	v_mov_b32_e32 v23, v62
	v_pk_mul_f32 v[18:19], v[72:73], v[18:19]
	s_add_i32 s21, s23, s13
	v_pk_fma_f32 v[38:39], v[22:23], v[36:37], v[18:19] neg_lo:[0,0,1] neg_hi:[0,0,1]
	v_pk_fma_f32 v[18:19], v[22:23], v[36:37], v[18:19]
	scratch_load_dwordx4 v[44:47], off, off offset:56
	v_pk_mov_b32 v[18:19], v[38:39], v[18:19] op_sel:[1,0]
	scratch_load_dwordx4 v[48:51], off, off offset:72
	v_pk_add_f32 v[10:11], v[10:11], v[18:19] neg_lo:[0,1] neg_hi:[0,1]
	v_mul_f32_e32 v18, v63, v20
	v_mov_b32_e32 v19, s21
	v_fmac_f32_e32 v18, v62, v21
	ds_read2_b64 v[82:85], v19 offset1:1
	s_add_i32 s21, s23, s14
	v_sub_f32_e32 v18, v11, v18
	scratch_store_dwordx2 off, v[10:11], off offset:96
	v_mov_b32_e32 v11, s21
	ds_read2_b64 v[78:81], v11 offset1:1
	s_waitcnt vmcnt(13) lgkmcnt(1)
	v_mul_f32_e32 v11, v85, v29
	v_mul_f32_e32 v19, v84, v29
	v_fma_f32 v11, v84, v28, -v11
	v_fmac_f32_e32 v19, v85, v28
	v_sub_f32_e32 v10, v10, v11
	v_sub_f32_e32 v11, v18, v19
	s_waitcnt lgkmcnt(0)
	v_mul_f32_e32 v18, v81, v31
	v_fma_f32 v18, v80, v30, -v18
	s_add_i32 s21, s23, s15
	v_sub_f32_e32 v10, v10, v18
	v_mov_b32_e32 v18, s21
	ds_read2_b64 v[88:91], v18 offset1:1
	s_add_i32 s21, s23, s16
	v_mov_b32_e32 v18, s21
	ds_read2_b64 v[84:87], v18 offset1:1
	v_mul_f32_e32 v19, v80, v31
	s_waitcnt vmcnt(12) lgkmcnt(1)
	v_mul_f32_e32 v18, v91, v53
	v_fma_f32 v18, v90, v52, -v18
	v_sub_f32_e32 v10, v10, v18
	s_waitcnt lgkmcnt(0)
	v_mul_f32_e32 v18, v87, v55
	v_fmac_f32_e32 v19, v81, v30
	v_fma_f32 v18, v86, v54, -v18
	s_add_i32 s21, s23, s17
	v_sub_f32_e32 v11, v11, v19
	v_mul_f32_e32 v19, v90, v53
	v_sub_f32_e32 v10, v10, v18
	v_mov_b32_e32 v18, s21
	v_fmac_f32_e32 v19, v91, v52
	ds_read2_b64 v[90:93], v18 offset1:1
	s_add_i32 s21, s23, s18
	v_sub_f32_e32 v11, v11, v19
	v_mul_f32_e32 v19, v86, v55
	v_mov_b32_e32 v18, s21
	v_fmac_f32_e32 v19, v87, v54
	ds_read2_b64 v[52:55], v18 offset1:1
	s_waitcnt vmcnt(11) lgkmcnt(1)
	v_mul_f32_e32 v18, v93, v57
	v_fma_f32 v18, v92, v56, -v18
	v_sub_f32_e32 v10, v10, v18
	s_add_i32 s21, s23, s19
	s_waitcnt lgkmcnt(0)
	v_mul_f32_e32 v18, v55, v59
	v_fma_f32 v18, v54, v58, -v18
	v_sub_f32_e32 v11, v11, v19
	v_mul_f32_e32 v19, v92, v57
	v_sub_f32_e32 v10, v10, v18
	v_mov_b32_e32 v18, s21
	s_add_i32 s21, s23, s20
	v_fmac_f32_e32 v19, v93, v56
	ds_read2_b64 v[92:95], v18 offset1:1
	v_mov_b32_e32 v18, s21
	ds_read2_b64 v[36:39], v18 offset1:1
	s_add_i32 s21, s11, 0xffffe800
	s_add_i32 s24, s23, s21
	s_waitcnt vmcnt(6) lgkmcnt(1)
	v_mul_f32_e32 v18, v95, v15
	v_mul_f32_e32 v15, v94, v15
	v_fma_f32 v18, v94, v14, -v18
	v_fmac_f32_e32 v15, v95, v14
	s_waitcnt lgkmcnt(0)
	v_mul_f32_e32 v14, v39, v7
	v_mul_f32_e32 v7, v38, v7
	v_fma_f32 v14, v38, v6, -v14
	v_fmac_f32_e32 v7, v39, v6
	v_mov_b32_e32 v6, s24
	v_sub_f32_e32 v11, v11, v19
	v_mul_f32_e32 v19, v54, v59
	ds_read2_b64 v[94:97], v6 offset1:1
	v_fmac_f32_e32 v19, v55, v58
	v_sub_f32_e32 v11, v11, v19
	v_sub_f32_e32 v11, v11, v15
	s_add_i32 s23, s23, s22
	v_sub_f32_e32 v10, v10, v18
	v_sub_f32_e32 v7, v11, v7
	v_mov_b32_e32 v6, s23
	v_sub_f32_e32 v14, v10, v14
	ds_read_b64 v[10:11], v6
	s_waitcnt lgkmcnt(1)
	v_mul_f32_e32 v6, v97, v7
	v_mul_f32_e32 v7, v96, v7
	v_fma_f32 v6, v96, v14, -v6
	v_fmac_f32_e32 v7, v97, v14
	scratch_store_dwordx2 off, v[6:7], off offset:96
	scratch_load_dwordx4 v[18:21], off, off offset:88
	s_waitcnt vmcnt(7)
	v_mov_b32_e32 v15, v76
	v_mov_b32_e32 v76, v75
	v_pk_mul_f32 v[22:23], v[68:69], v[74:75]
	v_mov_b32_e32 v38, v69
	v_mov_b32_e32 v69, v65
	;; [unrolled: 1-line block ×4, first 2 shown]
	v_pk_mul_f32 v[58:59], v[68:69], v[76:77]
	v_sub_f32_e32 v22, v22, v23
	s_waitcnt vmcnt(6)
	v_mov_b32_e32 v23, v100
	v_mov_b32_e32 v100, v99
	v_pk_fma_f32 v[62:63], v[38:39], v[14:15], v[58:59] neg_lo:[0,0,1] neg_hi:[0,0,1]
	v_pk_fma_f32 v[14:15], v[38:39], v[14:15], v[58:59]
	v_mov_b32_e32 v38, v65
	v_mov_b32_e32 v65, v71
	v_sub_f32_e32 v24, v24, v22
	v_mov_b32_e32 v22, v98
	v_mov_b32_e32 v39, v70
	v_pk_mul_f32 v[58:59], v[64:65], v[100:101]
	v_pk_mov_b32 v[14:15], v[62:63], v[14:15] op_sel:[1,0]
	v_pk_fma_f32 v[62:63], v[38:39], v[22:23], v[58:59] neg_lo:[0,0,1] neg_hi:[0,0,1]
	v_pk_fma_f32 v[22:23], v[38:39], v[22:23], v[58:59]
	v_pk_add_f32 v[14:15], v[24:25], v[14:15] neg_lo:[0,1] neg_hi:[0,1]
	v_pk_mov_b32 v[22:23], v[62:63], v[22:23] op_sel:[1,0]
	scratch_load_dwordx4 v[62:65], off, off
	v_mov_b32_e32 v25, v104
	v_mov_b32_e32 v104, v103
	;; [unrolled: 1-line block ×6, first 2 shown]
	v_pk_mul_f32 v[58:59], v[70:71], v[104:105]
	v_pk_add_f32 v[14:15], v[14:15], v[22:23] neg_lo:[0,1] neg_hi:[0,1]
	v_pk_fma_f32 v[70:71], v[38:39], v[24:25], v[58:59] neg_lo:[0,0,1] neg_hi:[0,0,1]
	v_pk_fma_f32 v[24:25], v[38:39], v[24:25], v[58:59]
	scratch_load_dwordx4 v[54:57], off, off offset:8
	v_pk_mov_b32 v[24:25], v[70:71], v[24:25] op_sel:[1,0]
	v_mov_b32_e32 v22, v32
	v_mov_b32_e32 v32, v33
	;; [unrolled: 1-line block ×3, first 2 shown]
	v_pk_add_f32 v[14:15], v[14:15], v[24:25] neg_lo:[0,1] neg_hi:[0,1]
	v_mov_b32_e32 v24, v61
	v_mov_b32_e32 v61, v83
	;; [unrolled: 1-line block ×4, first 2 shown]
	v_pk_mul_f32 v[32:33], v[60:61], v[32:33]
	scratch_load_dwordx4 v[66:69], off, off offset:16
	v_pk_fma_f32 v[38:39], v[24:25], v[22:23], v[32:33] neg_lo:[0,0,1] neg_hi:[0,0,1]
	v_pk_fma_f32 v[22:23], v[24:25], v[22:23], v[32:33]
	scratch_load_dwordx4 v[28:31], off, off offset:80
	v_pk_mov_b32 v[22:23], v[38:39], v[22:23] op_sel:[1,0]
	s_add_i32 s23, s10, -15
	v_pk_add_f32 v[14:15], v[14:15], v[22:23] neg_lo:[0,1] neg_hi:[0,1]
	v_mul_f32_e32 v22, v83, v34
	v_fmac_f32_e32 v22, v82, v35
	v_sub_f32_e32 v22, v15, v22
	scratch_store_dwordx2 off, v[14:15], off offset:104
	s_waitcnt vmcnt(10)
	v_mul_f32_e32 v15, v79, v41
	v_mul_f32_e32 v23, v78, v41
	v_fma_f32 v15, v78, v40, -v15
	v_fmac_f32_e32 v23, v79, v40
	scratch_load_dwordx4 v[38:41], off, off offset:24
	scratch_load_dwordx4 v[58:61], off, off offset:32
	;; [unrolled: 1-line block ×5, first 2 shown]
	v_sub_f32_e32 v14, v14, v15
	v_sub_f32_e32 v15, v22, v23
	v_mul_f32_e32 v22, v89, v43
	v_fma_f32 v22, v88, v42, -v22
	v_mul_f32_e32 v23, v88, v43
	v_fmac_f32_e32 v23, v89, v42
	v_sub_f32_e32 v14, v14, v22
	s_waitcnt vmcnt(14)
	v_mul_f32_e32 v22, v85, v45
	v_sub_f32_e32 v15, v15, v23
	v_fma_f32 v22, v84, v44, -v22
	v_mul_f32_e32 v23, v84, v45
	v_fmac_f32_e32 v23, v85, v44
	v_sub_f32_e32 v14, v14, v22
	v_mul_f32_e32 v22, v91, v47
	v_sub_f32_e32 v15, v15, v23
	v_fma_f32 v22, v90, v46, -v22
	v_mul_f32_e32 v23, v90, v47
	v_fmac_f32_e32 v23, v91, v46
	v_sub_f32_e32 v14, v14, v22
	s_waitcnt vmcnt(13)
	v_mul_f32_e32 v22, v53, v49
	v_sub_f32_e32 v15, v15, v23
	v_fma_f32 v22, v52, v48, -v22
	v_mul_f32_e32 v23, v52, v49
	v_fmac_f32_e32 v23, v53, v48
	v_sub_f32_e32 v14, v14, v22
	v_mul_f32_e32 v22, v93, v51
	scratch_load_dwordx4 v[98:101], off, off offset:64
	v_sub_f32_e32 v15, v15, v23
	v_fma_f32 v22, v92, v50, -v22
	v_mul_f32_e32 v23, v92, v51
	v_fmac_f32_e32 v23, v93, v50
	v_sub_f32_e32 v14, v14, v22
	s_waitcnt vmcnt(11)
	v_mul_f32_e32 v22, v37, v19
	v_mul_f32_e32 v19, v36, v19
	v_sub_f32_e32 v15, v15, v23
	v_fma_f32 v22, v36, v18, -v22
	v_fmac_f32_e32 v19, v37, v18
	v_mul_f32_e32 v18, v95, v7
	v_mul_f32_e32 v7, v94, v7
	v_sub_f32_e32 v15, v15, v19
	v_fmac_f32_e32 v7, v95, v6
	v_sub_f32_e32 v14, v14, v22
	v_fma_f32 v18, v94, v6, -v18
	v_sub_f32_e32 v7, v15, v7
	s_lshl_b32 s25, s23, 3
	v_sub_f32_e32 v14, v14, v18
	s_waitcnt lgkmcnt(0)
	v_mul_f32_e32 v6, v11, v7
	s_add_i32 s24, s25, s11
	v_fma_f32 v6, v10, v14, -v6
	v_mul_f32_e32 v7, v10, v7
	v_mov_b32_e32 v10, s24
	s_add_i32 s24, s25, s12
	v_fmac_f32_e32 v7, v11, v14
	v_mov_b32_e32 v14, s24
	ds_read2_b64 v[70:73], v10 offset1:1
	ds_read2_b64 v[44:47], v14 offset1:1
	s_waitcnt vmcnt(10)
	v_mov_b32_e32 v11, v64
	v_mov_b32_e32 v64, v63
	;; [unrolled: 1-line block ×3, first 2 shown]
	s_waitcnt lgkmcnt(1)
	v_pk_mul_f32 v[14:15], v[72:73], v[62:63]
	v_mov_b32_e32 v18, v73
	s_waitcnt lgkmcnt(0)
	v_mov_b32_e32 v73, v47
	v_mov_b32_e32 v19, v46
	v_pk_mul_f32 v[36:37], v[72:73], v[64:65]
	s_add_i32 s24, s25, s4
	v_sub_f32_e32 v14, v14, v15
	v_pk_fma_f32 v[42:43], v[18:19], v[10:11], v[36:37] neg_lo:[0,0,1] neg_hi:[0,0,1]
	v_pk_fma_f32 v[10:11], v[18:19], v[10:11], v[36:37]
	v_mov_b32_e32 v18, s24
	v_sub_f32_e32 v26, v26, v14
	v_pk_mov_b32 v[10:11], v[42:43], v[10:11] op_sel:[1,0]
	ds_read2_b64 v[72:75], v18 offset1:1
	s_add_i32 s24, s25, s5
	v_pk_add_f32 v[10:11], v[26:27], v[10:11] neg_lo:[0,1] neg_hi:[0,1]
	v_mov_b32_e32 v27, s24
	scratch_store_dwordx2 off, v[6:7], off offset:104
	s_waitcnt vmcnt(10)
	v_mov_b32_e32 v14, v54
	v_mov_b32_e32 v15, v56
	;; [unrolled: 1-line block ×3, first 2 shown]
	ds_read2_b64 v[52:55], v27 offset1:1
	scratch_load_dwordx4 v[22:25], off, off offset:96
	v_mov_b32_e32 v26, v47
	s_waitcnt lgkmcnt(1)
	v_mov_b32_e32 v47, v75
	scratch_load_dwordx4 v[76:79], off, off
	scratch_load_dwordx4 v[112:115], off, off offset:8
	v_mov_b32_e32 v27, v74
	v_pk_mul_f32 v[36:37], v[46:47], v[56:57]
	s_waitcnt vmcnt(12)
	v_mov_b32_e32 v19, v68
	v_mov_b32_e32 v68, v67
	v_pk_fma_f32 v[42:43], v[26:27], v[14:15], v[36:37] neg_lo:[0,0,1] neg_hi:[0,0,1]
	v_pk_fma_f32 v[14:15], v[26:27], v[14:15], v[36:37]
	v_mov_b32_e32 v26, v75
	s_waitcnt lgkmcnt(0)
	v_mov_b32_e32 v75, v55
	v_mov_b32_e32 v18, v66
	v_pk_mov_b32 v[14:15], v[42:43], v[14:15] op_sel:[1,0]
	v_mov_b32_e32 v27, v54
	v_pk_mul_f32 v[36:37], v[74:75], v[68:69]
	v_pk_add_f32 v[10:11], v[10:11], v[14:15] neg_lo:[0,1] neg_hi:[0,1]
	s_waitcnt vmcnt(9)
	v_mov_b32_e32 v14, v38
	v_mov_b32_e32 v15, v40
	;; [unrolled: 1-line block ×3, first 2 shown]
	v_pk_fma_f32 v[38:39], v[26:27], v[18:19], v[36:37] neg_lo:[0,0,1] neg_hi:[0,0,1]
	v_pk_fma_f32 v[18:19], v[26:27], v[18:19], v[36:37]
	s_add_i32 s24, s25, s13
	v_pk_mov_b32 v[18:19], v[38:39], v[18:19] op_sel:[1,0]
	v_mov_b32_e32 v26, v55
	v_pk_add_f32 v[10:11], v[10:11], v[18:19] neg_lo:[0,1] neg_hi:[0,1]
	v_mov_b32_e32 v18, s24
	ds_read2_b64 v[84:87], v18 offset1:1
	scratch_load_dwordx4 v[80:83], off, off offset:24
	scratch_load_dwordx4 v[116:119], off, off offset:16
	;; [unrolled: 1-line block ×4, first 2 shown]
	s_waitcnt lgkmcnt(0)
	v_mov_b32_e32 v55, v87
	v_pk_mul_f32 v[38:39], v[54:55], v[40:41]
	scratch_load_dwordx4 v[54:57], off, off offset:120
	s_add_i32 s24, s25, s14
	v_mov_b32_e32 v27, s24
	ds_read2_b64 v[46:49], v27 offset1:1
	v_mov_b32_e32 v27, v86
	v_pk_fma_f32 v[40:41], v[26:27], v[14:15], v[38:39] neg_lo:[0,0,1] neg_hi:[0,0,1]
	v_pk_fma_f32 v[14:15], v[26:27], v[14:15], v[38:39]
	s_waitcnt vmcnt(13)
	v_mov_b32_e32 v36, v59
	v_pk_mov_b32 v[14:15], v[40:41], v[14:15] op_sel:[1,0]
	v_mov_b32_e32 v37, v61
	v_pk_add_f32 v[10:11], v[10:11], v[14:15] neg_lo:[0,1] neg_hi:[0,1]
	v_mov_b32_e32 v14, v87
	s_waitcnt lgkmcnt(0)
	v_mov_b32_e32 v87, v49
	v_mov_b32_e32 v18, v58
	;; [unrolled: 1-line block ×4, first 2 shown]
	v_pk_mul_f32 v[26:27], v[86:87], v[36:37]
	s_add_i32 s24, s25, s15
	v_pk_fma_f32 v[36:37], v[14:15], v[18:19], v[26:27] neg_lo:[0,0,1] neg_hi:[0,0,1]
	v_pk_fma_f32 v[14:15], v[14:15], v[18:19], v[26:27]
	s_lshl_b32 s23, s23, 9
	v_pk_mov_b32 v[14:15], v[36:37], v[14:15] op_sel:[1,0]
	scratch_load_dwordx4 v[62:65], off, off offset:64
	v_pk_add_f32 v[10:11], v[10:11], v[14:15] neg_lo:[0,1] neg_hi:[0,1]
	v_mul_f32_e32 v14, v49, v60
	v_fmac_f32_e32 v14, v48, v61
	v_sub_f32_e32 v14, v11, v14
	scratch_store_dwordx2 off, v[10:11], off offset:112
	v_mov_b32_e32 v11, s24
	ds_read2_b64 v[92:95], v11 offset1:1
	s_add_i32 s24, s25, s16
	v_mov_b32_e32 v11, s24
	ds_read2_b64 v[40:43], v11 offset1:1
	s_add_i32 s24, s25, s17
	s_waitcnt vmcnt(13) lgkmcnt(1)
	v_mul_f32_e32 v11, v95, v103
	v_mul_f32_e32 v15, v94, v103
	v_fma_f32 v11, v94, v102, -v11
	v_fmac_f32_e32 v15, v95, v102
	v_sub_f32_e32 v10, v10, v11
	v_sub_f32_e32 v11, v14, v15
	s_waitcnt lgkmcnt(0)
	v_mul_f32_e32 v14, v43, v105
	v_fma_f32 v14, v42, v104, -v14
	v_sub_f32_e32 v10, v10, v14
	v_mov_b32_e32 v14, s24
	ds_read2_b64 v[94:97], v14 offset1:1
	s_add_i32 s24, s25, s18
	v_mov_b32_e32 v14, s24
	ds_read2_b64 v[66:69], v14 offset1:1
	v_mul_f32_e32 v15, v42, v105
	s_waitcnt vmcnt(11) lgkmcnt(1)
	v_mul_f32_e32 v14, v97, v99
	v_fmac_f32_e32 v15, v43, v104
	v_fma_f32 v14, v96, v98, -v14
	v_sub_f32_e32 v11, v11, v15
	v_mul_f32_e32 v15, v96, v99
	v_sub_f32_e32 v10, v10, v14
	s_waitcnt lgkmcnt(0)
	v_mul_f32_e32 v14, v69, v101
	v_fmac_f32_e32 v15, v97, v98
	v_fma_f32 v14, v68, v100, -v14
	s_add_i32 s24, s25, s19
	v_sub_f32_e32 v11, v11, v15
	v_mul_f32_e32 v15, v68, v101
	v_sub_f32_e32 v10, v10, v14
	v_mov_b32_e32 v14, s24
	v_fmac_f32_e32 v15, v69, v100
	ds_read2_b64 v[100:103], v14 offset1:1
	s_add_i32 s24, s25, s20
	v_mov_b32_e32 v14, s24
	ds_read2_b64 v[96:99], v14 offset1:1
	s_add_i32 s24, s25, s21
	s_waitcnt lgkmcnt(1)
	v_mul_f32_e32 v14, v103, v29
	v_fma_f32 v14, v102, v28, -v14
	v_sub_f32_e32 v10, v10, v14
	s_waitcnt lgkmcnt(0)
	v_mul_f32_e32 v14, v99, v31
	v_fma_f32 v14, v98, v30, -v14
	v_sub_f32_e32 v11, v11, v15
	v_mul_f32_e32 v15, v102, v29
	v_sub_f32_e32 v10, v10, v14
	v_mov_b32_e32 v14, s24
	v_fmac_f32_e32 v15, v103, v28
	ds_read2_b64 v[102:105], v14 offset1:1
	s_add_i32 s24, s25, s22
	v_mov_b32_e32 v14, s24
	ds_read2_b64 v[26:29], v14 offset1:1
	v_sub_f32_e32 v11, v11, v15
	v_mul_f32_e32 v15, v98, v31
	v_fmac_f32_e32 v15, v99, v30
	s_waitcnt vmcnt(9) lgkmcnt(1)
	v_mul_f32_e32 v14, v105, v23
	v_sub_f32_e32 v11, v11, v15
	v_fma_f32 v14, v104, v22, -v14
	v_mul_f32_e32 v15, v104, v23
	s_add_i32 s24, s11, 0xffffe400
	v_fmac_f32_e32 v15, v105, v22
	v_sub_f32_e32 v10, v10, v14
	s_waitcnt lgkmcnt(0)
	v_mul_f32_e32 v14, v29, v7
	v_mul_f32_e32 v7, v28, v7
	s_add_i32 s26, s25, s24
	v_sub_f32_e32 v11, v11, v15
	v_fma_f32 v14, v28, v6, -v14
	v_fmac_f32_e32 v7, v29, v6
	v_mov_b32_e32 v6, s26
	s_waitcnt vmcnt(8)
	v_mov_b32_e32 v15, v78
	v_mov_b32_e32 v78, v77
	v_pk_mul_f32 v[18:19], v[70:71], v[76:77]
	v_mov_b32_e32 v22, v71
	v_mov_b32_e32 v71, v45
	ds_read2_b64 v[104:107], v6 offset1:1
	v_pk_mul_f32 v[42:43], v[70:71], v[78:79]
	scratch_load_dwordx4 v[68:71], off, off offset:72
	v_sub_f32_e32 v11, v11, v7
	v_sub_f32_e32 v14, v10, v14
	s_waitcnt lgkmcnt(0)
	v_mul_f32_e32 v10, v107, v11
	v_mul_f32_e32 v11, v106, v11
	v_fma_f32 v10, v106, v14, -v10
	v_fmac_f32_e32 v11, v107, v14
	scratch_store_dwordx2 off, v[10:11], off offset:112
	scratch_load_dwordx4 v[28:31], off, off offset:104
	v_mov_b32_e32 v14, v76
	v_mov_b32_e32 v23, v44
	v_sub_f32_e32 v18, v18, v19
	s_waitcnt vmcnt(10)
	v_mov_b32_e32 v19, v114
	v_mov_b32_e32 v114, v113
	v_pk_fma_f32 v[74:75], v[22:23], v[14:15], v[42:43] neg_lo:[0,0,1] neg_hi:[0,0,1]
	v_pk_fma_f32 v[14:15], v[22:23], v[14:15], v[42:43]
	v_mov_b32_e32 v42, v45
	v_mov_b32_e32 v45, v73
	s_waitcnt vmcnt(5)
	v_sub_f32_e32 v54, v54, v18
	v_mov_b32_e32 v18, v112
	v_pk_mov_b32 v[14:15], v[74:75], v[14:15] op_sel:[1,0]
	v_mov_b32_e32 v43, v72
	v_pk_mul_f32 v[44:45], v[44:45], v[114:115]
	v_pk_add_f32 v[14:15], v[54:55], v[14:15] neg_lo:[0,1] neg_hi:[0,1]
	v_mov_b32_e32 v23, v118
	v_mov_b32_e32 v118, v117
	v_pk_fma_f32 v[54:55], v[42:43], v[18:19], v[44:45] neg_lo:[0,0,1] neg_hi:[0,0,1]
	v_pk_fma_f32 v[18:19], v[42:43], v[18:19], v[44:45]
	v_mov_b32_e32 v42, v73
	v_mov_b32_e32 v73, v53
	v_mov_b32_e32 v22, v116
	v_pk_mov_b32 v[18:19], v[54:55], v[18:19] op_sel:[1,0]
	v_mov_b32_e32 v43, v52
	v_pk_mul_f32 v[44:45], v[72:73], v[118:119]
	v_pk_add_f32 v[14:15], v[14:15], v[18:19] neg_lo:[0,1] neg_hi:[0,1]
	v_mov_b32_e32 v19, v82
	v_mov_b32_e32 v82, v81
	v_pk_fma_f32 v[54:55], v[42:43], v[22:23], v[44:45] neg_lo:[0,0,1] neg_hi:[0,0,1]
	v_pk_fma_f32 v[22:23], v[42:43], v[22:23], v[44:45]
	v_mov_b32_e32 v42, v53
	v_mov_b32_e32 v53, v85
	;; [unrolled: 11-line block ×3, first 2 shown]
	v_mov_b32_e32 v22, v88
	v_pk_mov_b32 v[18:19], v[52:53], v[18:19] op_sel:[1,0]
	v_mov_b32_e32 v43, v46
	v_pk_mul_f32 v[52:53], v[84:85], v[90:91]
	v_pk_add_f32 v[14:15], v[14:15], v[18:19] neg_lo:[0,1] neg_hi:[0,1]
	v_pk_fma_f32 v[54:55], v[42:43], v[22:23], v[52:53] neg_lo:[0,0,1] neg_hi:[0,0,1]
	v_pk_fma_f32 v[22:23], v[42:43], v[22:23], v[52:53]
	scratch_load_dwordx4 v[78:81], off, off
	v_pk_mov_b32 v[22:23], v[54:55], v[22:23] op_sel:[1,0]
	scratch_load_dwordx4 v[106:109], off, off offset:8
	v_pk_add_f32 v[22:23], v[14:15], v[22:23] neg_lo:[0,1] neg_hi:[0,1]
	scratch_load_dword v15, off, off offset:4
	scratch_load_dwordx4 v[110:113], off, off offset:16
	v_mov_b32_e32 v44, v121
	v_mov_b32_e32 v45, v123
	;; [unrolled: 1-line block ×7, first 2 shown]
	v_pk_mul_f32 v[44:45], v[46:47], v[44:45]
	v_mul_f32_e32 v14, v93, v122
	v_pk_fma_f32 v[46:47], v[42:43], v[18:19], v[44:45] neg_lo:[0,0,1] neg_hi:[0,0,1]
	v_pk_fma_f32 v[18:19], v[42:43], v[18:19], v[44:45]
	scratch_load_dwordx4 v[114:117], off, off offset:24
	v_pk_mov_b32 v[18:19], v[46:47], v[18:19] op_sel:[1,0]
	s_add_i32 s25, s25, s23
	v_pk_add_f32 v[18:19], v[22:23], v[18:19] neg_lo:[0,1] neg_hi:[0,1]
	v_fmac_f32_e32 v14, v92, v123
	v_mov_b32_e32 v6, s25
	v_sub_f32_e32 v14, v19, v14
	scratch_store_dwordx2 off, v[18:19], off offset:120
	v_mul_f32_e32 v19, v41, v125
	v_mul_f32_e32 v22, v40, v125
	scratch_load_dwordx4 v[48:51], off, off offset:48
	scratch_load_dwordx4 v[58:61], off, off offset:136
	;; [unrolled: 1-line block ×3, first 2 shown]
	ds_read_b64 v[6:7], v6
	scratch_load_dwordx4 v[74:77], off, off offset:40
	scratch_load_dwordx4 v[44:47], off, off offset:56
	v_fma_f32 v19, v40, v124, -v19
	v_fmac_f32_e32 v22, v41, v124
	scratch_load_dwordx4 v[52:55], off, off offset:72
	scratch_load_dwordx4 v[118:121], off, off offset:32
	;; [unrolled: 1-line block ×3, first 2 shown]
	v_sub_f32_e32 v18, v18, v19
	v_mul_f32_e32 v19, v95, v127
	v_sub_f32_e32 v14, v14, v22
	v_fma_f32 v19, v94, v126, -v19
	v_mul_f32_e32 v22, v94, v127
	v_fmac_f32_e32 v22, v95, v126
	v_sub_f32_e32 v18, v18, v19
	s_waitcnt vmcnt(16)
	v_mul_f32_e32 v19, v67, v69
	v_sub_f32_e32 v14, v14, v22
	v_fma_f32 v19, v66, v68, -v19
	v_mul_f32_e32 v22, v66, v69
	v_fmac_f32_e32 v22, v67, v68
	v_sub_f32_e32 v18, v18, v19
	v_mul_f32_e32 v19, v101, v71
	v_sub_f32_e32 v14, v14, v22
	v_fma_f32 v19, v100, v70, -v19
	v_mul_f32_e32 v22, v100, v71
	v_fmac_f32_e32 v22, v101, v70
	v_sub_f32_e32 v18, v18, v19
	v_mul_f32_e32 v19, v97, v33
	v_sub_f32_e32 v14, v14, v22
	v_fma_f32 v19, v96, v32, -v19
	v_mul_f32_e32 v22, v96, v33
	v_fmac_f32_e32 v22, v97, v32
	v_sub_f32_e32 v18, v18, v19
	v_mul_f32_e32 v19, v103, v35
	v_sub_f32_e32 v14, v14, v22
	v_fma_f32 v19, v102, v34, -v19
	v_mul_f32_e32 v22, v102, v35
	v_fmac_f32_e32 v22, v103, v34
	v_sub_f32_e32 v18, v18, v19
	s_waitcnt vmcnt(14)
	v_mul_f32_e32 v19, v27, v29
	v_sub_f32_e32 v14, v14, v22
	v_fma_f32 v19, v26, v28, -v19
	v_mul_f32_e32 v22, v26, v29
	v_fmac_f32_e32 v22, v27, v28
	v_sub_f32_e32 v18, v18, v19
	v_mul_f32_e32 v19, v105, v11
	v_mul_f32_e32 v11, v104, v11
	v_sub_f32_e32 v14, v14, v22
	v_fmac_f32_e32 v11, v105, v10
	s_sub_i32 s25, s10, 17
	v_fma_f32 v19, v104, v10, -v19
	v_sub_f32_e32 v11, v14, v11
	s_lshl_b32 s27, s25, 3
	v_sub_f32_e32 v18, v18, v19
	s_waitcnt lgkmcnt(0)
	v_mul_f32_e32 v10, v7, v11
	v_mul_f32_e32 v11, v6, v11
	s_add_i32 s26, s27, s11
	v_fma_f32 v10, v6, v18, -v10
	v_fmac_f32_e32 v11, v7, v18
	v_mov_b32_e32 v6, s26
	s_add_i32 s26, s27, s12
	scratch_store_dwordx2 off, v[10:11], off offset:120
	v_mov_b32_e32 v10, s26
	ds_read2_b64 v[84:87], v6 offset1:1
	ds_read2_b64 v[70:73], v10 offset1:1
	s_waitcnt vmcnt(14)
	v_mov_b32_e32 v6, v78
	s_waitcnt vmcnt(12)
	v_mov_b32_e32 v7, v15
	v_mov_b32_e32 v79, v80
	s_waitcnt lgkmcnt(1)
	v_pk_mul_f32 v[6:7], v[86:87], v[6:7]
	v_mov_b32_e32 v10, v87
	s_waitcnt lgkmcnt(0)
	v_mov_b32_e32 v11, v72
	v_mov_b32_e32 v14, v107
	v_sub_f32_e32 v6, v6, v7
	v_mov_b32_e32 v7, v108
	v_pk_mul_f32 v[10:11], v[10:11], v[78:79]
	v_mov_b32_e32 v108, v107
	v_mov_b32_e32 v18, v73
	;; [unrolled: 1-line block ×3, first 2 shown]
	s_add_i32 s26, s27, s4
	v_pk_fma_f32 v[22:23], v[18:19], v[108:109], v[10:11] op_sel:[0,0,1] op_sel_hi:[1,1,0] neg_lo:[1,0,0] neg_hi:[1,0,0]
	v_pk_fma_f32 v[10:11], v[18:19], v[14:15], v[10:11] op_sel:[0,0,1] op_sel_hi:[1,1,0]
	v_mov_b32_e32 v14, s26
	ds_read2_b64 v[86:89], v14 offset1:1
	s_add_i32 s26, s27, s5
	v_mov_b32_e32 v19, s26
	ds_read2_b64 v[80:83], v19 offset1:1
	v_sub_f32_e32 v56, v56, v6
	v_mov_b32_e32 v23, v11
	s_waitcnt lgkmcnt(1)
	v_mov_b32_e32 v73, v89
	v_mov_b32_e32 v6, v106
	v_pk_add_f32 v[10:11], v[56:57], v[22:23] neg_lo:[0,1] neg_hi:[0,1]
	v_mov_b32_e32 v19, v88
	v_pk_mul_f32 v[22:23], v[72:73], v[108:109]
	s_waitcnt vmcnt(11)
	v_mov_b32_e32 v15, v112
	v_mov_b32_e32 v112, v111
	v_pk_fma_f32 v[26:27], v[18:19], v[6:7], v[22:23] neg_lo:[0,0,1] neg_hi:[0,0,1]
	v_pk_fma_f32 v[6:7], v[18:19], v[6:7], v[22:23]
	v_mov_b32_e32 v18, v89
	s_waitcnt lgkmcnt(0)
	v_mov_b32_e32 v89, v83
	v_mov_b32_e32 v14, v110
	;; [unrolled: 1-line block ×3, first 2 shown]
	v_pk_mul_f32 v[22:23], v[88:89], v[112:113]
	v_pk_mov_b32 v[6:7], v[26:27], v[6:7] op_sel:[1,0]
	v_pk_fma_f32 v[26:27], v[18:19], v[14:15], v[22:23] neg_lo:[0,0,1] neg_hi:[0,0,1]
	v_pk_fma_f32 v[14:15], v[18:19], v[14:15], v[22:23]
	v_pk_add_f32 v[6:7], v[10:11], v[6:7] neg_lo:[0,1] neg_hi:[0,1]
	v_pk_mov_b32 v[14:15], v[26:27], v[14:15] op_sel:[1,0]
	s_add_i32 s26, s27, s13
	v_pk_add_f32 v[6:7], v[6:7], v[14:15] neg_lo:[0,1] neg_hi:[0,1]
	v_mov_b32_e32 v14, s26
	scratch_load_dwordx4 v[88:91], off, off offset:80
	ds_read2_b64 v[100:103], v14 offset1:1
	s_add_i32 s26, s27, s14
	v_mov_b32_e32 v19, s26
	ds_read2_b64 v[92:95], v19 offset1:1
	s_waitcnt vmcnt(11)
	v_mov_b32_e32 v11, v116
	v_mov_b32_e32 v116, v115
	;; [unrolled: 1-line block ×3, first 2 shown]
	s_waitcnt lgkmcnt(1)
	v_mov_b32_e32 v83, v103
	v_mov_b32_e32 v10, v114
	;; [unrolled: 1-line block ×3, first 2 shown]
	v_pk_mul_f32 v[22:23], v[82:83], v[116:117]
	s_waitcnt vmcnt(3)
	v_mov_b32_e32 v15, v120
	v_mov_b32_e32 v120, v119
	v_pk_fma_f32 v[26:27], v[18:19], v[10:11], v[22:23] neg_lo:[0,0,1] neg_hi:[0,0,1]
	v_pk_fma_f32 v[10:11], v[18:19], v[10:11], v[22:23]
	v_mov_b32_e32 v18, v103
	s_waitcnt lgkmcnt(0)
	v_mov_b32_e32 v103, v95
	v_mov_b32_e32 v14, v118
	;; [unrolled: 1-line block ×3, first 2 shown]
	v_pk_mul_f32 v[22:23], v[102:103], v[120:121]
	v_pk_mov_b32 v[10:11], v[26:27], v[10:11] op_sel:[1,0]
	v_pk_fma_f32 v[26:27], v[18:19], v[14:15], v[22:23] neg_lo:[0,0,1] neg_hi:[0,0,1]
	v_pk_fma_f32 v[14:15], v[18:19], v[14:15], v[22:23]
	v_pk_add_f32 v[6:7], v[6:7], v[10:11] neg_lo:[0,1] neg_hi:[0,1]
	v_pk_mov_b32 v[14:15], v[26:27], v[14:15] op_sel:[1,0]
	s_add_i32 s26, s27, s15
	v_pk_add_f32 v[6:7], v[6:7], v[14:15] neg_lo:[0,1] neg_hi:[0,1]
	v_mov_b32_e32 v14, s26
	ds_read2_b64 v[112:115], v14 offset1:1
	s_add_i32 s26, s27, s16
	v_mov_b32_e32 v11, v76
	v_mov_b32_e32 v76, v75
	;; [unrolled: 1-line block ×4, first 2 shown]
	s_waitcnt lgkmcnt(0)
	v_mov_b32_e32 v95, v115
	v_mov_b32_e32 v10, v74
	ds_read2_b64 v[108:111], v19 offset1:1
	v_mov_b32_e32 v19, v114
	v_pk_mul_f32 v[26:27], v[94:95], v[76:77]
	scratch_load_dwordx4 v[32:35], off, off offset:112
	v_pk_fma_f32 v[28:29], v[18:19], v[10:11], v[26:27] neg_lo:[0,0,1] neg_hi:[0,0,1]
	v_pk_fma_f32 v[10:11], v[18:19], v[10:11], v[26:27]
	scratch_load_dwordx4 v[66:69], off, off
	scratch_load_dwordx4 v[130:133], off, off offset:16
	v_pk_mov_b32 v[10:11], v[28:29], v[10:11] op_sel:[1,0]
	v_mov_b32_e32 v22, v49
	v_pk_add_f32 v[10:11], v[6:7], v[10:11] neg_lo:[0,1] neg_hi:[0,1]
	scratch_load_dwordx2 v[6:7], off, off offset:120
	v_mov_b32_e32 v23, v51
	v_mov_b32_e32 v18, v115
	s_waitcnt lgkmcnt(0)
	v_mov_b32_e32 v115, v111
	v_mov_b32_e32 v14, v48
	;; [unrolled: 1-line block ×4, first 2 shown]
	v_pk_mul_f32 v[22:23], v[114:115], v[22:23]
	s_add_i32 s26, s27, s17
	v_pk_fma_f32 v[26:27], v[18:19], v[14:15], v[22:23] neg_lo:[0,0,1] neg_hi:[0,0,1]
	v_pk_fma_f32 v[14:15], v[18:19], v[14:15], v[22:23]
	scratch_load_dwordx4 v[96:99], off, off offset:24
	scratch_load_dwordx4 v[134:137], off, off offset:40
	v_pk_mov_b32 v[14:15], v[26:27], v[14:15] op_sel:[1,0]
	scratch_load_dwordx4 v[104:107], off, off offset:32
	v_pk_add_f32 v[10:11], v[10:11], v[14:15] neg_lo:[0,1] neg_hi:[0,1]
	v_mul_f32_e32 v14, v111, v50
	v_mov_b32_e32 v15, s26
	v_fmac_f32_e32 v14, v110, v51
	ds_read2_b64 v[114:117], v15 offset1:1
	s_add_i32 s26, s27, s18
	v_sub_f32_e32 v14, v11, v14
	scratch_store_dwordx2 off, v[10:11], off offset:128
	v_mov_b32_e32 v11, s26
	ds_read2_b64 v[48:51], v11 offset1:1
	s_waitcnt lgkmcnt(1)
	v_mul_f32_e32 v11, v117, v63
	v_mul_f32_e32 v15, v116, v63
	v_fma_f32 v11, v116, v62, -v11
	v_fmac_f32_e32 v15, v117, v62
	v_sub_f32_e32 v10, v10, v11
	v_sub_f32_e32 v11, v14, v15
	s_waitcnt lgkmcnt(0)
	v_mul_f32_e32 v14, v51, v65
	v_fma_f32 v14, v50, v64, -v14
	s_add_i32 s26, s27, s19
	v_sub_f32_e32 v10, v10, v14
	v_mov_b32_e32 v14, s26
	ds_read2_b64 v[116:119], v14 offset1:1
	s_add_i32 s26, s27, s20
	v_mov_b32_e32 v14, s26
	ds_read2_b64 v[26:29], v14 offset1:1
	s_add_i32 s26, s27, s21
	s_waitcnt vmcnt(8) lgkmcnt(1)
	v_mul_f32_e32 v14, v119, v89
	v_fma_f32 v14, v118, v88, -v14
	v_sub_f32_e32 v10, v10, v14
	s_waitcnt lgkmcnt(0)
	v_mul_f32_e32 v14, v29, v91
	v_fma_f32 v14, v28, v90, -v14
	v_mul_f32_e32 v15, v50, v65
	v_sub_f32_e32 v10, v10, v14
	v_mov_b32_e32 v14, s26
	v_fmac_f32_e32 v15, v51, v64
	ds_read2_b64 v[122:125], v14 offset1:1
	s_add_i32 s26, s27, s22
	v_sub_f32_e32 v11, v11, v15
	v_mul_f32_e32 v15, v118, v89
	v_mov_b32_e32 v14, s26
	v_fmac_f32_e32 v15, v119, v88
	ds_read2_b64 v[118:121], v14 offset1:1
	s_waitcnt lgkmcnt(1)
	v_mul_f32_e32 v14, v125, v37
	v_fma_f32 v14, v124, v36, -v14
	v_sub_f32_e32 v11, v11, v15
	v_mul_f32_e32 v15, v28, v91
	v_sub_f32_e32 v10, v10, v14
	s_waitcnt lgkmcnt(0)
	v_mul_f32_e32 v14, v121, v39
	v_fmac_f32_e32 v15, v29, v90
	v_fma_f32 v14, v120, v38, -v14
	s_add_i32 s26, s27, s24
	v_sub_f32_e32 v11, v11, v15
	v_mul_f32_e32 v15, v124, v37
	v_sub_f32_e32 v10, v10, v14
	v_mov_b32_e32 v14, s26
	v_fmac_f32_e32 v15, v125, v36
	ds_read2_b64 v[124:127], v14 offset1:1
	s_add_i32 s26, s27, s23
	v_mov_b32_e32 v14, s26
	ds_read2_b64 v[62:65], v14 offset1:1
	scratch_load_dwordx4 v[138:141], off, off offset:48
	s_waitcnt vmcnt(8) lgkmcnt(1)
	v_mul_f32_e32 v14, v127, v33
	v_fma_f32 v14, v126, v32, -v14
	v_sub_f32_e32 v11, v11, v15
	v_mul_f32_e32 v15, v120, v39
	v_sub_f32_e32 v10, v10, v14
	s_waitcnt vmcnt(5) lgkmcnt(0)
	v_mul_f32_e32 v14, v65, v7
	s_add_i32 s26, s11, 0xffffe000
	v_fmac_f32_e32 v15, v121, v38
	v_fma_f32 v14, v64, v6, -v14
	v_mul_f32_e32 v7, v64, v7
	s_add_i32 s30, s27, s26
	v_sub_f32_e32 v11, v11, v15
	v_mul_f32_e32 v15, v126, v33
	v_fmac_f32_e32 v7, v65, v6
	v_sub_f32_e32 v6, v10, v14
	v_mov_b32_e32 v10, s30
	v_fmac_f32_e32 v15, v127, v32
	ds_read2_b64 v[126:129], v10 offset1:1
	v_sub_f32_e32 v11, v11, v15
	v_sub_f32_e32 v7, v11, v7
	v_pk_mul_f32 v[22:23], v[84:85], v[66:67]
	v_mov_b32_e32 v18, v69
	s_waitcnt lgkmcnt(0)
	v_mul_f32_e32 v14, v129, v7
	v_mul_f32_e32 v15, v128, v7
	v_mov_b32_e32 v19, v67
	v_sub_f32_e32 v22, v22, v23
	v_mov_b32_e32 v32, v71
	v_mov_b32_e32 v33, v84
	v_fma_f32 v14, v128, v6, -v14
	v_fmac_f32_e32 v15, v129, v6
	v_mov_b32_e32 v6, v68
	v_mov_b32_e32 v7, v66
	v_sub_f32_e32 v58, v58, v22
	v_mov_b32_e32 v22, v68
	v_mov_b32_e32 v23, v130
	v_mov_b32_e32 v28, v70
	v_mov_b32_e32 v29, v85
	v_pk_mul_f32 v[18:19], v[32:33], v[18:19]
	v_mov_b32_e32 v68, v131
	v_pk_fma_f32 v[32:33], v[70:71], v[22:23], v[18:19] neg_lo:[0,0,1] neg_hi:[0,0,1]
	v_pk_fma_f32 v[6:7], v[28:29], v[6:7], v[18:19]
	v_mov_b32_e32 v28, v71
	v_mov_b32_e32 v33, v7
	v_pk_add_f32 v[6:7], v[58:59], v[32:33] neg_lo:[0,1] neg_hi:[0,1]
	scratch_load_dwordx4 v[56:59], off, off offset:88
	v_mov_b32_e32 v29, v86
	v_pk_mul_f32 v[22:23], v[28:29], v[22:23]
	v_mov_b32_e32 v28, v87
	v_mov_b32_e32 v29, v70
	v_pk_fma_f32 v[32:33], v[28:29], v[68:69], v[22:23] op_sel:[0,0,1] op_sel_hi:[1,1,0] neg_lo:[1,0,0] neg_hi:[1,0,0]
	v_pk_fma_f32 v[22:23], v[28:29], v[68:69], v[22:23] op_sel:[0,0,1] op_sel_hi:[1,1,0]
	v_mov_b32_e32 v19, v132
	v_mov_b32_e32 v132, v131
	;; [unrolled: 1-line block ×5, first 2 shown]
	v_pk_add_f32 v[6:7], v[6:7], v[32:33] neg_lo:[0,1] neg_hi:[0,1]
	v_mov_b32_e32 v29, v80
	v_pk_mul_f32 v[32:33], v[86:87], v[132:133]
	s_waitcnt vmcnt(5)
	v_mov_b32_e32 v23, v98
	v_mov_b32_e32 v98, v97
	v_pk_fma_f32 v[50:51], v[28:29], v[18:19], v[32:33] neg_lo:[0,0,1] neg_hi:[0,0,1]
	v_pk_fma_f32 v[18:19], v[28:29], v[18:19], v[32:33]
	v_mov_b32_e32 v28, v81
	v_mov_b32_e32 v81, v101
	scratch_store_dwordx2 off, v[14:15], off offset:128
	v_mov_b32_e32 v22, v96
	v_pk_mov_b32 v[18:19], v[50:51], v[18:19] op_sel:[1,0]
	v_mov_b32_e32 v29, v100
	v_pk_mul_f32 v[32:33], v[80:81], v[98:99]
	scratch_load_dwordx4 v[36:39], off, off offset:120
	v_pk_add_f32 v[6:7], v[6:7], v[18:19] neg_lo:[0,1] neg_hi:[0,1]
	s_waitcnt vmcnt(5)
	v_mov_b32_e32 v19, v106
	v_mov_b32_e32 v106, v105
	v_pk_fma_f32 v[50:51], v[28:29], v[22:23], v[32:33] neg_lo:[0,0,1] neg_hi:[0,0,1]
	v_pk_fma_f32 v[22:23], v[28:29], v[22:23], v[32:33]
	v_mov_b32_e32 v28, v101
	v_mov_b32_e32 v101, v93
	;; [unrolled: 1-line block ×3, first 2 shown]
	v_pk_mov_b32 v[22:23], v[50:51], v[22:23] op_sel:[1,0]
	v_mov_b32_e32 v29, v92
	v_pk_mul_f32 v[32:33], v[100:101], v[106:107]
	v_pk_add_f32 v[6:7], v[6:7], v[22:23] neg_lo:[0,1] neg_hi:[0,1]
	v_mov_b32_e32 v23, v136
	v_mov_b32_e32 v136, v135
	v_pk_fma_f32 v[50:51], v[28:29], v[18:19], v[32:33] neg_lo:[0,0,1] neg_hi:[0,0,1]
	v_pk_fma_f32 v[18:19], v[28:29], v[18:19], v[32:33]
	v_mov_b32_e32 v28, v93
	v_mov_b32_e32 v93, v113
	;; [unrolled: 1-line block ×4, first 2 shown]
	v_pk_mul_f32 v[32:33], v[92:93], v[136:137]
	v_pk_mov_b32 v[18:19], v[50:51], v[18:19] op_sel:[1,0]
	v_pk_fma_f32 v[50:51], v[28:29], v[22:23], v[32:33] neg_lo:[0,0,1] neg_hi:[0,0,1]
	v_pk_fma_f32 v[22:23], v[28:29], v[22:23], v[32:33]
	v_pk_add_f32 v[6:7], v[6:7], v[18:19] neg_lo:[0,1] neg_hi:[0,1]
	s_waitcnt vmcnt(3)
	v_mov_b32_e32 v19, v140
	v_mov_b32_e32 v140, v139
	v_pk_mov_b32 v[22:23], v[50:51], v[22:23] op_sel:[1,0]
	v_mov_b32_e32 v28, v113
	v_mov_b32_e32 v113, v109
	;; [unrolled: 1-line block ×3, first 2 shown]
	v_pk_add_f32 v[6:7], v[6:7], v[22:23] neg_lo:[0,1] neg_hi:[0,1]
	v_mov_b32_e32 v22, v44
	v_mov_b32_e32 v29, v108
	;; [unrolled: 1-line block ×3, first 2 shown]
	v_pk_mul_f32 v[44:45], v[112:113], v[140:141]
	v_mov_b32_e32 v33, v47
	v_pk_fma_f32 v[50:51], v[28:29], v[18:19], v[44:45] neg_lo:[0,0,1] neg_hi:[0,0,1]
	v_pk_fma_f32 v[18:19], v[28:29], v[18:19], v[44:45]
	v_mov_b32_e32 v23, v46
	v_pk_mov_b32 v[18:19], v[50:51], v[18:19] op_sel:[1,0]
	scratch_load_dwordx4 v[64:67], off, off
	v_pk_add_f32 v[6:7], v[6:7], v[18:19] neg_lo:[0,1] neg_hi:[0,1]
	v_mov_b32_e32 v18, v109
	v_mov_b32_e32 v109, v115
	;; [unrolled: 1-line block ×3, first 2 shown]
	v_pk_mul_f32 v[28:29], v[108:109], v[32:33]
	scratch_load_dwordx4 v[88:91], off, off offset:16
	v_pk_fma_f32 v[32:33], v[18:19], v[22:23], v[28:29] neg_lo:[0,0,1] neg_hi:[0,0,1]
	v_pk_fma_f32 v[18:19], v[18:19], v[22:23], v[28:29]
	scratch_load_dwordx4 v[92:95], off, off offset:24
	scratch_load_dwordx4 v[134:137], off, off offset:96
	v_pk_mov_b32 v[18:19], v[32:33], v[18:19] op_sel:[1,0]
	scratch_load_dwordx4 v[100:103], off, off offset:32
	v_pk_add_f32 v[6:7], v[6:7], v[18:19] neg_lo:[0,1] neg_hi:[0,1]
	v_mul_f32_e32 v18, v115, v46
	v_fmac_f32_e32 v18, v114, v47
	v_sub_f32_e32 v18, v7, v18
	scratch_store_dwordx2 off, v[6:7], off offset:136
	v_mul_f32_e32 v7, v49, v53
	v_mul_f32_e32 v19, v48, v53
	v_fma_f32 v7, v48, v52, -v7
	v_fmac_f32_e32 v19, v49, v52
	v_sub_f32_e32 v6, v6, v7
	v_sub_f32_e32 v7, v18, v19
	v_mul_f32_e32 v18, v117, v55
	v_fma_f32 v18, v116, v54, -v18
	v_sub_f32_e32 v6, v6, v18
	s_waitcnt vmcnt(8)
	v_mul_f32_e32 v18, v27, v57
	v_fma_f32 v18, v26, v56, -v18
	v_sub_f32_e32 v18, v6, v18
	scratch_load_dword v6, off, off offset:20
	scratch_load_dwordx4 v[80:83], off, off offset:40
	scratch_load_dwordx4 v[96:99], off, off offset:56
	;; [unrolled: 1-line block ×4, first 2 shown]
	v_mul_f32_e32 v19, v116, v55
	v_fmac_f32_e32 v19, v117, v54
	v_sub_f32_e32 v7, v7, v19
	v_mul_f32_e32 v19, v26, v57
	v_fmac_f32_e32 v19, v27, v56
	v_sub_f32_e32 v7, v7, v19
	v_mul_f32_e32 v19, v123, v59
	v_fma_f32 v19, v122, v58, -v19
	v_mul_f32_e32 v22, v122, v59
	v_fmac_f32_e32 v22, v123, v58
	v_sub_f32_e32 v18, v18, v19
	v_mul_f32_e32 v19, v119, v41
	scratch_load_dwordx4 v[72:75], off, off offset:80
	s_lshl_b32 s25, s25, 9
	v_sub_f32_e32 v7, v7, v22
	v_fma_f32 v19, v118, v40, -v19
	v_mul_f32_e32 v22, v118, v41
	s_add_i32 s27, s27, s25
	v_fmac_f32_e32 v22, v119, v40
	v_sub_f32_e32 v18, v18, v19
	v_mul_f32_e32 v19, v125, v43
	v_mov_b32_e32 v10, s27
	v_sub_f32_e32 v7, v7, v22
	v_fma_f32 v19, v124, v42, -v19
	v_mul_f32_e32 v22, v124, v43
	ds_read_b64 v[10:11], v10
	v_fmac_f32_e32 v22, v125, v42
	v_sub_f32_e32 v18, v18, v19
	s_waitcnt vmcnt(12)
	v_mul_f32_e32 v19, v63, v37
	v_sub_f32_e32 v7, v7, v22
	v_fma_f32 v19, v62, v36, -v19
	v_mul_f32_e32 v22, v62, v37
	v_fmac_f32_e32 v22, v63, v36
	v_sub_f32_e32 v18, v18, v19
	v_mul_f32_e32 v19, v127, v15
	v_mul_f32_e32 v15, v126, v15
	s_sub_i32 s27, s10, 19
	v_sub_f32_e32 v7, v7, v22
	v_fmac_f32_e32 v15, v127, v14
	s_lshl_b32 s30, s27, 3
	v_sub_f32_e32 v7, v7, v15
	s_add_i32 s31, s30, s11
	v_fma_f32 v19, v126, v14, -v19
	s_waitcnt lgkmcnt(0)
	v_mul_f32_e32 v14, v11, v7
	v_mul_f32_e32 v15, v10, v7
	v_mov_b32_e32 v7, s31
	s_add_i32 s31, s30, s12
	ds_read2_b64 v[68:71], v7 offset1:1
	v_mov_b32_e32 v7, s31
	ds_read2_b64 v[56:59], v7 offset1:1
	v_sub_f32_e32 v18, v18, v19
	v_fma_f32 v14, v10, v18, -v14
	v_fmac_f32_e32 v15, v11, v18
	s_waitcnt vmcnt(11) lgkmcnt(1)
	v_mul_f32_e32 v7, v71, v65
	scratch_store_dwordx2 off, v[14:15], off offset:136
	v_fma_f32 v7, v70, v64, -v7
	v_mov_b32_e32 v15, v64
	s_waitcnt lgkmcnt(0)
	v_mov_b32_e32 v18, v59
	v_mov_b32_e32 v19, v70
	;; [unrolled: 1-line block ×6, first 2 shown]
	v_pk_mul_f32 v[18:19], v[18:19], v[64:65]
	s_add_i32 s31, s30, s4
	v_pk_fma_f32 v[10:11], v[10:11], v[14:15], v[18:19]
	v_mov_b32_e32 v14, s31
	v_sub_f32_e32 v60, v60, v7
	s_waitcnt vmcnt(11)
	v_mov_b32_e32 v89, v66
	v_mov_b32_e32 v7, v67
	v_pk_fma_f32 v[22:23], v[58:59], v[66:67], v[18:19] neg_lo:[0,0,1] neg_hi:[0,0,1]
	ds_read2_b64 v[64:67], v14 offset1:1
	s_add_i32 s31, s30, s5
	v_mov_b32_e32 v23, v11
	v_mov_b32_e32 v18, s31
	scratch_load_dwordx4 v[76:79], off, off offset:112
	v_pk_add_f32 v[10:11], v[60:61], v[22:23] neg_lo:[0,1] neg_hi:[0,1]
	ds_read2_b64 v[60:63], v18 offset1:1
	s_waitcnt lgkmcnt(1)
	v_mov_b32_e32 v32, v67
	v_mov_b32_e32 v33, v58
	;; [unrolled: 1-line block ×6, first 2 shown]
	s_waitcnt vmcnt(7)
	v_mov_b32_e32 v23, v6
	v_pk_mul_f32 v[6:7], v[32:33], v[6:7]
	v_mov_b32_e32 v22, v93
	v_pk_fma_f32 v[32:33], v[66:67], v[14:15], v[6:7] neg_lo:[0,0,1] neg_hi:[0,0,1]
	v_pk_fma_f32 v[6:7], v[18:19], v[88:89], v[6:7]
	v_mov_b32_e32 v18, v67
	s_waitcnt lgkmcnt(0)
	v_mov_b32_e32 v19, v62
	v_mov_b32_e32 v33, v7
	v_pk_mul_f32 v[14:15], v[18:19], v[14:15]
	v_mov_b32_e32 v18, v63
	v_mov_b32_e32 v19, v66
	v_pk_add_f32 v[6:7], v[10:11], v[32:33] neg_lo:[0,1] neg_hi:[0,1]
	v_pk_fma_f32 v[32:33], v[18:19], v[22:23], v[14:15] op_sel:[0,0,1] op_sel_hi:[1,1,0] neg_lo:[1,0,0] neg_hi:[1,0,0]
	v_pk_fma_f32 v[14:15], v[18:19], v[22:23], v[14:15] op_sel:[0,0,1] op_sel_hi:[1,1,0]
	s_add_i32 s31, s30, s13
	v_mov_b32_e32 v14, s31
	ds_read2_b64 v[104:107], v14 offset1:1
	s_add_i32 s31, s30, s14
	v_mov_b32_e32 v19, s31
	ds_read2_b64 v[88:91], v19 offset1:1
	v_mov_b32_e32 v11, v94
	v_mov_b32_e32 v94, v93
	s_waitcnt lgkmcnt(1)
	v_mov_b32_e32 v63, v107
	v_mov_b32_e32 v10, v92
	;; [unrolled: 1-line block ×4, first 2 shown]
	v_pk_mul_f32 v[22:23], v[62:63], v[94:95]
	v_pk_add_f32 v[6:7], v[6:7], v[32:33] neg_lo:[0,1] neg_hi:[0,1]
	v_mov_b32_e32 v15, v102
	v_mov_b32_e32 v102, v101
	v_pk_fma_f32 v[32:33], v[18:19], v[10:11], v[22:23] neg_lo:[0,0,1] neg_hi:[0,0,1]
	v_pk_fma_f32 v[10:11], v[18:19], v[10:11], v[22:23]
	v_mov_b32_e32 v18, v107
	s_waitcnt lgkmcnt(0)
	v_mov_b32_e32 v107, v91
	v_mov_b32_e32 v14, v100
	;; [unrolled: 1-line block ×3, first 2 shown]
	v_pk_mul_f32 v[22:23], v[106:107], v[102:103]
	v_pk_mov_b32 v[10:11], v[32:33], v[10:11] op_sel:[1,0]
	v_pk_fma_f32 v[32:33], v[18:19], v[14:15], v[22:23] neg_lo:[0,0,1] neg_hi:[0,0,1]
	v_pk_fma_f32 v[14:15], v[18:19], v[14:15], v[22:23]
	v_pk_add_f32 v[6:7], v[6:7], v[10:11] neg_lo:[0,1] neg_hi:[0,1]
	v_pk_mov_b32 v[14:15], v[32:33], v[14:15] op_sel:[1,0]
	s_add_i32 s31, s30, s15
	v_pk_add_f32 v[6:7], v[6:7], v[14:15] neg_lo:[0,1] neg_hi:[0,1]
	v_mov_b32_e32 v14, s31
	ds_read2_b64 v[100:103], v14 offset1:1
	s_add_i32 s31, s30, s16
	v_mov_b32_e32 v19, s31
	ds_read2_b64 v[92:95], v19 offset1:1
	s_waitcnt vmcnt(6)
	v_mov_b32_e32 v11, v82
	v_mov_b32_e32 v82, v81
	;; [unrolled: 1-line block ×3, first 2 shown]
	s_waitcnt lgkmcnt(1)
	v_mov_b32_e32 v91, v103
	v_mov_b32_e32 v10, v80
	;; [unrolled: 1-line block ×3, first 2 shown]
	v_pk_mul_f32 v[22:23], v[90:91], v[82:83]
	s_waitcnt vmcnt(4)
	v_mov_b32_e32 v15, v86
	v_mov_b32_e32 v86, v85
	v_pk_fma_f32 v[32:33], v[18:19], v[10:11], v[22:23] neg_lo:[0,0,1] neg_hi:[0,0,1]
	v_pk_fma_f32 v[10:11], v[18:19], v[10:11], v[22:23]
	v_mov_b32_e32 v18, v103
	s_waitcnt lgkmcnt(0)
	v_mov_b32_e32 v103, v95
	v_mov_b32_e32 v14, v84
	v_mov_b32_e32 v19, v94
	v_pk_mul_f32 v[22:23], v[102:103], v[86:87]
	v_pk_mov_b32 v[10:11], v[32:33], v[10:11] op_sel:[1,0]
	v_pk_fma_f32 v[32:33], v[18:19], v[14:15], v[22:23] neg_lo:[0,0,1] neg_hi:[0,0,1]
	v_pk_fma_f32 v[14:15], v[18:19], v[14:15], v[22:23]
	v_pk_add_f32 v[6:7], v[6:7], v[10:11] neg_lo:[0,1] neg_hi:[0,1]
	v_pk_mov_b32 v[14:15], v[32:33], v[14:15] op_sel:[1,0]
	s_add_i32 s31, s30, s17
	v_pk_add_f32 v[6:7], v[6:7], v[14:15] neg_lo:[0,1] neg_hi:[0,1]
	v_mov_b32_e32 v14, s31
	ds_read2_b64 v[120:123], v14 offset1:1
	s_add_i32 s31, s30, s18
	v_mov_b32_e32 v11, v98
	v_mov_b32_e32 v98, v97
	v_mov_b32_e32 v18, v95
	v_mov_b32_e32 v19, s31
	s_waitcnt lgkmcnt(0)
	v_mov_b32_e32 v95, v123
	v_mov_b32_e32 v10, v96
	ds_read2_b64 v[112:115], v19 offset1:1
	v_mov_b32_e32 v19, v122
	v_pk_mul_f32 v[32:33], v[94:95], v[98:99]
	scratch_load_dwordx4 v[40:43], off, off offset:128
	v_pk_fma_f32 v[36:37], v[18:19], v[10:11], v[32:33] neg_lo:[0,0,1] neg_hi:[0,0,1]
	v_pk_fma_f32 v[10:11], v[18:19], v[10:11], v[32:33]
	scratch_load_dwordx4 v[52:55], off, off
	v_pk_mov_b32 v[10:11], v[36:37], v[10:11] op_sel:[1,0]
	s_waitcnt vmcnt(5)
	v_mov_b32_e32 v22, v129
	v_pk_add_f32 v[10:11], v[6:7], v[10:11] neg_lo:[0,1] neg_hi:[0,1]
	scratch_load_dwordx2 v[6:7], off, off offset:136
	v_mov_b32_e32 v23, v131
	v_mov_b32_e32 v18, v123
	s_waitcnt lgkmcnt(0)
	v_mov_b32_e32 v123, v115
	v_mov_b32_e32 v14, v128
	;; [unrolled: 1-line block ×4, first 2 shown]
	v_pk_mul_f32 v[22:23], v[122:123], v[22:23]
	scratch_load_dwordx4 v[84:87], off, off offset:152
	v_pk_fma_f32 v[32:33], v[18:19], v[14:15], v[22:23] neg_lo:[0,0,1] neg_hi:[0,0,1]
	v_pk_fma_f32 v[14:15], v[18:19], v[14:15], v[22:23]
	scratch_load_dwordx2 v[188:189], off, off offset:16
	scratch_load_dwordx4 v[148:151], off, off offset:16
	v_pk_mov_b32 v[14:15], v[32:33], v[14:15] op_sel:[1,0]
	s_add_i32 s31, s30, s19
	v_pk_add_f32 v[10:11], v[10:11], v[14:15] neg_lo:[0,1] neg_hi:[0,1]
	v_mul_f32_e32 v14, v115, v130
	v_mov_b32_e32 v15, s31
	v_fmac_f32_e32 v14, v114, v131
	ds_read2_b64 v[128:131], v15 offset1:1
	s_add_i32 s31, s30, s20
	v_sub_f32_e32 v11, v11, v14
	v_mov_b32_e32 v14, s31
	scratch_load_dwordx4 v[108:111], off, off offset:32
	ds_read2_b64 v[94:97], v14 offset1:1
	s_waitcnt vmcnt(9) lgkmcnt(1)
	v_mul_f32_e32 v14, v131, v73
	v_fma_f32 v14, v130, v72, -v14
	v_sub_f32_e32 v10, v10, v14
	s_add_i32 s31, s30, s21
	s_waitcnt lgkmcnt(0)
	v_mul_f32_e32 v14, v97, v75
	v_fma_f32 v14, v96, v74, -v14
	v_mul_f32_e32 v15, v130, v73
	v_sub_f32_e32 v10, v10, v14
	v_mov_b32_e32 v14, s31
	v_fmac_f32_e32 v15, v131, v72
	ds_read2_b64 v[130:133], v14 offset1:1
	s_add_i32 s31, s30, s22
	v_sub_f32_e32 v11, v11, v15
	v_mul_f32_e32 v15, v96, v75
	v_mov_b32_e32 v14, s31
	v_fmac_f32_e32 v15, v97, v74
	ds_read2_b64 v[96:99], v14 offset1:1
	s_waitcnt lgkmcnt(1)
	v_mul_f32_e32 v14, v133, v135
	v_fma_f32 v14, v132, v134, -v14
	v_sub_f32_e32 v11, v11, v15
	v_mul_f32_e32 v15, v132, v135
	v_sub_f32_e32 v10, v10, v14
	s_waitcnt lgkmcnt(0)
	v_mul_f32_e32 v14, v99, v137
	v_fmac_f32_e32 v15, v133, v134
	v_fma_f32 v14, v98, v136, -v14
	s_add_i32 s31, s30, s24
	v_sub_f32_e32 v11, v11, v15
	v_mul_f32_e32 v15, v98, v137
	v_sub_f32_e32 v10, v10, v14
	v_mov_b32_e32 v14, s31
	v_fmac_f32_e32 v15, v99, v136
	ds_read2_b64 v[136:139], v14 offset1:1
	s_add_i32 s31, s30, s23
	v_mov_b32_e32 v14, s31
	ds_read2_b64 v[132:135], v14 offset1:1
	v_sub_f32_e32 v11, v11, v15
	s_waitcnt vmcnt(7) lgkmcnt(1)
	v_mul_f32_e32 v14, v139, v77
	v_mul_f32_e32 v15, v138, v77
	v_fma_f32 v14, v138, v76, -v14
	v_fmac_f32_e32 v15, v139, v76
	v_sub_f32_e32 v10, v10, v14
	v_sub_f32_e32 v11, v11, v15
	s_waitcnt lgkmcnt(0)
	v_mul_f32_e32 v14, v135, v79
	v_mul_f32_e32 v15, v134, v79
	v_fma_f32 v14, v134, v78, -v14
	v_fmac_f32_e32 v15, v135, v78
	s_add_i32 s31, s30, s26
	v_sub_f32_e32 v10, v10, v14
	v_sub_f32_e32 v14, v11, v15
	v_mov_b32_e32 v11, s31
	s_add_i32 s31, s30, s25
	ds_read2_b64 v[142:145], v11 offset1:1
	v_mov_b32_e32 v11, s31
	scratch_load_dwordx4 v[44:47], off, off offset:88
	scratch_load_dwordx4 v[48:51], off, off offset:120
	;; [unrolled: 1-line block ×6, first 2 shown]
	ds_read2_b64 v[138:141], v11 offset1:1
	scratch_load_dwordx4 v[152:155], off, off offset:40
	scratch_load_dwordx4 v[74:77], off, off offset:128
	;; [unrolled: 1-line block ×4, first 2 shown]
	s_waitcnt vmcnt(16) lgkmcnt(1)
	v_mul_f32_e32 v11, v145, v41
	v_mul_f32_e32 v15, v144, v41
	v_fma_f32 v11, v144, v40, -v11
	v_fmac_f32_e32 v15, v145, v40
	s_add_i32 s31, s11, 0xffffdc00
	v_sub_f32_e32 v11, v10, v11
	v_sub_f32_e32 v10, v14, v15
	s_waitcnt vmcnt(14) lgkmcnt(0)
	v_mul_f32_e32 v14, v141, v7
	v_mul_f32_e32 v7, v140, v7
	s_add_i32 s30, s30, s31
	v_fma_f32 v14, v140, v6, -v14
	v_fmac_f32_e32 v7, v141, v6
	v_mov_b32_e32 v6, s30
	ds_read2_b64 v[196:199], v6 offset1:1
	v_sub_f32_e32 v14, v11, v14
	v_sub_f32_e32 v11, v10, v7
	v_mov_b32_e32 v33, v54
	v_mov_b32_e32 v36, v65
	s_waitcnt lgkmcnt(0)
	v_mul_f32_e32 v10, v199, v11
	v_mul_f32_e32 v11, v198, v11
	v_fma_f32 v10, v198, v14, -v10
	v_fmac_f32_e32 v11, v199, v14
	v_mul_f32_e32 v14, v69, v53
	v_fma_f32 v14, v68, v52, -v14
	s_waitcnt vmcnt(13)
	v_sub_f32_e32 v84, v84, v14
	v_mul_f32_e32 v14, v57, v55
	v_fma_f32 v14, v56, v54, -v14
	v_mov_b32_e32 v37, v56
	s_waitcnt vmcnt(11)
	v_mov_b32_e32 v54, v149
	v_mov_b32_e32 v18, v150
	;; [unrolled: 1-line block ×6, first 2 shown]
	v_pk_mul_f32 v[36:37], v[36:37], v[54:55]
	v_mul_f32_e32 v15, v68, v53
	v_mov_b32_e32 v148, v151
	v_pk_fma_f32 v[40:41], v[64:65], v[18:19], v[36:37] op_sel:[0,1,0] op_sel_hi:[1,0,1] neg_lo:[0,0,1] neg_hi:[0,0,1]
	v_pk_fma_f32 v[22:23], v[22:23], v[32:33], v[36:37]
	v_mov_b32_e32 v36, v61
	v_mov_b32_e32 v37, v64
	v_fmac_f32_e32 v15, v69, v52
	v_mov_b32_e32 v32, v60
	v_mov_b32_e32 v33, v65
	v_pk_mul_f32 v[36:37], v[36:37], v[148:149]
	v_pk_add_f32 v[14:15], v[84:85], v[14:15] neg_lo:[0,1] neg_hi:[0,1]
	v_mov_b32_e32 v41, v23
	v_mov_b32_e32 v22, v150
	s_waitcnt vmcnt(10)
	v_mov_b32_e32 v23, v108
	v_pk_fma_f32 v[18:19], v[32:33], v[18:19], v[36:37]
	v_mov_b32_e32 v32, v61
	v_mov_b32_e32 v33, v104
	v_pk_add_f32 v[14:15], v[14:15], v[40:41] neg_lo:[0,1] neg_hi:[0,1]
	v_pk_fma_f32 v[40:41], v[60:61], v[22:23], v[36:37] neg_lo:[0,0,1] neg_hi:[0,0,1]
	v_pk_mul_f32 v[22:23], v[32:33], v[22:23]
	v_mov_b32_e32 v33, v60
	scratch_load_dwordx4 v[58:61], off, off offset:104
	v_mov_b32_e32 v150, v109
	scratch_store_dwordx2 off, v[10:11], off offset:144
	scratch_load_dwordx4 v[144:147], off, off offset:136
	v_mov_b32_e32 v32, v105
	v_mov_b32_e32 v41, v19
	v_pk_fma_f32 v[36:37], v[32:33], v[150:151], v[22:23] op_sel:[0,0,1] op_sel_hi:[1,1,0] neg_lo:[1,0,0] neg_hi:[1,0,0]
	v_pk_fma_f32 v[22:23], v[32:33], v[150:151], v[22:23] op_sel:[0,0,1] op_sel_hi:[1,1,0]
	v_pk_add_f32 v[14:15], v[14:15], v[40:41] neg_lo:[0,1] neg_hi:[0,1]
	v_mov_b32_e32 v19, v110
	v_mov_b32_e32 v110, v109
	;; [unrolled: 1-line block ×5, first 2 shown]
	v_pk_add_f32 v[14:15], v[14:15], v[36:37] neg_lo:[0,1] neg_hi:[0,1]
	v_mov_b32_e32 v33, v88
	v_pk_mul_f32 v[36:37], v[104:105], v[110:111]
	scratch_load_dwordx4 v[108:111], off, off
	v_pk_fma_f32 v[40:41], v[32:33], v[18:19], v[36:37] neg_lo:[0,0,1] neg_hi:[0,0,1]
	v_pk_fma_f32 v[18:19], v[32:33], v[18:19], v[36:37]
	s_waitcnt vmcnt(7)
	v_mov_b32_e32 v23, v154
	v_mov_b32_e32 v154, v153
	;; [unrolled: 1-line block ×5, first 2 shown]
	v_pk_mov_b32 v[18:19], v[40:41], v[18:19] op_sel:[1,0]
	v_mov_b32_e32 v33, v100
	v_pk_mul_f32 v[36:37], v[88:89], v[154:155]
	v_pk_add_f32 v[14:15], v[14:15], v[18:19] neg_lo:[0,1] neg_hi:[0,1]
	s_waitcnt vmcnt(5)
	v_mov_b32_e32 v19, v192
	v_mov_b32_e32 v192, v191
	v_pk_fma_f32 v[40:41], v[32:33], v[22:23], v[36:37] neg_lo:[0,0,1] neg_hi:[0,0,1]
	v_pk_fma_f32 v[22:23], v[32:33], v[22:23], v[36:37]
	v_mov_b32_e32 v32, v101
	v_mov_b32_e32 v101, v93
	v_mov_b32_e32 v18, v190
	v_pk_mov_b32 v[22:23], v[40:41], v[22:23] op_sel:[1,0]
	v_mov_b32_e32 v33, v92
	v_pk_mul_f32 v[36:37], v[100:101], v[192:193]
	v_pk_add_f32 v[14:15], v[14:15], v[22:23] neg_lo:[0,1] neg_hi:[0,1]
	v_mov_b32_e32 v23, v118
	v_mov_b32_e32 v118, v117
	v_pk_fma_f32 v[40:41], v[32:33], v[18:19], v[36:37] neg_lo:[0,0,1] neg_hi:[0,0,1]
	v_pk_fma_f32 v[18:19], v[32:33], v[18:19], v[36:37]
	v_mov_b32_e32 v32, v93
	v_mov_b32_e32 v93, v121
	v_mov_b32_e32 v22, v116
	v_pk_mov_b32 v[18:19], v[40:41], v[18:19] op_sel:[1,0]
	v_mov_b32_e32 v33, v120
	v_pk_mul_f32 v[36:37], v[92:93], v[118:119]
	v_pk_add_f32 v[14:15], v[14:15], v[18:19] neg_lo:[0,1] neg_hi:[0,1]
	;; [unrolled: 11-line block ×3, first 2 shown]
	v_pk_fma_f32 v[52:53], v[32:33], v[18:19], v[40:41] neg_lo:[0,0,1] neg_hi:[0,0,1]
	v_pk_fma_f32 v[18:19], v[32:33], v[18:19], v[40:41]
	s_waitcnt vmcnt(4)
	v_mov_b32_e32 v36, v207
	v_pk_mov_b32 v[18:19], v[52:53], v[18:19] op_sel:[1,0]
	v_mov_b32_e32 v37, v209
	v_pk_add_f32 v[14:15], v[14:15], v[18:19] neg_lo:[0,1] neg_hi:[0,1]
	v_mov_b32_e32 v18, v113
	v_mov_b32_e32 v113, v129
	;; [unrolled: 1-line block ×5, first 2 shown]
	v_pk_mul_f32 v[32:33], v[112:113], v[36:37]
	scratch_load_dwordx4 v[198:201], off, off offset:16
	v_pk_fma_f32 v[36:37], v[18:19], v[22:23], v[32:33] neg_lo:[0,0,1] neg_hi:[0,0,1]
	v_pk_fma_f32 v[18:19], v[18:19], v[22:23], v[32:33]
	scratch_load_dwordx4 v[62:65], off, off offset:40
	v_pk_mov_b32 v[18:19], v[36:37], v[18:19] op_sel:[1,0]
	s_mul_i32 s30, s10, 0x208
	v_pk_add_f32 v[14:15], v[14:15], v[18:19] neg_lo:[0,1] neg_hi:[0,1]
	v_mul_f32_e32 v18, v129, v208
	v_fmac_f32_e32 v18, v128, v209
	v_sub_f32_e32 v18, v15, v18
	scratch_store_dwordx2 off, v[14:15], off offset:152
	v_mul_f32_e32 v15, v95, v45
	v_mul_f32_e32 v19, v94, v45
	v_fma_f32 v15, v94, v44, -v15
	v_fmac_f32_e32 v19, v95, v44
	v_sub_f32_e32 v14, v14, v15
	v_sub_f32_e32 v15, v18, v19
	v_mul_f32_e32 v18, v131, v47
	v_mul_f32_e32 v19, v130, v47
	v_fma_f32 v18, v130, v46, -v18
	v_fmac_f32_e32 v19, v131, v46
	scratch_load_dwordx4 v[44:47], off, off offset:32
	v_sub_f32_e32 v14, v14, v18
	s_waitcnt vmcnt(7)
	v_mul_f32_e32 v18, v97, v59
	v_sub_f32_e32 v15, v15, v19
	v_fma_f32 v18, v96, v58, -v18
	v_mul_f32_e32 v19, v96, v59
	v_fmac_f32_e32 v19, v97, v58
	v_sub_f32_e32 v14, v14, v18
	v_mul_f32_e32 v18, v137, v61
	v_sub_f32_e32 v15, v15, v19
	v_fma_f32 v18, v136, v60, -v18
	v_mul_f32_e32 v19, v136, v61
	v_fmac_f32_e32 v19, v137, v60
	v_sub_f32_e32 v14, v14, v18
	;; [unrolled: 6-line block ×3, first 2 shown]
	v_mul_f32_e32 v14, v143, v51
	v_sub_f32_e32 v15, v15, v19
	v_fma_f32 v19, v142, v50, -v14
	scratch_load_dword v14, off, off offset:36
	scratch_load_dwordx4 v[148:151], off, off offset:48
	s_add_i32 s33, s30, 0xffffd968
	v_mov_b32_e32 v6, s33
	v_mul_f32_e32 v22, v142, v51
	ds_read_b64 v[6:7], v6
	v_fmac_f32_e32 v22, v143, v50
	v_sub_f32_e32 v18, v18, v19
	s_waitcnt vmcnt(7)
	v_mul_f32_e32 v19, v139, v145
	v_sub_f32_e32 v15, v15, v22
	v_fma_f32 v19, v138, v144, -v19
	v_mul_f32_e32 v22, v138, v145
	v_fmac_f32_e32 v22, v139, v144
	v_sub_f32_e32 v18, v18, v19
	v_mul_f32_e32 v19, v197, v11
	v_mul_f32_e32 v11, v196, v11
	v_sub_f32_e32 v15, v15, v22
	v_fmac_f32_e32 v11, v197, v10
	v_fma_f32 v19, v196, v10, -v19
	v_sub_f32_e32 v11, v15, v11
	v_sub_f32_e32 v18, v18, v19
	s_waitcnt lgkmcnt(0)
	v_mul_f32_e32 v10, v7, v11
	s_add_i32 s33, s35, s11
	v_fma_f32 v10, v6, v18, -v10
	v_mul_f32_e32 v11, v6, v11
	v_mov_b32_e32 v6, s33
	ds_read2_b64 v[104:107], v6 offset1:1
	s_add_i32 s33, s35, s12
	v_mov_b32_e32 v6, s33
	scratch_load_dwordx4 v[118:121], off, off offset:56
	ds_read2_b64 v[92:95], v6 offset1:1
	scratch_load_dwordx4 v[122:125], off, off offset:64
	s_waitcnt vmcnt(8) lgkmcnt(1)
	v_mul_f32_e32 v6, v107, v109
	v_fmac_f32_e32 v11, v7, v18
	v_fma_f32 v6, v106, v108, -v6
	s_add_i32 s33, s35, s4
	scratch_store_dwordx2 off, v[10:11], off offset:152
	v_sub_f32_e32 v86, v86, v6
	s_waitcnt lgkmcnt(0)
	v_mul_f32_e32 v6, v95, v111
	v_mul_f32_e32 v11, v94, v111
	v_mov_b32_e32 v10, s33
	s_add_i32 s33, s35, s5
	scratch_load_dwordx4 v[114:117], off, off offset:72
	v_fma_f32 v6, v94, v110, -v6
	v_fmac_f32_e32 v11, v95, v110
	ds_read2_b64 v[94:97], v10 offset1:1
	v_mov_b32_e32 v10, s33
	ds_read2_b64 v[58:61], v10 offset1:1
	v_mul_f32_e32 v7, v106, v109
	v_fmac_f32_e32 v7, v107, v108
	s_waitcnt vmcnt(9) lgkmcnt(1)
	v_mul_f32_e32 v10, v97, v199
	v_pk_add_f32 v[6:7], v[86:87], v[6:7] neg_lo:[0,1] neg_hi:[0,1]
	v_fma_f32 v10, v96, v198, -v10
	v_mov_b32_e32 v19, v198
	s_waitcnt lgkmcnt(0)
	v_mov_b32_e32 v22, v61
	v_mov_b32_e32 v23, v96
	v_mov_b32_e32 v198, v201
	v_pk_add_f32 v[6:7], v[6:7], v[10:11] neg_lo:[0,1] neg_hi:[0,1]
	v_mov_b32_e32 v10, v60
	v_mov_b32_e32 v11, v97
	;; [unrolled: 1-line block ×3, first 2 shown]
	v_pk_mul_f32 v[22:23], v[22:23], v[198:199]
	s_add_i32 s33, s35, s13
	v_pk_fma_f32 v[32:33], v[60:61], v[200:201], v[22:23] neg_lo:[0,0,1] neg_hi:[0,0,1]
	v_pk_fma_f32 v[10:11], v[10:11], v[18:19], v[22:23]
	v_mov_b32_e32 v15, v201
	v_mov_b32_e32 v33, v11
	s_waitcnt vmcnt(6)
	v_mov_b32_e32 v11, v46
	scratch_load_dwordx4 v[46:49], off, off offset:80
	v_mov_b32_e32 v10, s33
	ds_read2_b64 v[108:111], v10 offset1:1
	s_add_i32 s33, s35, s14
	v_mov_b32_e32 v18, s33
	ds_read2_b64 v[96:99], v18 offset1:1
	v_pk_add_f32 v[6:7], v[6:7], v[32:33] neg_lo:[0,1] neg_hi:[0,1]
	s_waitcnt lgkmcnt(1)
	v_mov_b32_e32 v32, v111
	v_mov_b32_e32 v33, v60
	;; [unrolled: 1-line block ×6, first 2 shown]
	s_waitcnt vmcnt(6)
	v_mov_b32_e32 v23, v14
	v_pk_mul_f32 v[14:15], v[32:33], v[14:15]
	v_mov_b32_e32 v22, v63
	v_pk_fma_f32 v[32:33], v[110:111], v[10:11], v[14:15] neg_lo:[0,0,1] neg_hi:[0,0,1]
	v_pk_fma_f32 v[14:15], v[18:19], v[44:45], v[14:15]
	v_mov_b32_e32 v18, v111
	s_waitcnt lgkmcnt(0)
	v_mov_b32_e32 v19, v98
	v_mov_b32_e32 v33, v15
	v_pk_mul_f32 v[10:11], v[18:19], v[10:11]
	v_mov_b32_e32 v18, v99
	v_mov_b32_e32 v19, v110
	v_pk_add_f32 v[6:7], v[6:7], v[32:33] neg_lo:[0,1] neg_hi:[0,1]
	v_pk_fma_f32 v[32:33], v[18:19], v[22:23], v[10:11] op_sel:[0,0,1] op_sel_hi:[1,1,0] neg_lo:[1,0,0] neg_hi:[1,0,0]
	v_pk_fma_f32 v[10:11], v[18:19], v[22:23], v[10:11] op_sel:[0,0,1] op_sel_hi:[1,1,0]
	s_add_i32 s33, s35, s15
	v_mov_b32_e32 v10, s33
	ds_read2_b64 v[110:113], v10 offset1:1
	s_add_i32 s33, s35, s16
	v_mov_b32_e32 v19, s33
	ds_read2_b64 v[126:129], v19 offset1:1
	v_mov_b32_e32 v15, v64
	v_mov_b32_e32 v64, v63
	s_waitcnt lgkmcnt(1)
	v_mov_b32_e32 v99, v113
	v_mov_b32_e32 v14, v62
	;; [unrolled: 1-line block ×4, first 2 shown]
	v_pk_mul_f32 v[22:23], v[98:99], v[64:65]
	v_pk_add_f32 v[6:7], v[6:7], v[32:33] neg_lo:[0,1] neg_hi:[0,1]
	s_waitcnt vmcnt(5)
	v_mov_b32_e32 v11, v150
	v_mov_b32_e32 v150, v149
	v_pk_fma_f32 v[32:33], v[18:19], v[14:15], v[22:23] neg_lo:[0,0,1] neg_hi:[0,0,1]
	v_pk_fma_f32 v[14:15], v[18:19], v[14:15], v[22:23]
	v_mov_b32_e32 v18, v113
	s_waitcnt lgkmcnt(0)
	v_mov_b32_e32 v113, v129
	v_mov_b32_e32 v10, v148
	;; [unrolled: 1-line block ×3, first 2 shown]
	v_pk_mul_f32 v[22:23], v[112:113], v[150:151]
	v_pk_mov_b32 v[14:15], v[32:33], v[14:15] op_sel:[1,0]
	v_pk_fma_f32 v[32:33], v[18:19], v[10:11], v[22:23] neg_lo:[0,0,1] neg_hi:[0,0,1]
	v_pk_fma_f32 v[10:11], v[18:19], v[10:11], v[22:23]
	v_pk_add_f32 v[6:7], v[6:7], v[14:15] neg_lo:[0,1] neg_hi:[0,1]
	v_pk_mov_b32 v[10:11], v[32:33], v[10:11] op_sel:[1,0]
	s_add_i32 s33, s35, s17
	v_pk_add_f32 v[6:7], v[6:7], v[10:11] neg_lo:[0,1] neg_hi:[0,1]
	v_mov_b32_e32 v10, s33
	ds_read2_b64 v[134:137], v10 offset1:1
	scratch_load_dwordx4 v[60:63], off, off offset:112
	s_add_i32 s33, s35, s18
	v_mov_b32_e32 v19, s33
	ds_read2_b64 v[142:145], v19 offset1:1
	s_waitcnt vmcnt(5)
	v_mov_b32_e32 v15, v120
	v_mov_b32_e32 v120, v119
	;; [unrolled: 1-line block ×3, first 2 shown]
	s_waitcnt lgkmcnt(1)
	v_mov_b32_e32 v129, v137
	v_mov_b32_e32 v14, v118
	;; [unrolled: 1-line block ×3, first 2 shown]
	v_pk_mul_f32 v[22:23], v[128:129], v[120:121]
	s_waitcnt vmcnt(4)
	v_mov_b32_e32 v11, v124
	v_mov_b32_e32 v124, v123
	v_pk_fma_f32 v[32:33], v[18:19], v[14:15], v[22:23] neg_lo:[0,0,1] neg_hi:[0,0,1]
	v_pk_fma_f32 v[14:15], v[18:19], v[14:15], v[22:23]
	v_mov_b32_e32 v18, v137
	s_waitcnt lgkmcnt(0)
	v_mov_b32_e32 v137, v145
	v_mov_b32_e32 v10, v122
	;; [unrolled: 1-line block ×3, first 2 shown]
	v_pk_mul_f32 v[22:23], v[136:137], v[124:125]
	v_pk_mov_b32 v[14:15], v[32:33], v[14:15] op_sel:[1,0]
	v_pk_fma_f32 v[32:33], v[18:19], v[10:11], v[22:23] neg_lo:[0,0,1] neg_hi:[0,0,1]
	v_pk_fma_f32 v[10:11], v[18:19], v[10:11], v[22:23]
	v_pk_add_f32 v[6:7], v[6:7], v[14:15] neg_lo:[0,1] neg_hi:[0,1]
	v_pk_mov_b32 v[10:11], v[32:33], v[10:11] op_sel:[1,0]
	s_add_i32 s33, s35, s19
	v_pk_add_f32 v[6:7], v[6:7], v[10:11] neg_lo:[0,1] neg_hi:[0,1]
	v_mov_b32_e32 v10, s33
	s_waitcnt vmcnt(2)
	v_mov_b32_e32 v14, v114
	v_mov_b32_e32 v15, v116
	;; [unrolled: 1-line block ×3, first 2 shown]
	ds_read2_b64 v[112:115], v10 offset1:1
	s_add_i32 s33, s35, s20
	v_mov_b32_e32 v19, s33
	ds_read2_b64 v[122:125], v19 offset1:1
	v_mov_b32_e32 v18, v145
	s_waitcnt lgkmcnt(1)
	v_mov_b32_e32 v145, v115
	v_mov_b32_e32 v19, v114
	v_pk_mul_f32 v[32:33], v[144:145], v[116:117]
	scratch_load_dwordx4 v[50:53], off, off offset:144
	v_pk_fma_f32 v[36:37], v[18:19], v[14:15], v[32:33] neg_lo:[0,0,1] neg_hi:[0,0,1]
	v_pk_fma_f32 v[14:15], v[18:19], v[14:15], v[32:33]
	s_waitcnt vmcnt(2)
	v_mov_b32_e32 v22, v47
	v_pk_mov_b32 v[14:15], v[36:37], v[14:15] op_sel:[1,0]
	v_mov_b32_e32 v23, v49
	v_pk_add_f32 v[6:7], v[6:7], v[14:15] neg_lo:[0,1] neg_hi:[0,1]
	v_mov_b32_e32 v14, v115
	s_waitcnt lgkmcnt(0)
	v_mov_b32_e32 v115, v125
	scratch_load_dwordx2 v[32:33], off, off offset:152
	v_mov_b32_e32 v10, v46
	v_mov_b32_e32 v11, v48
	;; [unrolled: 1-line block ×3, first 2 shown]
	v_pk_mul_f32 v[18:19], v[114:115], v[22:23]
	s_add_i32 s33, s35, s21
	v_pk_fma_f32 v[22:23], v[14:15], v[10:11], v[18:19] neg_lo:[0,0,1] neg_hi:[0,0,1]
	v_pk_fma_f32 v[10:11], v[14:15], v[10:11], v[18:19]
	scratch_load_dwordx4 v[100:103], off, off
	v_pk_mov_b32 v[10:11], v[22:23], v[10:11] op_sel:[1,0]
	scratch_load_dwordx4 v[66:69], off, off offset:168
	v_pk_add_f32 v[6:7], v[6:7], v[10:11] neg_lo:[0,1] neg_hi:[0,1]
	v_mul_f32_e32 v10, v125, v48
	v_mov_b32_e32 v11, s33
	v_fmac_f32_e32 v10, v124, v49
	ds_read2_b64 v[114:117], v11 offset1:1
	s_add_i32 s33, s35, s22
	v_sub_f32_e32 v7, v7, v10
	v_mov_b32_e32 v10, s33
	ds_read2_b64 v[148:151], v10 offset1:1
	s_waitcnt lgkmcnt(1)
	v_mul_f32_e32 v10, v117, v81
	v_fma_f32 v10, v116, v80, -v10
	v_mul_f32_e32 v11, v116, v81
	v_sub_f32_e32 v6, v6, v10
	s_waitcnt lgkmcnt(0)
	v_mul_f32_e32 v10, v151, v83
	v_fmac_f32_e32 v11, v117, v80
	v_fma_f32 v10, v150, v82, -v10
	s_add_i32 s33, s35, s24
	v_sub_f32_e32 v7, v7, v11
	v_mul_f32_e32 v11, v150, v83
	v_sub_f32_e32 v6, v6, v10
	v_mov_b32_e32 v10, s33
	s_add_i32 s33, s35, s23
	v_fmac_f32_e32 v11, v151, v82
	ds_read2_b64 v[150:153], v10 offset1:1
	v_mov_b32_e32 v10, s33
	scratch_load_dwordx4 v[70:73], off, off offset:128
	scratch_load_dwordx4 v[54:57], off, off offset:104
	;; [unrolled: 1-line block ×4, first 2 shown]
	scratch_load_dwordx2 v[190:191], off, off offset:32
	scratch_load_dwordx4 v[130:133], off, off offset:56
	scratch_load_dwordx4 v[138:141], off, off offset:64
	scratch_load_dwordx4 v[118:121], off, off offset:80
	ds_read2_b64 v[196:199], v10 offset1:1
	scratch_load_dwordx4 v[78:81], off, off offset:16
	scratch_load_dwordx4 v[44:47], off, off offset:112
	s_waitcnt vmcnt(14) lgkmcnt(1)
	v_mul_f32_e32 v10, v153, v61
	v_fma_f32 v10, v152, v60, -v10
	v_sub_f32_e32 v7, v7, v11
	v_mul_f32_e32 v11, v152, v61
	v_sub_f32_e32 v6, v6, v10
	s_waitcnt lgkmcnt(0)
	v_mul_f32_e32 v10, v199, v63
	v_fmac_f32_e32 v11, v153, v60
	v_fma_f32 v10, v198, v62, -v10
	s_add_i32 s33, s35, s26
	v_sub_f32_e32 v7, v7, v11
	v_mul_f32_e32 v11, v198, v63
	v_sub_f32_e32 v6, v6, v10
	v_mov_b32_e32 v10, s33
	v_fmac_f32_e32 v11, v199, v62
	ds_read2_b64 v[198:201], v10 offset1:1
	s_add_i32 s33, s35, s25
	v_mov_b32_e32 v10, s33
	ds_read2_b64 v[206:209], v10 offset1:1
	v_sub_f32_e32 v7, v7, v11
	s_waitcnt lgkmcnt(1)
	v_mul_f32_e32 v10, v201, v75
	v_fma_f32 v10, v200, v74, -v10
	v_mul_f32_e32 v11, v200, v75
	v_sub_f32_e32 v6, v6, v10
	s_waitcnt lgkmcnt(0)
	v_mul_f32_e32 v10, v209, v77
	v_fmac_f32_e32 v11, v201, v74
	v_fma_f32 v10, v208, v76, -v10
	s_add_i32 s33, s35, s31
	s_lshl_b32 s27, s27, 9
	v_sub_f32_e32 v7, v7, v11
	v_mul_f32_e32 v11, v208, v77
	v_sub_f32_e32 v6, v6, v10
	v_mov_b32_e32 v10, s33
	v_fmac_f32_e32 v11, v209, v76
	ds_read2_b64 v[208:211], v10 offset1:1
	s_add_i32 s33, s35, s27
	v_mov_b32_e32 v10, s33
	ds_read2_b64 v[212:215], v10 offset1:1
	scratch_load_dwordx4 v[200:203], off, off offset:48
	s_waitcnt vmcnt(14) lgkmcnt(1)
	v_mul_f32_e32 v10, v211, v51
	v_fma_f32 v10, v210, v50, -v10
	v_sub_f32_e32 v7, v7, v11
	v_mul_f32_e32 v11, v210, v51
	v_sub_f32_e32 v6, v6, v10
	s_waitcnt vmcnt(13) lgkmcnt(0)
	v_mul_f32_e32 v10, v215, v33
	s_add_i32 s33, s11, 0xffffd800
	v_fmac_f32_e32 v11, v211, v50
	v_fma_f32 v10, v214, v32, -v10
	s_add_i32 s35, s35, s33
	v_sub_f32_e32 v7, v7, v11
	v_mul_f32_e32 v11, v214, v33
	v_sub_f32_e32 v14, v6, v10
	v_mov_b32_e32 v6, s35
	scratch_load_dwordx4 v[60:63], off, off offset:144
	scratch_load_dwordx2 v[192:193], off, off offset:152
	scratch_load_dwordx2 v[154:155], off, off offset:152
	;; [unrolled: 1-line block ×3, first 2 shown]
	v_fmac_f32_e32 v11, v215, v32
	ds_read2_b64 v[214:217], v6 offset1:1
	scratch_load_dwordx4 v[48:51], off, off offset:72
	scratch_load_dwordx4 v[74:77], off, off offset:88
	v_sub_f32_e32 v11, v7, v11
	s_waitcnt vmcnt(18)
	v_mul_f32_e32 v15, v104, v101
	s_waitcnt lgkmcnt(0)
	v_mul_f32_e32 v10, v217, v11
	v_mul_f32_e32 v11, v216, v11
	v_fma_f32 v10, v216, v14, -v10
	v_fmac_f32_e32 v11, v217, v14
	v_mul_f32_e32 v14, v105, v101
	v_fma_f32 v14, v104, v100, -v14
	v_fmac_f32_e32 v15, v105, v100
	s_waitcnt vmcnt(17)
	v_sub_f32_e32 v14, v66, v14
	v_sub_f32_e32 v15, v67, v15
	scratch_load_dwordx4 v[64:67], off, off offset:88
	v_mul_f32_e32 v18, v93, v103
	v_fma_f32 v18, v92, v102, -v18
	v_mul_f32_e32 v19, v92, v103
	v_sub_f32_e32 v14, v14, v18
	v_fmac_f32_e32 v19, v93, v102
	v_mov_b32_e32 v36, v109
	v_mov_b32_e32 v37, v58
	s_waitcnt vmcnt(14)
	v_mov_b32_e32 v32, v84
	s_waitcnt vmcnt(9)
	v_mul_f32_e32 v18, v95, v79
	v_fma_f32 v18, v94, v78, -v18
	v_mul_f32_e32 v23, v94, v79
	v_pk_add_f32 v[14:15], v[14:15], v[18:19] neg_lo:[0,1] neg_hi:[0,1]
	v_mul_f32_e32 v18, v59, v81
	v_fmac_f32_e32 v23, v95, v78
	v_fma_f32 v22, v58, v80, -v18
	v_mov_b32_e32 v33, v80
	v_mov_b32_e32 v80, v85
	v_pk_add_f32 v[14:15], v[14:15], v[22:23] neg_lo:[0,1] neg_hi:[0,1]
	v_mov_b32_e32 v18, v86
	v_mov_b32_e32 v19, v84
	;; [unrolled: 1-line block ×4, first 2 shown]
	v_pk_mul_f32 v[36:37], v[36:37], v[80:81]
	v_mov_b32_e32 v84, v87
	v_pk_fma_f32 v[40:41], v[108:109], v[18:19], v[36:37] op_sel:[0,1,0] op_sel_hi:[1,0,1] neg_lo:[0,0,1] neg_hi:[0,0,1]
	v_pk_fma_f32 v[22:23], v[22:23], v[32:33], v[36:37]
	v_mov_b32_e32 v36, v97
	v_mov_b32_e32 v37, v108
	v_pk_mul_f32 v[36:37], v[36:37], v[84:85]
	scratch_load_dwordx4 v[82:85], off, off offset:120
	v_mov_b32_e32 v32, v96
	scratch_store_dwordx2 off, v[10:11], off offset:160
	scratch_load_dwordx4 v[216:219], off, off offset:152
	v_mov_b32_e32 v33, v109
	v_mov_b32_e32 v41, v23
	;; [unrolled: 1-line block ×3, first 2 shown]
	v_pk_fma_f32 v[18:19], v[32:33], v[18:19], v[36:37]
	v_mov_b32_e32 v32, v97
	v_mov_b32_e32 v33, v110
	v_pk_add_f32 v[14:15], v[14:15], v[40:41] neg_lo:[0,1] neg_hi:[0,1]
	s_add_i32 s35, s30, 0xffffd558
	v_mov_b32_e32 v6, s35
	ds_read_b64 v[6:7], v6
	scratch_load_dwordx4 v[104:107], off, off offset:16
	scratch_load_dwordx4 v[92:95], off, off offset:48
	;; [unrolled: 1-line block ×3, first 2 shown]
	s_add_i32 s35, s37, s11
	s_waitcnt vmcnt(13)
	v_mov_b32_e32 v23, v200
	v_mov_b32_e32 v86, v201
	v_pk_fma_f32 v[40:41], v[96:97], v[22:23], v[36:37] neg_lo:[0,0,1] neg_hi:[0,0,1]
	v_pk_mul_f32 v[22:23], v[32:33], v[22:23]
	v_mov_b32_e32 v32, v111
	v_mov_b32_e32 v33, v96
	v_mov_b32_e32 v41, v19
	v_pk_fma_f32 v[36:37], v[32:33], v[86:87], v[22:23] op_sel:[0,0,1] op_sel_hi:[1,1,0] neg_lo:[1,0,0] neg_hi:[1,0,0]
	v_pk_fma_f32 v[22:23], v[32:33], v[86:87], v[22:23] op_sel:[0,0,1] op_sel_hi:[1,1,0]
	v_pk_add_f32 v[14:15], v[14:15], v[40:41] neg_lo:[0,1] neg_hi:[0,1]
	v_mov_b32_e32 v19, v202
	v_mov_b32_e32 v202, v201
	;; [unrolled: 1-line block ×5, first 2 shown]
	v_pk_add_f32 v[14:15], v[14:15], v[36:37] neg_lo:[0,1] neg_hi:[0,1]
	v_mov_b32_e32 v33, v126
	v_pk_mul_f32 v[36:37], v[110:111], v[202:203]
	v_mov_b32_e32 v23, v132
	v_mov_b32_e32 v132, v131
	v_pk_fma_f32 v[40:41], v[32:33], v[18:19], v[36:37] neg_lo:[0,0,1] neg_hi:[0,0,1]
	v_pk_fma_f32 v[18:19], v[32:33], v[18:19], v[36:37]
	v_mov_b32_e32 v32, v127
	v_mov_b32_e32 v127, v135
	;; [unrolled: 1-line block ×3, first 2 shown]
	v_pk_mov_b32 v[18:19], v[40:41], v[18:19] op_sel:[1,0]
	v_mov_b32_e32 v33, v134
	v_pk_mul_f32 v[36:37], v[126:127], v[132:133]
	v_pk_add_f32 v[14:15], v[14:15], v[18:19] neg_lo:[0,1] neg_hi:[0,1]
	v_mov_b32_e32 v19, v140
	v_mov_b32_e32 v140, v139
	v_pk_fma_f32 v[40:41], v[32:33], v[22:23], v[36:37] neg_lo:[0,0,1] neg_hi:[0,0,1]
	v_pk_fma_f32 v[22:23], v[32:33], v[22:23], v[36:37]
	v_mov_b32_e32 v32, v135
	v_mov_b32_e32 v135, v143
	;; [unrolled: 1-line block ×3, first 2 shown]
	v_pk_mov_b32 v[22:23], v[40:41], v[22:23] op_sel:[1,0]
	v_mov_b32_e32 v33, v142
	v_pk_mul_f32 v[36:37], v[134:135], v[140:141]
	v_pk_add_f32 v[14:15], v[14:15], v[22:23] neg_lo:[0,1] neg_hi:[0,1]
	s_waitcnt vmcnt(8)
	v_mov_b32_e32 v23, v50
	v_mov_b32_e32 v50, v49
	v_pk_fma_f32 v[40:41], v[32:33], v[18:19], v[36:37] neg_lo:[0,0,1] neg_hi:[0,0,1]
	v_pk_fma_f32 v[18:19], v[32:33], v[18:19], v[36:37]
	v_mov_b32_e32 v32, v143
	v_mov_b32_e32 v143, v113
	;; [unrolled: 1-line block ×3, first 2 shown]
	v_pk_mov_b32 v[18:19], v[40:41], v[18:19] op_sel:[1,0]
	v_mov_b32_e32 v33, v112
	v_pk_mul_f32 v[36:37], v[142:143], v[50:51]
	v_pk_add_f32 v[14:15], v[14:15], v[18:19] neg_lo:[0,1] neg_hi:[0,1]
	v_mov_b32_e32 v19, v120
	v_mov_b32_e32 v120, v119
	v_pk_fma_f32 v[40:41], v[32:33], v[22:23], v[36:37] neg_lo:[0,0,1] neg_hi:[0,0,1]
	v_pk_fma_f32 v[22:23], v[32:33], v[22:23], v[36:37]
	v_mov_b32_e32 v32, v113
	v_mov_b32_e32 v113, v123
	;; [unrolled: 1-line block ×3, first 2 shown]
	v_pk_mov_b32 v[22:23], v[40:41], v[22:23] op_sel:[1,0]
	v_mov_b32_e32 v33, v122
	v_pk_mul_f32 v[40:41], v[112:113], v[120:121]
	v_pk_add_f32 v[14:15], v[14:15], v[22:23] neg_lo:[0,1] neg_hi:[0,1]
	v_pk_fma_f32 v[48:49], v[32:33], v[18:19], v[40:41] neg_lo:[0,0,1] neg_hi:[0,0,1]
	v_pk_fma_f32 v[18:19], v[32:33], v[18:19], v[40:41]
	s_waitcnt vmcnt(6)
	v_mov_b32_e32 v36, v65
	v_pk_mov_b32 v[18:19], v[48:49], v[18:19] op_sel:[1,0]
	v_mov_b32_e32 v37, v67
	v_pk_add_f32 v[14:15], v[14:15], v[18:19] neg_lo:[0,1] neg_hi:[0,1]
	v_mov_b32_e32 v18, v123
	v_mov_b32_e32 v123, v115
	;; [unrolled: 1-line block ×5, first 2 shown]
	v_pk_mul_f32 v[32:33], v[122:123], v[36:37]
	scratch_load_dwordx4 v[48:51], off, off offset:120
	v_pk_fma_f32 v[36:37], v[18:19], v[22:23], v[32:33] neg_lo:[0,0,1] neg_hi:[0,0,1]
	v_pk_fma_f32 v[18:19], v[18:19], v[22:23], v[32:33]
	s_nop 0
	v_pk_mov_b32 v[18:19], v[36:37], v[18:19] op_sel:[1,0]
	s_nop 0
	v_pk_add_f32 v[14:15], v[14:15], v[18:19] neg_lo:[0,1] neg_hi:[0,1]
	v_mul_f32_e32 v18, v115, v66
	v_fmac_f32_e32 v18, v114, v67
	v_sub_f32_e32 v18, v15, v18
	scratch_store_dwordx2 off, v[14:15], off offset:168
	v_mul_f32_e32 v15, v149, v55
	v_mul_f32_e32 v19, v148, v55
	v_fma_f32 v15, v148, v54, -v15
	v_fmac_f32_e32 v19, v149, v54
	v_sub_f32_e32 v14, v14, v15
	v_sub_f32_e32 v15, v18, v19
	v_mul_f32_e32 v18, v151, v57
	v_fma_f32 v18, v150, v56, -v18
	v_mul_f32_e32 v19, v150, v57
	v_fmac_f32_e32 v19, v151, v56
	v_sub_f32_e32 v14, v14, v18
	s_waitcnt vmcnt(7)
	v_mul_f32_e32 v18, v197, v83
	v_sub_f32_e32 v15, v15, v19
	v_fma_f32 v18, v196, v82, -v18
	v_mul_f32_e32 v19, v196, v83
	v_fmac_f32_e32 v19, v197, v82
	v_sub_f32_e32 v14, v14, v18
	v_mul_f32_e32 v18, v199, v85
	v_sub_f32_e32 v15, v15, v19
	v_fma_f32 v18, v198, v84, -v18
	v_mul_f32_e32 v19, v198, v85
	v_fmac_f32_e32 v19, v199, v84
	v_sub_f32_e32 v14, v14, v18
	v_mul_f32_e32 v18, v207, v89
	v_sub_f32_e32 v15, v15, v19
	v_fma_f32 v18, v206, v88, -v18
	v_mul_f32_e32 v19, v206, v89
	v_fmac_f32_e32 v19, v207, v88
	v_sub_f32_e32 v14, v14, v18
	v_mul_f32_e32 v18, v209, v91
	v_sub_f32_e32 v15, v15, v19
	v_fma_f32 v18, v208, v90, -v18
	v_mul_f32_e32 v19, v208, v91
	v_fmac_f32_e32 v19, v209, v90
	v_sub_f32_e32 v14, v14, v18
	s_waitcnt vmcnt(5)
	v_mul_f32_e32 v18, v213, v217
	v_sub_f32_e32 v15, v15, v19
	v_fma_f32 v18, v212, v216, -v18
	v_mul_f32_e32 v19, v212, v217
	v_fmac_f32_e32 v19, v213, v216
	v_sub_f32_e32 v14, v14, v18
	v_mul_f32_e32 v18, v215, v11
	v_mul_f32_e32 v11, v214, v11
	v_sub_f32_e32 v15, v15, v19
	v_fmac_f32_e32 v11, v215, v10
	v_fma_f32 v18, v214, v10, -v18
	v_sub_f32_e32 v11, v15, v11
	v_sub_f32_e32 v14, v14, v18
	s_waitcnt lgkmcnt(0)
	v_mul_f32_e32 v10, v7, v11
	v_mul_f32_e32 v11, v6, v11
	v_fma_f32 v10, v6, v14, -v10
	v_fmac_f32_e32 v11, v7, v14
	scratch_store_dwordx2 off, v[10:11], off offset:168
	scratch_load_dwordx4 v[54:57], off, off offset:152
	scratch_load_dwordx4 v[64:67], off, off offset:160
	scratch_load_dwordx4 v[96:99], off, off
	v_add_u32_e32 v6, s12, v1
	ds_write_b64 v6, v[176:177]
	v_add_u32_e32 v6, s4, v1
	ds_write_b64 v6, v[178:179]
	v_add_u32_e32 v6, s5, v1
	scratch_load_dwordx4 v[110:113], off, off offset:32
	scratch_load_dwordx4 v[124:127], off, off offset:80
	ds_write_b64 v6, v[180:181]
	v_add_u32_e32 v6, s13, v1
	ds_write_b64 v6, v[182:183]
	v_add_u32_e32 v6, s14, v1
	;; [unrolled: 2-line block ×11, first 2 shown]
	ds_write_b64 v2, v[30:31]
	scratch_load_dword v30, off, off offset:52
	v_add_u32_e32 v2, s23, v1
	ds_write_b64 v2, v[34:35]
	v_add_u32_e32 v2, s26, v1
	scratch_load_dwordx4 v[14:17], off, off offset:56
	ds_write_b64 v2, v[38:39]
	v_add_u32_e32 v2, s25, v1
	ds_write_b64 v2, v[42:43]
	v_add_u32_e32 v2, s31, v1
	ds_write_b64 v2, v[146:147]
	v_add_u32_e32 v2, s27, v1
	ds_write_b64 v2, v[52:53]
	v_add_u32_e32 v2, s33, v1
	ds_write_b64 v2, v[218:219]
	v_add_u32_e32 v2, s34, v1
	scratch_load_dwordx4 v[18:21], off, off offset:64
	scratch_load_dwordx4 v[22:25], off, off offset:80
	ds_write_b64 v194, v[172:173]
	scratch_load_dwordx4 v[40:43], off, off offset:160
	scratch_load_dwordx2 v[172:173], off, off offset:48
	scratch_load_dwordx4 v[132:135], off, off offset:96
	s_waitcnt vmcnt(10)
	ds_write_b64 v2, v[66:67]
	v_mov_b32_e32 v2, s35
	s_add_i32 s35, s37, s12
	ds_read2_b64 v[88:91], v2 offset1:1
	v_mov_b32_e32 v2, s35
	ds_read2_b64 v[82:85], v2 offset1:1
	s_add_i32 s35, s37, s4
	s_waitcnt vmcnt(8)
	v_mov_b32_e32 v33, v110
	s_waitcnt lgkmcnt(1)
	v_mul_f32_e32 v6, v91, v97
	v_fma_f32 v6, v90, v96, -v6
	s_waitcnt lgkmcnt(0)
	v_mul_f32_e32 v8, v85, v99
	v_sub_f32_e32 v6, v68, v6
	v_fma_f32 v8, v84, v98, -v8
	v_sub_f32_e32 v6, v6, v8
	v_mov_b32_e32 v8, s35
	ds_read2_b64 v[100:103], v8 offset1:1
	s_add_i32 s35, s37, s5
	v_mul_f32_e32 v7, v90, v97
	v_mul_f32_e32 v9, v84, v99
	v_mov_b32_e32 v8, s35
	v_fmac_f32_e32 v7, v91, v96
	v_fmac_f32_e32 v9, v85, v98
	ds_read2_b64 v[96:99], v8 offset1:1
	s_waitcnt lgkmcnt(1)
	v_mul_f32_e32 v8, v103, v105
	v_sub_f32_e32 v7, v69, v7
	v_fma_f32 v8, v102, v104, -v8
	v_sub_f32_e32 v7, v7, v9
	v_mul_f32_e32 v9, v102, v105
	v_sub_f32_e32 v6, v6, v8
	s_waitcnt lgkmcnt(0)
	v_mul_f32_e32 v8, v99, v107
	v_fmac_f32_e32 v9, v103, v104
	v_fma_f32 v8, v98, v106, -v8
	s_add_i32 s35, s37, s13
	v_mul_f32_e32 v11, v98, v107
	v_pk_add_f32 v[12:13], v[6:7], v[8:9] neg_lo:[0,1] neg_hi:[0,1]
	v_mov_b32_e32 v6, s35
	s_add_i32 s35, s37, s14
	v_fmac_f32_e32 v11, v99, v106
	ds_read2_b64 v[106:109], v6 offset1:1
	v_mov_b32_e32 v6, s35
	ds_read2_b64 v[66:69], v6 offset1:1
	v_mov_b32_e32 v32, v112
	s_add_i32 s35, s37, s15
	s_waitcnt lgkmcnt(1)
	v_mul_f32_e32 v10, v109, v111
	v_fma_f32 v10, v108, v110, -v10
	s_waitcnt lgkmcnt(0)
	v_mov_b32_e32 v34, v69
	v_mov_b32_e32 v35, v108
	;; [unrolled: 1-line block ×3, first 2 shown]
	v_pk_add_f32 v[10:11], v[12:13], v[10:11] neg_lo:[0,1] neg_hi:[0,1]
	v_mov_b32_e32 v12, v68
	v_mov_b32_e32 v13, v109
	v_pk_mul_f32 v[34:35], v[34:35], v[110:111]
	v_mov_b32_e32 v31, v113
	v_pk_fma_f32 v[36:37], v[68:69], v[112:113], v[34:35] neg_lo:[0,0,1] neg_hi:[0,0,1]
	v_pk_fma_f32 v[12:13], v[12:13], v[32:33], v[34:35]
	v_mov_b32_e32 v33, v68
	v_mov_b32_e32 v37, v13
	v_pk_add_f32 v[34:35], v[10:11], v[36:37] neg_lo:[0,1] neg_hi:[0,1]
	v_mov_b32_e32 v10, s35
	ds_read2_b64 v[102:105], v10 offset1:1
	s_waitcnt vmcnt(6)
	v_mov_b32_e32 v53, v30
	s_add_i32 s35, s37, s16
	v_mov_b32_e32 v10, s35
	ds_read2_b64 v[84:87], v10 offset1:1
	s_waitcnt lgkmcnt(1)
	v_mov_b32_e32 v32, v105
	v_pk_mul_f32 v[58:59], v[32:33], v[30:31]
	scratch_load_dwordx4 v[30:33], off, off offset:96
	v_mov_b32_e32 v93, v112
	v_mov_b32_e32 v36, v92
	v_mov_b32_e32 v37, v94
	v_mov_b32_e32 v38, v104
	v_mov_b32_e32 v39, v69
	v_pk_fma_f32 v[68:69], v[104:105], v[36:37], v[58:59] neg_lo:[0,0,1] neg_hi:[0,0,1]
	v_pk_fma_f32 v[38:39], v[38:39], v[92:93], v[58:59]
	v_mov_b32_e32 v58, v105
	s_waitcnt lgkmcnt(0)
	v_mov_b32_e32 v59, v86
	s_waitcnt vmcnt(6)
	v_mov_b32_e32 v52, v15
	v_mov_b32_e32 v69, v39
	;; [unrolled: 1-line block ×4, first 2 shown]
	v_pk_mul_f32 v[36:37], v[58:59], v[36:37]
	v_mov_b32_e32 v16, v15
	v_mov_b32_e32 v14, v87
	;; [unrolled: 1-line block ×3, first 2 shown]
	v_pk_fma_f32 v[58:59], v[14:15], v[52:53], v[36:37] op_sel:[0,0,1] op_sel_hi:[1,1,0] neg_lo:[1,0,0] neg_hi:[1,0,0]
	v_pk_fma_f32 v[14:15], v[14:15], v[52:53], v[36:37] op_sel:[0,0,1] op_sel_hi:[1,1,0]
	v_pk_add_f32 v[34:35], v[34:35], v[68:69] neg_lo:[0,1] neg_hi:[0,1]
	v_mov_b32_e32 v59, v15
	s_add_i32 s35, s37, s17
	v_pk_add_f32 v[14:15], v[34:35], v[58:59] neg_lo:[0,1] neg_hi:[0,1]
	v_mov_b32_e32 v34, s35
	ds_read2_b64 v[108:111], v34 offset1:1
	s_add_i32 s35, s37, s18
	s_waitcnt vmcnt(5)
	v_mov_b32_e32 v34, v18
	v_mov_b32_e32 v18, s35
	ds_read2_b64 v[90:93], v18 offset1:1
	v_mov_b32_e32 v36, v87
	s_waitcnt lgkmcnt(1)
	v_mov_b32_e32 v87, v111
	v_mov_b32_e32 v37, v110
	v_pk_mul_f32 v[16:17], v[86:87], v[16:17]
	v_mov_b32_e32 v35, v20
	v_mov_b32_e32 v20, v19
	v_pk_fma_f32 v[18:19], v[36:37], v[38:39], v[16:17] neg_lo:[0,0,1] neg_hi:[0,0,1]
	v_pk_fma_f32 v[16:17], v[36:37], v[38:39], v[16:17]
	s_add_i32 s35, s37, s19
	v_pk_mov_b32 v[16:17], v[18:19], v[16:17] op_sel:[1,0]
	v_mov_b32_e32 v18, v111
	s_waitcnt lgkmcnt(0)
	v_mov_b32_e32 v111, v93
	v_mov_b32_e32 v19, v92
	v_pk_mul_f32 v[20:21], v[110:111], v[20:21]
	v_pk_add_f32 v[14:15], v[14:15], v[16:17] neg_lo:[0,1] neg_hi:[0,1]
	v_pk_fma_f32 v[36:37], v[18:19], v[34:35], v[20:21] neg_lo:[0,0,1] neg_hi:[0,0,1]
	v_pk_fma_f32 v[18:19], v[18:19], v[34:35], v[20:21]
	v_mov_b32_e32 v17, v80
	v_pk_mov_b32 v[18:19], v[36:37], v[18:19] op_sel:[1,0]
	scratch_load_dwordx4 v[34:37], off, off offset:128
	v_pk_add_f32 v[14:15], v[14:15], v[18:19] neg_lo:[0,1] neg_hi:[0,1]
	v_mov_b32_e32 v18, s35
	ds_read2_b64 v[120:123], v18 offset1:1
	s_add_i32 s35, s37, s20
	v_mov_b32_e32 v21, s35
	ds_read2_b64 v[116:119], v21 offset1:1
	v_mov_b32_e32 v80, v79
	v_mov_b32_e32 v20, v93
	s_waitcnt lgkmcnt(1)
	v_mov_b32_e32 v93, v123
	v_mov_b32_e32 v16, v78
	s_waitcnt vmcnt(5)
	v_mov_b32_e32 v18, v22
	v_mov_b32_e32 v19, v24
	;; [unrolled: 1-line block ×4, first 2 shown]
	v_pk_mul_f32 v[22:23], v[92:93], v[80:81]
	s_add_i32 s35, s37, s21
	v_pk_fma_f32 v[38:39], v[20:21], v[16:17], v[22:23] neg_lo:[0,0,1] neg_hi:[0,0,1]
	v_pk_fma_f32 v[16:17], v[20:21], v[16:17], v[22:23]
	v_mov_b32_e32 v20, v123
	s_waitcnt lgkmcnt(0)
	v_mov_b32_e32 v123, v119
	v_mov_b32_e32 v21, v118
	v_pk_mul_f32 v[22:23], v[122:123], v[24:25]
	v_pk_mov_b32 v[16:17], v[38:39], v[16:17] op_sel:[1,0]
	v_pk_fma_f32 v[24:25], v[20:21], v[18:19], v[22:23] neg_lo:[0,0,1] neg_hi:[0,0,1]
	v_pk_fma_f32 v[18:19], v[20:21], v[18:19], v[22:23]
	v_pk_add_f32 v[14:15], v[14:15], v[16:17] neg_lo:[0,1] neg_hi:[0,1]
	v_pk_mov_b32 v[18:19], v[24:25], v[18:19] op_sel:[1,0]
	scratch_load_dwordx2 v[38:39], off, off offset:168
	v_pk_add_f32 v[14:15], v[14:15], v[18:19] neg_lo:[0,1] neg_hi:[0,1]
	v_mov_b32_e32 v18, s35
	ds_read2_b64 v[128:131], v18 offset1:1
	s_add_i32 s35, s37, s22
	v_mov_b32_e32 v21, s35
	ds_read2_b64 v[92:95], v21 offset1:1
	v_mov_b32_e32 v17, v76
	v_mov_b32_e32 v76, v75
	;; [unrolled: 1-line block ×3, first 2 shown]
	s_waitcnt lgkmcnt(1)
	v_mov_b32_e32 v119, v131
	v_mov_b32_e32 v16, v74
	;; [unrolled: 1-line block ×3, first 2 shown]
	v_pk_mul_f32 v[24:25], v[118:119], v[76:77]
	s_waitcnt vmcnt(2)
	v_mov_b32_e32 v18, v30
	v_mov_b32_e32 v22, v31
	v_pk_fma_f32 v[30:31], v[20:21], v[16:17], v[24:25] neg_lo:[0,0,1] neg_hi:[0,0,1]
	v_pk_fma_f32 v[16:17], v[20:21], v[16:17], v[24:25]
	scratch_load_dwordx2 v[52:53], off, off
	v_pk_mov_b32 v[16:17], v[30:31], v[16:17] op_sel:[1,0]
	scratch_load_dwordx4 v[2:5], off, off
	v_mov_b32_e32 v23, v33
	v_pk_add_f32 v[14:15], v[14:15], v[16:17] neg_lo:[0,1] neg_hi:[0,1]
	v_mov_b32_e32 v16, v131
	s_waitcnt lgkmcnt(0)
	v_mov_b32_e32 v131, v95
	v_mov_b32_e32 v19, v32
	;; [unrolled: 1-line block ×3, first 2 shown]
	v_pk_mul_f32 v[20:21], v[130:131], v[22:23]
	scratch_load_dwordx4 v[6:9], off, off offset:32
	v_pk_fma_f32 v[22:23], v[16:17], v[18:19], v[20:21] neg_lo:[0,0,1] neg_hi:[0,0,1]
	v_pk_fma_f32 v[16:17], v[16:17], v[18:19], v[20:21]
	scratch_load_dwordx4 v[18:21], off, off offset:8
	v_pk_mov_b32 v[16:17], v[22:23], v[16:17] op_sel:[1,0]
	scratch_load_dwordx4 v[22:25], off, off offset:40
	v_pk_add_f32 v[14:15], v[14:15], v[16:17] neg_lo:[0,1] neg_hi:[0,1]
	v_mul_f32_e32 v16, v95, v32
	v_fmac_f32_e32 v16, v94, v33
	scratch_load_dwordx4 v[30:33], off, off offset:16
	s_add_i32 s35, s37, s24
	v_mov_b32_e32 v17, s35
	ds_read2_b64 v[136:139], v17 offset1:1
	s_add_i32 s35, s37, s23
	v_sub_f32_e32 v15, v15, v16
	v_mov_b32_e32 v16, s35
	ds_read2_b64 v[140:143], v16 offset1:1
	s_waitcnt lgkmcnt(1)
	v_mul_f32_e32 v16, v139, v45
	v_fma_f32 v16, v138, v44, -v16
	v_mul_f32_e32 v17, v138, v45
	v_sub_f32_e32 v14, v14, v16
	s_waitcnt lgkmcnt(0)
	v_mul_f32_e32 v16, v143, v47
	v_fmac_f32_e32 v17, v139, v44
	v_fma_f32 v16, v142, v46, -v16
	s_add_i32 s35, s37, s26
	v_sub_f32_e32 v15, v15, v17
	v_mul_f32_e32 v17, v142, v47
	v_sub_f32_e32 v14, v14, v16
	v_mov_b32_e32 v16, s35
	v_fmac_f32_e32 v17, v143, v46
	ds_read2_b64 v[142:145], v16 offset1:1
	s_add_i32 s35, s37, s25
	v_mov_b32_e32 v16, s35
	ds_read2_b64 v[146:149], v16 offset1:1
	v_sub_f32_e32 v15, v15, v17
	s_waitcnt vmcnt(7) lgkmcnt(1)
	v_mul_f32_e32 v16, v145, v35
	v_fma_f32 v16, v144, v34, -v16
	v_mul_f32_e32 v17, v144, v35
	v_sub_f32_e32 v14, v14, v16
	s_waitcnt lgkmcnt(0)
	v_mul_f32_e32 v16, v149, v37
	v_fmac_f32_e32 v17, v145, v34
	v_fma_f32 v16, v148, v36, -v16
	s_add_i32 s35, s37, s31
	v_sub_f32_e32 v15, v15, v17
	v_mul_f32_e32 v17, v148, v37
	v_sub_f32_e32 v14, v14, v16
	v_mov_b32_e32 v16, s35
	s_add_i32 s35, s37, s27
	v_fmac_f32_e32 v17, v149, v36
	ds_read2_b64 v[148:151], v16 offset1:1
	v_mov_b32_e32 v16, s35
	ds_read2_b64 v[184:187], v16 offset1:1
	s_add_i32 s35, s37, s33
	v_sub_f32_e32 v15, v15, v17
	s_waitcnt lgkmcnt(1)
	v_mul_f32_e32 v16, v151, v61
	v_fma_f32 v16, v150, v60, -v16
	s_waitcnt lgkmcnt(0)
	v_mul_f32_e32 v68, v187, v63
	v_sub_f32_e32 v58, v14, v16
	v_fma_f32 v68, v186, v62, -v68
	v_sub_f32_e32 v58, v58, v68
	v_mov_b32_e32 v68, s35
	s_add_i32 s35, s37, s34
	ds_read2_b64 v[196:199], v68 offset1:1
	v_mov_b32_e32 v68, s35
	ds_read2_b64 v[200:203], v68 offset1:1
	v_mul_f32_e32 v17, v150, v61
	v_fmac_f32_e32 v17, v151, v60
	s_waitcnt lgkmcnt(1)
	v_mul_f32_e32 v68, v199, v65
	v_mul_f32_e32 v65, v198, v65
	s_add_i32 s35, s11, 0xffffd400
	v_sub_f32_e32 v59, v15, v17
	scratch_load_dwordx4 v[14:17], off, off offset:48
	v_fma_f32 v68, v198, v64, -v68
	v_fmac_f32_e32 v65, v199, v64
	s_waitcnt vmcnt(7) lgkmcnt(0)
	v_mul_f32_e32 v64, v203, v39
	v_mul_f32_e32 v39, v202, v39
	s_add_i32 s37, s37, s35
	v_fma_f32 v64, v202, v38, -v64
	v_fmac_f32_e32 v39, v203, v38
	v_mov_b32_e32 v38, s37
	scratch_load_dwordx4 v[10:13], off, off offset:56
	scratch_load_dwordx4 v[112:115], off, off offset:64
	;; [unrolled: 1-line block ×3, first 2 shown]
	v_mul_f32_e32 v69, v186, v63
	scratch_load_dwordx2 v[182:183], off, off offset:168
	scratch_load_dwordx2 v[180:181], off, off offset:168
	;; [unrolled: 1-line block ×3, first 2 shown]
	ds_read2_b64 v[206:209], v38 offset1:1
	v_fmac_f32_e32 v69, v187, v62
	v_sub_f32_e32 v59, v59, v69
	v_sub_f32_e32 v59, v59, v65
	;; [unrolled: 1-line block ×5, first 2 shown]
	s_waitcnt lgkmcnt(0)
	v_mul_f32_e32 v58, v209, v59
	v_mul_f32_e32 v59, v208, v59
	v_fma_f32 v58, v208, v64, -v58
	v_fmac_f32_e32 v59, v209, v64
	s_waitcnt vmcnt(12)
	v_mul_f32_e32 v64, v89, v53
	v_fma_f32 v64, v88, v52, -v64
	v_mul_f32_e32 v53, v88, v53
	s_add_i32 s37, s30, 0xffffd148
	v_fmac_f32_e32 v53, v89, v52
	v_sub_f32_e32 v52, v170, v64
	s_waitcnt vmcnt(11)
	v_mul_f32_e32 v64, v83, v5
	v_mov_b32_e32 v38, s37
	scratch_store_dwordx2 off, v[58:59], off offset:176
	v_fma_f32 v64, v82, v4, -v64
	v_mul_f32_e32 v5, v82, v5
	ds_read_b64 v[38:39], v38
	scratch_load_dwordx4 v[208:211], off, off offset:72
	scratch_load_dwordx2 v[104:105], off, off
	scratch_load_dwordx2 v[194:195], off, off
	;; [unrolled: 1-line block ×3, first 2 shown]
	v_fmac_f32_e32 v5, v83, v4
	v_sub_f32_e32 v4, v52, v64
	s_waitcnt vmcnt(14)
	v_mul_f32_e32 v64, v101, v21
	v_mul_f32_e32 v21, v100, v21
	v_fma_f32 v64, v100, v20, -v64
	v_fmac_f32_e32 v21, v101, v20
	scratch_load_dwordx4 v[98:101], off, off offset:88
	v_sub_f32_e32 v4, v4, v64
	s_waitcnt vmcnt(13)
	v_mul_f32_e32 v64, v97, v33
	v_mul_f32_e32 v33, v96, v33
	v_fma_f32 v64, v96, v32, -v64
	v_fmac_f32_e32 v33, v97, v32
	scratch_load_dwordx4 v[94:97], off, off offset:104
	v_mul_f32_e32 v32, v107, v29
	v_mul_f32_e32 v29, v106, v29
	v_fma_f32 v32, v106, v28, -v32
	v_fmac_f32_e32 v29, v107, v28
	v_mul_f32_e32 v28, v67, v9
	v_fma_f32 v28, v66, v8, -v28
	v_mov_b32_e32 v69, v8
	v_mov_b32_e32 v78, v103
	;; [unrolled: 1-line block ×4, first 2 shown]
	v_pk_mul_f32 v[8:9], v[78:79], v[8:9]
	scratch_load_dwordx4 v[78:81], off, off offset:136
	v_sub_f32_e32 v53, v171, v53
	v_sub_f32_e32 v5, v53, v5
	;; [unrolled: 1-line block ×4, first 2 shown]
	v_pk_add_f32 v[4:5], v[4:5], v[32:33] neg_lo:[0,1] neg_hi:[0,1]
	v_mov_b32_e32 v64, v102
	v_pk_add_f32 v[4:5], v[4:5], v[28:29] neg_lo:[0,1] neg_hi:[0,1]
	v_mov_b32_e32 v29, v24
	v_mov_b32_e32 v65, v67
	;; [unrolled: 1-line block ×3, first 2 shown]
	scratch_load_dwordx2 v[52:53], off, off offset:16
	scratch_load_dwordx2 v[20:21], off, off offset:24
	;; [unrolled: 1-line block ×4, first 2 shown]
	s_add_i32 s37, s39, s11
	scratch_load_dwordx4 v[86:89], off, off offset:72
	s_waitcnt vmcnt(19)
	v_mov_b32_e32 v28, v16
	v_pk_fma_f32 v[66:67], v[102:103], v[28:29], v[8:9] op_sel:[0,1,0] op_sel_hi:[1,0,1] neg_lo:[0,0,1] neg_hi:[0,0,1]
	v_pk_fma_f32 v[8:9], v[64:65], v[68:69], v[8:9]
	v_mov_b32_e32 v24, v17
	v_mov_b32_e32 v67, v9
	v_pk_add_f32 v[4:5], v[4:5], v[66:67] neg_lo:[0,1] neg_hi:[0,1]
	v_mov_b32_e32 v66, v85
	v_mov_b32_e32 v67, v102
	;; [unrolled: 1-line block ×4, first 2 shown]
	s_waitcnt vmcnt(17)
	v_mov_b32_e32 v9, v112
	v_mov_b32_e32 v65, v103
	v_pk_mul_f32 v[24:25], v[66:67], v[24:25]
	v_mov_b32_e32 v16, v113
	v_pk_fma_f32 v[66:67], v[84:85], v[8:9], v[24:25] neg_lo:[0,0,1] neg_hi:[0,0,1]
	v_pk_fma_f32 v[24:25], v[64:65], v[28:29], v[24:25]
	v_mov_b32_e32 v28, v85
	v_mov_b32_e32 v29, v108
	v_pk_mul_f32 v[8:9], v[28:29], v[8:9]
	v_mov_b32_e32 v28, v109
	v_mov_b32_e32 v29, v84
	v_mov_b32_e32 v67, v25
	v_mov_b32_e32 v25, v114
	v_mov_b32_e32 v114, v113
	v_pk_fma_f32 v[64:65], v[28:29], v[16:17], v[8:9] op_sel:[0,0,1] op_sel_hi:[1,1,0] neg_lo:[1,0,0] neg_hi:[1,0,0]
	v_pk_fma_f32 v[8:9], v[28:29], v[16:17], v[8:9] op_sel:[0,0,1] op_sel_hi:[1,1,0]
	v_mov_b32_e32 v16, v109
	v_mov_b32_e32 v109, v91
	v_pk_add_f32 v[4:5], v[4:5], v[66:67] neg_lo:[0,1] neg_hi:[0,1]
	v_mov_b32_e32 v24, v112
	v_mov_b32_e32 v65, v9
	;; [unrolled: 1-line block ×3, first 2 shown]
	v_pk_mul_f32 v[28:29], v[108:109], v[114:115]
	v_pk_add_f32 v[4:5], v[4:5], v[64:65] neg_lo:[0,1] neg_hi:[0,1]
	s_waitcnt vmcnt(11)
	v_mov_b32_e32 v9, v210
	v_mov_b32_e32 v210, v209
	v_pk_fma_f32 v[64:65], v[16:17], v[24:25], v[28:29] neg_lo:[0,0,1] neg_hi:[0,0,1]
	v_pk_fma_f32 v[16:17], v[16:17], v[24:25], v[28:29]
	v_mov_b32_e32 v24, v91
	v_mov_b32_e32 v91, v121
	v_mov_b32_e32 v8, v208
	v_pk_mov_b32 v[16:17], v[64:65], v[16:17] op_sel:[1,0]
	v_mov_b32_e32 v25, v120
	v_pk_mul_f32 v[28:29], v[90:91], v[210:211]
	v_pk_add_f32 v[4:5], v[4:5], v[16:17] neg_lo:[0,1] neg_hi:[0,1]
	v_mov_b32_e32 v17, v126
	v_mov_b32_e32 v126, v125
	v_pk_fma_f32 v[64:65], v[24:25], v[8:9], v[28:29] neg_lo:[0,0,1] neg_hi:[0,0,1]
	v_pk_fma_f32 v[8:9], v[24:25], v[8:9], v[28:29]
	v_mov_b32_e32 v24, v121
	v_mov_b32_e32 v121, v117
	;; [unrolled: 1-line block ×3, first 2 shown]
	v_pk_mov_b32 v[8:9], v[64:65], v[8:9] op_sel:[1,0]
	v_mov_b32_e32 v25, v116
	v_pk_mul_f32 v[28:29], v[120:121], v[126:127]
	v_pk_add_f32 v[4:5], v[4:5], v[8:9] neg_lo:[0,1] neg_hi:[0,1]
	s_waitcnt vmcnt(7)
	v_mov_b32_e32 v9, v100
	v_mov_b32_e32 v100, v99
	v_pk_fma_f32 v[64:65], v[24:25], v[16:17], v[28:29] neg_lo:[0,0,1] neg_hi:[0,0,1]
	v_pk_fma_f32 v[16:17], v[24:25], v[16:17], v[28:29]
	v_mov_b32_e32 v24, v117
	v_mov_b32_e32 v117, v129
	;; [unrolled: 1-line block ×3, first 2 shown]
	v_pk_mov_b32 v[16:17], v[64:65], v[16:17] op_sel:[1,0]
	v_mov_b32_e32 v25, v128
	v_pk_mul_f32 v[28:29], v[116:117], v[100:101]
	v_pk_add_f32 v[4:5], v[4:5], v[16:17] neg_lo:[0,1] neg_hi:[0,1]
	v_mov_b32_e32 v17, v134
	v_mov_b32_e32 v134, v133
	v_pk_fma_f32 v[64:65], v[24:25], v[8:9], v[28:29] neg_lo:[0,0,1] neg_hi:[0,0,1]
	v_pk_fma_f32 v[8:9], v[24:25], v[8:9], v[28:29]
	v_mov_b32_e32 v24, v129
	v_mov_b32_e32 v129, v93
	;; [unrolled: 1-line block ×3, first 2 shown]
	v_pk_mov_b32 v[8:9], v[64:65], v[8:9] op_sel:[1,0]
	v_mov_b32_e32 v25, v92
	v_pk_mul_f32 v[64:65], v[128:129], v[134:135]
	scratch_load_dwordx2 v[90:91], off, off offset:8
	v_pk_fma_f32 v[66:67], v[24:25], v[16:17], v[64:65] neg_lo:[0,0,1] neg_hi:[0,0,1]
	v_pk_fma_f32 v[16:17], v[24:25], v[16:17], v[64:65]
	v_pk_add_f32 v[4:5], v[4:5], v[8:9] neg_lo:[0,1] neg_hi:[0,1]
	v_pk_mov_b32 v[16:17], v[66:67], v[16:17] op_sel:[1,0]
	s_waitcnt vmcnt(7)
	v_mov_b32_e32 v28, v95
	v_mov_b32_e32 v29, v97
	v_pk_add_f32 v[4:5], v[4:5], v[16:17] neg_lo:[0,1] neg_hi:[0,1]
	v_mov_b32_e32 v16, v93
	v_mov_b32_e32 v93, v137
	;; [unrolled: 1-line block ×5, first 2 shown]
	v_pk_mul_f32 v[24:25], v[92:93], v[28:29]
	scratch_load_dwordx4 v[82:85], off, off offset:88
	v_pk_fma_f32 v[28:29], v[16:17], v[8:9], v[24:25] neg_lo:[0,0,1] neg_hi:[0,0,1]
	v_pk_fma_f32 v[8:9], v[16:17], v[8:9], v[24:25]
	v_mul_f32_e32 v17, v184, v63
	v_pk_mov_b32 v[8:9], v[28:29], v[8:9] op_sel:[1,0]
	v_fmac_f32_e32 v17, v185, v62
	v_pk_add_f32 v[4:5], v[4:5], v[8:9] neg_lo:[0,1] neg_hi:[0,1]
	v_mul_f32_e32 v8, v137, v96
	v_fmac_f32_e32 v8, v136, v97
	v_sub_f32_e32 v5, v5, v8
	v_mul_f32_e32 v8, v141, v47
	v_fma_f32 v8, v140, v46, -v8
	v_mul_f32_e32 v9, v140, v47
	v_fmac_f32_e32 v9, v141, v46
	v_sub_f32_e32 v4, v4, v8
	v_mul_f32_e32 v8, v143, v51
	v_sub_f32_e32 v5, v5, v9
	v_fma_f32 v8, v142, v50, -v8
	v_mul_f32_e32 v9, v142, v51
	v_fmac_f32_e32 v9, v143, v50
	v_sub_f32_e32 v4, v4, v8
	v_mul_f32_e32 v8, v147, v37
	v_sub_f32_e32 v5, v5, v9
	v_fma_f32 v8, v146, v36, -v8
	v_mul_f32_e32 v9, v146, v37
	v_fmac_f32_e32 v9, v147, v36
	v_sub_f32_e32 v4, v4, v8
	s_waitcnt vmcnt(7)
	v_mul_f32_e32 v8, v149, v81
	v_sub_f32_e32 v5, v5, v9
	v_fma_f32 v8, v148, v80, -v8
	v_mul_f32_e32 v9, v148, v81
	v_fmac_f32_e32 v9, v149, v80
	v_sub_f32_e32 v4, v4, v8
	v_mul_f32_e32 v8, v185, v63
	v_sub_f32_e32 v5, v5, v9
	v_fma_f32 v16, v184, v62, -v8
	scratch_load_dwordx2 v[8:9], off, off offset:32
	scratch_load_dwordx2 v[36:37], off, off offset:40
	v_sub_f32_e32 v5, v5, v17
	v_mul_f32_e32 v17, v196, v57
	v_sub_f32_e32 v4, v4, v16
	v_mul_f32_e32 v16, v197, v57
	v_fmac_f32_e32 v17, v197, v56
	v_fma_f32 v16, v196, v56, -v16
	v_sub_f32_e32 v5, v5, v17
	v_mul_f32_e32 v17, v200, v43
	v_sub_f32_e32 v4, v4, v16
	v_mul_f32_e32 v16, v201, v43
	v_fmac_f32_e32 v17, v201, v42
	v_fma_f32 v16, v200, v42, -v16
	;; [unrolled: 6-line block ×3, first 2 shown]
	v_sub_f32_e32 v5, v5, v17
	v_sub_f32_e32 v16, v4, v16
	s_waitcnt lgkmcnt(0)
	v_mul_f32_e32 v4, v39, v5
	v_mul_f32_e32 v5, v38, v5
	v_fma_f32 v4, v38, v16, -v4
	v_fmac_f32_e32 v5, v39, v16
	v_mov_b32_e32 v16, s37
	s_add_i32 s37, s39, s12
	ds_read2_b64 v[62:65], v16 offset1:1
	v_mov_b32_e32 v16, s37
	ds_read2_b64 v[122:125], v16 offset1:1
	s_add_i32 s37, s39, s4
	scratch_load_dwordx4 v[100:103], off, off offset:104
	s_waitcnt lgkmcnt(1)
	v_mul_f32_e32 v16, v65, v105
	v_fma_f32 v16, v64, v104, -v16
	s_waitcnt vmcnt(4) lgkmcnt(0)
	v_mul_f32_e32 v38, v125, v91
	v_mul_f32_e32 v17, v64, v105
	v_sub_f32_e32 v28, v164, v16
	v_fma_f32 v38, v124, v90, -v38
	v_fmac_f32_e32 v17, v65, v104
	v_sub_f32_e32 v28, v28, v38
	v_mov_b32_e32 v38, s37
	scratch_load_dwordx4 v[66:69], off, off offset:136
	v_sub_f32_e32 v29, v165, v17
	scratch_load_dwordx2 v[24:25], off, off offset:8
	scratch_load_dwordx2 v[184:185], off, off offset:8
	;; [unrolled: 1-line block ×3, first 2 shown]
	ds_read2_b64 v[138:141], v38 offset1:1
	s_add_i32 s37, s39, s5
	v_mov_b32_e32 v38, s37
	ds_read2_b64 v[132:135], v38 offset1:1
	v_mul_f32_e32 v39, v124, v91
	scratch_load_dwordx4 v[56:59], off, off offset:80
	v_fmac_f32_e32 v39, v125, v90
	s_waitcnt lgkmcnt(1)
	v_mul_f32_e32 v38, v141, v53
	v_sub_f32_e32 v29, v29, v39
	v_fma_f32 v38, v140, v52, -v38
	v_mul_f32_e32 v39, v140, v53
	v_fmac_f32_e32 v39, v141, v52
	v_sub_f32_e32 v28, v28, v38
	s_waitcnt lgkmcnt(0)
	v_mul_f32_e32 v38, v135, v21
	v_mul_f32_e32 v21, v134, v21
	v_sub_f32_e32 v29, v29, v39
	v_fmac_f32_e32 v21, v135, v20
	s_add_i32 s37, s39, s13
	v_fma_f32 v38, v134, v20, -v38
	v_sub_f32_e32 v39, v29, v21
	v_mov_b32_e32 v21, s37
	s_add_i32 s37, s39, s14
	v_sub_f32_e32 v20, v28, v38
	v_mov_b32_e32 v28, s37
	ds_read2_b64 v[148:151], v21 offset1:1
	ds_read2_b64 v[50:53], v28 offset1:1
	scratch_load_dwordx2 v[64:65], off, off offset:32
	scratch_load_dwordx2 v[186:187], off, off offset:32
	;; [unrolled: 1-line block ×3, first 2 shown]
	s_add_i32 s37, s39, s15
	v_mov_b32_e32 v47, v110
	v_mov_b32_e32 v46, v32
	s_waitcnt vmcnt(10) lgkmcnt(1)
	v_mul_f32_e32 v21, v151, v9
	v_fma_f32 v21, v150, v8, -v21
	v_mul_f32_e32 v43, v150, v9
	v_fmac_f32_e32 v43, v151, v8
	v_sub_f32_e32 v38, v20, v21
	scratch_load_dwordx2 v[8:9], off, off offset:40
	scratch_load_dwordx2 v[150:151], off, off offset:40
	scratch_load_dwordx2 v[20:21], off, off offset:40
	scratch_load_dwordx4 v[104:107], off, off offset:96
	scratch_load_dwordx4 v[144:147], off, off offset:80
	;; [unrolled: 1-line block ×3, first 2 shown]
	s_waitcnt vmcnt(15) lgkmcnt(0)
	v_mul_f32_e32 v42, v53, v37
	v_mul_f32_e32 v37, v52, v37
	v_fma_f32 v42, v52, v36, -v42
	v_fmac_f32_e32 v37, v53, v36
	v_mov_b32_e32 v36, s37
	s_add_i32 s37, s39, s16
	ds_read2_b64 v[128:131], v36 offset1:1
	v_mov_b32_e32 v36, s37
	ds_read2_b64 v[124:127], v36 offset1:1
	v_pk_add_f32 v[38:39], v[38:39], v[42:43] neg_lo:[0,1] neg_hi:[0,1]
	v_mov_b32_e32 v43, v32
	s_waitcnt lgkmcnt(1)
	v_mul_f32_e32 v36, v131, v111
	v_fma_f32 v36, v130, v110, -v36
	s_waitcnt lgkmcnt(0)
	v_mov_b32_e32 v80, v127
	v_mov_b32_e32 v81, v130
	;; [unrolled: 1-line block ×3, first 2 shown]
	v_pk_add_f32 v[36:37], v[38:39], v[36:37] neg_lo:[0,1] neg_hi:[0,1]
	v_mov_b32_e32 v38, v126
	v_mov_b32_e32 v39, v131
	v_pk_mul_f32 v[80:81], v[80:81], v[110:111]
	v_mov_b32_e32 v53, v33
	v_pk_fma_f32 v[32:33], v[126:127], v[32:33], v[80:81] neg_lo:[0,0,1] neg_hi:[0,0,1]
	v_pk_fma_f32 v[38:39], v[38:39], v[46:47], v[80:81]
	s_add_i32 s37, s39, s17
	v_mov_b32_e32 v33, v39
	v_pk_add_f32 v[32:33], v[36:37], v[32:33] neg_lo:[0,1] neg_hi:[0,1]
	v_mov_b32_e32 v36, s37
	ds_read2_b64 v[134:137], v36 offset1:1
	s_add_i32 s37, s39, s18
	v_mov_b32_e32 v42, v12
	v_mov_b32_e32 v46, v12
	;; [unrolled: 1-line block ×3, first 2 shown]
	ds_read2_b64 v[36:39], v12 offset1:1
	v_mov_b32_e32 v52, v13
	s_waitcnt lgkmcnt(1)
	v_mov_b32_e32 v90, v137
	v_mov_b32_e32 v91, v126
	;; [unrolled: 1-line block ×5, first 2 shown]
	v_pk_mul_f32 v[52:53], v[90:91], v[52:53]
	v_mov_b32_e32 v12, v87
	v_pk_fma_f32 v[90:91], v[136:137], v[46:47], v[52:53] neg_lo:[0,0,1] neg_hi:[0,0,1]
	v_pk_fma_f32 v[42:43], v[80:81], v[42:43], v[52:53]
	v_mov_b32_e32 v52, v137
	s_waitcnt lgkmcnt(0)
	v_mov_b32_e32 v53, v38
	v_pk_mul_f32 v[46:47], v[52:53], v[46:47]
	v_mov_b32_e32 v52, v39
	v_mov_b32_e32 v53, v136
	;; [unrolled: 1-line block ×3, first 2 shown]
	v_pk_fma_f32 v[80:81], v[52:53], v[12:13], v[46:47] op_sel:[0,0,1] op_sel_hi:[1,1,0] neg_lo:[1,0,0] neg_hi:[1,0,0]
	v_pk_fma_f32 v[12:13], v[52:53], v[12:13], v[46:47] op_sel:[0,0,1] op_sel_hi:[1,1,0]
	v_pk_add_f32 v[32:33], v[32:33], v[90:91] neg_lo:[0,1] neg_hi:[0,1]
	v_mov_b32_e32 v81, v13
	s_add_i32 s37, s39, s19
	v_pk_add_f32 v[12:13], v[32:33], v[80:81] neg_lo:[0,1] neg_hi:[0,1]
	v_mov_b32_e32 v32, s37
	ds_read2_b64 v[140:143], v32 offset1:1
	s_add_i32 s37, s39, s20
	v_mov_b32_e32 v46, v39
	v_mov_b32_e32 v39, s37
	ds_read2_b64 v[92:95], v39 offset1:1
	v_mov_b32_e32 v43, v88
	v_mov_b32_e32 v88, v87
	s_waitcnt lgkmcnt(1)
	v_mov_b32_e32 v39, v143
	v_mov_b32_e32 v42, v86
	;; [unrolled: 1-line block ×3, first 2 shown]
	v_pk_mul_f32 v[38:39], v[38:39], v[88:89]
	s_waitcnt vmcnt(9)
	v_mov_b32_e32 v33, v58
	v_mov_b32_e32 v58, v57
	v_pk_fma_f32 v[52:53], v[46:47], v[42:43], v[38:39] neg_lo:[0,0,1] neg_hi:[0,0,1]
	v_pk_fma_f32 v[38:39], v[46:47], v[42:43], v[38:39]
	v_mov_b32_e32 v42, v143
	s_waitcnt lgkmcnt(0)
	v_mov_b32_e32 v143, v95
	v_mov_b32_e32 v32, v56
	;; [unrolled: 1-line block ×3, first 2 shown]
	v_pk_mul_f32 v[46:47], v[142:143], v[58:59]
	v_pk_mov_b32 v[38:39], v[52:53], v[38:39] op_sel:[1,0]
	v_pk_fma_f32 v[56:57], v[42:43], v[32:33], v[46:47] neg_lo:[0,0,1] neg_hi:[0,0,1]
	v_pk_fma_f32 v[32:33], v[42:43], v[32:33], v[46:47]
	v_pk_add_f32 v[12:13], v[12:13], v[38:39] neg_lo:[0,1] neg_hi:[0,1]
	v_pk_mov_b32 v[32:33], v[56:57], v[32:33] op_sel:[1,0]
	s_add_i32 s37, s39, s21
	v_pk_add_f32 v[12:13], v[12:13], v[32:33] neg_lo:[0,1] neg_hi:[0,1]
	v_mov_b32_e32 v32, s37
	ds_read2_b64 v[96:99], v32 offset1:1
	s_add_i32 s37, s39, s22
	scratch_load_dwordx2 v[52:53], off, off offset:136
	v_mov_b32_e32 v47, s37
	ds_read2_b64 v[56:59], v47 offset1:1
	v_mov_b32_e32 v39, v84
	v_mov_b32_e32 v84, v83
	;; [unrolled: 1-line block ×3, first 2 shown]
	s_waitcnt lgkmcnt(1)
	v_mov_b32_e32 v95, v99
	v_mov_b32_e32 v38, v82
	;; [unrolled: 1-line block ×3, first 2 shown]
	v_pk_mul_f32 v[80:81], v[94:95], v[84:85]
	s_waitcnt vmcnt(3)
	v_mov_b32_e32 v33, v106
	v_mov_b32_e32 v106, v105
	v_pk_fma_f32 v[82:83], v[46:47], v[38:39], v[80:81] neg_lo:[0,0,1] neg_hi:[0,0,1]
	v_pk_fma_f32 v[38:39], v[46:47], v[38:39], v[80:81]
	v_mov_b32_e32 v80, v99
	s_waitcnt lgkmcnt(0)
	v_mov_b32_e32 v99, v59
	v_mov_b32_e32 v32, v104
	scratch_load_dwordx2 v[42:43], off, off offset:144
	v_pk_mov_b32 v[38:39], v[82:83], v[38:39] op_sel:[1,0]
	v_mov_b32_e32 v81, v58
	v_pk_mul_f32 v[82:83], v[98:99], v[106:107]
	v_pk_add_f32 v[12:13], v[12:13], v[38:39] neg_lo:[0,1] neg_hi:[0,1]
	v_pk_fma_f32 v[84:85], v[80:81], v[32:33], v[82:83] neg_lo:[0,0,1] neg_hi:[0,0,1]
	v_pk_fma_f32 v[32:33], v[80:81], v[32:33], v[82:83]
	s_add_i32 s37, s39, s24
	v_pk_mov_b32 v[32:33], v[84:85], v[32:33] op_sel:[1,0]
	scratch_load_dwordx2 v[46:47], off, off offset:160
	v_pk_add_f32 v[12:13], v[12:13], v[32:33] neg_lo:[0,1] neg_hi:[0,1]
	v_mov_b32_e32 v32, s37
	ds_read2_b64 v[84:87], v32 offset1:1
	s_add_i32 s37, s39, s23
	v_mov_b32_e32 v94, v59
	v_mov_b32_e32 v59, s37
	;; [unrolled: 1-line block ×4, first 2 shown]
	ds_read2_b64 v[80:83], v59 offset1:1
	s_waitcnt lgkmcnt(1)
	v_mov_b32_e32 v59, v87
	v_mov_b32_e32 v38, v100
	v_mov_b32_e32 v95, v86
	v_pk_mul_f32 v[58:59], v[58:59], v[102:103]
	scratch_load_dwordx2 v[126:127], off, off offset:16
	v_pk_fma_f32 v[100:101], v[94:95], v[38:39], v[58:59] neg_lo:[0,0,1] neg_hi:[0,0,1]
	v_pk_fma_f32 v[38:39], v[94:95], v[38:39], v[58:59]
	s_waitcnt vmcnt(4)
	v_mov_b32_e32 v98, v113
	v_pk_mov_b32 v[38:39], v[100:101], v[38:39] op_sel:[1,0]
	v_mov_b32_e32 v99, v115
	v_pk_add_f32 v[12:13], v[12:13], v[38:39] neg_lo:[0,1] neg_hi:[0,1]
	scratch_load_dwordx2 v[38:39], off, off offset:24
	v_mov_b32_e32 v58, v87
	s_waitcnt lgkmcnt(0)
	v_mov_b32_e32 v87, v83
	v_mov_b32_e32 v32, v112
	;; [unrolled: 1-line block ×4, first 2 shown]
	v_pk_mul_f32 v[86:87], v[86:87], v[98:99]
	s_add_i32 s37, s39, s26
	v_pk_fma_f32 v[94:95], v[58:59], v[32:33], v[86:87] neg_lo:[0,0,1] neg_hi:[0,0,1]
	v_pk_fma_f32 v[32:33], v[58:59], v[32:33], v[86:87]
	scratch_load_dwordx2 v[86:87], off, off offset:176
	v_pk_mov_b32 v[32:33], v[94:95], v[32:33] op_sel:[1,0]
	scratch_load_dwordx4 v[108:111], off, off offset:96
	v_pk_add_f32 v[12:13], v[12:13], v[32:33] neg_lo:[0,1] neg_hi:[0,1]
	v_mul_f32_e32 v32, v83, v114
	v_mov_b32_e32 v33, s37
	v_fmac_f32_e32 v32, v82, v115
	ds_read2_b64 v[102:105], v33 offset1:1
	s_add_i32 s37, s39, s25
	v_sub_f32_e32 v142, v13, v32
	v_mov_b32_e32 v13, s37
	ds_read2_b64 v[98:101], v13 offset1:1
	s_waitcnt lgkmcnt(1)
	v_mul_f32_e32 v13, v105, v35
	v_fma_f32 v13, v104, v34, -v13
	v_sub_f32_e32 v205, v12, v13
	s_add_i32 s37, s39, s31
	v_mul_f32_e32 v143, v104, v35
	v_fmac_f32_e32 v143, v105, v34
	scratch_load_dwordx4 v[88:91], off, off offset:112
	s_waitcnt vmcnt(7) lgkmcnt(0)
	v_mul_f32_e32 v12, v101, v53
	v_fma_f32 v206, v100, v52, -v12
	v_mov_b32_e32 v12, s37
	s_add_i32 s37, s39, s27
	ds_read2_b64 v[116:119], v12 offset1:1
	v_mov_b32_e32 v12, s37
	ds_read2_b64 v[104:107], v12 offset1:1
	s_add_i32 s37, s39, s33
	v_mul_f32_e32 v207, v100, v53
	v_fmac_f32_e32 v207, v101, v52
	v_mul_f32_e32 v101, v122, v25
	s_waitcnt lgkmcnt(0)
	v_mul_f32_e32 v211, v106, v193
	v_fmac_f32_e32 v211, v107, v192
	v_fmac_f32_e32 v101, v123, v24
	scratch_load_dwordx2 v[12:13], off, off offset:144
	s_waitcnt vmcnt(7)
	v_mul_f32_e32 v32, v119, v43
	v_fma_f32 v208, v118, v42, -v32
	v_mul_f32_e32 v32, v107, v193
	v_mul_f32_e32 v209, v118, v43
	v_fma_f32 v210, v106, v192, -v32
	v_mov_b32_e32 v32, s37
	s_add_i32 s37, s39, s34
	v_fmac_f32_e32 v209, v119, v42
	ds_read2_b64 v[118:121], v32 offset1:1
	v_mov_b32_e32 v32, s37
	ds_read2_b64 v[112:115], v32 offset1:1
	s_add_i32 s37, s39, s35
	v_mov_b32_e32 v52, s37
	s_waitcnt vmcnt(6) lgkmcnt(1)
	v_mul_f32_e32 v42, v121, v47
	v_fma_f32 v107, v120, v46, -v42
	s_waitcnt lgkmcnt(0)
	v_mul_f32_e32 v42, v115, v183
	v_fma_f32 v213, v114, v182, -v42
	v_mul_f32_e32 v42, v63, v195
	v_fma_f32 v100, v62, v194, -v42
	v_mul_f32_e32 v62, v62, v195
	v_mul_f32_e32 v42, v123, v25
	v_fmac_f32_e32 v62, v63, v194
	v_fma_f32 v63, v122, v24, -v42
	s_waitcnt vmcnt(5)
	v_mul_f32_e32 v24, v139, v127
	v_mul_f32_e32 v212, v120, v47
	;; [unrolled: 1-line block ×3, first 2 shown]
	s_add_i32 s37, s39, s36
	v_fma_f32 v106, v138, v126, -v24
	v_mul_f32_e32 v114, v138, v127
	scratch_load_dwordx4 v[32:35], off, off offset:152
	s_waitcnt vmcnt(5)
	v_mul_f32_e32 v24, v133, v39
	v_mul_f32_e32 v120, v132, v39
	v_fmac_f32_e32 v212, v121, v46
	v_fmac_f32_e32 v214, v115, v182
	v_mov_b32_e32 v53, s37
	scratch_load_dwordx2 v[82:83], off, off offset:16
	scratch_load_dwordx2 v[200:201], off, off offset:16
	;; [unrolled: 1-line block ×3, first 2 shown]
	v_fmac_f32_e32 v114, v139, v126
	scratch_load_dwordx2 v[94:95], off, off offset:24
	scratch_load_dwordx2 v[192:193], off, off offset:24
	;; [unrolled: 1-line block ×3, first 2 shown]
	v_fma_f32 v115, v132, v38, -v24
	v_fmac_f32_e32 v120, v133, v38
	ds_read2_b64 v[136:139], v52 offset1:1
	ds_read2_b64 v[130:133], v53 offset1:1
	v_mul_f32_e32 v24, v149, v65
	v_fma_f32 v52, v148, v64, -v24
	v_mul_f32_e32 v53, v148, v65
	s_waitcnt vmcnt(10) lgkmcnt(1)
	v_mul_f32_e32 v24, v139, v87
	scratch_load_dwordx2 v[58:59], off, off offset:176
	scratch_load_dwordx2 v[202:203], off, off offset:176
	;; [unrolled: 1-line block ×3, first 2 shown]
	v_fma_f32 v148, v138, v86, -v24
	v_sub_f32_e32 v38, v162, v100
	v_sub_f32_e32 v39, v163, v62
	scratch_load_dwordx2 v[24:25], off, off offset:48
	v_sub_f32_e32 v62, v38, v63
	v_sub_f32_e32 v63, v39, v101
	scratch_load_dwordx2 v[38:39], off, off offset:56
	v_fmac_f32_e32 v53, v149, v64
	v_sub_f32_e32 v64, v62, v106
	v_sub_f32_e32 v65, v63, v114
	scratch_load_dwordx2 v[62:63], off, off offset:64
	v_sub_f32_e32 v64, v64, v115
	v_sub_f32_e32 v52, v64, v52
	v_mul_f32_e32 v64, v51, v9
	v_mul_f32_e32 v9, v50, v9
	v_sub_f32_e32 v65, v65, v120
	v_fma_f32 v64, v50, v8, -v64
	v_fmac_f32_e32 v9, v51, v8
	v_sub_f32_e32 v53, v65, v53
	v_sub_f32_e32 v52, v52, v64
	v_mul_f32_e32 v149, v138, v87
	v_fmac_f32_e32 v149, v139, v86
	scratch_load_dwordx2 v[100:101], off, off offset:48
	scratch_load_dwordx2 v[194:195], off, off offset:48
	;; [unrolled: 1-line block ×3, first 2 shown]
	v_mov_b32_e32 v120, v37
	v_mov_b32_e32 v121, v140
	;; [unrolled: 1-line block ×3, first 2 shown]
	s_add_i32 s37, s11, 0xffffd000
	s_add_i32 s39, s39, s37
	s_waitcnt vmcnt(5)
	v_mul_f32_e32 v8, v129, v25
	v_mul_f32_e32 v25, v128, v25
	v_fma_f32 v8, v128, v24, -v8
	v_fmac_f32_e32 v25, v129, v24
	s_waitcnt vmcnt(4)
	v_mul_f32_e32 v24, v125, v39
	v_pk_add_f32 v[8:9], v[52:53], v[8:9] neg_lo:[0,1] neg_hi:[0,1]
	v_fma_f32 v24, v124, v38, -v24
	v_mov_b32_e32 v51, v38
	v_mov_b32_e32 v53, v124
	;; [unrolled: 1-line block ×3, first 2 shown]
	s_waitcnt vmcnt(3)
	v_mov_b32_e32 v38, v63
	v_pk_add_f32 v[8:9], v[8:9], v[24:25] neg_lo:[0,1] neg_hi:[0,1]
	v_mov_b32_e32 v25, v125
	v_pk_mul_f32 v[38:39], v[52:53], v[38:39]
	v_mov_b32_e32 v24, v134
	v_mov_b32_e32 v50, v62
	scratch_load_dwordx2 v[128:129], off, off offset:56
	scratch_load_dwordx2 v[196:197], off, off offset:56
	;; [unrolled: 1-line block ×6, first 2 shown]
	v_pk_fma_f32 v[24:25], v[24:25], v[50:51], v[38:39]
	scratch_load_dwordx4 v[50:53], off, off offset:64
	scratch_load_dwordx2 v[114:115], off, off offset:72
	v_pk_fma_f32 v[38:39], v[134:135], v[62:63], v[38:39] neg_lo:[0,0,1] neg_hi:[0,0,1]
	v_mov_b32_e32 v65, v63
	v_mov_b32_e32 v39, v25
	v_pk_add_f32 v[8:9], v[8:9], v[38:39] neg_lo:[0,1] neg_hi:[0,1]
	v_mov_b32_e32 v39, v134
	v_mov_b32_e32 v38, v37
	;; [unrolled: 1-line block ×5, first 2 shown]
	s_waitcnt vmcnt(1)
	v_mov_b32_e32 v64, v53
	v_pk_mul_f32 v[38:39], v[38:39], v[64:65]
	v_mov_b32_e32 v62, v52
	v_pk_fma_f32 v[24:25], v[24:25], v[62:63], v[38:39]
	v_mov_b32_e32 v63, v144
	v_pk_fma_f32 v[38:39], v[36:37], v[62:63], v[38:39] neg_lo:[0,0,1] neg_hi:[0,0,1]
	v_mov_b32_e32 v65, v36
	v_mov_b32_e32 v39, v25
	v_pk_add_f32 v[24:25], v[8:9], v[38:39] neg_lo:[0,1] neg_hi:[0,1]
	scratch_load_dwordx4 v[36:39], off, off offset:88
	v_mov_b32_e32 v52, v145
	v_mov_b32_e32 v64, v141
	v_pk_mul_f32 v[62:63], v[120:121], v[62:63]
	v_mov_b32_e32 v9, v146
	v_pk_fma_f32 v[126:127], v[64:65], v[52:53], v[62:63] op_sel:[0,0,1] op_sel_hi:[1,1,0] neg_lo:[1,0,0] neg_hi:[1,0,0]
	v_pk_fma_f32 v[52:53], v[64:65], v[52:53], v[62:63] op_sel:[0,0,1] op_sel_hi:[1,1,0]
	v_mov_b32_e32 v146, v145
	v_mov_b32_e32 v141, v93
	;; [unrolled: 1-line block ×4, first 2 shown]
	v_pk_mul_f32 v[124:125], v[140:141], v[146:147]
	scratch_load_dwordx4 v[120:123], off, off offset:88
	v_mov_b32_e32 v8, v144
	v_mov_b32_e32 v127, v53
	;; [unrolled: 1-line block ×5, first 2 shown]
	v_pk_add_f32 v[24:25], v[24:25], v[126:127] neg_lo:[0,1] neg_hi:[0,1]
	v_add_u32_e32 v126, s37, v1
	s_waitcnt vmcnt(1)
	v_mov_b32_e32 v139, v38
	v_mov_b32_e32 v38, v37
	v_mov_b32_e32 v138, v36
	v_pk_mul_f32 v[140:141], v[92:93], v[38:39]
	scratch_load_dwordx4 v[62:65], off, off offset:168
	scratch_load_dwordx4 v[36:39], off, off offset:168
	v_add_u32_e32 v93, s35, v1
	s_waitcnt vmcnt(1)
	ds_write_b64 v93, v[64:65]
	v_add_u32_e32 v64, s36, v1
	v_sub_f32_e32 v65, v205, v206
	ds_write_b64 v64, v[4:5]
	v_sub_f32_e32 v64, v142, v143
	v_sub_f32_e32 v65, v65, v208
	;; [unrolled: 1-line block ×8, first 2 shown]
	s_waitcnt lgkmcnt(2)
	v_mul_f32_e32 v93, v133, v5
	v_sub_f32_e32 v64, v64, v212
	v_sub_f32_e32 v65, v65, v148
	v_fma_f32 v93, v132, v4, -v93
	v_sub_f32_e32 v64, v64, v214
	v_sub_f32_e32 v147, v65, v93
	v_mul_f32_e32 v65, v132, v5
	v_sub_f32_e32 v64, v64, v149
	v_fmac_f32_e32 v65, v133, v4
	v_sub_f32_e32 v142, v64, v65
	v_mov_b32_e32 v64, s39
	v_mov_b32_e32 v107, v92
	ds_read2_b64 v[132:135], v64 offset1:1
	v_pk_fma_f32 v[64:65], v[106:107], v[8:9], v[124:125] neg_lo:[0,0,1] neg_hi:[0,0,1]
	v_pk_fma_f32 v[92:93], v[106:107], v[8:9], v[124:125]
	v_mov_b32_e32 v124, v108
	v_mov_b32_e32 v125, v110
	;; [unrolled: 1-line block ×3, first 2 shown]
	scratch_load_dwordx4 v[106:109], off, off offset:104
	s_add_i32 s39, s30, 0xffffcd38
	v_mov_b32_e32 v8, s39
	ds_read_b64 v[148:149], v8
	s_waitcnt lgkmcnt(1)
	v_mul_f32_e32 v8, v135, v142
	v_mul_f32_e32 v9, v134, v142
	scratch_load_dwordx4 v[142:145], off, off offset:120
	v_pk_mov_b32 v[64:65], v[64:65], v[92:93] op_sel:[1,0]
	scratch_load_dwordx2 v[92:93], off, off offset:160
	v_pk_mul_f32 v[110:111], v[96:97], v[110:111]
	v_pk_fma_f32 v[96:97], v[52:53], v[138:139], v[140:141] neg_lo:[0,0,1] neg_hi:[0,0,1]
	v_pk_fma_f32 v[52:53], v[52:53], v[138:139], v[140:141]
	v_fma_f32 v8, v134, v147, -v8
	v_pk_add_f32 v[64:65], v[24:25], v[64:65] neg_lo:[0,1] neg_hi:[0,1]
	v_fmac_f32_e32 v9, v135, v147
	v_pk_mov_b32 v[52:53], v[96:97], v[52:53] op_sel:[1,0]
	v_mov_b32_e32 v147, v56
	v_pk_add_f32 v[52:53], v[64:65], v[52:53] neg_lo:[0,1] neg_hi:[0,1]
	v_pk_fma_f32 v[64:65], v[146:147], v[124:125], v[110:111] neg_lo:[0,0,1] neg_hi:[0,0,1]
	v_pk_fma_f32 v[96:97], v[146:147], v[124:125], v[110:111]
	ds_write_b64 v126, v[8:9]
	v_pk_mov_b32 v[64:65], v[64:65], v[96:97] op_sel:[1,0]
	v_mov_b32_e32 v96, v57
	v_mov_b32_e32 v57, v85
	;; [unrolled: 1-line block ×3, first 2 shown]
	v_pk_add_f32 v[52:53], v[52:53], v[64:65] neg_lo:[0,1] neg_hi:[0,1]
	v_mov_b32_e32 v64, v88
	v_mov_b32_e32 v65, v90
	;; [unrolled: 1-line block ×3, first 2 shown]
	s_add_i32 s39, s41, s11
	scratch_load_dwordx2 v[24:25], off, off offset:16
	scratch_load_dwordx4 v[138:141], off, off offset:104
	scratch_load_dwordx4 v[124:127], off, off offset:120
	s_waitcnt vmcnt(5)
	v_mov_b32_e32 v111, v108
	v_mov_b32_e32 v108, v107
	;; [unrolled: 1-line block ×3, first 2 shown]
	v_pk_mul_f32 v[56:57], v[56:57], v[108:109]
	s_nop 0
	v_pk_fma_f32 v[88:89], v[96:97], v[110:111], v[56:57] neg_lo:[0,0,1] neg_hi:[0,0,1]
	v_pk_fma_f32 v[56:57], v[96:97], v[110:111], v[56:57]
	s_waitcnt vmcnt(4)
	v_mov_b32_e32 v96, v143
	v_pk_mov_b32 v[56:57], v[88:89], v[56:57] op_sel:[1,0]
	v_mov_b32_e32 v88, v85
	v_mov_b32_e32 v85, v81
	;; [unrolled: 1-line block ×3, first 2 shown]
	v_pk_mul_f32 v[84:85], v[84:85], v[90:91]
	v_pk_add_f32 v[52:53], v[52:53], v[56:57] neg_lo:[0,1] neg_hi:[0,1]
	v_pk_fma_f32 v[90:91], v[88:89], v[64:65], v[84:85] neg_lo:[0,0,1] neg_hi:[0,0,1]
	v_pk_fma_f32 v[64:65], v[88:89], v[64:65], v[84:85]
	v_mov_b32_e32 v97, v145
	v_pk_mov_b32 v[64:65], v[90:91], v[64:65] op_sel:[1,0]
	v_mov_b32_e32 v56, v142
	v_pk_add_f32 v[52:53], v[52:53], v[64:65] neg_lo:[0,1] neg_hi:[0,1]
	v_mov_b32_e32 v64, v81
	v_mov_b32_e32 v81, v103
	;; [unrolled: 1-line block ×4, first 2 shown]
	v_pk_mul_f32 v[80:81], v[80:81], v[96:97]
	v_mov_b32_e32 v97, v86
	v_pk_fma_f32 v[84:85], v[64:65], v[56:57], v[80:81] neg_lo:[0,0,1] neg_hi:[0,0,1]
	v_pk_fma_f32 v[56:57], v[64:65], v[56:57], v[80:81]
	v_mov_b32_e32 v96, v114
	v_pk_mov_b32 v[56:57], v[84:85], v[56:57] op_sel:[1,0]
	s_nop 0
	v_pk_add_f32 v[52:53], v[52:53], v[56:57] neg_lo:[0,1] neg_hi:[0,1]
	v_mul_f32_e32 v56, v103, v144
	v_fmac_f32_e32 v56, v102, v145
	v_sub_f32_e32 v53, v53, v56
	v_mul_f32_e32 v56, v99, v79
	v_fma_f32 v56, v98, v78, -v56
	v_mul_f32_e32 v57, v98, v79
	v_fmac_f32_e32 v57, v99, v78
	v_sub_f32_e32 v52, v52, v56
	v_mul_f32_e32 v56, v117, v13
	v_mul_f32_e32 v13, v116, v13
	v_sub_f32_e32 v53, v53, v57
	v_fmac_f32_e32 v13, v117, v12
	v_fma_f32 v56, v116, v12, -v56
	v_sub_f32_e32 v13, v53, v13
	v_mul_f32_e32 v53, v104, v155
	v_sub_f32_e32 v12, v52, v56
	v_mul_f32_e32 v52, v105, v155
	v_fmac_f32_e32 v53, v105, v154
	s_waitcnt vmcnt(3)
	v_mul_f32_e32 v57, v118, v93
	v_fma_f32 v52, v104, v154, -v52
	v_sub_f32_e32 v13, v13, v53
	v_mul_f32_e32 v56, v119, v93
	v_fmac_f32_e32 v57, v119, v92
	v_sub_f32_e32 v12, v12, v52
	v_fma_f32 v56, v118, v92, -v56
	v_sub_f32_e32 v13, v13, v57
	v_mul_f32_e32 v57, v112, v181
	v_sub_f32_e32 v12, v12, v56
	v_mul_f32_e32 v56, v113, v181
	v_fmac_f32_e32 v57, v113, v180
	v_fma_f32 v56, v112, v180, -v56
	v_sub_f32_e32 v13, v13, v57
	v_mul_f32_e32 v57, v136, v59
	v_sub_f32_e32 v12, v12, v56
	v_mul_f32_e32 v56, v137, v59
	v_fmac_f32_e32 v57, v137, v58
	v_fma_f32 v56, v136, v58, -v56
	v_sub_f32_e32 v13, v13, v57
	v_mul_f32_e32 v57, v130, v5
	v_sub_f32_e32 v12, v12, v56
	v_mul_f32_e32 v56, v131, v5
	v_fmac_f32_e32 v57, v131, v4
	v_fma_f32 v56, v130, v4, -v56
	v_sub_f32_e32 v13, v13, v57
	v_mul_f32_e32 v57, v132, v9
	v_sub_f32_e32 v12, v12, v56
	v_mul_f32_e32 v56, v133, v9
	v_fmac_f32_e32 v57, v133, v8
	v_fma_f32 v56, v132, v8, -v56
	v_sub_f32_e32 v13, v13, v57
	v_sub_f32_e32 v56, v12, v56
	s_waitcnt lgkmcnt(1)
	v_mul_f32_e32 v12, v149, v13
	v_mul_f32_e32 v13, v148, v13
	v_fma_f32 v12, v148, v56, -v12
	v_fmac_f32_e32 v13, v149, v56
	v_add_u32_e32 v56, s38, v1
	scratch_load_dwordx2 v[154:155], off, off offset:160
	scratch_load_dwordx2 v[52:53], off, off offset:160
	ds_write_b64 v56, v[12:13]
	v_mov_b32_e32 v56, s39
	s_add_i32 s39, s41, s12
	ds_read2_b64 v[142:145], v56 offset1:1
	v_mov_b32_e32 v64, s39
	ds_read2_b64 v[116:119], v64 offset1:1
	s_add_i32 s39, s41, s4
	v_mov_b32_e32 v99, v115
	s_waitcnt lgkmcnt(1)
	v_mul_f32_e32 v64, v145, v179
	v_fma_f32 v64, v144, v178, -v64
	s_waitcnt lgkmcnt(0)
	v_mul_f32_e32 v78, v119, v185
	v_sub_f32_e32 v64, v160, v64
	v_fma_f32 v78, v118, v184, -v78
	v_mul_f32_e32 v65, v144, v179
	v_sub_f32_e32 v64, v64, v78
	v_mov_b32_e32 v78, s39
	v_fmac_f32_e32 v65, v145, v178
	ds_read2_b64 v[144:147], v78 offset1:1
	s_add_i32 s39, s41, s5
	v_mov_b32_e32 v78, s39
	ds_read2_b64 v[106:109], v78 offset1:1
	scratch_load_dwordx4 v[56:59], off, off offset:72
	s_waitcnt lgkmcnt(1)
	v_mul_f32_e32 v78, v147, v83
	v_fma_f32 v78, v146, v82, -v78
	v_sub_f32_e32 v64, v64, v78
	s_waitcnt lgkmcnt(0)
	v_mul_f32_e32 v78, v109, v95
	v_fma_f32 v78, v108, v94, -v78
	s_add_i32 s39, s41, s13
	v_mul_f32_e32 v79, v118, v185
	v_sub_f32_e32 v64, v64, v78
	v_mov_b32_e32 v78, s39
	v_sub_f32_e32 v65, v161, v65
	v_fmac_f32_e32 v79, v119, v184
	ds_read2_b64 v[132:135], v78 offset1:1
	s_add_i32 s39, s41, s14
	v_sub_f32_e32 v65, v65, v79
	v_mul_f32_e32 v79, v146, v83
	v_mov_b32_e32 v78, s39
	v_fmac_f32_e32 v79, v147, v82
	ds_read2_b64 v[82:85], v78 offset1:1
	s_waitcnt lgkmcnt(1)
	v_mul_f32_e32 v78, v135, v187
	v_fma_f32 v78, v134, v186, -v78
	v_sub_f32_e32 v64, v64, v78
	s_add_i32 s39, s41, s15
	s_waitcnt lgkmcnt(0)
	v_mul_f32_e32 v78, v85, v151
	v_fma_f32 v78, v84, v150, -v78
	v_sub_f32_e32 v65, v65, v79
	v_mul_f32_e32 v79, v108, v95
	v_sub_f32_e32 v64, v64, v78
	v_mov_b32_e32 v78, s39
	v_fmac_f32_e32 v79, v109, v94
	scratch_load_dwordx4 v[108:111], off, off offset:96
	ds_read2_b64 v[92:95], v78 offset1:1
	v_sub_f32_e32 v65, v65, v79
	v_mul_f32_e32 v79, v134, v187
	v_fmac_f32_e32 v79, v135, v186
	v_sub_f32_e32 v65, v65, v79
	v_mul_f32_e32 v79, v84, v151
	s_add_i32 s39, s41, s16
	v_fmac_f32_e32 v79, v85, v150
	v_mov_b32_e32 v78, s39
	s_add_i32 s39, s41, s17
	v_sub_f32_e32 v65, v65, v79
	ds_read2_b64 v[88:91], v78 offset1:1
	s_waitcnt lgkmcnt(1)
	v_mul_f32_e32 v78, v95, v101
	v_mul_f32_e32 v79, v94, v101
	v_mov_b32_e32 v80, s39
	v_fma_f32 v78, v94, v100, -v78
	v_fmac_f32_e32 v79, v95, v100
	ds_read2_b64 v[100:103], v80 offset1:1
	v_sub_f32_e32 v64, v64, v78
	s_waitcnt lgkmcnt(1)
	v_mul_f32_e32 v78, v91, v129
	v_fma_f32 v78, v90, v128, -v78
	v_mul_f32_e32 v85, v90, v129
	s_add_i32 s39, s41, s18
	s_waitcnt lgkmcnt(0)
	v_mul_f32_e32 v84, v103, v87
	v_fmac_f32_e32 v85, v91, v128
	v_pk_add_f32 v[64:65], v[64:65], v[78:79] neg_lo:[0,1] neg_hi:[0,1]
	v_mov_b32_e32 v78, s39
	v_fma_f32 v84, v102, v86, -v84
	ds_read2_b64 v[78:81], v78 offset1:1
	v_pk_add_f32 v[84:85], v[64:65], v[84:85] neg_lo:[0,1] neg_hi:[0,1]
	scratch_load_dwordx4 v[128:131], off, off offset:112
	scratch_load_dwordx2 v[64:65], off, off offset:80
	v_mov_b32_e32 v105, v102
	v_mov_b32_e32 v86, v115
	s_waitcnt lgkmcnt(0)
	v_mov_b32_e32 v104, v81
	v_mov_b32_e32 v94, v80
	v_mov_b32_e32 v95, v103
	v_pk_mul_f32 v[86:87], v[104:105], v[86:87]
	s_add_i32 s39, s41, s19
	v_pk_fma_f32 v[102:103], v[80:81], v[114:115], v[86:87] neg_lo:[0,0,1] neg_hi:[0,0,1]
	v_pk_fma_f32 v[86:87], v[94:95], v[96:97], v[86:87]
	v_mov_b32_e32 v91, v114
	v_mov_b32_e32 v103, v87
	v_pk_add_f32 v[102:103], v[84:85], v[102:103] neg_lo:[0,1] neg_hi:[0,1]
	v_mov_b32_e32 v84, s39
	ds_read2_b64 v[94:97], v84 offset1:1
	s_add_i32 s39, s41, s20
	v_mov_b32_e32 v115, v80
	v_mov_b32_e32 v105, v120
	;; [unrolled: 1-line block ×3, first 2 shown]
	s_waitcnt vmcnt(3)
	v_mov_b32_e32 v90, v58
	v_mov_b32_e32 v104, v58
	v_mov_b32_e32 v58, s39
	ds_read2_b64 v[84:87], v58 offset1:1
	v_mov_b32_e32 v98, v59
	s_waitcnt lgkmcnt(1)
	v_mov_b32_e32 v114, v97
	v_mov_b32_e32 v112, v96
	v_pk_mul_f32 v[80:81], v[114:115], v[98:99]
	v_mov_b32_e32 v58, v121
	v_pk_fma_f32 v[98:99], v[96:97], v[104:105], v[80:81] neg_lo:[0,0,1] neg_hi:[0,0,1]
	v_pk_fma_f32 v[80:81], v[112:113], v[90:91], v[80:81]
	s_add_i32 s39, s41, s21
	v_mov_b32_e32 v99, v81
	v_pk_add_f32 v[80:81], v[102:103], v[98:99] neg_lo:[0,1] neg_hi:[0,1]
	v_mov_b32_e32 v98, v97
	s_waitcnt lgkmcnt(0)
	v_mov_b32_e32 v99, v86
	v_pk_mul_f32 v[98:99], v[98:99], v[104:105]
	v_mov_b32_e32 v102, v87
	v_mov_b32_e32 v103, v96
	v_pk_fma_f32 v[96:97], v[102:103], v[58:59], v[98:99] op_sel:[0,0,1] op_sel_hi:[1,1,0] neg_lo:[1,0,0] neg_hi:[1,0,0]
	v_pk_fma_f32 v[58:59], v[102:103], v[58:59], v[98:99] op_sel:[0,0,1] op_sel_hi:[1,1,0]
	v_mov_b32_e32 v118, v87
	v_mov_b32_e32 v97, v59
	v_pk_add_f32 v[58:59], v[80:81], v[96:97] neg_lo:[0,1] neg_hi:[0,1]
	v_mov_b32_e32 v80, s39
	ds_read2_b64 v[102:105], v80 offset1:1
	s_add_i32 s39, s41, s22
	v_mov_b32_e32 v87, s39
	ds_read2_b64 v[96:99], v87 offset1:1
	v_mov_b32_e32 v91, v122
	v_mov_b32_e32 v122, v121
	s_waitcnt lgkmcnt(1)
	v_mov_b32_e32 v87, v105
	v_mov_b32_e32 v90, v120
	;; [unrolled: 1-line block ×3, first 2 shown]
	v_pk_mul_f32 v[86:87], v[86:87], v[122:123]
	s_waitcnt vmcnt(2)
	v_mov_b32_e32 v80, v108
	v_mov_b32_e32 v81, v110
	;; [unrolled: 1-line block ×3, first 2 shown]
	v_pk_fma_f32 v[108:109], v[118:119], v[90:91], v[86:87] neg_lo:[0,0,1] neg_hi:[0,0,1]
	v_pk_fma_f32 v[86:87], v[118:119], v[90:91], v[86:87]
	v_mov_b32_e32 v90, v105
	s_waitcnt lgkmcnt(0)
	v_mov_b32_e32 v105, v99
	v_mov_b32_e32 v91, v98
	v_pk_mul_f32 v[104:105], v[104:105], v[110:111]
	v_pk_mov_b32 v[86:87], v[108:109], v[86:87] op_sel:[1,0]
	v_pk_fma_f32 v[108:109], v[90:91], v[80:81], v[104:105] neg_lo:[0,0,1] neg_hi:[0,0,1]
	v_pk_fma_f32 v[80:81], v[90:91], v[80:81], v[104:105]
	v_pk_add_f32 v[58:59], v[58:59], v[86:87] neg_lo:[0,1] neg_hi:[0,1]
	v_pk_mov_b32 v[80:81], v[108:109], v[80:81] op_sel:[1,0]
	s_add_i32 s39, s41, s24
	v_pk_add_f32 v[58:59], v[58:59], v[80:81] neg_lo:[0,1] neg_hi:[0,1]
	v_mov_b32_e32 v80, s39
	ds_read2_b64 v[120:123], v80 offset1:1
	s_add_i32 s39, s41, s23
	v_mov_b32_e32 v91, s39
	ds_read2_b64 v[108:111], v91 offset1:1
	v_mov_b32_e32 v87, v140
	v_mov_b32_e32 v140, v139
	v_mov_b32_e32 v90, v99
	s_waitcnt lgkmcnt(1)
	v_mov_b32_e32 v99, v123
	v_mov_b32_e32 v86, v138
	;; [unrolled: 1-line block ×3, first 2 shown]
	v_pk_mul_f32 v[98:99], v[98:99], v[140:141]
	s_waitcnt vmcnt(1)
	v_mov_b32_e32 v81, v130
	v_mov_b32_e32 v130, v129
	v_pk_fma_f32 v[104:105], v[90:91], v[86:87], v[98:99] neg_lo:[0,0,1] neg_hi:[0,0,1]
	v_pk_fma_f32 v[86:87], v[90:91], v[86:87], v[98:99]
	v_mov_b32_e32 v90, v123
	s_waitcnt lgkmcnt(0)
	v_mov_b32_e32 v123, v111
	v_mov_b32_e32 v80, v128
	;; [unrolled: 1-line block ×3, first 2 shown]
	v_pk_mul_f32 v[98:99], v[122:123], v[130:131]
	v_pk_mov_b32 v[86:87], v[104:105], v[86:87] op_sel:[1,0]
	v_pk_fma_f32 v[104:105], v[90:91], v[80:81], v[98:99] neg_lo:[0,0,1] neg_hi:[0,0,1]
	v_pk_fma_f32 v[80:81], v[90:91], v[80:81], v[98:99]
	scratch_load_dwordx2 v[98:99], off, off
	v_pk_add_f32 v[58:59], v[58:59], v[86:87] neg_lo:[0,1] neg_hi:[0,1]
	v_pk_mov_b32 v[80:81], v[104:105], v[80:81] op_sel:[1,0]
	s_add_i32 s39, s41, s26
	v_pk_add_f32 v[58:59], v[58:59], v[80:81] neg_lo:[0,1] neg_hi:[0,1]
	v_mov_b32_e32 v80, s39
	ds_read2_b64 v[138:141], v80 offset1:1
	s_add_i32 s39, s41, s25
	v_mov_b32_e32 v80, v74
	v_mov_b32_e32 v74, s39
	ds_read2_b64 v[128:131], v74 offset1:1
	v_mov_b32_e32 v87, v126
	v_mov_b32_e32 v126, v125
	;; [unrolled: 1-line block ×3, first 2 shown]
	s_waitcnt lgkmcnt(1)
	v_mov_b32_e32 v111, v141
	v_mov_b32_e32 v86, v124
	;; [unrolled: 1-line block ×3, first 2 shown]
	v_pk_mul_f32 v[104:105], v[110:111], v[126:127]
	v_mov_b32_e32 v74, v75
	v_pk_fma_f32 v[110:111], v[90:91], v[86:87], v[104:105] neg_lo:[0,0,1] neg_hi:[0,0,1]
	v_pk_fma_f32 v[86:87], v[90:91], v[86:87], v[104:105]
	v_mov_b32_e32 v75, v77
	v_pk_mov_b32 v[86:87], v[110:111], v[86:87] op_sel:[1,0]
	v_mov_b32_e32 v81, v76
	v_pk_add_f32 v[58:59], v[58:59], v[86:87] neg_lo:[0,1] neg_hi:[0,1]
	v_mov_b32_e32 v86, v141
	s_waitcnt lgkmcnt(0)
	v_mov_b32_e32 v141, v131
	v_mov_b32_e32 v87, v130
	v_pk_mul_f32 v[74:75], v[140:141], v[74:75]
	s_add_i32 s39, s41, s31
	v_pk_fma_f32 v[90:91], v[86:87], v[80:81], v[74:75] neg_lo:[0,0,1] neg_hi:[0,0,1]
	v_pk_fma_f32 v[74:75], v[86:87], v[80:81], v[74:75]
	scratch_load_dwordx4 v[112:115], off, off offset:96
	v_pk_mov_b32 v[74:75], v[90:91], v[74:75] op_sel:[1,0]
	scratch_load_dwordx4 v[134:137], off, off offset:112
	v_pk_add_f32 v[58:59], v[58:59], v[74:75] neg_lo:[0,1] neg_hi:[0,1]
	v_mul_f32_e32 v74, v131, v76
	v_fmac_f32_e32 v74, v130, v77
	v_mov_b32_e32 v75, s39
	s_add_i32 s39, s41, s27
	ds_read2_b64 v[124:127], v75 offset1:1
	v_sub_f32_e32 v59, v59, v74
	v_mov_b32_e32 v74, s39
	ds_read2_b64 v[74:77], v74 offset1:1
	s_add_i32 s39, s41, s33
	s_waitcnt lgkmcnt(1)
	v_mul_f32_e32 v80, v127, v61
	v_mul_f32_e32 v61, v126, v61
	v_fma_f32 v80, v126, v60, -v80
	v_fmac_f32_e32 v61, v127, v60
	s_waitcnt lgkmcnt(0)
	v_mul_f32_e32 v60, v77, v153
	v_sub_f32_e32 v58, v58, v80
	v_fma_f32 v60, v76, v152, -v60
	v_sub_f32_e32 v59, v59, v61
	v_mul_f32_e32 v61, v76, v153
	v_sub_f32_e32 v58, v58, v60
	v_mov_b32_e32 v60, s39
	v_fmac_f32_e32 v61, v77, v152
	ds_read2_b64 v[150:153], v60 offset1:1
	s_add_i32 s39, s41, s34
	v_mov_b32_e32 v60, s39
	ds_read2_b64 v[146:149], v60 offset1:1
	s_add_i32 s39, s41, s35
	s_waitcnt lgkmcnt(1)
	v_mul_f32_e32 v60, v153, v155
	v_fma_f32 v60, v152, v154, -v60
	v_sub_f32_e32 v58, v58, v60
	s_waitcnt lgkmcnt(0)
	v_mul_f32_e32 v60, v149, v177
	v_fma_f32 v60, v148, v176, -v60
	v_sub_f32_e32 v59, v59, v61
	v_mul_f32_e32 v61, v152, v155
	v_sub_f32_e32 v58, v58, v60
	v_mov_b32_e32 v60, s39
	v_fmac_f32_e32 v61, v153, v154
	ds_read2_b64 v[152:155], v60 offset1:1
	s_add_i32 s39, s41, s36
	v_mov_b32_e32 v60, s39
	ds_read2_b64 v[206:209], v60 offset1:1
	v_sub_f32_e32 v59, v59, v61
	v_mul_f32_e32 v61, v148, v177
	v_fmac_f32_e32 v61, v149, v176
	v_sub_f32_e32 v59, v59, v61
	s_waitcnt lgkmcnt(1)
	v_mul_f32_e32 v60, v155, v203
	v_mul_f32_e32 v61, v154, v203
	v_fma_f32 v60, v154, v202, -v60
	v_fmac_f32_e32 v61, v155, v202
	v_sub_f32_e32 v58, v58, v60
	v_sub_f32_e32 v59, v59, v61
	s_waitcnt lgkmcnt(0)
	v_mul_f32_e32 v60, v209, v5
	v_mul_f32_e32 v61, v208, v5
	v_fma_f32 v60, v208, v4, -v60
	v_fmac_f32_e32 v61, v209, v4
	s_add_i32 s39, s41, s37
	v_sub_f32_e32 v80, v58, v60
	v_sub_f32_e32 v81, v59, v61
	v_mov_b32_e32 v58, s39
	s_waitcnt vmcnt(2)
	v_mul_f32_e32 v59, v143, v99
	v_mul_f32_e32 v87, v142, v99
	scratch_load_dwordx2 v[76:77], off, off
	scratch_load_dwordx2 v[186:187], off, off
	;; [unrolled: 1-line block ×3, first 2 shown]
	v_fma_f32 v86, v142, v98, -v59
	v_fmac_f32_e32 v87, v143, v98
	ds_read2_b64 v[140:143], v58 offset1:1
	s_add_i32 s39, s41, s38
	v_mul_f32_e32 v58, v117, v17
	v_mul_f32_e32 v104, v116, v17
	v_mov_b32_e32 v90, s39
	v_fma_f32 v91, v116, v16, -v58
	v_fmac_f32_e32 v104, v117, v16
	v_mul_f32_e32 v16, v145, v201
	v_mul_f32_e32 v122, v144, v201
	v_fma_f32 v105, v144, v200, -v16
	v_fmac_f32_e32 v122, v145, v200
	ds_read2_b64 v[200:203], v90 offset1:1
	scratch_load_dwordx2 v[98:99], off, off offset:72
	s_waitcnt lgkmcnt(1)
	v_mul_f32_e32 v16, v143, v9
	scratch_load_dwordx4 v[58:61], off, off offset:80
	v_fma_f32 v16, v142, v8, -v16
	v_sub_f32_e32 v16, v80, v16
	s_waitcnt lgkmcnt(0)
	v_mul_f32_e32 v80, v203, v13
	s_add_i32 s39, s11, 0xffffcc00
	v_fma_f32 v80, v202, v12, -v80
	s_add_i32 s41, s41, s39
	v_mul_f32_e32 v17, v142, v9
	v_sub_f32_e32 v90, v16, v80
	v_mov_b32_e32 v16, s41
	v_fmac_f32_e32 v17, v143, v8
	ds_read2_b64 v[142:145], v16 offset1:1
	v_sub_f32_e32 v17, v81, v17
	v_mul_f32_e32 v81, v202, v13
	v_mul_f32_e32 v80, v107, v193
	v_fmac_f32_e32 v81, v203, v12
	v_fma_f32 v123, v106, v192, -v80
	v_mul_f32_e32 v106, v106, v193
	v_mul_f32_e32 v16, v133, v29
	s_add_i32 s41, s30, 0xffffc928
	v_sub_f32_e32 v17, v17, v81
	v_fmac_f32_e32 v106, v107, v192
	v_fma_f32 v107, v132, v28, -v16
	v_mov_b32_e32 v16, s41
	v_mul_f32_e32 v29, v132, v29
	ds_read_b64 v[110:111], v16
	s_waitcnt lgkmcnt(1)
	v_mul_f32_e32 v16, v145, v17
	v_mul_f32_e32 v17, v144, v17
	v_fmac_f32_e32 v29, v133, v28
	v_fma_f32 v16, v144, v90, -v16
	v_fmac_f32_e32 v17, v145, v90
	v_add_u32_e32 v28, s39, v1
	scratch_load_dwordx2 v[80:81], off, off offset:32
	scratch_load_dwordx2 v[180:181], off, off offset:32
	ds_write_b64 v28, v[16:17]
	v_sub_f32_e32 v28, v158, v86
	v_sub_f32_e32 v86, v159, v87
	;; [unrolled: 1-line block ×9, first 2 shown]
	v_mul_f32_e32 v86, v83, v21
	v_sub_f32_e32 v28, v28, v107
	v_fma_f32 v86, v82, v20, -v86
	v_mul_f32_e32 v21, v82, v21
	scratch_load_dwordx4 v[116:119], off, off offset:104
	scratch_load_dwordx2 v[178:179], off, off offset:48
	v_fmac_f32_e32 v21, v83, v20
	v_sub_f32_e32 v20, v28, v86
	v_mul_f32_e32 v28, v93, v195
	v_sub_f32_e32 v21, v29, v21
	v_fma_f32 v28, v92, v194, -v28
	v_mul_f32_e32 v29, v92, v195
	v_fmac_f32_e32 v29, v93, v194
	v_sub_f32_e32 v20, v20, v28
	v_mul_f32_e32 v28, v89, v197
	v_sub_f32_e32 v21, v21, v29
	v_fma_f32 v28, v88, v196, -v28
	v_mul_f32_e32 v29, v88, v197
	v_fmac_f32_e32 v29, v89, v196
	scratch_load_dwordx4 v[86:89], off, off offset:120
	v_sub_f32_e32 v20, v20, v28
	v_mul_f32_e32 v28, v101, v199
	v_fma_f32 v28, v100, v198, -v28
	v_pk_add_f32 v[20:21], v[20:21], v[28:29] neg_lo:[0,1] neg_hi:[0,1]
	scratch_load_dwordx2 v[106:107], off, off offset:72
	scratch_load_dwordx2 v[184:185], off, off offset:72
	;; [unrolled: 1-line block ×3, first 2 shown]
	scratch_load_dwordx4 v[90:93], off, off offset:128
	scratch_load_dwordx2 v[104:105], off, off offset:88
	v_mul_f32_e32 v83, v100, v199
	v_mov_b32_e32 v130, v95
	v_mov_b32_e32 v131, v78
	v_fmac_f32_e32 v83, v101, v198
	v_mov_b32_e32 v100, v94
	v_mov_b32_e32 v101, v79
	;; [unrolled: 1-line block ×4, first 2 shown]
	s_waitcnt vmcnt(11)
	v_mul_f32_e32 v82, v79, v99
	v_fma_f32 v82, v78, v98, -v82
	v_mov_b32_e32 v123, v98
	v_mov_b32_e32 v98, v65
	v_pk_mul_f32 v[78:79], v[130:131], v[98:99]
	v_pk_add_f32 v[20:21], v[20:21], v[82:83] neg_lo:[0,1] neg_hi:[0,1]
	v_mov_b32_e32 v83, v64
	s_waitcnt vmcnt(10)
	v_mov_b32_e32 v126, v61
	v_pk_fma_f32 v[64:65], v[94:95], v[64:65], v[78:79] neg_lo:[0,0,1] neg_hi:[0,0,1]
	v_pk_fma_f32 v[78:79], v[100:101], v[122:123], v[78:79]
	v_mov_b32_e32 v98, v85
	v_mov_b32_e32 v99, v94
	;; [unrolled: 1-line block ×6, first 2 shown]
	v_pk_mul_f32 v[94:95], v[98:99], v[126:127]
	v_pk_add_f32 v[20:21], v[20:21], v[64:65] neg_lo:[0,1] neg_hi:[0,1]
	v_mov_b32_e32 v64, v60
	v_mov_b32_e32 v65, v112
	v_pk_fma_f32 v[78:79], v[78:79], v[82:83], v[94:95]
	v_mov_b32_e32 v82, v85
	v_mov_b32_e32 v83, v102
	;; [unrolled: 1-line block ×3, first 2 shown]
	v_pk_fma_f32 v[98:99], v[84:85], v[64:65], v[94:95] neg_lo:[0,0,1] neg_hi:[0,0,1]
	v_pk_mul_f32 v[64:65], v[82:83], v[64:65]
	v_mov_b32_e32 v82, v103
	v_mov_b32_e32 v83, v84
	v_pk_fma_f32 v[84:85], v[82:83], v[60:61], v[64:65] op_sel:[0,0,1] op_sel_hi:[1,1,0] neg_lo:[1,0,0] neg_hi:[1,0,0]
	v_pk_fma_f32 v[60:61], v[82:83], v[60:61], v[64:65] op_sel:[0,0,1] op_sel_hi:[1,1,0]
	scratch_load_dwordx2 v[82:83], off, off offset:168
	v_mov_b32_e32 v99, v79
	v_pk_add_f32 v[20:21], v[20:21], v[98:99] neg_lo:[0,1] neg_hi:[0,1]
	v_mov_b32_e32 v79, v114
	v_mov_b32_e32 v114, v113
	;; [unrolled: 1-line block ×6, first 2 shown]
	v_pk_add_f32 v[20:21], v[20:21], v[84:85] neg_lo:[0,1] neg_hi:[0,1]
	v_mov_b32_e32 v65, v96
	v_pk_mul_f32 v[84:85], v[102:103], v[114:115]
	s_sub_i32 s41, s10, 29
	v_pk_fma_f32 v[94:95], v[64:65], v[78:79], v[84:85] neg_lo:[0,0,1] neg_hi:[0,0,1]
	v_pk_fma_f32 v[64:65], v[64:65], v[78:79], v[84:85]
	v_mov_b32_e32 v78, v97
	v_mov_b32_e32 v97, v121
	v_pk_mov_b32 v[64:65], v[94:95], v[64:65] op_sel:[1,0]
	v_mov_b32_e32 v79, v120
	s_waitcnt vmcnt(8)
	v_mov_b32_e32 v61, v118
	v_mov_b32_e32 v118, v117
	;; [unrolled: 1-line block ×3, first 2 shown]
	v_pk_mul_f32 v[84:85], v[96:97], v[118:119]
	v_pk_add_f32 v[20:21], v[20:21], v[64:65] neg_lo:[0,1] neg_hi:[0,1]
	v_mov_b32_e32 v65, v136
	v_mov_b32_e32 v136, v135
	v_pk_fma_f32 v[94:95], v[78:79], v[60:61], v[84:85] neg_lo:[0,0,1] neg_hi:[0,0,1]
	v_pk_fma_f32 v[60:61], v[78:79], v[60:61], v[84:85]
	v_mov_b32_e32 v78, v121
	v_mov_b32_e32 v121, v109
	v_mov_b32_e32 v64, v134
	v_pk_mov_b32 v[60:61], v[94:95], v[60:61] op_sel:[1,0]
	v_mov_b32_e32 v79, v108
	v_pk_mul_f32 v[84:85], v[120:121], v[136:137]
	v_pk_add_f32 v[20:21], v[20:21], v[60:61] neg_lo:[0,1] neg_hi:[0,1]
	s_waitcnt vmcnt(6)
	v_mov_b32_e32 v60, v86
	v_mov_b32_e32 v61, v88
	;; [unrolled: 1-line block ×3, first 2 shown]
	v_pk_fma_f32 v[86:87], v[78:79], v[64:65], v[84:85] neg_lo:[0,0,1] neg_hi:[0,0,1]
	v_pk_fma_f32 v[64:65], v[78:79], v[64:65], v[84:85]
	v_mov_b32_e32 v78, v109
	v_mov_b32_e32 v109, v139
	v_pk_mov_b32 v[64:65], v[86:87], v[64:65] op_sel:[1,0]
	v_mov_b32_e32 v79, v138
	v_pk_mul_f32 v[84:85], v[108:109], v[88:89]
	v_pk_add_f32 v[20:21], v[20:21], v[64:65] neg_lo:[0,1] neg_hi:[0,1]
	s_waitcnt vmcnt(2)
	v_mov_b32_e32 v65, v92
	v_mov_b32_e32 v92, v91
	v_pk_fma_f32 v[86:87], v[78:79], v[60:61], v[84:85] neg_lo:[0,0,1] neg_hi:[0,0,1]
	v_pk_fma_f32 v[60:61], v[78:79], v[60:61], v[84:85]
	v_mov_b32_e32 v78, v139
	v_mov_b32_e32 v139, v129
	;; [unrolled: 1-line block ×4, first 2 shown]
	v_pk_mul_f32 v[84:85], v[138:139], v[92:93]
	v_pk_mov_b32 v[60:61], v[86:87], v[60:61] op_sel:[1,0]
	v_pk_fma_f32 v[86:87], v[78:79], v[64:65], v[84:85] neg_lo:[0,0,1] neg_hi:[0,0,1]
	v_pk_fma_f32 v[64:65], v[78:79], v[64:65], v[84:85]
	scratch_load_dwordx2 v[84:85], off, off offset:8
	v_pk_add_f32 v[20:21], v[20:21], v[60:61] neg_lo:[0,1] neg_hi:[0,1]
	v_pk_mov_b32 v[64:65], v[86:87], v[64:65] op_sel:[1,0]
	v_mov_b32_e32 v60, v66
	v_mov_b32_e32 v66, v67
	;; [unrolled: 1-line block ×3, first 2 shown]
	v_pk_add_f32 v[20:21], v[20:21], v[64:65] neg_lo:[0,1] neg_hi:[0,1]
	v_mov_b32_e32 v64, v129
	v_mov_b32_e32 v129, v125
	;; [unrolled: 1-line block ×4, first 2 shown]
	v_pk_mul_f32 v[66:67], v[128:129], v[66:67]
	s_lshl_b32 s42, s41, 3
	v_pk_fma_f32 v[78:79], v[64:65], v[60:61], v[66:67] neg_lo:[0,0,1] neg_hi:[0,0,1]
	v_pk_fma_f32 v[60:61], v[64:65], v[60:61], v[66:67]
	s_add_i32 s43, s42, s11
	v_pk_mov_b32 v[60:61], v[78:79], v[60:61] op_sel:[1,0]
	scratch_load_dwordx4 v[130:133], off, off offset:104
	v_pk_add_f32 v[20:21], v[20:21], v[60:61] neg_lo:[0,1] neg_hi:[0,1]
	v_mul_f32_e32 v60, v125, v68
	v_fmac_f32_e32 v60, v124, v69
	scratch_load_dwordx2 v[68:69], off, off offset:40
	v_sub_f32_e32 v21, v21, v60
	v_mul_f32_e32 v60, v75, v55
	v_mul_f32_e32 v55, v74, v55
	v_fma_f32 v60, v74, v54, -v60
	v_fmac_f32_e32 v55, v75, v54
	v_mul_f32_e32 v54, v151, v53
	v_mul_f32_e32 v53, v150, v53
	v_sub_f32_e32 v21, v21, v55
	v_fmac_f32_e32 v53, v151, v52
	v_sub_f32_e32 v21, v21, v53
	s_waitcnt vmcnt(3)
	v_mul_f32_e32 v53, v146, v83
	v_sub_f32_e32 v20, v20, v60
	v_fma_f32 v54, v150, v52, -v54
	v_mul_f32_e32 v52, v147, v83
	v_fmac_f32_e32 v53, v147, v82
	v_sub_f32_e32 v20, v20, v54
	v_fma_f32 v52, v146, v82, -v52
	v_sub_f32_e32 v21, v21, v53
	v_mul_f32_e32 v53, v152, v183
	v_sub_f32_e32 v20, v20, v52
	v_mul_f32_e32 v52, v153, v183
	v_fmac_f32_e32 v53, v153, v182
	v_fma_f32 v52, v152, v182, -v52
	v_sub_f32_e32 v21, v21, v53
	v_mul_f32_e32 v53, v206, v5
	v_sub_f32_e32 v20, v20, v52
	v_mul_f32_e32 v52, v207, v5
	v_fmac_f32_e32 v53, v207, v4
	;; [unrolled: 6-line block ×5, first 2 shown]
	v_fma_f32 v52, v142, v16, -v52
	v_sub_f32_e32 v21, v21, v53
	v_sub_f32_e32 v52, v20, v52
	s_waitcnt lgkmcnt(1)
	v_mul_f32_e32 v20, v111, v21
	v_mul_f32_e32 v21, v110, v21
	v_fma_f32 v20, v110, v52, -v20
	v_fmac_f32_e32 v21, v111, v52
	v_add_u32_e32 v52, s40, v1
	v_mov_b32_e32 v53, s43
	s_add_i32 s43, s42, s12
	ds_write_b64 v52, v[20:21]
	v_mov_b32_e32 v52, s43
	ds_read2_b64 v[112:115], v53 offset1:1
	ds_read2_b64 v[100:103], v52 offset1:1
	scratch_load_dwordx4 v[116:119], off, off offset:120
	scratch_load_dwordx4 v[120:123], off, off offset:128
	scratch_load_dwordx2 v[154:155], off, off offset:168
	scratch_load_dwordx2 v[192:193], off, off offset:8
	scratch_load_dwordx2 v[60:61], off, off offset:8
	s_waitcnt vmcnt(7) lgkmcnt(0)
	v_mul_f32_e32 v54, v103, v85
	v_mul_f32_e32 v55, v102, v85
	v_fma_f32 v54, v102, v84, -v54
	v_fmac_f32_e32 v55, v103, v84
	scratch_load_dwordx2 v[84:85], off, off offset:80
	v_mul_f32_e32 v52, v115, v77
	v_fma_f32 v52, v114, v76, -v52
	v_mul_f32_e32 v53, v114, v77
	v_sub_f32_e32 v52, v156, v52
	s_add_i32 s43, s42, s4
	v_fmac_f32_e32 v53, v115, v76
	v_sub_f32_e32 v64, v52, v54
	v_mov_b32_e32 v52, s43
	s_add_i32 s43, s42, s5
	v_sub_f32_e32 v53, v157, v53
	ds_read2_b64 v[96:99], v52 offset1:1
	v_mov_b32_e32 v52, s43
	v_sub_f32_e32 v65, v53, v55
	ds_read2_b64 v[90:93], v52 offset1:1
	scratch_load_dwordx4 v[52:55], off, off offset:88
	s_waitcnt lgkmcnt(1)
	v_mul_f32_e32 v66, v99, v43
	v_fma_f32 v66, v98, v42, -v66
	v_mul_f32_e32 v43, v98, v43
	v_fmac_f32_e32 v43, v99, v42
	v_sub_f32_e32 v42, v64, v66
	s_waitcnt lgkmcnt(0)
	v_mul_f32_e32 v64, v93, v47
	v_mul_f32_e32 v47, v92, v47
	s_add_i32 s43, s42, s13
	v_fma_f32 v64, v92, v46, -v64
	v_fmac_f32_e32 v47, v93, v46
	v_mov_b32_e32 v46, s43
	s_add_i32 s43, s42, s14
	ds_read2_b64 v[74:77], v46 offset1:1
	v_mov_b32_e32 v46, s43
	v_sub_f32_e32 v43, v65, v43
	v_sub_f32_e32 v42, v42, v64
	ds_read2_b64 v[64:67], v46 offset1:1
	s_waitcnt lgkmcnt(1)
	v_mul_f32_e32 v46, v77, v81
	v_sub_f32_e32 v43, v43, v47
	v_fma_f32 v46, v76, v80, -v46
	v_mul_f32_e32 v47, v76, v81
	s_waitcnt vmcnt(7) lgkmcnt(0)
	v_mul_f32_e32 v76, v67, v69
	v_fmac_f32_e32 v47, v77, v80
	v_fma_f32 v76, v66, v68, -v76
	v_mul_f32_e32 v66, v66, v69
	s_add_i32 s43, s42, s15
	v_sub_f32_e32 v42, v42, v46
	v_sub_f32_e32 v43, v43, v47
	scratch_load_dwordx2 v[182:183], off, off offset:40
	scratch_load_dwordx2 v[46:47], off, off offset:40
	v_fmac_f32_e32 v66, v67, v68
	v_mov_b32_e32 v67, s43
	scratch_load_dwordx4 v[134:137], off, off offset:112
	ds_read2_b64 v[80:83], v67 offset1:1
	s_add_i32 s43, s42, s16
	v_sub_f32_e32 v43, v43, v66
	v_mov_b32_e32 v66, s43
	ds_read2_b64 v[66:69], v66 offset1:1
	v_sub_f32_e32 v42, v42, v76
	s_waitcnt lgkmcnt(1)
	v_mul_f32_e32 v76, v83, v165
	v_fma_f32 v76, v82, v164, -v76
	v_sub_f32_e32 v42, v42, v76
	s_waitcnt lgkmcnt(0)
	v_mul_f32_e32 v76, v69, v171
	v_mul_f32_e32 v77, v82, v165
	v_fma_f32 v76, v68, v170, -v76
	v_mul_f32_e32 v68, v68, v171
	s_add_i32 s43, s42, s17
	v_fmac_f32_e32 v77, v83, v164
	v_fmac_f32_e32 v68, v69, v170
	v_mov_b32_e32 v69, s43
	v_sub_f32_e32 v43, v43, v77
	ds_read2_b64 v[92:95], v69 offset1:1
	s_add_i32 s43, s42, s18
	v_sub_f32_e32 v43, v43, v68
	v_mov_b32_e32 v68, s43
	ds_read2_b64 v[86:89], v68 offset1:1
	s_waitcnt lgkmcnt(1)
	v_mul_f32_e32 v68, v95, v163
	v_sub_f32_e32 v42, v42, v76
	v_fma_f32 v68, v94, v162, -v68
	v_mul_f32_e32 v69, v94, v163
	v_sub_f32_e32 v42, v42, v68
	s_waitcnt lgkmcnt(0)
	v_mul_f32_e32 v68, v89, v107
	v_fmac_f32_e32 v69, v95, v162
	v_fma_f32 v68, v88, v106, -v68
	s_add_i32 s43, s42, s19
	v_mul_f32_e32 v83, v88, v107
	v_pk_add_f32 v[42:43], v[42:43], v[68:69] neg_lo:[0,1] neg_hi:[0,1]
	v_mov_b32_e32 v68, s43
	s_add_i32 s43, s42, s20
	v_fmac_f32_e32 v83, v89, v106
	ds_read2_b64 v[106:109], v68 offset1:1
	v_mov_b32_e32 v68, s43
	ds_read2_b64 v[76:79], v68 offset1:1
	scratch_load_dwordx2 v[88:89], off, off offset:80
	scratch_load_dwordx2 v[98:99], off, off offset:80
	scratch_load_dwordx4 v[148:151], off, off offset:136
	scratch_load_dwordx4 v[138:141], off, off offset:136
	;; [unrolled: 1-line block ×3, first 2 shown]
	s_waitcnt vmcnt(9) lgkmcnt(1)
	v_mul_f32_e32 v68, v109, v85
	v_fma_f32 v82, v108, v84, -v68
	v_mov_b32_e32 v103, v84
	s_waitcnt lgkmcnt(0)
	v_mov_b32_e32 v114, v79
	v_mov_b32_e32 v115, v108
	;; [unrolled: 1-line block ×3, first 2 shown]
	v_pk_add_f32 v[42:43], v[42:43], v[82:83] neg_lo:[0,1] neg_hi:[0,1]
	v_mov_b32_e32 v82, v78
	v_mov_b32_e32 v83, v109
	;; [unrolled: 1-line block ×3, first 2 shown]
	v_pk_mul_f32 v[84:85], v[114:115], v[84:85]
	v_mov_b32_e32 v95, v104
	v_mov_b32_e32 v111, v105
	v_pk_fma_f32 v[104:105], v[78:79], v[104:105], v[84:85] neg_lo:[0,0,1] neg_hi:[0,0,1]
	v_pk_fma_f32 v[82:83], v[82:83], v[102:103], v[84:85]
	s_add_i32 s43, s42, s21
	v_mov_b32_e32 v105, v83
	v_mov_b32_e32 v82, s43
	v_pk_add_f32 v[42:43], v[42:43], v[104:105] neg_lo:[0,1] neg_hi:[0,1]
	ds_read2_b64 v[102:105], v82 offset1:1
	s_add_i32 s43, s42, s22
	s_waitcnt vmcnt(8)
	v_mov_b32_e32 v94, v54
	v_mov_b32_e32 v108, v54
	;; [unrolled: 1-line block ×3, first 2 shown]
	ds_read2_b64 v[82:85], v54 offset1:1
	v_mov_b32_e32 v110, v55
	s_waitcnt lgkmcnt(1)
	v_mov_b32_e32 v124, v105
	v_mov_b32_e32 v125, v78
	;; [unrolled: 1-line block ×5, first 2 shown]
	v_pk_mul_f32 v[78:79], v[124:125], v[110:111]
	v_mov_b32_e32 v54, v131
	v_pk_fma_f32 v[110:111], v[104:105], v[108:109], v[78:79] neg_lo:[0,0,1] neg_hi:[0,0,1]
	v_pk_fma_f32 v[78:79], v[114:115], v[94:95], v[78:79]
	v_mov_b32_e32 v94, v105
	s_waitcnt lgkmcnt(0)
	v_mov_b32_e32 v95, v84
	v_pk_mul_f32 v[94:95], v[94:95], v[108:109]
	v_mov_b32_e32 v108, v85
	v_mov_b32_e32 v109, v104
	v_pk_fma_f32 v[104:105], v[108:109], v[54:55], v[94:95] op_sel:[0,0,1] op_sel_hi:[1,1,0] neg_lo:[1,0,0] neg_hi:[1,0,0]
	v_pk_fma_f32 v[54:55], v[108:109], v[54:55], v[94:95] op_sel:[0,0,1] op_sel_hi:[1,1,0]
	s_add_i32 s43, s42, s24
	v_mov_b32_e32 v54, s43
	ds_read2_b64 v[124:127], v54 offset1:1
	s_add_i32 s43, s42, s23
	v_mov_b32_e32 v111, v79
	v_mov_b32_e32 v94, v85
	;; [unrolled: 1-line block ×3, first 2 shown]
	v_pk_add_f32 v[42:43], v[42:43], v[110:111] neg_lo:[0,1] neg_hi:[0,1]
	ds_read2_b64 v[108:111], v85 offset1:1
	v_mov_b32_e32 v79, v132
	v_mov_b32_e32 v132, v131
	s_waitcnt lgkmcnt(1)
	v_mov_b32_e32 v85, v127
	v_mov_b32_e32 v78, v130
	;; [unrolled: 1-line block ×4, first 2 shown]
	v_pk_mul_f32 v[84:85], v[84:85], v[132:133]
	v_pk_add_f32 v[42:43], v[42:43], v[104:105] neg_lo:[0,1] neg_hi:[0,1]
	s_waitcnt vmcnt(5)
	v_mov_b32_e32 v55, v136
	v_mov_b32_e32 v136, v135
	v_pk_fma_f32 v[104:105], v[94:95], v[78:79], v[84:85] neg_lo:[0,0,1] neg_hi:[0,0,1]
	v_pk_fma_f32 v[78:79], v[94:95], v[78:79], v[84:85]
	v_mov_b32_e32 v84, v127
	s_waitcnt lgkmcnt(0)
	v_mov_b32_e32 v127, v111
	v_mov_b32_e32 v54, v134
	;; [unrolled: 1-line block ×3, first 2 shown]
	v_pk_mul_f32 v[94:95], v[126:127], v[136:137]
	v_pk_mov_b32 v[78:79], v[104:105], v[78:79] op_sel:[1,0]
	v_pk_fma_f32 v[104:105], v[84:85], v[54:55], v[94:95] neg_lo:[0,0,1] neg_hi:[0,0,1]
	v_pk_fma_f32 v[54:55], v[84:85], v[54:55], v[94:95]
	v_pk_add_f32 v[42:43], v[42:43], v[78:79] neg_lo:[0,1] neg_hi:[0,1]
	v_pk_mov_b32 v[54:55], v[104:105], v[54:55] op_sel:[1,0]
	s_add_i32 s43, s42, s26
	v_pk_add_f32 v[42:43], v[42:43], v[54:55] neg_lo:[0,1] neg_hi:[0,1]
	v_mov_b32_e32 v54, s43
	ds_read2_b64 v[132:135], v54 offset1:1
	s_add_i32 s43, s42, s25
	v_mov_b32_e32 v85, s43
	v_mov_b32_e32 v78, v116
	;; [unrolled: 1-line block ×4, first 2 shown]
	ds_read2_b64 v[114:117], v85 offset1:1
	v_mov_b32_e32 v84, v111
	s_waitcnt lgkmcnt(1)
	v_mov_b32_e32 v111, v135
	v_mov_b32_e32 v85, v134
	v_pk_mul_f32 v[104:105], v[110:111], v[118:119]
	v_mov_b32_e32 v55, v122
	v_mov_b32_e32 v122, v121
	v_pk_fma_f32 v[110:111], v[84:85], v[78:79], v[104:105] neg_lo:[0,0,1] neg_hi:[0,0,1]
	v_pk_fma_f32 v[78:79], v[84:85], v[78:79], v[104:105]
	v_mov_b32_e32 v84, v135
	s_waitcnt lgkmcnt(0)
	v_mov_b32_e32 v135, v117
	v_mov_b32_e32 v54, v120
	scratch_load_dwordx2 v[94:95], off, off offset:176
	v_mov_b32_e32 v85, v116
	v_pk_mul_f32 v[104:105], v[134:135], v[122:123]
	v_pk_mov_b32 v[78:79], v[110:111], v[78:79] op_sel:[1,0]
	v_pk_fma_f32 v[110:111], v[84:85], v[54:55], v[104:105] neg_lo:[0,0,1] neg_hi:[0,0,1]
	v_pk_fma_f32 v[54:55], v[84:85], v[54:55], v[104:105]
	v_pk_add_f32 v[42:43], v[42:43], v[78:79] neg_lo:[0,1] neg_hi:[0,1]
	v_pk_mov_b32 v[54:55], v[110:111], v[54:55] op_sel:[1,0]
	s_add_i32 s43, s42, s31
	v_pk_add_f32 v[42:43], v[42:43], v[54:55] neg_lo:[0,1] neg_hi:[0,1]
	v_mov_b32_e32 v54, s43
	ds_read2_b64 v[142:145], v54 offset1:1
	s_add_i32 s43, s42, s27
	v_mov_b32_e32 v85, s43
	ds_read2_b64 v[134:137], v85 offset1:1
	s_waitcnt vmcnt(3)
	v_mov_b32_e32 v79, v150
	v_mov_b32_e32 v150, v149
	;; [unrolled: 1-line block ×3, first 2 shown]
	s_waitcnt lgkmcnt(1)
	v_mov_b32_e32 v117, v145
	v_mov_b32_e32 v78, v148
	;; [unrolled: 1-line block ×3, first 2 shown]
	v_pk_mul_f32 v[110:111], v[116:117], v[150:151]
	s_waitcnt vmcnt(1)
	v_mov_b32_e32 v104, v157
	v_pk_fma_f32 v[116:117], v[84:85], v[78:79], v[110:111] neg_lo:[0,0,1] neg_hi:[0,0,1]
	v_pk_fma_f32 v[78:79], v[84:85], v[78:79], v[110:111]
	v_mov_b32_e32 v105, v159
	v_pk_mov_b32 v[78:79], v[116:117], v[78:79] op_sel:[1,0]
	v_mov_b32_e32 v54, v156
	v_pk_add_f32 v[42:43], v[42:43], v[78:79] neg_lo:[0,1] neg_hi:[0,1]
	v_mov_b32_e32 v78, v145
	s_waitcnt lgkmcnt(0)
	v_mov_b32_e32 v145, v137
	v_mov_b32_e32 v55, v158
	;; [unrolled: 1-line block ×3, first 2 shown]
	v_pk_mul_f32 v[84:85], v[144:145], v[104:105]
	s_add_i32 s43, s42, s33
	v_pk_fma_f32 v[104:105], v[78:79], v[54:55], v[84:85] neg_lo:[0,0,1] neg_hi:[0,0,1]
	v_pk_fma_f32 v[54:55], v[78:79], v[54:55], v[84:85]
	scratch_load_dwordx2 v[68:69], off, off offset:96
	v_pk_mov_b32 v[54:55], v[104:105], v[54:55] op_sel:[1,0]
	scratch_load_dwordx4 v[128:131], off, off offset:112
	v_pk_add_f32 v[42:43], v[42:43], v[54:55] neg_lo:[0,1] neg_hi:[0,1]
	v_mov_b32_e32 v55, s43
	ds_read2_b64 v[150:153], v55 offset1:1
	v_mul_f32_e32 v54, v137, v158
	v_fmac_f32_e32 v54, v136, v159
	s_add_i32 s43, s42, s34
	v_sub_f32_e32 v43, v43, v54
	v_mov_b32_e32 v54, s43
	ds_read2_b64 v[116:119], v54 offset1:1
	s_waitcnt lgkmcnt(1)
	v_mul_f32_e32 v54, v153, v41
	v_mul_f32_e32 v55, v152, v41
	v_fma_f32 v54, v152, v40, -v54
	v_fmac_f32_e32 v55, v153, v40
	scratch_load_dwordx2 v[40:41], off, off offset:24
	v_sub_f32_e32 v42, v42, v54
	s_waitcnt lgkmcnt(0)
	v_mul_f32_e32 v54, v119, v155
	v_fma_f32 v54, v118, v154, -v54
	s_add_i32 s43, s42, s35
	v_sub_f32_e32 v42, v42, v54
	v_mov_b32_e32 v54, s43
	ds_read2_b64 v[156:159], v54 offset1:1
	s_add_i32 s43, s42, s36
	v_sub_f32_e32 v43, v43, v55
	v_mul_f32_e32 v55, v118, v155
	v_mov_b32_e32 v54, s43
	v_fmac_f32_e32 v55, v119, v154
	ds_read2_b64 v[152:155], v54 offset1:1
	s_add_i32 s43, s42, s37
	scratch_load_dwordx4 v[146:149], off, off offset:144
	v_sub_f32_e32 v43, v43, v55
	scratch_load_dwordx2 v[78:79], off, off offset:176
	scratch_load_dwordx2 v[54:55], off, off offset:176
	v_mul_f32_e32 v118, v96, v25
	v_fmac_f32_e32 v118, v97, v24
	scratch_load_dwordx2 v[104:105], off, off offset:64
	s_lshl_b32 s45, s41, 9
	s_waitcnt vmcnt(7) lgkmcnt(1)
	v_mul_f32_e32 v84, v159, v95
	v_fma_f32 v84, v158, v94, -v84
	v_sub_f32_e32 v42, v42, v84
	s_waitcnt lgkmcnt(0)
	v_mul_f32_e32 v84, v155, v5
	v_fma_f32 v84, v154, v4, -v84
	v_sub_f32_e32 v42, v42, v84
	v_mov_b32_e32 v84, s43
	ds_read2_b64 v[162:165], v84 offset1:1
	s_add_i32 s43, s42, s38
	v_mul_f32_e32 v85, v158, v95
	v_mov_b32_e32 v84, s43
	v_fmac_f32_e32 v85, v159, v94
	ds_read2_b64 v[158:161], v84 offset1:1
	s_waitcnt lgkmcnt(1)
	v_mul_f32_e32 v84, v165, v9
	v_fma_f32 v84, v164, v8, -v84
	v_sub_f32_e32 v42, v42, v84
	v_sub_f32_e32 v43, v43, v85
	s_waitcnt lgkmcnt(0)
	v_mul_f32_e32 v84, v161, v13
	v_mul_f32_e32 v85, v154, v5
	v_fma_f32 v84, v160, v12, -v84
	s_add_i32 s43, s42, s39
	v_fmac_f32_e32 v85, v155, v4
	v_sub_f32_e32 v42, v42, v84
	v_mov_b32_e32 v84, s43
	v_sub_f32_e32 v43, v43, v85
	ds_read2_b64 v[194:197], v84 offset1:1
	v_mul_f32_e32 v85, v164, v9
	v_fmac_f32_e32 v85, v165, v8
	v_sub_f32_e32 v43, v43, v85
	v_mul_f32_e32 v85, v160, v13
	v_fmac_f32_e32 v85, v161, v12
	v_sub_f32_e32 v43, v43, v85
	v_mul_f32_e32 v85, v113, v187
	v_fma_f32 v94, v112, v186, -v85
	v_mul_f32_e32 v85, v101, v193
	v_fma_f32 v110, v100, v192, -v85
	s_waitcnt lgkmcnt(0)
	v_mul_f32_e32 v85, v196, v17
	v_fmac_f32_e32 v85, v197, v16
	v_sub_f32_e32 v43, v43, v85
	v_mul_f32_e32 v85, v97, v25
	v_fma_f32 v111, v96, v24, -v85
	v_mul_f32_e32 v95, v112, v187
	v_fmac_f32_e32 v95, v113, v186
	scratch_load_dwordx2 v[112:113], off, off offset:88
	s_add_i32 s43, s42, s40
	v_mov_b32_e32 v84, s43
	ds_read2_b64 v[198:201], v84 offset1:1
	v_mul_f32_e32 v84, v197, v17
	v_fma_f32 v84, v196, v16, -v84
	v_sub_f32_e32 v42, v42, v84
	s_add_i32 s43, s11, 0xffffc800
	s_waitcnt lgkmcnt(0)
	v_mul_f32_e32 v84, v201, v21
	v_mul_f32_e32 v100, v100, v193
	s_waitcnt vmcnt(5)
	v_mul_f32_e32 v24, v91, v41
	v_mul_f32_e32 v120, v90, v41
	v_fma_f32 v119, v90, v40, -v24
	v_fmac_f32_e32 v120, v91, v40
	scratch_load_dwordx2 v[90:91], off, off offset:56
	v_fma_f32 v84, v200, v20, -v84
	s_add_i32 s42, s42, s43
	v_fmac_f32_e32 v100, v101, v192
	v_mul_f32_e32 v101, v200, v21
	v_sub_f32_e32 v42, v42, v84
	v_mov_b32_e32 v84, s42
	v_fmac_f32_e32 v101, v201, v20
	ds_read2_b64 v[200:203], v84 offset1:1
	s_add_i32 s42, s30, 0xffffc518
	v_sub_f32_e32 v25, v43, v101
	v_mov_b32_e32 v24, s42
	ds_read_b64 v[96:97], v24
	s_waitcnt lgkmcnt(1)
	v_mul_f32_e32 v24, v203, v25
	v_mul_f32_e32 v25, v202, v25
	v_fma_f32 v24, v202, v42, -v24
	v_fmac_f32_e32 v25, v203, v42
	v_add_u32_e32 v40, s43, v1
	v_sub_f32_e32 v41, v169, v95
	ds_write_b64 v40, v[24:25]
	v_sub_f32_e32 v40, v168, v94
	v_sub_f32_e32 v94, v41, v100
	v_mul_f32_e32 v100, v75, v181
	v_sub_f32_e32 v94, v94, v118
	v_fma_f32 v100, v74, v180, -v100
	v_mul_f32_e32 v74, v74, v181
	v_sub_f32_e32 v40, v40, v110
	v_sub_f32_e32 v94, v94, v120
	v_fmac_f32_e32 v74, v75, v180
	v_sub_f32_e32 v95, v40, v111
	scratch_load_dwordx4 v[40:43], off, off offset:96
	scratch_load_dwordx2 v[110:111], off, off offset:88
	v_sub_f32_e32 v74, v94, v74
	v_mul_f32_e32 v94, v65, v183
	v_fma_f32 v94, v64, v182, -v94
	v_mul_f32_e32 v64, v64, v183
	v_sub_f32_e32 v95, v95, v119
	v_fmac_f32_e32 v64, v65, v182
	v_sub_f32_e32 v75, v95, v100
	v_sub_f32_e32 v64, v74, v64
	v_mul_f32_e32 v74, v81, v179
	v_sub_f32_e32 v65, v75, v94
	v_fma_f32 v74, v80, v178, -v74
	v_mul_f32_e32 v75, v80, v179
	v_sub_f32_e32 v65, v65, v74
	scratch_load_dwordx4 v[168:171], off, off offset:120
	v_fmac_f32_e32 v75, v81, v178
	v_sub_f32_e32 v64, v64, v75
	scratch_load_dwordx4 v[178:181], off, off offset:128
	v_mul_f32_e32 v75, v106, v89
	v_fmac_f32_e32 v75, v107, v88
	scratch_load_dwordx2 v[84:85], off, off offset:24
	v_mov_b32_e32 v81, v68
	scratch_load_dwordx2 v[94:95], off, off offset:56
	s_sub_i32 s42, s10, 31
	s_lshl_b32 s44, s42, 3
	scratch_load_dwordx2 v[100:101], off, off offset:64
	s_add_i32 s41, s44, s11
	s_add_i32 s12, s44, s12
	;; [unrolled: 1-line block ×3, first 2 shown]
	scratch_load_dwordx4 v[118:121], off, off offset:120
	s_addk_i32 s11, 0xc400
	s_waitcnt vmcnt(8)
	v_mul_f32_e32 v74, v67, v91
	v_fma_f32 v74, v66, v90, -v74
	v_mul_f32_e32 v66, v66, v91
	v_fmac_f32_e32 v66, v67, v90
	v_sub_f32_e32 v64, v64, v66
	v_mul_f32_e32 v66, v93, v105
	v_mul_f32_e32 v67, v92, v105
	v_sub_f32_e32 v65, v65, v74
	v_fma_f32 v66, v92, v104, -v66
	v_fmac_f32_e32 v67, v93, v104
	v_sub_f32_e32 v66, v65, v66
	v_sub_f32_e32 v65, v64, v67
	v_mul_f32_e32 v64, v87, v185
	v_fma_f32 v64, v86, v184, -v64
	v_mul_f32_e32 v67, v86, v185
	v_sub_f32_e32 v64, v66, v64
	v_mul_f32_e32 v66, v107, v89
	v_fmac_f32_e32 v67, v87, v184
	v_fma_f32 v66, v106, v88, -v66
	v_pk_add_f32 v[64:65], v[64:65], v[66:67] neg_lo:[0,1] neg_hi:[0,1]
	v_mul_f32_e32 v66, v77, v113
	v_fma_f32 v74, v76, v112, -v66
	v_pk_add_f32 v[74:75], v[64:65], v[74:75] neg_lo:[0,1] neg_hi:[0,1]
	scratch_load_dwordx4 v[64:67], off, off offset:152
	v_mov_b32_e32 v89, v112
	v_mov_b32_e32 v92, v103
	;; [unrolled: 1-line block ×7, first 2 shown]
	v_pk_mul_f32 v[76:77], v[92:93], v[112:113]
	s_waitcnt vmcnt(8)
	v_mov_b32_e32 v90, v43
	v_mov_b32_e32 v91, v69
	v_pk_fma_f32 v[68:69], v[102:103], v[68:69], v[76:77] neg_lo:[0,0,1] neg_hi:[0,0,1]
	v_pk_fma_f32 v[76:77], v[86:87], v[88:89], v[76:77]
	v_mov_b32_e32 v86, v83
	v_mov_b32_e32 v87, v102
	;; [unrolled: 1-line block ×6, first 2 shown]
	v_pk_mul_f32 v[86:87], v[86:87], v[90:91]
	v_pk_add_f32 v[68:69], v[74:75], v[68:69] neg_lo:[0,1] neg_hi:[0,1]
	v_mov_b32_e32 v74, v42
	v_mov_b32_e32 v75, v128
	v_pk_fma_f32 v[76:77], v[76:77], v[80:81], v[86:87]
	v_mov_b32_e32 v80, v83
	v_mov_b32_e32 v81, v124
	;; [unrolled: 1-line block ×3, first 2 shown]
	v_pk_fma_f32 v[88:89], v[82:83], v[74:75], v[86:87] neg_lo:[0,0,1] neg_hi:[0,0,1]
	v_pk_mul_f32 v[74:75], v[80:81], v[74:75]
	v_mov_b32_e32 v80, v125
	v_mov_b32_e32 v81, v82
	;; [unrolled: 1-line block ×5, first 2 shown]
	v_pk_fma_f32 v[82:83], v[80:81], v[42:43], v[74:75] op_sel:[0,0,1] op_sel_hi:[1,1,0] neg_lo:[1,0,0] neg_hi:[1,0,0]
	v_pk_fma_f32 v[42:43], v[80:81], v[42:43], v[74:75] op_sel:[0,0,1] op_sel_hi:[1,1,0]
	v_mov_b32_e32 v74, v125
	v_mov_b32_e32 v125, v109
	v_pk_add_f32 v[68:69], v[68:69], v[88:89] neg_lo:[0,1] neg_hi:[0,1]
	v_mov_b32_e32 v76, v128
	v_mov_b32_e32 v83, v43
	v_mov_b32_e32 v75, v108
	v_pk_mul_f32 v[80:81], v[124:125], v[130:131]
	v_pk_add_f32 v[42:43], v[68:69], v[82:83] neg_lo:[0,1] neg_hi:[0,1]
	s_waitcnt vmcnt(6)
	v_mov_b32_e32 v69, v170
	v_mov_b32_e32 v170, v169
	v_pk_fma_f32 v[82:83], v[74:75], v[76:77], v[80:81] neg_lo:[0,0,1] neg_hi:[0,0,1]
	v_pk_fma_f32 v[74:75], v[74:75], v[76:77], v[80:81]
	v_mov_b32_e32 v76, v109
	v_mov_b32_e32 v109, v133
	;; [unrolled: 1-line block ×3, first 2 shown]
	v_pk_mov_b32 v[74:75], v[82:83], v[74:75] op_sel:[1,0]
	v_mov_b32_e32 v77, v132
	v_pk_mul_f32 v[80:81], v[108:109], v[170:171]
	v_pk_add_f32 v[42:43], v[42:43], v[74:75] neg_lo:[0,1] neg_hi:[0,1]
	s_waitcnt vmcnt(5)
	v_mov_b32_e32 v75, v180
	v_mov_b32_e32 v180, v179
	v_pk_fma_f32 v[82:83], v[76:77], v[68:69], v[80:81] neg_lo:[0,0,1] neg_hi:[0,0,1]
	v_pk_fma_f32 v[68:69], v[76:77], v[68:69], v[80:81]
	v_mov_b32_e32 v76, v133
	v_mov_b32_e32 v133, v115
	;; [unrolled: 1-line block ×3, first 2 shown]
	v_pk_mov_b32 v[68:69], v[82:83], v[68:69] op_sel:[1,0]
	v_mov_b32_e32 v77, v114
	v_pk_mul_f32 v[80:81], v[132:133], v[180:181]
	v_pk_add_f32 v[42:43], v[42:43], v[68:69] neg_lo:[0,1] neg_hi:[0,1]
	v_mov_b32_e32 v69, v140
	v_mov_b32_e32 v140, v139
	v_pk_fma_f32 v[82:83], v[76:77], v[74:75], v[80:81] neg_lo:[0,0,1] neg_hi:[0,0,1]
	v_pk_fma_f32 v[74:75], v[76:77], v[74:75], v[80:81]
	v_mov_b32_e32 v76, v115
	v_mov_b32_e32 v115, v143
	;; [unrolled: 1-line block ×3, first 2 shown]
	v_pk_mov_b32 v[74:75], v[82:83], v[74:75] op_sel:[1,0]
	v_mov_b32_e32 v77, v142
	v_pk_mul_f32 v[80:81], v[114:115], v[140:141]
	v_pk_add_f32 v[42:43], v[42:43], v[74:75] neg_lo:[0,1] neg_hi:[0,1]
	v_mov_b32_e32 v75, v148
	v_mov_b32_e32 v148, v147
	v_pk_fma_f32 v[82:83], v[76:77], v[68:69], v[80:81] neg_lo:[0,0,1] neg_hi:[0,0,1]
	v_pk_fma_f32 v[68:69], v[76:77], v[68:69], v[80:81]
	v_mov_b32_e32 v76, v143
	v_mov_b32_e32 v143, v135
	;; [unrolled: 1-line block ×4, first 2 shown]
	v_pk_mul_f32 v[80:81], v[142:143], v[148:149]
	v_pk_mov_b32 v[68:69], v[82:83], v[68:69] op_sel:[1,0]
	v_pk_fma_f32 v[82:83], v[76:77], v[74:75], v[80:81] neg_lo:[0,0,1] neg_hi:[0,0,1]
	v_pk_fma_f32 v[74:75], v[76:77], v[74:75], v[80:81]
	v_pk_add_f32 v[42:43], v[42:43], v[68:69] neg_lo:[0,1] neg_hi:[0,1]
	v_pk_mov_b32 v[74:75], v[82:83], v[74:75] op_sel:[1,0]
	s_waitcnt vmcnt(0)
	v_mov_b32_e32 v68, v64
	v_mov_b32_e32 v64, v65
	;; [unrolled: 1-line block ×3, first 2 shown]
	v_pk_add_f32 v[42:43], v[42:43], v[74:75] neg_lo:[0,1] neg_hi:[0,1]
	v_mov_b32_e32 v74, v135
	v_mov_b32_e32 v135, v151
	;; [unrolled: 1-line block ×4, first 2 shown]
	v_pk_mul_f32 v[64:65], v[134:135], v[64:65]
	scratch_load_dwordx2 v[104:105], off, off offset:104
	v_pk_fma_f32 v[76:77], v[74:75], v[68:69], v[64:65] neg_lo:[0,0,1] neg_hi:[0,0,1]
	v_pk_fma_f32 v[64:65], v[74:75], v[68:69], v[64:65]
	scratch_load_dwordx4 v[124:127], off, off offset:128
	v_pk_mov_b32 v[64:65], v[76:77], v[64:65] op_sel:[1,0]
	scratch_load_dwordx4 v[132:135], off, off offset:136
	v_pk_add_f32 v[42:43], v[42:43], v[64:65] neg_lo:[0,1] neg_hi:[0,1]
	v_mul_f32_e32 v64, v151, v66
	v_fmac_f32_e32 v64, v150, v67
	v_sub_f32_e32 v43, v43, v64
	v_mul_f32_e32 v64, v117, v63
	v_mul_f32_e32 v63, v116, v63
	v_fmac_f32_e32 v63, v117, v62
	v_sub_f32_e32 v43, v43, v63
	v_mul_f32_e32 v63, v156, v79
	v_fma_f32 v64, v116, v62, -v64
	v_mul_f32_e32 v62, v157, v79
	v_fmac_f32_e32 v63, v157, v78
	v_sub_f32_e32 v42, v42, v64
	v_fma_f32 v62, v156, v78, -v62
	v_sub_f32_e32 v43, v43, v63
	v_mul_f32_e32 v63, v152, v5
	v_sub_f32_e32 v42, v42, v62
	v_mul_f32_e32 v62, v153, v5
	v_fmac_f32_e32 v63, v153, v4
	v_fma_f32 v62, v152, v4, -v62
	v_sub_f32_e32 v43, v43, v63
	v_mul_f32_e32 v63, v162, v9
	v_sub_f32_e32 v42, v42, v62
	v_mul_f32_e32 v62, v163, v9
	v_fmac_f32_e32 v63, v163, v8
	;; [unrolled: 6-line block ×6, first 2 shown]
	v_fma_f32 v62, v200, v24, -v62
	v_sub_f32_e32 v43, v43, v63
	v_sub_f32_e32 v62, v42, v62
	s_waitcnt lgkmcnt(1)
	v_mul_f32_e32 v42, v97, v43
	v_mul_f32_e32 v43, v96, v43
	v_fma_f32 v42, v96, v62, -v42
	v_fmac_f32_e32 v43, v97, v62
	v_add_u32_e32 v62, s45, v1
	ds_write_b64 v62, v[42:43]
	v_mov_b32_e32 v62, s41
	ds_read2_b64 v[74:77], v62 offset1:1
	v_mov_b32_e32 v62, s12
	ds_read2_b64 v[64:67], v62 offset1:1
	scratch_load_dwordx4 v[136:139], off, off offset:144
	scratch_load_dwordx4 v[144:147], off, off offset:152
	s_waitcnt lgkmcnt(1)
	v_mul_f32_e32 v62, v77, v177
	v_fma_f32 v62, v76, v176, -v62
	s_waitcnt lgkmcnt(0)
	v_mul_f32_e32 v68, v67, v61
	v_sub_f32_e32 v62, v166, v62
	v_fma_f32 v68, v66, v60, -v68
	v_mul_f32_e32 v61, v66, v61
	v_mul_f32_e32 v63, v76, v177
	v_fmac_f32_e32 v61, v67, v60
	v_sub_f32_e32 v60, v62, v68
	v_mov_b32_e32 v62, s4
	v_fmac_f32_e32 v63, v77, v176
	ds_read2_b64 v[76:79], v62 offset1:1
	s_add_i32 s4, s44, s5
	v_mov_b32_e32 v62, s4
	ds_read2_b64 v[66:69], v62 offset1:1
	v_sub_f32_e32 v63, v167, v63
	v_sub_f32_e32 v61, v63, v61
	s_waitcnt lgkmcnt(1)
	v_mul_f32_e32 v63, v78, v189
	v_mul_f32_e32 v62, v79, v189
	v_fmac_f32_e32 v63, v79, v188
	v_fma_f32 v62, v78, v188, -v62
	v_sub_f32_e32 v78, v61, v63
	s_waitcnt lgkmcnt(0)
	v_mul_f32_e32 v61, v69, v85
	v_mul_f32_e32 v79, v68, v85
	v_fma_f32 v61, v68, v84, -v61
	v_fmac_f32_e32 v79, v69, v84
	scratch_load_dwordx2 v[68:69], off, off offset:96
	v_sub_f32_e32 v60, v60, v62
	v_sub_f32_e32 v86, v60, v61
	scratch_load_dwordx4 v[60:63], off, off offset:104
	s_add_i32 s4, s44, s13
	v_mov_b32_e32 v80, s4
	ds_read2_b64 v[82:85], v80 offset1:1
	s_add_i32 s4, s44, s14
	v_sub_f32_e32 v87, v78, v79
	v_mov_b32_e32 v78, s4
	ds_read2_b64 v[78:81], v78 offset1:1
	s_waitcnt lgkmcnt(1)
	v_mul_f32_e32 v88, v85, v191
	v_fma_f32 v88, v84, v190, -v88
	v_mul_f32_e32 v84, v84, v191
	v_fmac_f32_e32 v84, v85, v190
	v_sub_f32_e32 v85, v86, v88
	s_waitcnt lgkmcnt(0)
	v_mul_f32_e32 v86, v81, v47
	s_add_i32 s4, s44, s15
	v_fma_f32 v86, v80, v46, -v86
	v_mul_f32_e32 v47, v80, v47
	v_mov_b32_e32 v80, s4
	ds_read2_b64 v[88:91], v80 offset1:1
	s_add_i32 s4, s44, s16
	v_sub_f32_e32 v84, v87, v84
	v_fmac_f32_e32 v47, v81, v46
	v_mov_b32_e32 v80, s4
	v_sub_f32_e32 v46, v85, v86
	v_sub_f32_e32 v47, v84, v47
	ds_read2_b64 v[84:87], v80 offset1:1
	scratch_load_dwordx4 v[148:151], off, off offset:160
	s_waitcnt lgkmcnt(1)
	v_mul_f32_e32 v80, v91, v173
	v_fma_f32 v80, v90, v172, -v80
	v_mul_f32_e32 v81, v90, v173
	v_sub_f32_e32 v46, v46, v80
	s_waitcnt lgkmcnt(0)
	v_mul_f32_e32 v80, v87, v95
	v_fmac_f32_e32 v81, v91, v172
	v_fma_f32 v80, v86, v94, -v80
	s_add_i32 s4, s44, s17
	v_sub_f32_e32 v47, v47, v81
	v_mul_f32_e32 v81, v86, v95
	v_sub_f32_e32 v46, v46, v80
	v_mov_b32_e32 v80, s4
	v_fmac_f32_e32 v81, v87, v94
	ds_read2_b64 v[94:97], v80 offset1:1
	s_add_i32 s4, s44, s18
	v_mov_b32_e32 v80, s4
	ds_read2_b64 v[90:93], v80 offset1:1
	s_add_i32 s4, s44, s19
	s_waitcnt lgkmcnt(1)
	v_mul_f32_e32 v80, v97, v101
	v_fma_f32 v80, v96, v100, -v80
	v_sub_f32_e32 v46, v46, v80
	s_waitcnt lgkmcnt(0)
	v_mul_f32_e32 v80, v93, v29
	v_fma_f32 v80, v92, v28, -v80
	v_mul_f32_e32 v29, v92, v29
	v_fmac_f32_e32 v29, v93, v28
	v_sub_f32_e32 v28, v46, v80
	v_mov_b32_e32 v46, s4
	ds_read2_b64 v[106:109], v46 offset1:1
	s_add_i32 s4, s44, s20
	v_sub_f32_e32 v47, v47, v81
	v_mul_f32_e32 v81, v96, v101
	v_mov_b32_e32 v46, s4
	v_fmac_f32_e32 v81, v97, v100
	ds_read2_b64 v[100:103], v46 offset1:1
	s_waitcnt lgkmcnt(1)
	v_mul_f32_e32 v46, v109, v99
	v_sub_f32_e32 v47, v47, v81
	v_fma_f32 v46, v108, v98, -v46
	v_sub_f32_e32 v29, v47, v29
	v_mul_f32_e32 v47, v108, v99
	v_sub_f32_e32 v28, v28, v46
	s_waitcnt lgkmcnt(0)
	v_mul_f32_e32 v46, v103, v111
	s_add_i32 s4, s44, s21
	v_fmac_f32_e32 v47, v109, v98
	v_fma_f32 v46, v102, v110, -v46
	v_mul_f32_e32 v81, v102, v111
	v_mov_b32_e32 v80, s4
	s_add_i32 s4, s44, s22
	v_fmac_f32_e32 v81, v103, v110
	ds_read2_b64 v[108:111], v80 offset1:1
	v_pk_add_f32 v[28:29], v[28:29], v[46:47] neg_lo:[0,1] neg_hi:[0,1]
	v_mov_b32_e32 v46, s4
	ds_read2_b64 v[96:99], v46 offset1:1
	s_waitcnt vmcnt(2)
	v_mov_b32_e32 v87, v68
	s_waitcnt lgkmcnt(1)
	v_mul_f32_e32 v46, v111, v69
	v_fma_f32 v80, v110, v68, -v46
	v_mov_b32_e32 v103, v110
	s_waitcnt lgkmcnt(0)
	v_mov_b32_e32 v102, v99
	v_mov_b32_e32 v68, v105
	v_pk_add_f32 v[28:29], v[28:29], v[80:81] neg_lo:[0,1] neg_hi:[0,1]
	v_mov_b32_e32 v80, v98
	v_mov_b32_e32 v81, v111
	;; [unrolled: 1-line block ×3, first 2 shown]
	v_pk_mul_f32 v[68:69], v[102:103], v[68:69]
	s_add_i32 s4, s44, s24
	v_pk_fma_f32 v[102:103], v[98:99], v[104:105], v[68:69] neg_lo:[0,0,1] neg_hi:[0,0,1]
	v_pk_fma_f32 v[68:69], v[80:81], v[86:87], v[68:69]
	s_waitcnt vmcnt(1)
	v_mov_b32_e32 v46, v62
	v_mov_b32_e32 v68, s4
	ds_read2_b64 v[110:113], v68 offset1:1
	s_add_i32 s4, s44, s23
	v_mov_b32_e32 v103, v69
	v_mov_b32_e32 v68, v62
	;; [unrolled: 1-line block ×5, first 2 shown]
	v_pk_add_f32 v[28:29], v[28:29], v[102:103] neg_lo:[0,1] neg_hi:[0,1]
	ds_read2_b64 v[102:105], v62 offset1:1
	v_mov_b32_e32 v92, v63
	s_waitcnt lgkmcnt(1)
	v_mov_b32_e32 v86, v113
	v_mov_b32_e32 v87, v98
	;; [unrolled: 1-line block ×4, first 2 shown]
	v_pk_mul_f32 v[86:87], v[86:87], v[92:93]
	v_mov_b32_e32 v69, v118
	v_pk_fma_f32 v[46:47], v[80:81], v[46:47], v[86:87]
	v_mov_b32_e32 v80, v113
	s_waitcnt lgkmcnt(0)
	v_mov_b32_e32 v81, v104
	v_mov_b32_e32 v62, v119
	v_pk_fma_f32 v[92:93], v[112:113], v[68:69], v[86:87] neg_lo:[0,0,1] neg_hi:[0,0,1]
	v_pk_mul_f32 v[68:69], v[80:81], v[68:69]
	v_mov_b32_e32 v80, v105
	v_mov_b32_e32 v81, v112
	v_pk_fma_f32 v[86:87], v[80:81], v[62:63], v[68:69] op_sel:[0,0,1] op_sel_hi:[1,1,0] neg_lo:[1,0,0] neg_hi:[1,0,0]
	v_pk_fma_f32 v[62:63], v[80:81], v[62:63], v[68:69] op_sel:[0,0,1] op_sel_hi:[1,1,0]
	s_add_i32 s4, s44, s26
	v_mov_b32_e32 v62, s4
	v_mov_b32_e32 v93, v47
	;; [unrolled: 1-line block ×5, first 2 shown]
	ds_read2_b64 v[116:119], v62 offset1:1
	s_add_i32 s4, s44, s25
	v_mov_b32_e32 v69, s4
	ds_read2_b64 v[112:115], v69 offset1:1
	v_mov_b32_e32 v68, v105
	s_waitcnt lgkmcnt(1)
	v_mov_b32_e32 v105, v119
	v_pk_add_f32 v[28:29], v[28:29], v[92:93] neg_lo:[0,1] neg_hi:[0,1]
	v_mov_b32_e32 v87, v63
	v_mov_b32_e32 v69, v118
	v_pk_mul_f32 v[80:81], v[104:105], v[120:121]
	v_pk_add_f32 v[28:29], v[28:29], v[86:87] neg_lo:[0,1] neg_hi:[0,1]
	v_mov_b32_e32 v63, v126
	v_mov_b32_e32 v126, v125
	v_pk_fma_f32 v[86:87], v[68:69], v[46:47], v[80:81] neg_lo:[0,0,1] neg_hi:[0,0,1]
	v_pk_fma_f32 v[46:47], v[68:69], v[46:47], v[80:81]
	v_mov_b32_e32 v68, v119
	s_waitcnt lgkmcnt(0)
	v_mov_b32_e32 v119, v115
	v_mov_b32_e32 v62, v124
	;; [unrolled: 1-line block ×3, first 2 shown]
	v_pk_mul_f32 v[80:81], v[118:119], v[126:127]
	v_pk_mov_b32 v[46:47], v[86:87], v[46:47] op_sel:[1,0]
	v_pk_fma_f32 v[86:87], v[68:69], v[62:63], v[80:81] neg_lo:[0,0,1] neg_hi:[0,0,1]
	v_pk_fma_f32 v[62:63], v[68:69], v[62:63], v[80:81]
	v_pk_add_f32 v[28:29], v[28:29], v[46:47] neg_lo:[0,1] neg_hi:[0,1]
	v_pk_mov_b32 v[62:63], v[86:87], v[62:63] op_sel:[1,0]
	s_add_i32 s4, s44, s31
	v_pk_add_f32 v[28:29], v[28:29], v[62:63] neg_lo:[0,1] neg_hi:[0,1]
	v_mov_b32_e32 v62, s4
	ds_read2_b64 v[126:129], v62 offset1:1
	s_add_i32 s4, s44, s27
	v_mov_b32_e32 v69, s4
	ds_read2_b64 v[118:121], v69 offset1:1
	v_mov_b32_e32 v47, v134
	v_mov_b32_e32 v134, v133
	;; [unrolled: 1-line block ×3, first 2 shown]
	s_waitcnt lgkmcnt(1)
	v_mov_b32_e32 v115, v129
	v_mov_b32_e32 v46, v132
	v_mov_b32_e32 v69, v128
	v_pk_mul_f32 v[80:81], v[114:115], v[134:135]
	v_mov_b32_e32 v63, v138
	v_mov_b32_e32 v138, v137
	v_pk_fma_f32 v[86:87], v[68:69], v[46:47], v[80:81] neg_lo:[0,0,1] neg_hi:[0,0,1]
	v_pk_fma_f32 v[46:47], v[68:69], v[46:47], v[80:81]
	v_mov_b32_e32 v68, v129
	s_waitcnt lgkmcnt(0)
	v_mov_b32_e32 v129, v121
	v_mov_b32_e32 v62, v136
	;; [unrolled: 1-line block ×3, first 2 shown]
	v_pk_mul_f32 v[80:81], v[128:129], v[138:139]
	v_pk_mov_b32 v[46:47], v[86:87], v[46:47] op_sel:[1,0]
	v_pk_fma_f32 v[86:87], v[68:69], v[62:63], v[80:81] neg_lo:[0,0,1] neg_hi:[0,0,1]
	v_pk_fma_f32 v[62:63], v[68:69], v[62:63], v[80:81]
	v_pk_add_f32 v[28:29], v[28:29], v[46:47] neg_lo:[0,1] neg_hi:[0,1]
	v_pk_mov_b32 v[62:63], v[86:87], v[62:63] op_sel:[1,0]
	s_add_i32 s4, s44, s33
	v_pk_add_f32 v[28:29], v[28:29], v[62:63] neg_lo:[0,1] neg_hi:[0,1]
	v_mov_b32_e32 v62, s4
	ds_read2_b64 v[138:141], v62 offset1:1
	s_add_i32 s4, s44, s34
	v_mov_b32_e32 v69, s4
	ds_read2_b64 v[134:137], v69 offset1:1
	v_mov_b32_e32 v47, v146
	v_mov_b32_e32 v146, v145
	;; [unrolled: 1-line block ×3, first 2 shown]
	s_waitcnt lgkmcnt(1)
	v_mov_b32_e32 v121, v141
	v_mov_b32_e32 v46, v144
	;; [unrolled: 1-line block ×3, first 2 shown]
	v_pk_mul_f32 v[86:87], v[120:121], v[146:147]
	s_waitcnt vmcnt(0)
	v_mov_b32_e32 v80, v149
	v_pk_fma_f32 v[92:93], v[68:69], v[46:47], v[86:87] neg_lo:[0,0,1] neg_hi:[0,0,1]
	v_pk_fma_f32 v[46:47], v[68:69], v[46:47], v[86:87]
	v_mov_b32_e32 v81, v151
	v_pk_mov_b32 v[46:47], v[92:93], v[46:47] op_sel:[1,0]
	v_mov_b32_e32 v62, v148
	v_pk_add_f32 v[28:29], v[28:29], v[46:47] neg_lo:[0,1] neg_hi:[0,1]
	v_mov_b32_e32 v46, v141
	s_waitcnt lgkmcnt(0)
	v_mov_b32_e32 v141, v137
	v_mov_b32_e32 v63, v150
	;; [unrolled: 1-line block ×3, first 2 shown]
	v_pk_mul_f32 v[68:69], v[140:141], v[80:81]
	s_add_i32 s4, s44, s35
	v_pk_fma_f32 v[80:81], v[46:47], v[62:63], v[68:69] neg_lo:[0,0,1] neg_hi:[0,0,1]
	v_pk_fma_f32 v[46:47], v[46:47], v[62:63], v[68:69]
	scratch_load_dwordx4 v[122:125], off, off offset:136
	v_pk_mov_b32 v[46:47], v[80:81], v[46:47] op_sel:[1,0]
	scratch_load_dwordx4 v[130:133], off, off offset:144
	v_pk_add_f32 v[28:29], v[28:29], v[46:47] neg_lo:[0,1] neg_hi:[0,1]
	v_mul_f32_e32 v46, v137, v150
	v_mov_b32_e32 v47, s4
	v_fmac_f32_e32 v46, v136, v151
	ds_read2_b64 v[150:153], v47 offset1:1
	s_add_i32 s4, s44, s36
	v_sub_f32_e32 v29, v29, v46
	v_mov_b32_e32 v46, s4
	ds_read2_b64 v[146:149], v46 offset1:1
	s_waitcnt lgkmcnt(1)
	v_mul_f32_e32 v46, v153, v55
	v_fma_f32 v46, v152, v54, -v46
	scratch_load_dwordx4 v[142:145], off, off offset:160
	v_sub_f32_e32 v28, v28, v46
	s_waitcnt lgkmcnt(0)
	v_mul_f32_e32 v46, v149, v5
	v_fma_f32 v46, v148, v4, -v46
	s_add_i32 s4, s44, s37
	v_sub_f32_e32 v28, v28, v46
	v_mov_b32_e32 v46, s4
	ds_read2_b64 v[156:159], v46 offset1:1
	s_add_i32 s4, s44, s38
	v_mul_f32_e32 v47, v152, v55
	v_mov_b32_e32 v46, s4
	v_fmac_f32_e32 v47, v153, v54
	ds_read2_b64 v[152:155], v46 offset1:1
	s_waitcnt lgkmcnt(1)
	v_mul_f32_e32 v46, v159, v9
	v_fma_f32 v46, v158, v8, -v46
	v_sub_f32_e32 v28, v28, v46
	s_add_i32 s4, s44, s39
	s_waitcnt lgkmcnt(0)
	v_mul_f32_e32 v46, v155, v13
	v_fma_f32 v46, v154, v12, -v46
	v_sub_f32_e32 v29, v29, v47
	v_mul_f32_e32 v47, v148, v5
	v_sub_f32_e32 v28, v28, v46
	v_mov_b32_e32 v46, s4
	v_fmac_f32_e32 v47, v149, v4
	ds_read2_b64 v[162:165], v46 offset1:1
	s_add_i32 s4, s44, s40
	v_sub_f32_e32 v29, v29, v47
	v_mul_f32_e32 v47, v158, v9
	v_mov_b32_e32 v46, s4
	v_fmac_f32_e32 v47, v159, v8
	ds_read2_b64 v[158:161], v46 offset1:1
	s_waitcnt lgkmcnt(1)
	v_mul_f32_e32 v46, v165, v17
	v_fma_f32 v46, v164, v16, -v46
	v_sub_f32_e32 v28, v28, v46
	s_add_i32 s4, s44, s43
	s_waitcnt lgkmcnt(0)
	v_mul_f32_e32 v46, v161, v21
	v_fma_f32 v46, v160, v20, -v46
	v_sub_f32_e32 v29, v29, v47
	v_mul_f32_e32 v47, v154, v13
	v_sub_f32_e32 v28, v28, v46
	v_mov_b32_e32 v46, s4
	v_fmac_f32_e32 v47, v155, v12
	ds_read2_b64 v[168:171], v46 offset1:1
	s_add_i32 s4, s44, s45
	v_sub_f32_e32 v29, v29, v47
	v_mul_f32_e32 v47, v164, v17
	v_mov_b32_e32 v46, s4
	v_fmac_f32_e32 v47, v165, v16
	ds_read2_b64 v[164:167], v46 offset1:1
	s_waitcnt lgkmcnt(1)
	v_mul_f32_e32 v46, v171, v25
	v_fma_f32 v46, v170, v24, -v46
	v_sub_f32_e32 v29, v29, v47
	v_mul_f32_e32 v47, v160, v21
	v_sub_f32_e32 v28, v28, v46
	s_waitcnt lgkmcnt(0)
	v_mul_f32_e32 v46, v167, v43
	v_fmac_f32_e32 v47, v161, v20
	v_fma_f32 v46, v166, v42, -v46
	s_add_i32 s4, s44, s11
	v_sub_f32_e32 v29, v29, v47
	v_mul_f32_e32 v47, v170, v25
	v_sub_f32_e32 v54, v28, v46
	v_mov_b32_e32 v28, s4
	v_fmac_f32_e32 v47, v171, v24
	ds_read2_b64 v[170:173], v28 offset1:1
	v_sub_f32_e32 v29, v29, v47
	v_mul_f32_e32 v47, v166, v43
	v_fmac_f32_e32 v47, v167, v42
	v_sub_f32_e32 v47, v29, v47
	s_waitcnt lgkmcnt(0)
	v_mul_f32_e32 v46, v173, v47
	v_mul_f32_e32 v47, v172, v47
	v_fma_f32 v46, v172, v54, -v46
	v_fmac_f32_e32 v47, v173, v54
	v_add_u32_e32 v54, s11, v1
	ds_write_b64 v54, v[46:47]
	v_mul_f32_e32 v54, v75, v3
	v_fma_f32 v54, v74, v2, -v54
	v_mul_f32_e32 v3, v74, v3
	v_fmac_f32_e32 v3, v75, v2
	v_sub_f32_e32 v2, v174, v54
	v_mul_f32_e32 v54, v65, v19
	v_mul_f32_e32 v19, v64, v19
	v_fma_f32 v54, v64, v18, -v54
	v_fmac_f32_e32 v19, v65, v18
	v_mul_f32_e32 v18, v77, v31
	v_sub_f32_e32 v3, v175, v3
	v_sub_f32_e32 v2, v2, v54
	v_fma_f32 v18, v76, v30, -v18
	v_sub_f32_e32 v3, v3, v19
	v_mul_f32_e32 v19, v76, v31
	v_sub_f32_e32 v2, v2, v18
	v_mul_f32_e32 v18, v67, v27
	v_fmac_f32_e32 v19, v77, v30
	v_fma_f32 v18, v66, v26, -v18
	v_sub_f32_e32 v3, v3, v19
	v_mul_f32_e32 v19, v66, v27
	v_sub_f32_e32 v2, v2, v18
	v_mul_f32_e32 v18, v83, v7
	v_mul_f32_e32 v7, v82, v7
	v_fmac_f32_e32 v19, v67, v26
	v_fma_f32 v18, v82, v6, -v18
	v_fmac_f32_e32 v7, v83, v6
	v_mul_f32_e32 v6, v79, v23
	v_sub_f32_e32 v3, v3, v19
	v_sub_f32_e32 v2, v2, v18
	v_fma_f32 v6, v78, v22, -v6
	v_sub_f32_e32 v3, v3, v7
	v_mul_f32_e32 v7, v78, v23
	v_sub_f32_e32 v2, v2, v6
	v_mul_f32_e32 v6, v89, v15
	v_fmac_f32_e32 v7, v79, v22
	v_fma_f32 v6, v88, v14, -v6
	v_sub_f32_e32 v3, v3, v7
	v_mul_f32_e32 v7, v88, v15
	v_sub_f32_e32 v2, v2, v6
	v_mul_f32_e32 v6, v85, v11
	v_fmac_f32_e32 v7, v89, v14
	;; [unrolled: 6-line block ×7, first 2 shown]
	v_fma_f32 v6, v108, v40, -v6
	v_mul_f32_e32 v11, v108, v41
	v_pk_add_f32 v[2:3], v[2:3], v[6:7] neg_lo:[0,1] neg_hi:[0,1]
	v_mul_f32_e32 v6, v97, v61
	v_fmac_f32_e32 v11, v109, v40
	v_fma_f32 v10, v96, v60, -v6
	v_mov_b32_e32 v15, v60
	v_mov_b32_e32 v22, v111
	;; [unrolled: 1-line block ×4, first 2 shown]
	v_pk_add_f32 v[2:3], v[2:3], v[10:11] neg_lo:[0,1] neg_hi:[0,1]
	v_mov_b32_e32 v10, v110
	v_mov_b32_e32 v11, v97
	;; [unrolled: 1-line block ×3, first 2 shown]
	v_pk_mul_f32 v[22:23], v[22:23], v[60:61]
	v_mov_b32_e32 v18, v49
	v_mov_b32_e32 v19, v45
	v_pk_fma_f32 v[26:27], v[110:111], v[44:45], v[22:23] neg_lo:[0,0,1] neg_hi:[0,0,1]
	v_pk_fma_f32 v[10:11], v[10:11], v[14:15], v[22:23]
	v_mov_b32_e32 v22, v103
	v_mov_b32_e32 v23, v110
	;; [unrolled: 1-line block ×6, first 2 shown]
	v_pk_mul_f32 v[18:19], v[22:23], v[18:19]
	v_mov_b32_e32 v27, v11
	v_mov_b32_e32 v10, v48
	;; [unrolled: 1-line block ×3, first 2 shown]
	v_pk_fma_f32 v[6:7], v[14:15], v[6:7], v[18:19]
	v_mov_b32_e32 v14, v103
	v_mov_b32_e32 v15, v116
	;; [unrolled: 1-line block ×3, first 2 shown]
	v_pk_fma_f32 v[22:23], v[102:103], v[10:11], v[18:19] neg_lo:[0,0,1] neg_hi:[0,0,1]
	v_pk_mul_f32 v[10:11], v[14:15], v[10:11]
	v_mov_b32_e32 v14, v117
	v_mov_b32_e32 v15, v102
	v_pk_add_f32 v[2:3], v[2:3], v[26:27] neg_lo:[0,1] neg_hi:[0,1]
	v_mov_b32_e32 v23, v7
	v_pk_fma_f32 v[18:19], v[14:15], v[48:49], v[10:11] op_sel:[0,0,1] op_sel_hi:[1,1,0] neg_lo:[1,0,0] neg_hi:[1,0,0]
	v_pk_fma_f32 v[10:11], v[14:15], v[48:49], v[10:11] op_sel:[0,0,1] op_sel_hi:[1,1,0]
	v_pk_add_f32 v[2:3], v[2:3], v[22:23] neg_lo:[0,1] neg_hi:[0,1]
	v_mov_b32_e32 v7, v72
	v_mov_b32_e32 v72, v71
	v_mov_b32_e32 v19, v11
	v_mov_b32_e32 v117, v113
	v_mov_b32_e32 v6, v70
	v_pk_add_f32 v[2:3], v[2:3], v[18:19] neg_lo:[0,1] neg_hi:[0,1]
	v_mov_b32_e32 v15, v112
	v_pk_mul_f32 v[18:19], v[116:117], v[72:73]
	s_waitcnt vmcnt(2)
	v_mov_b32_e32 v11, v124
	v_mov_b32_e32 v124, v123
	v_pk_fma_f32 v[22:23], v[14:15], v[6:7], v[18:19] neg_lo:[0,0,1] neg_hi:[0,0,1]
	v_pk_fma_f32 v[6:7], v[14:15], v[6:7], v[18:19]
	v_mov_b32_e32 v14, v113
	v_mov_b32_e32 v113, v127
	;; [unrolled: 1-line block ×3, first 2 shown]
	v_pk_mov_b32 v[6:7], v[22:23], v[6:7] op_sel:[1,0]
	v_mov_b32_e32 v15, v126
	v_pk_mul_f32 v[18:19], v[112:113], v[124:125]
	v_pk_add_f32 v[2:3], v[2:3], v[6:7] neg_lo:[0,1] neg_hi:[0,1]
	s_waitcnt vmcnt(1)
	v_mov_b32_e32 v7, v132
	v_mov_b32_e32 v132, v131
	v_pk_fma_f32 v[22:23], v[14:15], v[10:11], v[18:19] neg_lo:[0,0,1] neg_hi:[0,0,1]
	v_pk_fma_f32 v[10:11], v[14:15], v[10:11], v[18:19]
	v_mov_b32_e32 v14, v127
	v_mov_b32_e32 v127, v119
	;; [unrolled: 1-line block ×3, first 2 shown]
	v_pk_mov_b32 v[10:11], v[22:23], v[10:11] op_sel:[1,0]
	v_mov_b32_e32 v15, v118
	v_pk_mul_f32 v[18:19], v[126:127], v[132:133]
	v_pk_add_f32 v[2:3], v[2:3], v[10:11] neg_lo:[0,1] neg_hi:[0,1]
	v_mov_b32_e32 v11, v34
	v_mov_b32_e32 v34, v33
	v_pk_fma_f32 v[22:23], v[14:15], v[6:7], v[18:19] neg_lo:[0,0,1] neg_hi:[0,0,1]
	v_pk_fma_f32 v[6:7], v[14:15], v[6:7], v[18:19]
	v_mov_b32_e32 v14, v119
	v_mov_b32_e32 v119, v139
	;; [unrolled: 1-line block ×3, first 2 shown]
	v_pk_mov_b32 v[6:7], v[22:23], v[6:7] op_sel:[1,0]
	v_mov_b32_e32 v15, v138
	v_pk_mul_f32 v[18:19], v[118:119], v[34:35]
	v_pk_add_f32 v[2:3], v[2:3], v[6:7] neg_lo:[0,1] neg_hi:[0,1]
	s_waitcnt vmcnt(0)
	v_mov_b32_e32 v7, v144
	v_mov_b32_e32 v144, v143
	v_pk_fma_f32 v[22:23], v[14:15], v[10:11], v[18:19] neg_lo:[0,0,1] neg_hi:[0,0,1]
	v_pk_fma_f32 v[10:11], v[14:15], v[10:11], v[18:19]
	v_mov_b32_e32 v14, v139
	v_mov_b32_e32 v139, v135
	;; [unrolled: 1-line block ×3, first 2 shown]
	v_pk_mov_b32 v[10:11], v[22:23], v[10:11] op_sel:[1,0]
	v_mov_b32_e32 v15, v134
	v_pk_mul_f32 v[22:23], v[138:139], v[144:145]
	v_pk_add_f32 v[2:3], v[2:3], v[10:11] neg_lo:[0,1] neg_hi:[0,1]
	v_pk_fma_f32 v[26:27], v[14:15], v[6:7], v[22:23] neg_lo:[0,0,1] neg_hi:[0,0,1]
	v_pk_fma_f32 v[6:7], v[14:15], v[6:7], v[22:23]
	v_mov_b32_e32 v18, v37
	v_pk_mov_b32 v[6:7], v[26:27], v[6:7] op_sel:[1,0]
	v_mov_b32_e32 v19, v39
	v_pk_add_f32 v[2:3], v[2:3], v[6:7] neg_lo:[0,1] neg_hi:[0,1]
	v_mov_b32_e32 v6, v135
	v_mov_b32_e32 v135, v151
	v_mov_b32_e32 v10, v36
	v_mov_b32_e32 v11, v38
	v_mov_b32_e32 v7, v150
	v_pk_mul_f32 v[14:15], v[134:135], v[18:19]
	s_add_i32 s4, s30, 0xffffc108
	v_pk_fma_f32 v[18:19], v[6:7], v[10:11], v[14:15] neg_lo:[0,0,1] neg_hi:[0,0,1]
	v_pk_fma_f32 v[6:7], v[6:7], v[10:11], v[14:15]
	v_mov_b32_e32 v10, v39
	v_pk_mov_b32 v[6:7], v[18:19], v[6:7] op_sel:[1,0]
	v_mov_b32_e32 v11, v5
	v_pk_add_f32 v[2:3], v[2:3], v[6:7] neg_lo:[0,1] neg_hi:[0,1]
	v_mov_b32_e32 v6, v150
	v_mov_b32_e32 v7, v146
	v_pk_mul_f32 v[6:7], v[6:7], v[10:11]
	v_mov_b32_e32 v10, v151
	v_mov_b32_e32 v11, v147
	;; [unrolled: 1-line block ×3, first 2 shown]
	v_mul_f32_e32 v5, v147, v5
	v_pk_fma_f32 v[6:7], v[10:11], v[38:39], v[6:7]
	v_fma_f32 v4, v146, v4, -v5
	v_sub_f32_e32 v2, v2, v4
	v_sub_f32_e32 v3, v3, v6
	v_mul_f32_e32 v4, v157, v9
	v_mul_f32_e32 v5, v156, v9
	v_sub_f32_e32 v3, v3, v7
	v_fma_f32 v4, v156, v8, -v4
	v_fmac_f32_e32 v5, v157, v8
	v_sub_f32_e32 v2, v2, v4
	v_sub_f32_e32 v3, v3, v5
	v_mul_f32_e32 v4, v153, v13
	v_mul_f32_e32 v5, v152, v13
	v_fma_f32 v4, v152, v12, -v4
	v_fmac_f32_e32 v5, v153, v12
	v_sub_f32_e32 v2, v2, v4
	v_sub_f32_e32 v3, v3, v5
	v_mul_f32_e32 v4, v163, v17
	v_mul_f32_e32 v5, v162, v17
	;; [unrolled: 6-line block ×4, first 2 shown]
	v_mov_b32_e32 v28, s4
	v_fma_f32 v4, v168, v24, -v4
	v_fmac_f32_e32 v5, v169, v24
	ds_read_b64 v[28:29], v28
	v_sub_f32_e32 v2, v2, v4
	v_sub_f32_e32 v3, v3, v5
	v_mul_f32_e32 v4, v165, v43
	v_mul_f32_e32 v5, v164, v43
	v_fma_f32 v4, v164, v42, -v4
	v_fmac_f32_e32 v5, v165, v42
	v_sub_f32_e32 v2, v2, v4
	v_sub_f32_e32 v3, v3, v5
	v_mul_f32_e32 v4, v171, v47
	v_mul_f32_e32 v5, v170, v47
	v_fma_f32 v4, v170, v46, -v4
	v_fmac_f32_e32 v5, v171, v46
	v_sub_f32_e32 v2, v2, v4
	v_sub_f32_e32 v4, v3, v5
	s_waitcnt lgkmcnt(0)
	v_pk_mul_f32 v[4:5], v[28:29], v[4:5] op_sel:[1,0] op_sel_hi:[0,0]
	v_pk_fma_f32 v[6:7], v[28:29], v[2:3], v[4:5] neg_lo:[0,0,1] neg_hi:[0,0,1]
	v_pk_fma_f32 v[2:3], v[28:29], v[2:3], v[4:5] op_sel_hi:[1,0,1]
	s_mov_b32 s41, 31
	v_mov_b32_e32 v7, v3
	v_lshl_add_u32 v2, s42, 9, v1
	s_cmp_gt_i32 s10, 62
	ds_write_b64 v2, v[6:7]
	s_cbranch_scc0 .LBB173_67
.LBB173_61:                             ; =>This Loop Header: Depth=1
                                        ;     Child Loop BB173_65 Depth 2
	s_lshl_b32 s11, s41, 9
	v_add_u32_e32 v194, s11, v1
	v_add_u32_e32 v2, 0xfffffe00, v194
	v_add_u32_e32 v3, 0xfffffc00, v194
	v_add_u32_e32 v4, 0xfffffa00, v194
	v_add_u32_e32 v10, 0xfffff800, v194
	v_add_u32_e32 v11, 0xfffff600, v194
	v_add_u32_e32 v12, 0xfffff400, v194
	v_add_u32_e32 v13, 0xfffff200, v194
	ds_read_b64 v[6:7], v194
	ds_read_b64 v[8:9], v2
	;; [unrolled: 1-line block ×8, first 2 shown]
	s_waitcnt lgkmcnt(6)
	scratch_store_dwordx4 off, v[6:9], off
	s_waitcnt lgkmcnt(4)
	scratch_store_dwordx4 off, v[2:5], off offset:16
	s_waitcnt lgkmcnt(2)
	scratch_store_dwordx4 off, v[14:17], off offset:32
	;; [unrolled: 2-line block ×3, first 2 shown]
	v_add_u32_e32 v18, 0xfffff000, v194
	v_add_u32_e32 v20, 0xffffee00, v194
	ds_read_b64 v[18:19], v18
	ds_read_b64 v[20:21], v20
	v_add_u32_e32 v22, 0xffffec00, v194
	v_add_u32_e32 v24, 0xffffea00, v194
	ds_read_b64 v[22:23], v22
	ds_read_b64 v[24:25], v24
	v_add_u32_e32 v26, 0xffffe800, v194
	s_waitcnt lgkmcnt(2)
	scratch_store_dwordx4 off, v[18:21], off offset:64
	v_add_u32_e32 v27, 0xffffe600, v194
	v_add_u32_e32 v28, 0xffffe400, v194
	;; [unrolled: 1-line block ×7, first 2 shown]
	ds_read_b64 v[30:31], v26
	ds_read_b64 v[32:33], v27
	;; [unrolled: 1-line block ×8, first 2 shown]
	s_waitcnt lgkmcnt(8)
	scratch_store_dwordx4 off, v[22:25], off offset:80
	s_waitcnt lgkmcnt(6)
	scratch_store_dwordx4 off, v[30:33], off offset:96
	;; [unrolled: 2-line block ×5, first 2 shown]
	v_add_u32_e32 v42, 0xffffd800, v194
	v_add_u32_e32 v44, 0xffffd600, v194
	v_add_u32_e32 v46, 0xffffd400, v194
	v_add_u32_e32 v47, 0xffffd200, v194
	ds_read_b64 v[42:43], v42
	ds_read_b64 v[44:45], v44
	ds_read_b64 v[50:51], v46
	ds_read_b64 v[170:171], v47
	v_add_u32_e32 v46, 0xffffd000, v194
	v_add_u32_e32 v47, 0xffffce00, v194
	v_add_u32_e32 v48, 0xffffcc00, v194
	v_add_u32_e32 v49, 0xffffca00, v194
	ds_read_b64 v[164:165], v46
	ds_read_b64 v[162:163], v47
	ds_read_b64 v[160:161], v48
	ds_read_b64 v[158:159], v49
	v_add_u32_e32 v46, 0xffffc800, v194
	v_add_u32_e32 v47, 0xffffc600, v194
	v_add_u32_e32 v48, 0xffffc400, v194
	v_add_u32_e32 v49, 0xffffc200, v194
	ds_read_b64 v[156:157], v46
	ds_read_b64 v[168:169], v47
	ds_read_b64 v[166:167], v48
	ds_read_b64 v[174:175], v49
	s_mov_b32 s10, s41
	s_cmp_gt_i32 s7, s41
	s_mov_b64 s[4:5], -1
	s_waitcnt lgkmcnt(10)
	scratch_store_dwordx4 off, v[42:45], off offset:160
	s_waitcnt lgkmcnt(9)
	scratch_store_dwordx2 off, v[50:51], off offset:176
                                        ; implicit-def: $vgpr47
                                        ; implicit-def: $vgpr52
	s_cbranch_scc1 .LBB173_63
; %bb.62:                               ;   in Loop: Header=BB173_61 Depth=1
	scratch_load_dwordx4 v[46:49], off, off
	scratch_load_dwordx2 v[52:53], off, off offset:16
	s_mov_b64 s[4:5], 0
.LBB173_63:                             ;   in Loop: Header=BB173_61 Depth=1
	s_andn2_b64 vcc, exec, s[4:5]
	s_cbranch_vccnz .LBB173_60
; %bb.64:                               ;   in Loop: Header=BB173_61 Depth=1
	s_lshl_b32 s4, s10, 3
	s_add_i32 s4, s6, s4
	s_waitcnt vmcnt(1)
	v_mov_b32_e32 v48, v204
	s_mov_b32 s5, s7
.LBB173_65:                             ;   Parent Loop BB173_61 Depth=1
                                        ; =>  This Inner Loop Header: Depth=2
	v_mov_b32_e32 v49, s4
	ds_read_b64 v[46:47], v48
	s_waitcnt vmcnt(0)
	ds_read2_b64 v[52:55], v49 offset0:30 offset1:31
	ds_read2_b64 v[56:59], v49 offset0:28 offset1:29
	;; [unrolled: 1-line block ×15, first 2 shown]
	ds_read2_b64 v[112:115], v49 offset1:1
	s_add_i32 s5, s5, -1
	s_addk_i32 s4, 0xfe00
	v_add_u32_e32 v48, 0xfffffe00, v48
	s_waitcnt lgkmcnt(14)
	v_pk_mul_f32 v[116:117], v[54:55], v[46:47] op_sel:[0,1]
	v_pk_mul_f32 v[118:119], v[52:53], v[46:47] op_sel:[0,1]
	;; [unrolled: 1-line block ×4, first 2 shown]
	s_waitcnt lgkmcnt(13)
	v_pk_mul_f32 v[124:125], v[62:63], v[46:47] op_sel:[0,1]
	v_pk_mul_f32 v[126:127], v[60:61], v[46:47] op_sel:[0,1]
	s_waitcnt lgkmcnt(12)
	v_pk_mul_f32 v[128:129], v[66:67], v[46:47] op_sel:[0,1]
	v_pk_mul_f32 v[130:131], v[64:65], v[46:47] op_sel:[0,1]
	;; [unrolled: 3-line block ×14, first 2 shown]
	v_pk_fma_f32 v[200:201], v[54:55], v[46:47], v[116:117] op_sel:[0,0,1] op_sel_hi:[1,1,0] neg_lo:[0,0,1] neg_hi:[0,0,1]
	v_pk_fma_f32 v[54:55], v[54:55], v[46:47], v[116:117] op_sel:[0,0,1] op_sel_hi:[1,0,0]
	v_pk_fma_f32 v[116:117], v[52:53], v[46:47], v[118:119] op_sel:[0,0,1] op_sel_hi:[1,1,0] neg_lo:[0,0,1] neg_hi:[0,0,1]
	v_pk_fma_f32 v[52:53], v[52:53], v[46:47], v[118:119] op_sel:[0,0,1] op_sel_hi:[1,0,0]
	;; [unrolled: 2-line block ×32, first 2 shown]
	v_mov_b32_e32 v201, v55
	v_mov_b32_e32 v117, v53
	;; [unrolled: 1-line block ×32, first 2 shown]
	s_cmp_le_i32 s5, s10
	v_pk_add_f32 v[6:7], v[6:7], v[200:201] neg_lo:[0,1] neg_hi:[0,1]
	v_pk_add_f32 v[8:9], v[8:9], v[116:117] neg_lo:[0,1] neg_hi:[0,1]
	;; [unrolled: 1-line block ×32, first 2 shown]
	s_cbranch_scc0 .LBB173_65
; %bb.66:                               ;   in Loop: Header=BB173_61 Depth=1
	v_mov_b32_e32 v47, v7
	v_mov_b32_e32 v46, v6
	;; [unrolled: 1-line block ×6, first 2 shown]
	scratch_store_dwordx4 off, v[6:9], off
	scratch_store_dwordx4 off, v[2:5], off offset:16
	scratch_store_dwordx4 off, v[14:17], off offset:32
	;; [unrolled: 1-line block ×10, first 2 shown]
	scratch_store_dwordx2 off, v[50:51], off offset:176
	s_branch .LBB173_60
.LBB173_67:
	s_sub_i32 s4, s10, 32
.LBB173_68:
	s_cmp_gt_i32 s4, -1
	s_cbranch_scc0 .LBB173_96
; %bb.69:
	s_cmp_lt_u32 s4, 3
	s_cbranch_scc1 .LBB173_77
; %bb.70:
	s_lshl_b32 s5, s28, 9
	s_lshl_b32 s6, s4, 3
	v_lshl_or_b32 v2, v0, 3, s5
	s_add_i32 s5, s5, s6
	v_add_u32_e32 v10, 0x7e00, v2
	s_addk_i32 s5, 0xfde8
.LBB173_71:                             ; =>This Loop Header: Depth=1
                                        ;     Child Loop BB173_73 Depth 2
	s_lshl_b32 s6, s4, 9
	v_add_u32_e32 v11, s6, v1
	v_add_u32_e32 v2, 0xfffffe00, v11
	;; [unrolled: 1-line block ×4, first 2 shown]
	ds_read_b64 v[6:7], v11
	ds_read_b64 v[8:9], v2
	;; [unrolled: 1-line block ×4, first 2 shown]
	s_cmp_le_i32 s7, s4
	s_waitcnt lgkmcnt(2)
	scratch_store_dwordx4 off, v[6:9], off
	s_waitcnt lgkmcnt(0)
	scratch_store_dwordx4 off, v[2:5], off offset:16
	s_cbranch_scc1 .LBB173_75
; %bb.72:                               ;   in Loop: Header=BB173_71 Depth=1
	s_mov_b32 s10, s5
	v_mov_b32_e32 v12, v10
	s_mov_b32 s11, s7
.LBB173_73:                             ;   Parent Loop BB173_71 Depth=1
                                        ; =>  This Inner Loop Header: Depth=2
	v_mov_b32_e32 v13, s10
	ds_read_b64 v[22:23], v12
	ds_read2_b64 v[14:17], v13 offset0:2 offset1:3
	ds_read2_b64 v[18:21], v13 offset1:1
	s_add_i32 s11, s11, -1
	s_addk_i32 s10, 0xfe00
	v_add_u32_e32 v12, 0xfffffe00, v12
	s_waitcnt lgkmcnt(1)
	v_pk_mul_f32 v[24:25], v[16:17], v[22:23] op_sel:[0,1]
	v_pk_mul_f32 v[26:27], v[14:15], v[22:23] op_sel:[0,1]
	s_waitcnt lgkmcnt(0)
	v_pk_mul_f32 v[28:29], v[20:21], v[22:23] op_sel:[0,1]
	v_pk_mul_f32 v[30:31], v[18:19], v[22:23] op_sel:[0,1]
	v_pk_fma_f32 v[32:33], v[16:17], v[22:23], v[24:25] op_sel:[0,0,1] op_sel_hi:[1,1,0] neg_lo:[0,0,1] neg_hi:[0,0,1]
	v_pk_fma_f32 v[16:17], v[16:17], v[22:23], v[24:25] op_sel:[0,0,1] op_sel_hi:[1,0,0]
	v_pk_fma_f32 v[24:25], v[14:15], v[22:23], v[26:27] op_sel:[0,0,1] op_sel_hi:[1,1,0] neg_lo:[0,0,1] neg_hi:[0,0,1]
	v_pk_fma_f32 v[14:15], v[14:15], v[22:23], v[26:27] op_sel:[0,0,1] op_sel_hi:[1,0,0]
	;; [unrolled: 2-line block ×4, first 2 shown]
	v_mov_b32_e32 v33, v17
	v_mov_b32_e32 v25, v15
	;; [unrolled: 1-line block ×4, first 2 shown]
	s_cmp_gt_i32 s11, s4
	v_pk_add_f32 v[6:7], v[6:7], v[32:33] neg_lo:[0,1] neg_hi:[0,1]
	v_pk_add_f32 v[8:9], v[8:9], v[24:25] neg_lo:[0,1] neg_hi:[0,1]
	v_pk_add_f32 v[2:3], v[2:3], v[26:27] neg_lo:[0,1] neg_hi:[0,1]
	v_pk_add_f32 v[4:5], v[4:5], v[28:29] neg_lo:[0,1] neg_hi:[0,1]
	s_cbranch_scc1 .LBB173_73
; %bb.74:                               ;   in Loop: Header=BB173_71 Depth=1
	scratch_store_dwordx4 off, v[6:9], off
	scratch_store_dwordx4 off, v[2:5], off offset:16
.LBB173_75:                             ;   in Loop: Header=BB173_71 Depth=1
	scratch_load_dword v36, off, off offset:28
	s_add_i32 s10, s4, -1
	s_add_i32 s11, s4, -3
	s_add_i32 s12, s6, 0xfffffc00
	s_lshl_b32 s13, s10, 3
	s_lshl_b32 s10, s10, 9
	;; [unrolled: 1-line block ×4, first 2 shown]
	v_add_u32_e32 v37, s12, v1
	s_add_i32 s15, s13, s6
	s_add_i32 s13, s13, s10
	v_add_u32_e32 v38, s10, v1
	s_add_i32 s6, s14, s6
	s_add_i32 s10, s14, s10
	;; [unrolled: 1-line block ×4, first 2 shown]
	v_mov_b32_e32 v28, v7
	v_mov_b32_e32 v5, s15
	;; [unrolled: 1-line block ×7, first 2 shown]
	ds_read2_b64 v[12:15], v5 offset1:1
	ds_read_b64 v[30:31], v7
	ds_read2_b64 v[16:19], v16 offset1:1
	ds_read2_b64 v[20:23], v20 offset1:1
	;; [unrolled: 1-line block ×3, first 2 shown]
	ds_read_b64 v[32:33], v29
	s_waitcnt lgkmcnt(5)
	v_pk_mul_f32 v[34:35], v[14:15], v[28:29] op_sel:[1,0] op_sel_hi:[0,0]
	v_pk_fma_f32 v[28:29], v[14:15], v[6:7], v[34:35] op_sel_hi:[1,0,1] neg_lo:[0,0,1] neg_hi:[0,0,1]
	v_pk_fma_f32 v[6:7], v[14:15], v[6:7], v[34:35] op_sel_hi:[1,0,1]
	s_add_i32 s6, s4, -4
	v_mul_f32_e32 v5, v13, v7
	v_mul_f32_e32 v14, v12, v7
	s_waitcnt lgkmcnt(3)
	v_mul_f32_e32 v15, v18, v7
	v_mul_f32_e32 v6, v19, v7
	v_fma_f32 v5, v12, v28, -v5
	v_fmac_f32_e32 v14, v13, v28
	v_fmac_f32_e32 v15, v19, v28
	v_mov_b32_e32 v29, v7
	v_mul_f32_e32 v34, v17, v7
	v_mul_f32_e32 v35, v16, v7
	v_fma_f32 v7, v18, v28, -v6
	v_sub_f32_e32 v6, v8, v5
	v_sub_f32_e32 v8, v9, v14
	;; [unrolled: 1-line block ×3, first 2 shown]
	ds_write_b64 v11, v[28:29]
	v_fma_f32 v11, v16, v28, -v34
	v_sub_f32_e32 v7, v2, v7
	v_pk_mul_f32 v[2:3], v[30:31], v[8:9] op_sel:[1,0] op_sel_hi:[0,0]
	v_sub_f32_e32 v11, v4, v11
	v_pk_fma_f32 v[4:5], v[30:31], v[6:7], v[2:3] op_sel_hi:[1,0,1] neg_lo:[0,0,1] neg_hi:[0,0,1]
	v_pk_fma_f32 v[30:31], v[30:31], v[6:7], v[2:3] op_sel_hi:[1,0,1]
	v_fmac_f32_e32 v35, v17, v28
	s_waitcnt lgkmcnt(3)
	v_mul_f32_e32 v2, v23, v31
	v_mul_f32_e32 v3, v22, v31
	v_mov_b32_e32 v5, v31
	v_mul_f32_e32 v6, v21, v31
	v_mul_f32_e32 v8, v20, v31
	v_fma_f32 v2, v22, v4, -v2
	v_fmac_f32_e32 v3, v23, v4
	v_mov_b32_e32 v30, v4
	ds_write_b64 v38, v[4:5]
	v_fma_f32 v5, v20, v4, -v6
	v_fmac_f32_e32 v8, v21, v4
	v_sub_f32_e32 v4, v7, v2
	v_sub_f32_e32 v2, v9, v3
	;; [unrolled: 1-line block ×3, first 2 shown]
	s_waitcnt lgkmcnt(3)
	v_pk_mul_f32 v[6:7], v[26:27], v[2:3] op_sel:[1,0] op_sel_hi:[0,0]
	v_pk_fma_f32 v[2:3], v[26:27], v[4:5], v[6:7] op_sel_hi:[1,0,1] neg_lo:[0,0,1] neg_hi:[0,0,1]
	v_pk_fma_f32 v[6:7], v[26:27], v[4:5], v[6:7] op_sel_hi:[1,0,1]
	s_sub_i32 s5, s5, 32
	v_mov_b32_e32 v3, v7
	v_mul_f32_e32 v4, v25, v7
	ds_write_b64 v37, v[2:3]
	v_fma_f32 v3, v24, v2, -v4
	v_mul_f32_e32 v6, v24, v7
	v_sub_f32_e32 v4, v5, v3
	v_fmac_f32_e32 v6, v25, v2
	s_cmp_gt_i32 s4, 6
	scratch_store_dwordx4 off, v[28:31], off
	s_waitcnt vmcnt(1)
	v_sub_f32_e32 v3, v36, v35
	v_sub_f32_e32 v3, v3, v8
	;; [unrolled: 1-line block ×3, first 2 shown]
	s_waitcnt lgkmcnt(3)
	v_pk_mul_f32 v[8:9], v[32:33], v[6:7] op_sel:[1,0] op_sel_hi:[0,0]
	v_pk_fma_f32 v[12:13], v[32:33], v[4:5], v[8:9] neg_lo:[0,0,1] neg_hi:[0,0,1]
	v_pk_fma_f32 v[4:5], v[32:33], v[4:5], v[8:9] op_sel_hi:[1,0,1]
	v_mov_b32_e32 v3, v7
	v_mov_b32_e32 v4, v12
	;; [unrolled: 1-line block ×3, first 2 shown]
	scratch_store_dwordx4 off, v[2:5], off offset:16
	s_nop 1
	v_add_u32_e32 v2, s11, v1
	ds_write_b64 v2, v[12:13]
	s_cbranch_scc0 .LBB173_78
; %bb.76:                               ;   in Loop: Header=BB173_71 Depth=1
	s_mov_b32 s4, s6
	s_branch .LBB173_71
.LBB173_77:
	s_mov_b32 s6, s4
.LBB173_78:
	s_cmp_lt_i32 s6, 0
	s_cbranch_scc1 .LBB173_96
; %bb.79:
	s_bitcmp1_b32 s6, 0
	s_cselect_b64 s[4:5], -1, 0
	s_and_b64 vcc, exec, s[4:5]
	s_mov_b32 s4, s6
	s_cbranch_vccnz .LBB173_85
; %bb.80:
	s_lshl_b32 s4, s6, 9
	v_add_u32_e32 v4, s4, v1
	ds_read_b64 v[2:3], v4
	s_cmp_le_i32 s7, s6
	s_waitcnt lgkmcnt(0)
	scratch_store_dwordx2 off, v[2:3], off
	s_cbranch_scc1 .LBB173_84
; %bb.81:
	s_lshl_b32 s5, s28, 9
	s_lshl_b32 s4, s6, 3
	s_add_i32 s4, s5, s4
	v_lshl_or_b32 v5, v0, 3, s5
	s_addk_i32 s4, 0xfe00
	v_add_u32_e32 v5, 0x7e00, v5
	s_mov_b32 s5, s7
.LBB173_82:                             ; =>This Inner Loop Header: Depth=1
	v_mov_b32_e32 v8, s4
	ds_read_b64 v[6:7], v5
	ds_read_b64 v[8:9], v8
	s_add_i32 s5, s5, -1
	s_addk_i32 s4, 0xfe00
	v_add_u32_e32 v5, 0xfffffe00, v5
	s_cmp_gt_i32 s5, s6
	s_waitcnt lgkmcnt(0)
	v_pk_mul_f32 v[10:11], v[8:9], v[6:7] op_sel:[1,1] op_sel_hi:[0,1]
	v_pk_fma_f32 v[12:13], v[8:9], v[6:7], v[10:11] neg_lo:[0,0,1] neg_hi:[0,0,1]
	v_pk_fma_f32 v[6:7], v[8:9], v[6:7], v[10:11] op_sel_hi:[1,0,1]
	s_nop 0
	v_mov_b32_e32 v13, v7
	v_pk_add_f32 v[2:3], v[2:3], v[12:13] neg_lo:[0,1] neg_hi:[0,1]
	s_cbranch_scc1 .LBB173_82
; %bb.83:
	scratch_store_dwordx2 off, v[2:3], off
.LBB173_84:
	s_mul_i32 s4, s6, 0x208
	v_mov_b32_e32 v5, s4
	ds_read_b64 v[6:7], v5
	v_mov_b32_e32 v8, v3
	s_add_i32 s4, s6, -1
	s_waitcnt lgkmcnt(0)
	v_pk_mul_f32 v[8:9], v[6:7], v[8:9] op_sel:[1,0] op_sel_hi:[0,0]
	v_pk_fma_f32 v[10:11], v[6:7], v[2:3], v[8:9] op_sel_hi:[1,0,1] neg_lo:[0,0,1] neg_hi:[0,0,1]
	v_pk_fma_f32 v[2:3], v[6:7], v[2:3], v[8:9] op_sel_hi:[1,0,1]
	s_nop 0
	v_mov_b32_e32 v11, v3
	scratch_store_dwordx2 off, v[10:11], off
	ds_write_b64 v4, v[10:11]
.LBB173_85:
	s_cmp_eq_u32 s6, 0
	s_cbranch_scc1 .LBB173_96
; %bb.86:
	s_lshl_b32 s6, s28, 9
	s_lshl_b32 s5, s4, 3
	s_add_i32 s10, s6, s5
	v_lshl_or_b32 v2, v0, 3, s6
	s_add_i32 s5, s10, 0xfffffe00
	v_add_u32_e32 v7, 0x7e00, v2
	s_add_i32 s6, s10, 0xfffffdf8
	s_branch .LBB173_89
.LBB173_87:                             ;   in Loop: Header=BB173_89 Depth=1
	scratch_store_dwordx2 off, v[2:3], off
.LBB173_88:                             ;   in Loop: Header=BB173_89 Depth=1
	s_addk_i32 s10, 0xfdf8
	v_mov_b32_e32 v4, v3
	v_mov_b32_e32 v3, s10
	ds_read_b64 v[8:9], v3
	s_add_i32 s10, s4, -2
	s_add_i32 s5, s5, -16
	;; [unrolled: 1-line block ×3, first 2 shown]
	s_cmp_lt_i32 s4, 2
	s_waitcnt lgkmcnt(0)
	v_pk_mul_f32 v[10:11], v[8:9], v[4:5] op_sel:[1,0] op_sel_hi:[0,0]
	v_pk_fma_f32 v[12:13], v[8:9], v[2:3], v[10:11] op_sel_hi:[1,0,1] neg_lo:[0,0,1] neg_hi:[0,0,1]
	v_pk_fma_f32 v[2:3], v[8:9], v[2:3], v[10:11] op_sel_hi:[1,0,1]
	s_mov_b32 s4, s10
	v_mov_b32_e32 v13, v3
	scratch_store_dwordx2 off, v[12:13], off
	ds_write_b64 v5, v[12:13]
	s_cbranch_scc1 .LBB173_96
.LBB173_89:                             ; =>This Loop Header: Depth=1
                                        ;     Child Loop BB173_91 Depth 2
                                        ;     Child Loop BB173_95 Depth 2
	s_lshl_b32 s11, s4, 9
	v_add_u32_e32 v8, s11, v1
	ds_read_b64 v[4:5], v8
	s_cmp_le_i32 s7, s4
	s_waitcnt lgkmcnt(0)
	scratch_store_dwordx2 off, v[4:5], off
	s_cbranch_scc1 .LBB173_93
; %bb.90:                               ;   in Loop: Header=BB173_89 Depth=1
	v_mov_b32_e32 v2, v7
	s_mov_b32 s10, s5
	s_mov_b32 s12, s7
.LBB173_91:                             ;   Parent Loop BB173_89 Depth=1
                                        ; =>  This Inner Loop Header: Depth=2
	v_mov_b32_e32 v3, s10
	ds_read_b64 v[10:11], v2
	ds_read_b64 v[12:13], v3
	s_add_i32 s12, s12, -1
	s_addk_i32 s10, 0xfe00
	v_add_u32_e32 v2, 0xfffffe00, v2
	s_cmp_gt_i32 s12, s4
	s_waitcnt lgkmcnt(0)
	v_pk_mul_f32 v[14:15], v[12:13], v[10:11] op_sel:[1,1] op_sel_hi:[0,1]
	v_pk_fma_f32 v[16:17], v[12:13], v[10:11], v[14:15] neg_lo:[0,0,1] neg_hi:[0,0,1]
	v_pk_fma_f32 v[10:11], v[12:13], v[10:11], v[14:15] op_sel_hi:[1,0,1]
	s_nop 0
	v_mov_b32_e32 v17, v11
	v_pk_add_f32 v[4:5], v[4:5], v[16:17] neg_lo:[0,1] neg_hi:[0,1]
	s_cbranch_scc1 .LBB173_91
; %bb.92:                               ;   in Loop: Header=BB173_89 Depth=1
	scratch_store_dwordx2 off, v[4:5], off
.LBB173_93:                             ;   in Loop: Header=BB173_89 Depth=1
	s_mul_i32 s10, s4, 0x208
	v_mov_b32_e32 v2, s10
	ds_read_b64 v[10:11], v2
	s_addk_i32 s11, 0xfe00
	v_mov_b32_e32 v6, v5
	v_add_u32_e32 v5, s11, v1
	ds_read_b64 v[2:3], v5
	s_waitcnt lgkmcnt(1)
	v_pk_mul_f32 v[12:13], v[10:11], v[6:7] op_sel:[1,0] op_sel_hi:[0,0]
	v_pk_fma_f32 v[14:15], v[10:11], v[4:5], v[12:13] op_sel_hi:[1,0,1] neg_lo:[0,0,1] neg_hi:[0,0,1]
	v_pk_fma_f32 v[10:11], v[10:11], v[4:5], v[12:13] op_sel_hi:[1,0,1]
	s_cmp_le_i32 s28, s4
	v_mov_b32_e32 v15, v11
	ds_write_b64 v8, v[14:15]
	s_waitcnt lgkmcnt(1)
	scratch_store_dwordx2 off, v[2:3], off
	s_cbranch_scc1 .LBB173_88
; %bb.94:                               ;   in Loop: Header=BB173_89 Depth=1
	v_mov_b32_e32 v4, v7
	s_mov_b32 s11, s6
	s_mov_b32 s12, s28
.LBB173_95:                             ;   Parent Loop BB173_89 Depth=1
                                        ; =>  This Inner Loop Header: Depth=2
	v_mov_b32_e32 v6, s11
	ds_read_b64 v[8:9], v4
	ds_read_b64 v[10:11], v6
	s_add_i32 s12, s12, -1
	s_addk_i32 s11, 0xfe00
	v_add_u32_e32 v4, 0xfffffe00, v4
	s_cmp_gt_i32 s12, s4
	s_waitcnt lgkmcnt(0)
	v_pk_mul_f32 v[12:13], v[10:11], v[8:9] op_sel:[1,1] op_sel_hi:[0,1]
	v_pk_fma_f32 v[14:15], v[10:11], v[8:9], v[12:13] neg_lo:[0,0,1] neg_hi:[0,0,1]
	v_pk_fma_f32 v[8:9], v[10:11], v[8:9], v[12:13] op_sel_hi:[1,0,1]
	s_nop 0
	v_mov_b32_e32 v15, v9
	v_pk_add_f32 v[2:3], v[2:3], v[14:15] neg_lo:[0,1] neg_hi:[0,1]
	s_cbranch_scc1 .LBB173_95
	s_branch .LBB173_87
.LBB173_96:
	s_waitcnt lgkmcnt(0)
	; wave barrier
	s_and_saveexec_b64 s[4:5], s[0:1]
	s_cbranch_execz .LBB173_100
; %bb.97:
	s_andn2_b64 vcc, exec, s[8:9]
	s_cbranch_vccnz .LBB173_100
; %bb.98:
	v_mad_i64_i32 v[2:3], s[0:1], s29, v0, 0
	v_mov_b32_e32 v1, 0x8000
	v_lshl_add_u64 v[2:3], v[2:3], 3, s[2:3]
	v_lshl_or_b32 v0, v0, 3, v1
.LBB173_99:                             ; =>This Inner Loop Header: Depth=1
	ds_read_b64 v[4:5], v0
	s_add_i32 s28, s28, -1
	v_add_u32_e32 v0, 0x200, v0
	s_cmp_lg_u32 s28, 0
	s_waitcnt lgkmcnt(0)
	flat_store_dwordx2 v[2:3], v[4:5]
	v_lshl_add_u64 v[2:3], v[2:3], 0, 8
	s_cbranch_scc1 .LBB173_99
.LBB173_100:
	s_endpgm
	.section	.rodata,"a",@progbits
	.p2align	6, 0x0
	.amdhsa_kernel _ZL38rocblas_trsm_small_left_device_sharedBILi64ELi32ELb0E19rocblas_complex_numIfES1_PKPKS1_PKPS1_Ev13rocblas_fill_18rocblas_operation_17rocblas_diagonal_iiT3_T4_lilT5_lili
		.amdhsa_group_segment_fixed_size 65536
		.amdhsa_private_segment_fixed_size 192
		.amdhsa_kernarg_size 360
		.amdhsa_user_sgpr_count 2
		.amdhsa_user_sgpr_dispatch_ptr 0
		.amdhsa_user_sgpr_queue_ptr 0
		.amdhsa_user_sgpr_kernarg_segment_ptr 1
		.amdhsa_user_sgpr_dispatch_id 0
		.amdhsa_user_sgpr_kernarg_preload_length 0
		.amdhsa_user_sgpr_kernarg_preload_offset 0
		.amdhsa_user_sgpr_private_segment_size 0
		.amdhsa_uses_dynamic_stack 0
		.amdhsa_enable_private_segment 1
		.amdhsa_system_sgpr_workgroup_id_x 1
		.amdhsa_system_sgpr_workgroup_id_y 0
		.amdhsa_system_sgpr_workgroup_id_z 1
		.amdhsa_system_sgpr_workgroup_info 0
		.amdhsa_system_vgpr_workitem_id 0
		.amdhsa_next_free_vgpr 257
		.amdhsa_next_free_sgpr 96
		.amdhsa_accum_offset 220
		.amdhsa_reserve_vcc 1
		.amdhsa_float_round_mode_32 0
		.amdhsa_float_round_mode_16_64 0
		.amdhsa_float_denorm_mode_32 3
		.amdhsa_float_denorm_mode_16_64 3
		.amdhsa_dx10_clamp 1
		.amdhsa_ieee_mode 1
		.amdhsa_fp16_overflow 0
		.amdhsa_tg_split 0
		.amdhsa_exception_fp_ieee_invalid_op 0
		.amdhsa_exception_fp_denorm_src 0
		.amdhsa_exception_fp_ieee_div_zero 0
		.amdhsa_exception_fp_ieee_overflow 0
		.amdhsa_exception_fp_ieee_underflow 0
		.amdhsa_exception_fp_ieee_inexact 0
		.amdhsa_exception_int_div_zero 0
	.end_amdhsa_kernel
	.section	.text._ZL38rocblas_trsm_small_left_device_sharedBILi64ELi32ELb0E19rocblas_complex_numIfES1_PKPKS1_PKPS1_Ev13rocblas_fill_18rocblas_operation_17rocblas_diagonal_iiT3_T4_lilT5_lili,"axG",@progbits,_ZL38rocblas_trsm_small_left_device_sharedBILi64ELi32ELb0E19rocblas_complex_numIfES1_PKPKS1_PKPS1_Ev13rocblas_fill_18rocblas_operation_17rocblas_diagonal_iiT3_T4_lilT5_lili,comdat
.Lfunc_end173:
	.size	_ZL38rocblas_trsm_small_left_device_sharedBILi64ELi32ELb0E19rocblas_complex_numIfES1_PKPKS1_PKPS1_Ev13rocblas_fill_18rocblas_operation_17rocblas_diagonal_iiT3_T4_lilT5_lili, .Lfunc_end173-_ZL38rocblas_trsm_small_left_device_sharedBILi64ELi32ELb0E19rocblas_complex_numIfES1_PKPKS1_PKPS1_Ev13rocblas_fill_18rocblas_operation_17rocblas_diagonal_iiT3_T4_lilT5_lili
                                        ; -- End function
	.set _ZL38rocblas_trsm_small_left_device_sharedBILi64ELi32ELb0E19rocblas_complex_numIfES1_PKPKS1_PKPS1_Ev13rocblas_fill_18rocblas_operation_17rocblas_diagonal_iiT3_T4_lilT5_lili.num_vgpr, 220
	.set _ZL38rocblas_trsm_small_left_device_sharedBILi64ELi32ELb0E19rocblas_complex_numIfES1_PKPKS1_PKPS1_Ev13rocblas_fill_18rocblas_operation_17rocblas_diagonal_iiT3_T4_lilT5_lili.num_agpr, 0
	.set _ZL38rocblas_trsm_small_left_device_sharedBILi64ELi32ELb0E19rocblas_complex_numIfES1_PKPKS1_PKPS1_Ev13rocblas_fill_18rocblas_operation_17rocblas_diagonal_iiT3_T4_lilT5_lili.numbered_sgpr, 46
	.set _ZL38rocblas_trsm_small_left_device_sharedBILi64ELi32ELb0E19rocblas_complex_numIfES1_PKPKS1_PKPS1_Ev13rocblas_fill_18rocblas_operation_17rocblas_diagonal_iiT3_T4_lilT5_lili.num_named_barrier, 0
	.set _ZL38rocblas_trsm_small_left_device_sharedBILi64ELi32ELb0E19rocblas_complex_numIfES1_PKPKS1_PKPS1_Ev13rocblas_fill_18rocblas_operation_17rocblas_diagonal_iiT3_T4_lilT5_lili.private_seg_size, 192
	.set _ZL38rocblas_trsm_small_left_device_sharedBILi64ELi32ELb0E19rocblas_complex_numIfES1_PKPKS1_PKPS1_Ev13rocblas_fill_18rocblas_operation_17rocblas_diagonal_iiT3_T4_lilT5_lili.uses_vcc, 1
	.set _ZL38rocblas_trsm_small_left_device_sharedBILi64ELi32ELb0E19rocblas_complex_numIfES1_PKPKS1_PKPS1_Ev13rocblas_fill_18rocblas_operation_17rocblas_diagonal_iiT3_T4_lilT5_lili.uses_flat_scratch, 0
	.set _ZL38rocblas_trsm_small_left_device_sharedBILi64ELi32ELb0E19rocblas_complex_numIfES1_PKPKS1_PKPS1_Ev13rocblas_fill_18rocblas_operation_17rocblas_diagonal_iiT3_T4_lilT5_lili.has_dyn_sized_stack, 0
	.set _ZL38rocblas_trsm_small_left_device_sharedBILi64ELi32ELb0E19rocblas_complex_numIfES1_PKPKS1_PKPS1_Ev13rocblas_fill_18rocblas_operation_17rocblas_diagonal_iiT3_T4_lilT5_lili.has_recursion, 0
	.set _ZL38rocblas_trsm_small_left_device_sharedBILi64ELi32ELb0E19rocblas_complex_numIfES1_PKPKS1_PKPS1_Ev13rocblas_fill_18rocblas_operation_17rocblas_diagonal_iiT3_T4_lilT5_lili.has_indirect_call, 0
	.section	.AMDGPU.csdata,"",@progbits
; Kernel info:
; codeLenInByte = 67796
; TotalNumSgprs: 52
; NumVgprs: 220
; NumAgprs: 0
; TotalNumVgprs: 220
; ScratchSize: 192
; MemoryBound: 0
; FloatMode: 240
; IeeeMode: 1
; LDSByteSize: 65536 bytes/workgroup (compile time only)
; SGPRBlocks: 12
; VGPRBlocks: 32
; NumSGPRsForWavesPerEU: 102
; NumVGPRsForWavesPerEU: 257
; AccumOffset: 220
; Occupancy: 1
; WaveLimiterHint : 1
; COMPUTE_PGM_RSRC2:SCRATCH_EN: 1
; COMPUTE_PGM_RSRC2:USER_SGPR: 2
; COMPUTE_PGM_RSRC2:TRAP_HANDLER: 0
; COMPUTE_PGM_RSRC2:TGID_X_EN: 1
; COMPUTE_PGM_RSRC2:TGID_Y_EN: 0
; COMPUTE_PGM_RSRC2:TGID_Z_EN: 1
; COMPUTE_PGM_RSRC2:TIDIG_COMP_CNT: 0
; COMPUTE_PGM_RSRC3_GFX90A:ACCUM_OFFSET: 54
; COMPUTE_PGM_RSRC3_GFX90A:TG_SPLIT: 0
	.section	.text._ZL30rocblas_trsm_small_left_deviceILi64ELi32ELb0E19rocblas_complex_numIfES1_PKPKS1_PKPS1_Ev13rocblas_fill_18rocblas_operation_17rocblas_diagonal_iiT3_T4_lilT5_lili,"axG",@progbits,_ZL30rocblas_trsm_small_left_deviceILi64ELi32ELb0E19rocblas_complex_numIfES1_PKPKS1_PKPS1_Ev13rocblas_fill_18rocblas_operation_17rocblas_diagonal_iiT3_T4_lilT5_lili,comdat
	.globl	_ZL30rocblas_trsm_small_left_deviceILi64ELi32ELb0E19rocblas_complex_numIfES1_PKPKS1_PKPS1_Ev13rocblas_fill_18rocblas_operation_17rocblas_diagonal_iiT3_T4_lilT5_lili ; -- Begin function _ZL30rocblas_trsm_small_left_deviceILi64ELi32ELb0E19rocblas_complex_numIfES1_PKPKS1_PKPS1_Ev13rocblas_fill_18rocblas_operation_17rocblas_diagonal_iiT3_T4_lilT5_lili
	.p2align	8
	.type	_ZL30rocblas_trsm_small_left_deviceILi64ELi32ELb0E19rocblas_complex_numIfES1_PKPKS1_PKPS1_Ev13rocblas_fill_18rocblas_operation_17rocblas_diagonal_iiT3_T4_lilT5_lili,@function
_ZL30rocblas_trsm_small_left_deviceILi64ELi32ELb0E19rocblas_complex_numIfES1_PKPKS1_PKPS1_Ev13rocblas_fill_18rocblas_operation_17rocblas_diagonal_iiT3_T4_lilT5_lili: ; @_ZL30rocblas_trsm_small_left_deviceILi64ELi32ELb0E19rocblas_complex_numIfES1_PKPKS1_PKPS1_Ev13rocblas_fill_18rocblas_operation_17rocblas_diagonal_iiT3_T4_lilT5_lili
; %bb.0:
	s_load_dwordx4 s[8:11], s[0:1], 0x40
	s_load_dwordx4 s[4:7], s[0:1], 0x4
	s_load_dwordx2 s[12:13], s[0:1], 0x14
	s_mov_b32 s14, s3
	s_mov_b32 s15, 0
	s_lshl_b64 s[18:19], s[14:15], 3
	s_waitcnt lgkmcnt(0)
	s_add_u32 s8, s8, s18
	s_addc_u32 s9, s9, s19
	s_load_dword s3, s[0:1], 0x68
	s_min_i32 s26, s6, 64
	s_load_dwordx2 s[8:9], s[8:9], 0x0
	v_cmp_gt_i32_e32 vcc, s26, v0
	s_and_saveexec_b64 s[14:15], vcc
	s_cbranch_execz .LBB174_15
; %bb.1:
	s_load_dword s24, s[0:1], 0x30
	s_load_dwordx4 s[20:23], s[0:1], 0x20
	v_lshlrev_b32_e32 v2, 3, v0
	v_mov_b32_e32 v3, 0
	v_mov_b32_e32 v1, v2
	s_waitcnt lgkmcnt(0)
	s_ashr_i32 s25, s24, 31
	s_cmpk_lg_i32 s4, 0x71
	s_cselect_b64 s[16:17], -1, 0
	s_add_u32 s18, s20, s18
	s_addc_u32 s19, s21, s19
	s_load_dwordx2 s[18:19], s[18:19], 0x0
	s_lshl_b64 s[20:21], s[22:23], 3
	s_mov_b32 s6, s26
	s_waitcnt lgkmcnt(0)
	s_add_u32 s20, s18, s20
	s_addc_u32 s21, s19, s21
	s_lshl_b64 s[18:19], s[24:25], 3
	v_lshl_add_u64 v[4:5], s[20:21], 0, v[2:3]
	s_branch .LBB174_3
.LBB174_2:                              ;   in Loop: Header=BB174_3 Depth=1
	flat_load_dword v6, v[4:5]
	s_add_i32 s6, s6, -1
	v_lshl_add_u64 v[4:5], v[4:5], 0, s[18:19]
	s_cmp_eq_u32 s6, 0
	s_waitcnt vmcnt(0) lgkmcnt(0)
	ds_write_b64 v1, v[6:7]
	v_add_u32_e32 v1, 0x200, v1
	s_cbranch_scc1 .LBB174_7
.LBB174_3:                              ; =>This Inner Loop Header: Depth=1
	s_mov_b64 s[20:21], -1
	s_and_b64 vcc, exec, s[16:17]
                                        ; implicit-def: $vgpr7
	s_cbranch_vccz .LBB174_5
; %bb.4:                                ;   in Loop: Header=BB174_3 Depth=1
	flat_load_dword v7, v[4:5] offset:4
	s_mov_b64 s[20:21], 0
.LBB174_5:                              ;   in Loop: Header=BB174_3 Depth=1
	s_andn2_b64 vcc, exec, s[20:21]
	s_cbranch_vccnz .LBB174_2
; %bb.6:                                ;   in Loop: Header=BB174_3 Depth=1
	flat_load_dword v3, v[4:5] offset:4
	s_waitcnt vmcnt(0) lgkmcnt(0)
	v_xor_b32_e32 v7, 0x80000000, v3
	s_branch .LBB174_2
.LBB174_7:
	s_cmpk_lg_i32 s5, 0x84
	v_lshlrev_b32_e32 v1, 9, v0
	s_mov_b64 s[16:17], -1
	s_cbranch_scc0 .LBB174_13
; %bb.8:
	v_add_u32_e32 v3, v2, v1
	ds_read_b64 v[4:5], v3
                                        ; implicit-def: $vgpr6_vgpr7
	s_waitcnt lgkmcnt(0)
	v_cmp_ngt_f32_e64 s[16:17], |v4|, |v5|
	s_and_saveexec_b64 s[18:19], s[16:17]
	s_xor_b64 s[16:17], exec, s[18:19]
	s_cbranch_execz .LBB174_10
; %bb.9:
	v_div_scale_f32 v6, s[18:19], v5, v5, v4
	v_rcp_f32_e32 v7, v6
	v_div_scale_f32 v8, vcc, v4, v5, v4
	v_fma_f32 v9, -v6, v7, 1.0
	v_fmac_f32_e32 v7, v9, v7
	v_mul_f32_e32 v9, v8, v7
	v_fma_f32 v10, -v6, v9, v8
	v_fmac_f32_e32 v9, v10, v7
	v_fma_f32 v6, -v6, v9, v8
	v_div_fmas_f32 v6, v6, v7, v9
	v_div_fixup_f32 v6, v6, v5, v4
	v_fmac_f32_e32 v5, v4, v6
	v_div_scale_f32 v4, s[18:19], v5, v5, 1.0
	v_rcp_f32_e32 v7, v4
	s_mov_b32 s18, 0
	s_mov_b32 s19, -1.0
	v_fma_f32 v8, -v4, v7, 1.0
	v_fmac_f32_e32 v7, v8, v7
	v_div_scale_f32 v8, vcc, 1.0, v5, 1.0
	v_mul_f32_e32 v9, v8, v7
	v_fma_f32 v10, -v4, v9, v8
	v_fmac_f32_e32 v9, v10, v7
	v_fma_f32 v4, -v4, v9, v8
	v_div_fmas_f32 v4, v4, v7, v9
	v_mul_f32_e32 v7, 0, v6
	v_div_fixup_f32 v4, v4, v5, 1.0
	v_pk_add_f32 v[6:7], v[6:7], s[18:19]
	s_nop 0
	v_pk_mul_f32 v[6:7], v[6:7], v[4:5] op_sel_hi:[1,0]
                                        ; implicit-def: $vgpr4_vgpr5
.LBB174_10:
	s_andn2_saveexec_b64 s[16:17], s[16:17]
	s_cbranch_execz .LBB174_12
; %bb.11:
	v_div_scale_f32 v6, s[18:19], v4, v4, v5
	v_rcp_f32_e32 v7, v6
	v_div_scale_f32 v8, vcc, v5, v4, v5
	v_fma_f32 v9, -v6, v7, 1.0
	v_fmac_f32_e32 v7, v9, v7
	v_mul_f32_e32 v9, v8, v7
	v_fma_f32 v10, -v6, v9, v8
	v_fmac_f32_e32 v9, v10, v7
	v_fma_f32 v6, -v6, v9, v8
	v_div_fmas_f32 v6, v6, v7, v9
	v_div_fixup_f32 v7, v6, v4, v5
	v_fmac_f32_e32 v4, v5, v7
	v_div_scale_f32 v5, s[18:19], v4, v4, 1.0
	v_rcp_f32_e32 v6, v5
	s_nop 0
	v_fma_f32 v8, -v5, v6, 1.0
	v_fmac_f32_e32 v6, v8, v6
	v_div_scale_f32 v8, vcc, 1.0, v4, 1.0
	v_mul_f32_e32 v9, v8, v6
	v_fma_f32 v10, -v5, v9, v8
	v_fmac_f32_e32 v9, v10, v6
	v_fma_f32 v5, -v5, v9, v8
	v_div_fmas_f32 v5, v5, v6, v9
	v_div_fixup_f32 v4, v5, v4, 1.0
	v_mul_f32_e32 v5, 0, v7
	v_add_f32_e32 v6, 1.0, v5
	v_sub_f32_e32 v7, 0, v7
	v_pk_mul_f32 v[6:7], v[6:7], v[4:5] op_sel_hi:[1,0]
.LBB174_12:
	s_or_b64 exec, exec, s[16:17]
	s_mov_b64 s[16:17], 0
	ds_write_b64 v3, v[6:7]
.LBB174_13:
	s_and_b64 vcc, exec, s[16:17]
	s_cbranch_vccz .LBB174_15
; %bb.14:
	v_add_u32_e32 v1, v2, v1
	v_mov_b32_e32 v2, 1.0
	v_mov_b32_e32 v3, 0
	ds_write_b64 v1, v[2:3]
.LBB174_15:
	s_or_b64 exec, exec, s[14:15]
	s_lshl_b32 s5, s2, 6
	s_waitcnt lgkmcnt(0)
	s_add_i32 s3, s3, -1
	s_sub_i32 s6, s7, s5
	s_cmp_ge_u32 s2, s3
	s_cselect_b32 s2, s6, 64
	v_cmp_gt_i32_e32 vcc, s2, v0
	; wave barrier
	s_and_saveexec_b64 s[2:3], vcc
	s_cbranch_execz .LBB174_83
; %bb.16:
	s_load_dword s6, s[0:1], 0x50
	s_lshl_b64 s[2:3], s[10:11], 3
	s_add_u32 s0, s8, s2
	v_add_u32_e32 v0, s5, v0
	s_addc_u32 s1, s9, s3
	s_waitcnt lgkmcnt(0)
	v_mad_i64_i32 v[2:3], s[6:7], s6, v0, 0
	v_lshl_add_u64 v[0:1], v[2:3], 3, s[0:1]
	s_cmpk_eq_i32 s4, 0x6f
	s_mov_b64 s[0:1], -1
	s_cbranch_scc1 .LBB174_50
; %bb.17:
	s_add_u32 s0, s8, s2
	s_addc_u32 s1, s9, s3
	s_mov_b32 s15, 0
	s_mov_b32 s4, s12
	;; [unrolled: 1-line block ×7, first 2 shown]
	v_lshl_add_u64 v[4:5], v[2:3], 3, s[0:1]
	s_mov_b32 s16, s15
	s_mov_b32 s27, s15
	s_branch .LBB174_19
.LBB174_18:                             ;   in Loop: Header=BB174_19 Depth=1
	s_cmp_ge_i32 s27, s26
	s_cselect_b64 s[0:1], -1, 0
	s_add_i32 s16, s16, 1
	s_cmp_eq_u32 s16, 3
	s_cselect_b64 s[18:19], -1, 0
	s_or_b64 s[0:1], s[0:1], s[18:19]
	s_andn2_b64 vcc, exec, s[0:1]
	s_cbranch_vccz .LBB174_49
.LBB174_19:                             ; =>This Loop Header: Depth=1
                                        ;     Child Loop BB174_22 Depth 2
                                        ;       Child Loop BB174_24 Depth 3
                                        ;       Child Loop BB174_28 Depth 3
                                        ;       Child Loop BB174_32 Depth 3
                                        ;         Child Loop BB174_34 Depth 4
                                        ;         Child Loop BB174_40 Depth 4
                                        ;       Child Loop BB174_43 Depth 3
                                        ;         Child Loop BB174_45 Depth 4
	s_mov_b32 s17, s15
	s_lshl_b64 s[0:1], s[16:17], 2
	s_getpc_b64 s[18:19]
	s_add_u32 s18, s18, __const._ZL30rocblas_trsm_small_left_deviceILi64ELi32ELb0E19rocblas_complex_numIfES1_PKPKS1_PKPS1_Ev13rocblas_fill_18rocblas_operation_17rocblas_diagonal_iiT3_T4_lilT5_lili.step_sizes@rel32@lo+4
	s_addc_u32 s19, s19, __const._ZL30rocblas_trsm_small_left_deviceILi64ELi32ELb0E19rocblas_complex_numIfES1_PKPKS1_PKPS1_Ev13rocblas_fill_18rocblas_operation_17rocblas_diagonal_iiT3_T4_lilT5_lili.step_sizes@rel32@hi+12
	s_add_u32 s0, s18, s0
	s_addc_u32 s1, s19, s1
	s_load_dword s17, s[0:1], 0x0
	s_waitcnt lgkmcnt(0)
	s_add_i32 s28, s17, -1
	s_add_i32 s0, s28, s27
	s_cmp_ge_i32 s0, s26
	s_cbranch_scc1 .LBB174_18
; %bb.20:                               ;   in Loop: Header=BB174_19 Depth=1
	s_max_i32 s29, s17, 1
	s_cmp_lg_u32 s16, 2
	s_cselect_b64 s[18:19], -1, 0
	s_and_b32 s30, s29, 0x7ffffffe
	s_cmp_lg_u32 s29, s30
	v_cndmask_b32_e64 v6, 0, 1, s[18:19]
	s_cselect_b64 s[20:21], -1, 0
	s_ashr_i32 s31, s27, 31
	s_ashr_i32 s33, s17, 31
	s_mul_i32 s34, s27, 0x208
	s_mul_i32 s35, s17, 0x208
	v_cmp_ne_u32_e64 s[0:1], 1, v6
	s_branch .LBB174_22
.LBB174_21:                             ;   in Loop: Header=BB174_22 Depth=2
	s_add_u32 s27, s27, s17
	s_addc_u32 s31, s31, s33
	s_add_i32 s14, s28, s27
	s_add_i32 s34, s34, s35
	s_cmp_ge_i32 s14, s26
	s_cbranch_scc1 .LBB174_18
.LBB174_22:                             ;   Parent Loop BB174_19 Depth=1
                                        ; =>  This Loop Header: Depth=2
                                        ;       Child Loop BB174_24 Depth 3
                                        ;       Child Loop BB174_28 Depth 3
	;; [unrolled: 1-line block ×3, first 2 shown]
                                        ;         Child Loop BB174_34 Depth 4
                                        ;         Child Loop BB174_40 Depth 4
                                        ;       Child Loop BB174_43 Depth 3
                                        ;         Child Loop BB174_45 Depth 4
	s_and_b64 vcc, exec, s[0:1]
	s_cbranch_vccnz .LBB174_26
; %bb.23:                               ;   in Loop: Header=BB174_22 Depth=2
	s_mov_b32 s14, 0
	s_mov_b32 s24, s27
	;; [unrolled: 1-line block ×6, first 2 shown]
.LBB174_24:                             ;   Parent Loop BB174_19 Depth=1
                                        ;     Parent Loop BB174_22 Depth=2
                                        ; =>    This Inner Loop Header: Depth=3
	s_add_i32 s22, s37, s24
	s_add_i32 s40, s36, s25
	s_ashr_i32 s23, s22, 31
	s_ashr_i32 s41, s40, 31
	v_lshl_add_u64 v[6:7], s[22:23], 3, v[0:1]
	v_lshl_add_u64 v[8:9], s[40:41], 3, v[0:1]
	flat_load_dwordx2 v[12:13], v[6:7]
	flat_load_dwordx2 v[10:11], v[8:9]
	s_add_i32 s37, s37, 2
	s_add_i32 s36, s36, 2
	s_add_i32 s38, s38, -2
	s_mov_b32 s39, s30
	s_mov_b64 s[22:23], s[20:21]
	s_waitcnt vmcnt(0) lgkmcnt(0)
	v_mov_b32_e32 v6, v12
	v_mov_b32_e32 v7, v10
	;; [unrolled: 1-line block ×3, first 2 shown]
	v_pk_mul_f32 v[8:9], v[10:11], s[6:7]
	v_pk_mul_f32 v[10:11], v[10:11], s[4:5]
	v_pk_fma_f32 v[12:13], v[6:7], s[4:5], v[8:9] neg_lo:[0,0,1] neg_hi:[0,0,1]
	v_pk_fma_f32 v[8:9], v[6:7], s[6:7], v[10:11]
	v_mov_b32_e32 v6, v12
	v_mov_b32_e32 v7, v8
	;; [unrolled: 1-line block ×3, first 2 shown]
	scratch_store_dwordx4 off, v[6:9], s14
	s_add_i32 s14, s14, 16
	s_cmp_lg_u32 s38, 0
	s_cbranch_scc1 .LBB174_24
; %bb.25:                               ;   in Loop: Header=BB174_22 Depth=2
	s_and_b64 vcc, exec, s[22:23]
	s_cbranch_vccnz .LBB174_27
	s_branch .LBB174_29
.LBB174_26:                             ;   in Loop: Header=BB174_22 Depth=2
	s_mov_b32 s39, 0
	s_cbranch_execz .LBB174_29
.LBB174_27:                             ;   in Loop: Header=BB174_22 Depth=2
	s_sub_i32 s14, s29, s39
	s_add_u32 s22, s27, s39
	s_addc_u32 s23, s31, 0
	v_lshl_add_u64 v[6:7], s[22:23], 3, v[4:5]
	s_lshl_b32 s22, s39, 3
.LBB174_28:                             ;   Parent Loop BB174_19 Depth=1
                                        ;     Parent Loop BB174_22 Depth=2
                                        ; =>    This Inner Loop Header: Depth=3
	flat_load_dwordx2 v[8:9], v[6:7]
	s_add_i32 s14, s14, -1
	v_lshl_add_u64 v[6:7], v[6:7], 0, 8
	s_waitcnt vmcnt(0) lgkmcnt(0)
	v_pk_mul_f32 v[10:11], v[8:9], s[10:11] op_sel:[1,0]
	s_nop 0
	v_pk_fma_f32 v[12:13], v[8:9], s[12:13], v[10:11] neg_lo:[0,0,1] neg_hi:[0,0,1]
	v_pk_fma_f32 v[8:9], v[8:9], s[12:13], v[10:11] op_sel_hi:[0,1,1]
	v_mov_b32_e32 v13, v9
	scratch_store_dwordx2 off, v[12:13], s22
	s_add_i32 s22, s22, 8
	s_cmp_eq_u32 s14, 0
	s_cbranch_scc0 .LBB174_28
.LBB174_29:                             ;   in Loop: Header=BB174_22 Depth=2
	s_cmp_lt_i32 s27, 1
	s_cbranch_scc1 .LBB174_41
; %bb.30:                               ;   in Loop: Header=BB174_22 Depth=2
	s_mov_b32 s38, 0
	s_mov_b32 s36, s27
	s_mov_b32 s37, s27
	s_mov_b32 s14, s38
	s_branch .LBB174_32
.LBB174_31:                             ;   in Loop: Header=BB174_32 Depth=3
	s_add_i32 s14, s14, 1
	s_add_i32 s38, s38, 8
	s_cmp_eq_u32 s14, s27
	s_cbranch_scc1 .LBB174_41
.LBB174_32:                             ;   Parent Loop BB174_19 Depth=1
                                        ;     Parent Loop BB174_22 Depth=2
                                        ; =>    This Loop Header: Depth=3
                                        ;         Child Loop BB174_34 Depth 4
                                        ;         Child Loop BB174_40 Depth 4
	v_lshl_add_u64 v[6:7], s[14:15], 3, v[0:1]
	flat_load_dwordx2 v[6:7], v[6:7]
	s_and_b64 vcc, exec, s[18:19]
	s_cbranch_vccz .LBB174_36
; %bb.33:                               ;   in Loop: Header=BB174_32 Depth=3
	s_lshl_b32 s22, s14, 3
	s_waitcnt vmcnt(0) lgkmcnt(0)
	v_mov_b32_e32 v10, v6
	v_mov_b32_e32 v11, v6
	;; [unrolled: 1-line block ×3, first 2 shown]
	s_mov_b32 s23, 0
	v_mov_b32_e32 v12, v7
	v_mov_b32_e32 v13, v7
	s_mov_b32 s24, 1
	s_mov_b32 s25, 0
	;; [unrolled: 1-line block ×3, first 2 shown]
.LBB174_34:                             ;   Parent Loop BB174_19 Depth=1
                                        ;     Parent Loop BB174_22 Depth=2
                                        ;       Parent Loop BB174_32 Depth=3
                                        ; =>      This Inner Loop Header: Depth=4
	scratch_load_dwordx4 v[14:17], off, s23
	s_add_i32 s40, s25, s36
	s_add_i32 s41, s24, s37
	s_lshl_b32 s41, s41, 9
	s_lshl_b32 s40, s40, 9
	s_add_i32 s40, s22, s40
	s_add_i32 s41, s22, s41
	v_mov_b32_e32 v9, s40
	v_mov_b32_e32 v18, s41
	ds_read_b64 v[22:23], v9
	ds_read_b64 v[18:19], v18
	s_add_i32 s25, s25, 2
	s_add_i32 s24, s24, 2
	s_add_i32 s39, s39, -2
	s_waitcnt lgkmcnt(1)
	v_mov_b32_e32 v20, v22
	s_waitcnt lgkmcnt(0)
	v_mov_b32_e32 v21, v18
	v_mov_b32_e32 v18, v23
	v_pk_mul_f32 v[22:23], v[18:19], v[12:13]
	v_pk_mul_f32 v[18:19], v[18:19], v[10:11]
	v_pk_fma_f32 v[22:23], v[20:21], v[10:11], v[22:23] neg_lo:[0,0,1] neg_hi:[0,0,1]
	v_pk_fma_f32 v[18:19], v[20:21], v[12:13], v[18:19]
	s_waitcnt vmcnt(0)
	v_mov_b32_e32 v20, v14
	v_mov_b32_e32 v21, v16
	v_mov_b32_e32 v16, v15
	v_pk_add_f32 v[20:21], v[20:21], v[22:23] neg_lo:[0,1] neg_hi:[0,1]
	v_pk_add_f32 v[16:17], v[16:17], v[18:19] neg_lo:[0,1] neg_hi:[0,1]
	v_mov_b32_e32 v14, v20
	v_mov_b32_e32 v15, v16
	;; [unrolled: 1-line block ×3, first 2 shown]
	scratch_store_dwordx4 off, v[14:17], s23
	s_add_i32 s23, s23, 16
	s_cmp_lg_u32 s39, 0
	s_cbranch_scc1 .LBB174_34
; %bb.35:                               ;   in Loop: Header=BB174_32 Depth=3
	s_mov_b64 s[22:23], s[20:21]
	s_mov_b32 s24, s30
	s_branch .LBB174_38
.LBB174_36:                             ;   in Loop: Header=BB174_32 Depth=3
	s_waitcnt vmcnt(0) lgkmcnt(0)
	v_mov_b32_e32 v8, v7
	s_mov_b64 s[22:23], 0
	s_mov_b32 s24, s30
	s_cbranch_execz .LBB174_38
; %bb.37:                               ;   in Loop: Header=BB174_32 Depth=3
	s_mov_b64 s[22:23], -1
	s_mov_b32 s24, 0
.LBB174_38:                             ;   in Loop: Header=BB174_32 Depth=3
	s_andn2_b64 vcc, exec, s[22:23]
	s_cbranch_vccnz .LBB174_31
; %bb.39:                               ;   in Loop: Header=BB174_32 Depth=3
	s_add_i32 s23, s27, s24
	s_lshl_b32 s23, s23, 9
	v_mov_b32_e32 v9, v7
	v_mov_b32_e32 v7, v6
	s_sub_i32 s22, s29, s24
	s_add_i32 s23, s38, s23
	s_lshl_b32 s24, s24, 3
.LBB174_40:                             ;   Parent Loop BB174_19 Depth=1
                                        ;     Parent Loop BB174_22 Depth=2
                                        ;       Parent Loop BB174_32 Depth=3
                                        ; =>      This Inner Loop Header: Depth=4
	scratch_load_dwordx2 v[10:11], off, s24
	v_mov_b32_e32 v12, s23
	ds_read_b64 v[12:13], v12
	s_add_i32 s22, s22, -1
	s_addk_i32 s23, 0x200
	s_waitcnt lgkmcnt(0)
	v_pk_mul_f32 v[14:15], v[12:13], v[8:9] op_sel:[1,0] op_sel_hi:[0,1]
	v_pk_fma_f32 v[16:17], v[12:13], v[6:7], v[14:15] neg_lo:[0,0,1] neg_hi:[0,0,1]
	v_pk_fma_f32 v[12:13], v[12:13], v[6:7], v[14:15]
	s_nop 0
	v_mov_b32_e32 v17, v13
	s_waitcnt vmcnt(0)
	v_pk_add_f32 v[10:11], v[10:11], v[16:17] neg_lo:[0,1] neg_hi:[0,1]
	scratch_store_dwordx2 off, v[10:11], s24
	s_add_i32 s24, s24, 8
	s_cmp_eq_u32 s22, 0
	s_cbranch_scc0 .LBB174_40
	s_branch .LBB174_31
.LBB174_41:                             ;   in Loop: Header=BB174_22 Depth=2
	s_mov_b32 s14, 0
	s_mov_b32 s36, s34
	s_branch .LBB174_43
.LBB174_42:                             ;   in Loop: Header=BB174_43 Depth=3
	s_mul_i32 s23, s22, 0x208
	v_mov_b32_e32 v7, s23
	ds_read_b64 v[10:11], v7
	s_lshl_b32 s24, s14, 3
	s_ashr_i32 s23, s22, 31
	s_add_i32 s14, s14, 1
	s_addk_i32 s36, 0x200
	s_waitcnt lgkmcnt(0)
	v_pk_mul_f32 v[8:9], v[10:11], v[8:9] op_sel:[1,0] op_sel_hi:[0,0]
	v_pk_fma_f32 v[12:13], v[10:11], v[6:7], v[8:9] neg_lo:[0,0,1] neg_hi:[0,0,1]
	v_pk_fma_f32 v[6:7], v[10:11], v[6:7], v[8:9] op_sel_hi:[1,0,1]
	s_cmp_eq_u32 s14, s29
	v_mov_b32_e32 v13, v7
	v_lshl_add_u64 v[6:7], s[22:23], 3, v[0:1]
	scratch_store_dwordx2 off, v[12:13], s24
	flat_store_dwordx2 v[6:7], v[12:13]
	s_cbranch_scc1 .LBB174_21
.LBB174_43:                             ;   Parent Loop BB174_19 Depth=1
                                        ;     Parent Loop BB174_22 Depth=2
                                        ; =>    This Loop Header: Depth=3
                                        ;         Child Loop BB174_45 Depth 4
	s_cmp_lg_u32 s14, 0
	s_cbranch_scc0 .LBB174_47
; %bb.44:                               ;   in Loop: Header=BB174_43 Depth=3
	s_lshl_b32 s22, s14, 3
	scratch_load_dwordx2 v[6:7], off, s22
	s_mov_b32 s23, 0
	s_mov_b32 s24, s36
	;; [unrolled: 1-line block ×3, first 2 shown]
.LBB174_45:                             ;   Parent Loop BB174_19 Depth=1
                                        ;     Parent Loop BB174_22 Depth=2
                                        ;       Parent Loop BB174_43 Depth=3
                                        ; =>      This Inner Loop Header: Depth=4
	scratch_load_dwordx2 v[8:9], off, s23
	v_mov_b32_e32 v10, s24
	ds_read_b64 v[10:11], v10
	s_add_i32 s25, s25, -1
	s_add_i32 s23, s23, 8
	s_add_i32 s24, s24, 8
	s_cmp_eq_u32 s25, 0
	s_waitcnt vmcnt(0) lgkmcnt(0)
	v_pk_mul_f32 v[12:13], v[10:11], v[8:9] op_sel:[1,1] op_sel_hi:[0,1]
	v_pk_fma_f32 v[14:15], v[10:11], v[8:9], v[12:13] neg_lo:[0,0,1] neg_hi:[0,0,1]
	v_pk_fma_f32 v[8:9], v[10:11], v[8:9], v[12:13] op_sel_hi:[1,0,1]
	s_nop 0
	v_mov_b32_e32 v15, v9
	v_pk_add_f32 v[6:7], v[6:7], v[14:15] neg_lo:[0,1] neg_hi:[0,1]
	scratch_store_dwordx2 off, v[6:7], s22
	s_cbranch_scc0 .LBB174_45
; %bb.46:                               ;   in Loop: Header=BB174_43 Depth=3
	s_add_i32 s22, s14, s27
	v_mov_b32_e32 v8, v7
	s_branch .LBB174_42
.LBB174_47:                             ;   in Loop: Header=BB174_43 Depth=3
                                        ; implicit-def: $vgpr6
                                        ; implicit-def: $vgpr8
                                        ; implicit-def: $sgpr22
	s_cbranch_execz .LBB174_42
; %bb.48:                               ;   in Loop: Header=BB174_43 Depth=3
	scratch_load_dwordx2 v[6:7], off, off
	s_mov_b32 s22, s27
	s_waitcnt vmcnt(0)
	v_mov_b32_e32 v8, v7
	s_branch .LBB174_42
.LBB174_49:
	s_mov_b64 s[0:1], 0
.LBB174_50:
	s_and_b64 vcc, exec, s[0:1]
	s_cbranch_vccz .LBB174_83
; %bb.51:
	s_add_i32 s27, s26, -1
	s_add_u32 s0, s8, s2
	s_addc_u32 s1, s9, s3
	s_lshl_b32 s26, s26, 9
	s_mov_b32 s3, 0
	s_mov_b32 s4, s12
	s_mov_b32 s5, s12
	s_mov_b32 s6, s13
	s_mov_b32 s7, s13
	s_mov_b32 s10, s13
	s_mov_b32 s11, s12
	v_lshl_add_u64 v[2:3], v[2:3], 3, s[0:1]
	s_addk_i32 s26, 0xfe00
	s_mov_b32 s8, s27
	s_mov_b32 s14, s3
	s_branch .LBB174_53
.LBB174_52:                             ;   in Loop: Header=BB174_53 Depth=1
	s_cmp_lt_i32 s8, 0
	s_cselect_b64 s[0:1], -1, 0
	s_add_i32 s14, s14, 1
	s_cmp_eq_u32 s14, 3
	s_cselect_b64 s[16:17], -1, 0
	s_or_b64 s[0:1], s[0:1], s[16:17]
	s_and_b64 vcc, exec, s[0:1]
	s_cbranch_vccnz .LBB174_83
.LBB174_53:                             ; =>This Loop Header: Depth=1
                                        ;     Child Loop BB174_56 Depth 2
                                        ;       Child Loop BB174_58 Depth 3
                                        ;       Child Loop BB174_62 Depth 3
	;; [unrolled: 1-line block ×3, first 2 shown]
                                        ;         Child Loop BB174_68 Depth 4
                                        ;         Child Loop BB174_74 Depth 4
                                        ;       Child Loop BB174_77 Depth 3
                                        ;         Child Loop BB174_79 Depth 4
	s_mov_b32 s15, s3
	s_lshl_b64 s[0:1], s[14:15], 2
	s_getpc_b64 s[16:17]
	s_add_u32 s16, s16, __const._ZL30rocblas_trsm_small_left_deviceILi64ELi32ELb0E19rocblas_complex_numIfES1_PKPKS1_PKPS1_Ev13rocblas_fill_18rocblas_operation_17rocblas_diagonal_iiT3_T4_lilT5_lili.step_sizes@rel32@lo+4
	s_addc_u32 s17, s17, __const._ZL30rocblas_trsm_small_left_deviceILi64ELi32ELb0E19rocblas_complex_numIfES1_PKPKS1_PKPS1_Ev13rocblas_fill_18rocblas_operation_17rocblas_diagonal_iiT3_T4_lilT5_lili.step_sizes@rel32@hi+12
	s_add_u32 s0, s16, s0
	s_addc_u32 s1, s17, s1
	s_load_dword s15, s[0:1], 0x0
	s_waitcnt lgkmcnt(0)
	s_add_i32 s28, s15, -1
	s_cmp_lt_i32 s8, s28
	s_cbranch_scc1 .LBB174_52
; %bb.54:                               ;   in Loop: Header=BB174_53 Depth=1
	s_max_i32 s29, s15, 1
	s_cmp_lg_u32 s14, 2
	s_cselect_b64 s[16:17], -1, 0
	s_and_b32 s30, s29, 0x7ffffffe
	s_cmp_lg_u32 s29, s30
	s_cselect_b64 s[18:19], -1, 0
	s_lshl_b32 s0, s8, 3
	s_add_i32 s31, s26, s0
	s_lshl_b32 s0, s15, 3
	v_cndmask_b32_e64 v4, 0, 1, s[16:17]
	s_sub_i32 s33, 0, s0
	s_mul_i32 s34, s8, 0x208
	s_mul_i32 s35, s15, 0xfffffdf8
	v_cmp_ne_u32_e64 s[0:1], 1, v4
	s_branch .LBB174_56
.LBB174_55:                             ;   in Loop: Header=BB174_56 Depth=2
	s_sub_i32 s8, s8, s15
	s_add_i32 s31, s31, s33
	s_add_i32 s34, s34, s35
	s_cmp_lt_i32 s8, s28
	s_cbranch_scc1 .LBB174_52
.LBB174_56:                             ;   Parent Loop BB174_53 Depth=1
                                        ; =>  This Loop Header: Depth=2
                                        ;       Child Loop BB174_58 Depth 3
                                        ;       Child Loop BB174_62 Depth 3
	;; [unrolled: 1-line block ×3, first 2 shown]
                                        ;         Child Loop BB174_68 Depth 4
                                        ;         Child Loop BB174_74 Depth 4
                                        ;       Child Loop BB174_77 Depth 3
                                        ;         Child Loop BB174_79 Depth 4
	s_and_b64 vcc, exec, s[0:1]
	s_cbranch_vccnz .LBB174_60
; %bb.57:                               ;   in Loop: Header=BB174_56 Depth=2
	s_mov_b32 s9, 0
	s_mov_b32 s22, s8
	;; [unrolled: 1-line block ×5, first 2 shown]
.LBB174_58:                             ;   Parent Loop BB174_53 Depth=1
                                        ;     Parent Loop BB174_56 Depth=2
                                        ; =>    This Inner Loop Header: Depth=3
	s_sub_i32 s20, s8, s24
	s_sub_i32 s36, s22, s23
	s_ashr_i32 s21, s20, 31
	s_ashr_i32 s37, s36, 31
	v_lshl_add_u64 v[4:5], s[20:21], 3, v[0:1]
	v_lshl_add_u64 v[6:7], s[36:37], 3, v[0:1]
	flat_load_dwordx2 v[10:11], v[4:5]
	flat_load_dwordx2 v[8:9], v[6:7]
	s_add_i32 s24, s24, 2
	s_add_i32 s23, s23, 2
	s_add_i32 s25, s25, -2
	s_mov_b32 s2, s30
	s_mov_b64 s[20:21], s[18:19]
	s_waitcnt vmcnt(0) lgkmcnt(0)
	v_mov_b32_e32 v4, v10
	v_mov_b32_e32 v5, v8
	;; [unrolled: 1-line block ×3, first 2 shown]
	v_pk_mul_f32 v[6:7], v[8:9], s[6:7]
	v_pk_mul_f32 v[8:9], v[8:9], s[4:5]
	v_pk_fma_f32 v[10:11], v[4:5], s[4:5], v[6:7] neg_lo:[0,0,1] neg_hi:[0,0,1]
	v_pk_fma_f32 v[6:7], v[4:5], s[6:7], v[8:9]
	v_mov_b32_e32 v4, v10
	v_mov_b32_e32 v5, v6
	;; [unrolled: 1-line block ×3, first 2 shown]
	scratch_store_dwordx4 off, v[4:7], s9
	s_add_i32 s9, s9, 16
	s_cmp_lg_u32 s25, 0
	s_cbranch_scc1 .LBB174_58
; %bb.59:                               ;   in Loop: Header=BB174_56 Depth=2
	s_ashr_i32 s9, s8, 31
	s_and_b64 vcc, exec, s[20:21]
	s_cbranch_vccnz .LBB174_61
	s_branch .LBB174_63
.LBB174_60:                             ;   in Loop: Header=BB174_56 Depth=2
	s_mov_b32 s2, 0
	s_ashr_i32 s9, s8, 31
	s_cbranch_execz .LBB174_63
.LBB174_61:                             ;   in Loop: Header=BB174_56 Depth=2
	s_lshl_b64 s[22:23], s[8:9], 3
	s_sub_i32 s20, s29, s2
	s_lshl_b64 s[24:25], s[2:3], 3
	s_sub_u32 s22, s22, s24
	s_subb_u32 s23, s23, s25
	v_lshl_add_u64 v[4:5], v[2:3], 0, s[22:23]
	s_lshl_b32 s2, s2, 3
.LBB174_62:                             ;   Parent Loop BB174_53 Depth=1
                                        ;     Parent Loop BB174_56 Depth=2
                                        ; =>    This Inner Loop Header: Depth=3
	flat_load_dwordx2 v[6:7], v[4:5]
	s_add_i32 s20, s20, -1
	v_lshl_add_u64 v[4:5], v[4:5], 0, -8
	s_waitcnt vmcnt(0) lgkmcnt(0)
	v_pk_mul_f32 v[8:9], v[6:7], s[10:11] op_sel:[1,0]
	s_nop 0
	v_pk_fma_f32 v[10:11], v[6:7], s[12:13], v[8:9] neg_lo:[0,0,1] neg_hi:[0,0,1]
	v_pk_fma_f32 v[6:7], v[6:7], s[12:13], v[8:9] op_sel_hi:[0,1,1]
	v_mov_b32_e32 v11, v7
	scratch_store_dwordx2 off, v[10:11], s2
	s_add_i32 s2, s2, 8
	s_cmp_eq_u32 s20, 0
	s_cbranch_scc0 .LBB174_62
.LBB174_63:                             ;   in Loop: Header=BB174_56 Depth=2
	s_cmp_le_i32 s27, s8
	s_cbranch_scc1 .LBB174_75
; %bb.64:                               ;   in Loop: Header=BB174_56 Depth=2
	s_mov_b32 s2, s8
	s_mov_b32 s36, s8
	;; [unrolled: 1-line block ×4, first 2 shown]
	s_branch .LBB174_66
.LBB174_65:                             ;   in Loop: Header=BB174_66 Depth=3
	s_add_i32 s20, s20, -1
	s_addk_i32 s37, 0xfe00
	s_cmp_le_i32 s20, s8
	s_cbranch_scc1 .LBB174_75
.LBB174_66:                             ;   Parent Loop BB174_53 Depth=1
                                        ;     Parent Loop BB174_56 Depth=2
                                        ; =>    This Loop Header: Depth=3
                                        ;         Child Loop BB174_68 Depth 4
                                        ;         Child Loop BB174_74 Depth 4
	s_ashr_i32 s21, s20, 31
	v_lshl_add_u64 v[4:5], s[20:21], 3, v[0:1]
	flat_load_dwordx2 v[4:5], v[4:5]
	s_and_b64 vcc, exec, s[16:17]
	s_cbranch_vccz .LBB174_70
; %bb.67:                               ;   in Loop: Header=BB174_66 Depth=3
	s_lshl_b32 s21, s20, 9
	s_waitcnt vmcnt(0) lgkmcnt(0)
	v_mov_b32_e32 v8, v4
	v_mov_b32_e32 v9, v4
	;; [unrolled: 1-line block ×3, first 2 shown]
	s_mov_b32 s22, 0
	v_mov_b32_e32 v10, v5
	v_mov_b32_e32 v11, v5
	s_mov_b32 s23, 1
	s_mov_b32 s24, 0
	;; [unrolled: 1-line block ×3, first 2 shown]
.LBB174_68:                             ;   Parent Loop BB174_53 Depth=1
                                        ;     Parent Loop BB174_56 Depth=2
                                        ;       Parent Loop BB174_66 Depth=3
                                        ; =>      This Inner Loop Header: Depth=4
	scratch_load_dwordx4 v[12:15], off, s22
	s_sub_i32 s38, s36, s23
	s_sub_i32 s39, s2, s24
	s_lshl_b32 s39, s39, 3
	s_lshl_b32 s38, s38, 3
	s_add_i32 s39, s21, s39
	s_add_i32 s38, s21, s38
	v_mov_b32_e32 v7, s39
	v_mov_b32_e32 v16, s38
	ds_read_b64 v[20:21], v7
	ds_read_b64 v[16:17], v16
	s_add_i32 s24, s24, 2
	s_add_i32 s23, s23, 2
	s_add_i32 s25, s25, -2
	s_waitcnt lgkmcnt(1)
	v_mov_b32_e32 v18, v20
	s_waitcnt lgkmcnt(0)
	v_mov_b32_e32 v19, v16
	v_mov_b32_e32 v16, v21
	v_pk_mul_f32 v[20:21], v[16:17], v[10:11]
	v_pk_mul_f32 v[16:17], v[16:17], v[8:9]
	v_pk_fma_f32 v[20:21], v[18:19], v[8:9], v[20:21] neg_lo:[0,0,1] neg_hi:[0,0,1]
	v_pk_fma_f32 v[16:17], v[18:19], v[10:11], v[16:17]
	s_waitcnt vmcnt(0)
	v_mov_b32_e32 v18, v12
	v_mov_b32_e32 v19, v14
	;; [unrolled: 1-line block ×3, first 2 shown]
	v_pk_add_f32 v[18:19], v[18:19], v[20:21] neg_lo:[0,1] neg_hi:[0,1]
	v_pk_add_f32 v[14:15], v[14:15], v[16:17] neg_lo:[0,1] neg_hi:[0,1]
	v_mov_b32_e32 v12, v18
	v_mov_b32_e32 v13, v14
	;; [unrolled: 1-line block ×3, first 2 shown]
	scratch_store_dwordx4 off, v[12:15], s22
	s_add_i32 s22, s22, 16
	s_cmp_lg_u32 s25, 0
	s_cbranch_scc1 .LBB174_68
; %bb.69:                               ;   in Loop: Header=BB174_66 Depth=3
	s_mov_b64 s[22:23], s[18:19]
	s_mov_b32 s24, s30
	s_branch .LBB174_72
.LBB174_70:                             ;   in Loop: Header=BB174_66 Depth=3
	s_waitcnt vmcnt(0) lgkmcnt(0)
	v_mov_b32_e32 v6, v5
	s_mov_b64 s[22:23], 0
	s_mov_b32 s24, s30
	s_cbranch_execz .LBB174_72
; %bb.71:                               ;   in Loop: Header=BB174_66 Depth=3
	s_mov_b64 s[22:23], -1
	s_mov_b32 s24, 0
.LBB174_72:                             ;   in Loop: Header=BB174_66 Depth=3
	s_andn2_b64 vcc, exec, s[22:23]
	s_cbranch_vccnz .LBB174_65
; %bb.73:                               ;   in Loop: Header=BB174_66 Depth=3
	s_lshl_b32 s23, s24, 3
	v_mov_b32_e32 v7, v5
	v_mov_b32_e32 v5, v4
	s_sub_i32 s21, s29, s24
	s_sub_i32 s22, s37, s23
.LBB174_74:                             ;   Parent Loop BB174_53 Depth=1
                                        ;     Parent Loop BB174_56 Depth=2
                                        ;       Parent Loop BB174_66 Depth=3
                                        ; =>      This Inner Loop Header: Depth=4
	scratch_load_dwordx2 v[8:9], off, s23
	v_mov_b32_e32 v10, s22
	ds_read_b64 v[10:11], v10
	s_add_i32 s21, s21, -1
	s_add_i32 s22, s22, -8
	s_waitcnt lgkmcnt(0)
	v_pk_mul_f32 v[12:13], v[10:11], v[6:7] op_sel:[1,0] op_sel_hi:[0,1]
	v_pk_fma_f32 v[14:15], v[10:11], v[4:5], v[12:13] neg_lo:[0,0,1] neg_hi:[0,0,1]
	v_pk_fma_f32 v[10:11], v[10:11], v[4:5], v[12:13]
	s_nop 0
	v_mov_b32_e32 v15, v11
	s_waitcnt vmcnt(0)
	v_pk_add_f32 v[8:9], v[8:9], v[14:15] neg_lo:[0,1] neg_hi:[0,1]
	scratch_store_dwordx2 off, v[8:9], s23
	s_add_i32 s23, s23, 8
	s_cmp_eq_u32 s21, 0
	s_cbranch_scc0 .LBB174_74
	s_branch .LBB174_65
.LBB174_75:                             ;   in Loop: Header=BB174_56 Depth=2
	s_mov_b32 s2, 0
	s_mov_b32 s36, s34
	s_branch .LBB174_77
.LBB174_76:                             ;   in Loop: Header=BB174_77 Depth=3
	s_mulk_i32 s22, 0x208
	v_mov_b32_e32 v5, s22
	ds_read_b64 v[8:9], v5
	s_lshl_b32 s22, s2, 3
	s_add_i32 s2, s2, 1
	s_add_i32 s36, s36, -8
	v_lshl_add_u64 v[10:11], s[20:21], 3, v[0:1]
	s_waitcnt lgkmcnt(0)
	v_pk_mul_f32 v[6:7], v[8:9], v[6:7] op_sel:[1,0] op_sel_hi:[0,0]
	v_pk_fma_f32 v[12:13], v[8:9], v[4:5], v[6:7] neg_lo:[0,0,1] neg_hi:[0,0,1]
	v_pk_fma_f32 v[4:5], v[8:9], v[4:5], v[6:7] op_sel_hi:[1,0,1]
	s_cmp_eq_u32 s2, s29
	v_mov_b32_e32 v13, v5
	scratch_store_dwordx2 off, v[12:13], s22
	flat_store_dwordx2 v[10:11], v[12:13]
	s_cbranch_scc1 .LBB174_55
.LBB174_77:                             ;   Parent Loop BB174_53 Depth=1
                                        ;     Parent Loop BB174_56 Depth=2
                                        ; =>    This Loop Header: Depth=3
                                        ;         Child Loop BB174_79 Depth 4
	s_cmp_lg_u32 s2, 0
	s_cbranch_scc0 .LBB174_81
; %bb.78:                               ;   in Loop: Header=BB174_77 Depth=3
	s_lshl_b32 s20, s2, 3
	scratch_load_dwordx2 v[4:5], off, s20
	s_mov_b32 s21, 0
	s_mov_b32 s22, s36
	;; [unrolled: 1-line block ×3, first 2 shown]
.LBB174_79:                             ;   Parent Loop BB174_53 Depth=1
                                        ;     Parent Loop BB174_56 Depth=2
                                        ;       Parent Loop BB174_77 Depth=3
                                        ; =>      This Inner Loop Header: Depth=4
	scratch_load_dwordx2 v[6:7], off, s21
	v_mov_b32_e32 v8, s22
	ds_read_b64 v[8:9], v8
	s_add_i32 s23, s23, -1
	s_addk_i32 s22, 0xfe00
	s_add_i32 s21, s21, 8
	s_cmp_eq_u32 s23, 0
	s_waitcnt vmcnt(0) lgkmcnt(0)
	v_pk_mul_f32 v[10:11], v[8:9], v[6:7] op_sel:[1,1] op_sel_hi:[0,1]
	v_pk_fma_f32 v[12:13], v[8:9], v[6:7], v[10:11] neg_lo:[0,0,1] neg_hi:[0,0,1]
	v_pk_fma_f32 v[6:7], v[8:9], v[6:7], v[10:11] op_sel_hi:[1,0,1]
	s_nop 0
	v_mov_b32_e32 v13, v7
	v_pk_add_f32 v[4:5], v[4:5], v[12:13] neg_lo:[0,1] neg_hi:[0,1]
	scratch_store_dwordx2 off, v[4:5], s20
	s_cbranch_scc0 .LBB174_79
; %bb.80:                               ;   in Loop: Header=BB174_77 Depth=3
	s_sub_i32 s22, s8, s2
	s_ashr_i32 s23, s22, 31
	v_mov_b32_e32 v6, v5
	s_mov_b64 s[20:21], s[22:23]
	s_branch .LBB174_76
.LBB174_81:                             ;   in Loop: Header=BB174_77 Depth=3
                                        ; implicit-def: $vgpr4
                                        ; implicit-def: $vgpr6
                                        ; implicit-def: $sgpr22
                                        ; implicit-def: $sgpr20_sgpr21
	s_cbranch_execz .LBB174_76
; %bb.82:                               ;   in Loop: Header=BB174_77 Depth=3
	scratch_load_dwordx2 v[4:5], off, off
	s_mov_b64 s[20:21], s[8:9]
	s_mov_b32 s22, s8
	s_waitcnt vmcnt(0)
	v_mov_b32_e32 v6, v5
	s_branch .LBB174_76
.LBB174_83:
	s_endpgm
	.section	.rodata,"a",@progbits
	.p2align	6, 0x0
	.amdhsa_kernel _ZL30rocblas_trsm_small_left_deviceILi64ELi32ELb0E19rocblas_complex_numIfES1_PKPKS1_PKPS1_Ev13rocblas_fill_18rocblas_operation_17rocblas_diagonal_iiT3_T4_lilT5_lili
		.amdhsa_group_segment_fixed_size 32768
		.amdhsa_private_segment_fixed_size 272
		.amdhsa_kernarg_size 360
		.amdhsa_user_sgpr_count 2
		.amdhsa_user_sgpr_dispatch_ptr 0
		.amdhsa_user_sgpr_queue_ptr 0
		.amdhsa_user_sgpr_kernarg_segment_ptr 1
		.amdhsa_user_sgpr_dispatch_id 0
		.amdhsa_user_sgpr_kernarg_preload_length 0
		.amdhsa_user_sgpr_kernarg_preload_offset 0
		.amdhsa_user_sgpr_private_segment_size 0
		.amdhsa_uses_dynamic_stack 0
		.amdhsa_enable_private_segment 1
		.amdhsa_system_sgpr_workgroup_id_x 1
		.amdhsa_system_sgpr_workgroup_id_y 0
		.amdhsa_system_sgpr_workgroup_id_z 1
		.amdhsa_system_sgpr_workgroup_info 0
		.amdhsa_system_vgpr_workitem_id 0
		.amdhsa_next_free_vgpr 169
		.amdhsa_next_free_sgpr 96
		.amdhsa_accum_offset 24
		.amdhsa_reserve_vcc 1
		.amdhsa_float_round_mode_32 0
		.amdhsa_float_round_mode_16_64 0
		.amdhsa_float_denorm_mode_32 3
		.amdhsa_float_denorm_mode_16_64 3
		.amdhsa_dx10_clamp 1
		.amdhsa_ieee_mode 1
		.amdhsa_fp16_overflow 0
		.amdhsa_tg_split 0
		.amdhsa_exception_fp_ieee_invalid_op 0
		.amdhsa_exception_fp_denorm_src 0
		.amdhsa_exception_fp_ieee_div_zero 0
		.amdhsa_exception_fp_ieee_overflow 0
		.amdhsa_exception_fp_ieee_underflow 0
		.amdhsa_exception_fp_ieee_inexact 0
		.amdhsa_exception_int_div_zero 0
	.end_amdhsa_kernel
	.section	.text._ZL30rocblas_trsm_small_left_deviceILi64ELi32ELb0E19rocblas_complex_numIfES1_PKPKS1_PKPS1_Ev13rocblas_fill_18rocblas_operation_17rocblas_diagonal_iiT3_T4_lilT5_lili,"axG",@progbits,_ZL30rocblas_trsm_small_left_deviceILi64ELi32ELb0E19rocblas_complex_numIfES1_PKPKS1_PKPS1_Ev13rocblas_fill_18rocblas_operation_17rocblas_diagonal_iiT3_T4_lilT5_lili,comdat
.Lfunc_end174:
	.size	_ZL30rocblas_trsm_small_left_deviceILi64ELi32ELb0E19rocblas_complex_numIfES1_PKPKS1_PKPS1_Ev13rocblas_fill_18rocblas_operation_17rocblas_diagonal_iiT3_T4_lilT5_lili, .Lfunc_end174-_ZL30rocblas_trsm_small_left_deviceILi64ELi32ELb0E19rocblas_complex_numIfES1_PKPKS1_PKPS1_Ev13rocblas_fill_18rocblas_operation_17rocblas_diagonal_iiT3_T4_lilT5_lili
                                        ; -- End function
	.set _ZL30rocblas_trsm_small_left_deviceILi64ELi32ELb0E19rocblas_complex_numIfES1_PKPKS1_PKPS1_Ev13rocblas_fill_18rocblas_operation_17rocblas_diagonal_iiT3_T4_lilT5_lili.num_vgpr, 24
	.set _ZL30rocblas_trsm_small_left_deviceILi64ELi32ELb0E19rocblas_complex_numIfES1_PKPKS1_PKPS1_Ev13rocblas_fill_18rocblas_operation_17rocblas_diagonal_iiT3_T4_lilT5_lili.num_agpr, 0
	.set _ZL30rocblas_trsm_small_left_deviceILi64ELi32ELb0E19rocblas_complex_numIfES1_PKPKS1_PKPS1_Ev13rocblas_fill_18rocblas_operation_17rocblas_diagonal_iiT3_T4_lilT5_lili.numbered_sgpr, 42
	.set _ZL30rocblas_trsm_small_left_deviceILi64ELi32ELb0E19rocblas_complex_numIfES1_PKPKS1_PKPS1_Ev13rocblas_fill_18rocblas_operation_17rocblas_diagonal_iiT3_T4_lilT5_lili.num_named_barrier, 0
	.set _ZL30rocblas_trsm_small_left_deviceILi64ELi32ELb0E19rocblas_complex_numIfES1_PKPKS1_PKPS1_Ev13rocblas_fill_18rocblas_operation_17rocblas_diagonal_iiT3_T4_lilT5_lili.private_seg_size, 272
	.set _ZL30rocblas_trsm_small_left_deviceILi64ELi32ELb0E19rocblas_complex_numIfES1_PKPKS1_PKPS1_Ev13rocblas_fill_18rocblas_operation_17rocblas_diagonal_iiT3_T4_lilT5_lili.uses_vcc, 1
	.set _ZL30rocblas_trsm_small_left_deviceILi64ELi32ELb0E19rocblas_complex_numIfES1_PKPKS1_PKPS1_Ev13rocblas_fill_18rocblas_operation_17rocblas_diagonal_iiT3_T4_lilT5_lili.uses_flat_scratch, 0
	.set _ZL30rocblas_trsm_small_left_deviceILi64ELi32ELb0E19rocblas_complex_numIfES1_PKPKS1_PKPS1_Ev13rocblas_fill_18rocblas_operation_17rocblas_diagonal_iiT3_T4_lilT5_lili.has_dyn_sized_stack, 0
	.set _ZL30rocblas_trsm_small_left_deviceILi64ELi32ELb0E19rocblas_complex_numIfES1_PKPKS1_PKPS1_Ev13rocblas_fill_18rocblas_operation_17rocblas_diagonal_iiT3_T4_lilT5_lili.has_recursion, 0
	.set _ZL30rocblas_trsm_small_left_deviceILi64ELi32ELb0E19rocblas_complex_numIfES1_PKPKS1_PKPS1_Ev13rocblas_fill_18rocblas_operation_17rocblas_diagonal_iiT3_T4_lilT5_lili.has_indirect_call, 0
	.section	.AMDGPU.csdata,"",@progbits
; Kernel info:
; codeLenInByte = 3464
; TotalNumSgprs: 48
; NumVgprs: 24
; NumAgprs: 0
; TotalNumVgprs: 24
; ScratchSize: 272
; MemoryBound: 0
; FloatMode: 240
; IeeeMode: 1
; LDSByteSize: 32768 bytes/workgroup (compile time only)
; SGPRBlocks: 12
; VGPRBlocks: 21
; NumSGPRsForWavesPerEU: 102
; NumVGPRsForWavesPerEU: 169
; AccumOffset: 24
; Occupancy: 2
; WaveLimiterHint : 1
; COMPUTE_PGM_RSRC2:SCRATCH_EN: 1
; COMPUTE_PGM_RSRC2:USER_SGPR: 2
; COMPUTE_PGM_RSRC2:TRAP_HANDLER: 0
; COMPUTE_PGM_RSRC2:TGID_X_EN: 1
; COMPUTE_PGM_RSRC2:TGID_Y_EN: 0
; COMPUTE_PGM_RSRC2:TGID_Z_EN: 1
; COMPUTE_PGM_RSRC2:TIDIG_COMP_CNT: 0
; COMPUTE_PGM_RSRC3_GFX90A:ACCUM_OFFSET: 5
; COMPUTE_PGM_RSRC3_GFX90A:TG_SPLIT: 0
	.section	.text._ZL38rocblas_trsm_small_left_device_sharedBILi64ELi32ELb1E19rocblas_complex_numIfES1_PKPKS1_PKPS1_Ev13rocblas_fill_18rocblas_operation_17rocblas_diagonal_iiT3_T4_lilT5_lili,"axG",@progbits,_ZL38rocblas_trsm_small_left_device_sharedBILi64ELi32ELb1E19rocblas_complex_numIfES1_PKPKS1_PKPS1_Ev13rocblas_fill_18rocblas_operation_17rocblas_diagonal_iiT3_T4_lilT5_lili,comdat
	.globl	_ZL38rocblas_trsm_small_left_device_sharedBILi64ELi32ELb1E19rocblas_complex_numIfES1_PKPKS1_PKPS1_Ev13rocblas_fill_18rocblas_operation_17rocblas_diagonal_iiT3_T4_lilT5_lili ; -- Begin function _ZL38rocblas_trsm_small_left_device_sharedBILi64ELi32ELb1E19rocblas_complex_numIfES1_PKPKS1_PKPS1_Ev13rocblas_fill_18rocblas_operation_17rocblas_diagonal_iiT3_T4_lilT5_lili
	.p2align	8
	.type	_ZL38rocblas_trsm_small_left_device_sharedBILi64ELi32ELb1E19rocblas_complex_numIfES1_PKPKS1_PKPS1_Ev13rocblas_fill_18rocblas_operation_17rocblas_diagonal_iiT3_T4_lilT5_lili,@function
_ZL38rocblas_trsm_small_left_device_sharedBILi64ELi32ELb1E19rocblas_complex_numIfES1_PKPKS1_PKPS1_Ev13rocblas_fill_18rocblas_operation_17rocblas_diagonal_iiT3_T4_lilT5_lili: ; @_ZL38rocblas_trsm_small_left_device_sharedBILi64ELi32ELb1E19rocblas_complex_numIfES1_PKPKS1_PKPS1_Ev13rocblas_fill_18rocblas_operation_17rocblas_diagonal_iiT3_T4_lilT5_lili
; %bb.0:
	s_load_dwordx4 s[8:11], s[0:1], 0x40
	s_load_dwordx4 s[4:7], s[0:1], 0x4
	s_load_dwordx2 s[12:13], s[0:1], 0x14
	s_mov_b32 s14, s3
	s_mov_b32 s15, 0
	s_lshl_b64 s[18:19], s[14:15], 3
	s_waitcnt lgkmcnt(0)
	s_add_u32 s8, s8, s18
	s_addc_u32 s9, s9, s19
	s_load_dword s3, s[0:1], 0x68
	s_load_dwordx2 s[14:15], s[8:9], 0x0
	s_min_i32 s28, s6, 64
	v_cmp_gt_i32_e32 vcc, s28, v0
	s_and_saveexec_b64 s[8:9], vcc
	s_cbranch_execz .LBB175_15
; %bb.1:
	s_load_dword s24, s[0:1], 0x30
	s_load_dwordx4 s[20:23], s[0:1], 0x20
	v_lshlrev_b32_e32 v2, 3, v0
	v_mov_b32_e32 v3, 0
	v_mov_b32_e32 v1, v2
	s_waitcnt lgkmcnt(0)
	s_ashr_i32 s25, s24, 31
	s_cmpk_lg_i32 s4, 0x71
	s_cselect_b64 s[16:17], -1, 0
	s_add_u32 s18, s20, s18
	s_addc_u32 s19, s21, s19
	s_load_dwordx2 s[18:19], s[18:19], 0x0
	s_lshl_b64 s[20:21], s[22:23], 3
	s_mov_b32 s22, s28
	s_waitcnt lgkmcnt(0)
	s_add_u32 s20, s18, s20
	s_addc_u32 s21, s19, s21
	s_lshl_b64 s[18:19], s[24:25], 3
	v_lshl_add_u64 v[4:5], s[20:21], 0, v[2:3]
	s_branch .LBB175_3
.LBB175_2:                              ;   in Loop: Header=BB175_3 Depth=1
	flat_load_dword v6, v[4:5]
	s_add_i32 s22, s22, -1
	v_lshl_add_u64 v[4:5], v[4:5], 0, s[18:19]
	s_cmp_eq_u32 s22, 0
	s_waitcnt vmcnt(0) lgkmcnt(0)
	ds_write_b64 v1, v[6:7]
	v_add_u32_e32 v1, 0x200, v1
	s_cbranch_scc1 .LBB175_7
.LBB175_3:                              ; =>This Inner Loop Header: Depth=1
	s_mov_b64 s[20:21], -1
	s_and_b64 vcc, exec, s[16:17]
                                        ; implicit-def: $vgpr7
	s_cbranch_vccz .LBB175_5
; %bb.4:                                ;   in Loop: Header=BB175_3 Depth=1
	flat_load_dword v7, v[4:5] offset:4
	s_mov_b64 s[20:21], 0
.LBB175_5:                              ;   in Loop: Header=BB175_3 Depth=1
	s_andn2_b64 vcc, exec, s[20:21]
	s_cbranch_vccnz .LBB175_2
; %bb.6:                                ;   in Loop: Header=BB175_3 Depth=1
	flat_load_dword v3, v[4:5] offset:4
	s_waitcnt vmcnt(0) lgkmcnt(0)
	v_xor_b32_e32 v7, 0x80000000, v3
	s_branch .LBB175_2
.LBB175_7:
	s_cmpk_lg_i32 s5, 0x84
	v_lshlrev_b32_e32 v1, 9, v0
	s_mov_b64 s[16:17], -1
	s_cbranch_scc0 .LBB175_13
; %bb.8:
	v_add_u32_e32 v3, v2, v1
	ds_read_b64 v[4:5], v3
                                        ; implicit-def: $vgpr6_vgpr7
	s_waitcnt lgkmcnt(0)
	v_cmp_ngt_f32_e64 s[16:17], |v4|, |v5|
	s_and_saveexec_b64 s[18:19], s[16:17]
	s_xor_b64 s[16:17], exec, s[18:19]
	s_cbranch_execz .LBB175_10
; %bb.9:
	v_div_scale_f32 v6, s[18:19], v5, v5, v4
	v_rcp_f32_e32 v7, v6
	v_div_scale_f32 v8, vcc, v4, v5, v4
	v_fma_f32 v9, -v6, v7, 1.0
	v_fmac_f32_e32 v7, v9, v7
	v_mul_f32_e32 v9, v8, v7
	v_fma_f32 v10, -v6, v9, v8
	v_fmac_f32_e32 v9, v10, v7
	v_fma_f32 v6, -v6, v9, v8
	v_div_fmas_f32 v6, v6, v7, v9
	v_div_fixup_f32 v6, v6, v5, v4
	v_fmac_f32_e32 v5, v4, v6
	v_div_scale_f32 v4, s[18:19], v5, v5, 1.0
	v_rcp_f32_e32 v7, v4
	s_mov_b32 s18, 0
	s_mov_b32 s19, -1.0
	v_fma_f32 v8, -v4, v7, 1.0
	v_fmac_f32_e32 v7, v8, v7
	v_div_scale_f32 v8, vcc, 1.0, v5, 1.0
	v_mul_f32_e32 v9, v8, v7
	v_fma_f32 v10, -v4, v9, v8
	v_fmac_f32_e32 v9, v10, v7
	v_fma_f32 v4, -v4, v9, v8
	v_div_fmas_f32 v4, v4, v7, v9
	v_mul_f32_e32 v7, 0, v6
	v_div_fixup_f32 v4, v4, v5, 1.0
	v_pk_add_f32 v[6:7], v[6:7], s[18:19]
	s_nop 0
	v_pk_mul_f32 v[6:7], v[6:7], v[4:5] op_sel_hi:[1,0]
                                        ; implicit-def: $vgpr4_vgpr5
.LBB175_10:
	s_andn2_saveexec_b64 s[16:17], s[16:17]
	s_cbranch_execz .LBB175_12
; %bb.11:
	v_div_scale_f32 v6, s[18:19], v4, v4, v5
	v_rcp_f32_e32 v7, v6
	v_div_scale_f32 v8, vcc, v5, v4, v5
	v_fma_f32 v9, -v6, v7, 1.0
	v_fmac_f32_e32 v7, v9, v7
	v_mul_f32_e32 v9, v8, v7
	v_fma_f32 v10, -v6, v9, v8
	v_fmac_f32_e32 v9, v10, v7
	v_fma_f32 v6, -v6, v9, v8
	v_div_fmas_f32 v6, v6, v7, v9
	v_div_fixup_f32 v7, v6, v4, v5
	v_fmac_f32_e32 v4, v5, v7
	v_div_scale_f32 v5, s[18:19], v4, v4, 1.0
	v_rcp_f32_e32 v6, v5
	s_nop 0
	v_fma_f32 v8, -v5, v6, 1.0
	v_fmac_f32_e32 v6, v8, v6
	v_div_scale_f32 v8, vcc, 1.0, v4, 1.0
	v_mul_f32_e32 v9, v8, v6
	v_fma_f32 v10, -v5, v9, v8
	v_fmac_f32_e32 v9, v10, v6
	v_fma_f32 v5, -v5, v9, v8
	v_div_fmas_f32 v5, v5, v6, v9
	v_div_fixup_f32 v4, v5, v4, 1.0
	v_mul_f32_e32 v5, 0, v7
	v_add_f32_e32 v6, 1.0, v5
	v_sub_f32_e32 v7, 0, v7
	v_pk_mul_f32 v[6:7], v[6:7], v[4:5] op_sel_hi:[1,0]
.LBB175_12:
	s_or_b64 exec, exec, s[16:17]
	s_mov_b64 s[16:17], 0
	ds_write_b64 v3, v[6:7]
.LBB175_13:
	s_and_b64 vcc, exec, s[16:17]
	s_cbranch_vccz .LBB175_15
; %bb.14:
	v_add_u32_e32 v1, v2, v1
	v_mov_b32_e32 v2, 1.0
	v_mov_b32_e32 v3, 0
	ds_write_b64 v1, v[2:3]
.LBB175_15:
	s_or_b64 exec, exec, s[8:9]
	s_load_dword s29, s[0:1], 0x50
	s_lshl_b64 s[16:17], s[10:11], 3
	s_waitcnt lgkmcnt(0)
	s_ashr_i32 s5, s29, 31
	s_add_u32 s8, s14, s16
	s_addc_u32 s9, s15, s17
	s_lshl_b32 s18, s2, 6
	s_add_i32 s3, s3, -1
	s_sub_i32 s0, s7, s18
	s_cmp_ge_u32 s2, s3
	s_mul_hi_i32 s1, s29, s18
	s_cselect_b32 s7, s0, 64
	s_mul_i32 s0, s29, s18
	s_lshl_b64 s[0:1], s[0:1], 3
	s_add_u32 s2, s8, s0
	s_addc_u32 s3, s9, s1
	s_cmp_gt_i32 s6, 0
	v_cmp_gt_i32_e64 s[0:1], s7, v0
	s_cselect_b64 s[8:9], -1, 0
	s_mov_b32 s7, 0
	s_and_b64 s[20:21], s[0:1], s[8:9]
	s_and_saveexec_b64 s[10:11], s[20:21]
	s_cbranch_execz .LBB175_23
; %bb.16:
	s_cmp_lt_i32 s6, 2
	s_mov_b64 s[20:21], -1
	s_cbranch_scc1 .LBB175_20
; %bb.17:
	v_mad_i64_i32 v[2:3], s[20:21], s29, v0, 0
	v_mov_b32_e32 v1, 0x8000
	s_and_b32 s7, s28, 0x7e
	s_mov_b32 s27, 0
	v_lshl_add_u64 v[2:3], v[2:3], 3, s[2:3]
	v_lshl_or_b32 v1, v0, 3, v1
	s_mov_b32 s20, s12
	s_mov_b32 s21, s12
	;; [unrolled: 1-line block ×7, first 2 shown]
.LBB175_18:                             ; =>This Inner Loop Header: Depth=1
	v_lshl_add_u64 v[4:5], s[26:27], 3, v[2:3]
	s_mov_b32 s25, s27
	v_lshl_add_u64 v[6:7], s[24:25], 3, v[2:3]
	flat_load_dwordx2 v[12:13], v[4:5]
	flat_load_dwordx2 v[8:9], v[6:7]
	v_lshl_add_u32 v10, s26, 9, v1
	v_lshl_add_u32 v11, s24, 9, v1
	s_add_i32 s26, s26, 2
	s_add_i32 s19, s19, -2
	s_add_i32 s24, s24, 2
	s_cmp_lg_u32 s19, 0
	s_waitcnt vmcnt(0) lgkmcnt(0)
	v_mov_b32_e32 v4, v12
	v_mov_b32_e32 v5, v8
	;; [unrolled: 1-line block ×3, first 2 shown]
	v_pk_mul_f32 v[6:7], s[22:23], v[8:9]
	v_pk_mul_f32 v[8:9], s[20:21], v[8:9]
	v_pk_fma_f32 v[6:7], s[20:21], v[4:5], v[6:7] neg_lo:[0,0,1] neg_hi:[0,0,1]
	v_pk_fma_f32 v[4:5], s[22:23], v[4:5], v[8:9]
	ds_write_b32 v10, v6
	ds_write_b32 v11, v7
	ds_write_b32 v10, v4 offset:4
	ds_write_b32 v11, v5 offset:4
	s_cbranch_scc1 .LBB175_18
; %bb.19:
	s_cmp_lg_u32 s28, s7
	s_cselect_b64 s[20:21], -1, 0
.LBB175_20:
	s_and_b64 vcc, exec, s[20:21]
	s_cbranch_vccz .LBB175_23
; %bb.21:
	s_ashr_i32 s19, s18, 31
	v_lshlrev_b32_e32 v4, 3, v0
	v_mov_b32_e32 v5, 0
	s_sub_i32 s22, s28, s7
	v_lshl_add_u64 v[6:7], s[18:19], 3, v[4:5]
	s_lshl_b32 s18, s7, 3
	s_add_u32 s14, s14, s18
	s_addc_u32 s15, s15, 0
	s_add_u32 s14, s14, s16
	s_addc_u32 s15, s15, s17
	v_mov_b64_e32 v[2:3], s[14:15]
	v_mad_u64_u32 v[2:3], s[14:15], v6, s29, v[2:3]
	v_mul_lo_u32 v1, v6, s5
	v_mul_lo_u32 v5, v7, s29
	v_add3_u32 v3, v5, v3, v1
	v_lshl_or_b32 v1, s7, 9, v4
	s_mov_b32 s20, s13
	s_mov_b32 s21, s12
	v_add_u32_e32 v1, 0x8000, v1
.LBB175_22:                             ; =>This Inner Loop Header: Depth=1
	flat_load_dwordx2 v[4:5], v[2:3]
	s_add_i32 s22, s22, -1
	v_lshl_add_u64 v[2:3], v[2:3], 0, 8
	s_cmp_lg_u32 s22, 0
	s_waitcnt vmcnt(0) lgkmcnt(0)
	v_pk_mul_f32 v[6:7], s[20:21], v[4:5] op_sel:[0,1]
	s_nop 0
	v_pk_fma_f32 v[8:9], s[12:13], v[4:5], v[6:7] neg_lo:[0,0,1] neg_hi:[0,0,1]
	v_pk_fma_f32 v[4:5], s[12:13], v[4:5], v[6:7] op_sel_hi:[1,0,1]
	s_nop 0
	v_mov_b32_e32 v9, v5
	ds_write_b64 v1, v[8:9]
	v_add_u32_e32 v1, 0x200, v1
	s_cbranch_scc1 .LBB175_22
.LBB175_23:
	s_or_b64 exec, exec, s[10:11]
	v_mov_b32_e32 v1, 0x8000
	s_cmpk_eq_i32 s4, 0x6f
	v_lshl_or_b32 v1, v0, 3, v1
	s_mov_b64 s[4:5], -1
	s_waitcnt lgkmcnt(0)
	; wave barrier
	s_cbranch_scc1 .LBB175_63
; %bb.24:
	s_add_i32 s7, s28, -1
	s_cmp_gt_i32 s6, 31
	s_mov_b32 s4, s7
	s_cbranch_scc0 .LBB175_34
; %bb.25:
	v_lshlrev_b32_e32 v2, 3, v0
	v_lshl_or_b32 v2, s28, 9, v2
	s_lshl_b32 s10, s28, 3
	v_add_u32_e32 v176, 0x7e00, v2
	s_addk_i32 s10, 0xc1f8
	s_mov_b32 s4, s7
	s_branch .LBB175_27
.LBB175_26:                             ;   in Loop: Header=BB175_27 Depth=1
	scratch_load_dwordx4 v[6:9], off, off offset:24
	scratch_load_dwordx4 v[2:5], off, off offset:40
	s_add_i32 s13, s11, -1
	s_add_i32 s16, s11, -2
	s_lshl_b32 s14, s13, 9
	s_lshl_b32 s18, s13, 3
	s_mul_i32 s4, s11, 0x208
	s_lshl_b32 s5, s11, 3
	s_add_i32 s17, s11, -3
	s_lshl_b32 s15, s16, 9
	s_lshl_b32 s16, s16, 3
	s_add_i32 s18, s14, s18
	v_mov_b32_e32 v10, s4
	s_lshl_b32 s13, s17, 9
	s_add_i32 s19, s15, s5
	s_add_i32 s16, s15, s16
	v_mov_b32_e32 v11, s18
	s_lshl_b32 s17, s17, 3
	s_add_i32 s20, s13, s5
	v_mov_b32_e32 v16, s19
	v_mov_b32_e32 v17, s16
	ds_read_b64 v[14:15], v10
	ds_read2_b64 v[10:13], v11 offset1:1
	ds_read_b64 v[30:31], v16
	ds_read2_b64 v[18:21], v17 offset1:1
	s_add_i32 s17, s13, s17
	s_add_i32 s16, s20, -8
	v_mov_b32_e32 v26, s17
	v_mov_b32_e32 v16, s16
	s_waitcnt vmcnt(3) lgkmcnt(3)
	v_mul_f32_e32 v17, v14, v47
	ds_read2_b64 v[22:25], v16 offset1:1
	ds_read2_b64 v[26:29], v26 offset1:1
	v_mul_f32_e32 v16, v15, v47
	v_fmac_f32_e32 v17, v15, v46
	v_fma_f32 v16, v14, v46, -v16
	s_waitcnt lgkmcnt(4)
	v_mul_f32_e32 v15, v12, v17
	v_mul_f32_e32 v14, v13, v17
	v_fmac_f32_e32 v15, v13, v16
	v_fma_f32 v12, v12, v16, -v14
	v_sub_f32_e32 v15, v49, v15
	s_waitcnt lgkmcnt(3)
	v_mul_f32_e32 v32, v31, v17
	s_waitcnt lgkmcnt(1)
	v_mul_f32_e32 v14, v25, v17
	v_sub_f32_e32 v12, v48, v12
	v_mul_f32_e32 v39, v10, v15
	v_mul_f32_e32 v33, v30, v17
	v_fma_f32 v13, v30, v16, -v32
	v_mul_f32_e32 v30, v24, v17
	v_fma_f32 v14, v24, v16, -v14
	v_mul_f32_e32 v24, v11, v15
	v_fmac_f32_e32 v39, v11, v12
	v_fmac_f32_e32 v33, v31, v16
	v_fma_f32 v38, v10, v12, -v24
	v_mul_f32_e32 v11, v20, v39
	s_waitcnt vmcnt(2)
	v_sub_f32_e32 v31, v53, v33
	v_mul_f32_e32 v10, v21, v39
	v_fmac_f32_e32 v11, v21, v38
	v_sub_f32_e32 v13, v52, v13
	v_fma_f32 v10, v20, v38, -v10
	v_sub_f32_e32 v11, v31, v11
	v_sub_f32_e32 v10, v13, v10
	v_mul_f32_e32 v41, v18, v11
	v_fmac_f32_e32 v30, v25, v16
	v_mul_f32_e32 v15, v22, v39
	v_mul_f32_e32 v13, v19, v11
	v_fmac_f32_e32 v41, v19, v10
	v_mul_f32_e32 v12, v23, v39
	v_fmac_f32_e32 v15, v23, v38
	v_fma_f32 v40, v18, v10, -v13
	s_waitcnt lgkmcnt(0)
	v_mul_f32_e32 v11, v28, v41
	v_fma_f32 v12, v22, v38, -v12
	v_mul_f32_e32 v10, v29, v41
	v_fmac_f32_e32 v11, v29, v40
	s_add_i32 s17, s11, -4
	v_fma_f32 v10, v28, v40, -v10
	s_lshl_b32 s16, s17, 9
	s_add_i32 s18, s16, s5
	s_lshl_b32 s17, s17, 3
	s_add_i32 s17, s16, s17
	scratch_store_dwordx2 off, v[16:17], off
	scratch_store_dwordx2 off, v[38:39], off offset:8
	scratch_load_dwordx4 v[22:25], off, off
	s_waitcnt vmcnt(4)
	v_sub_f32_e32 v7, v7, v30
	v_sub_f32_e32 v6, v6, v14
	;; [unrolled: 1-line block ×6, first 2 shown]
	v_mul_f32_e32 v10, v27, v7
	v_mul_f32_e32 v55, v26, v7
	v_fma_f32 v54, v26, v6, -v10
	v_fmac_f32_e32 v55, v27, v6
	v_mov_b32_e32 v6, s18
	ds_read_b64 v[6:7], v6
	s_add_i32 s18, s18, -16
	v_mov_b32_e32 v10, s18
	ds_read2_b64 v[10:13], v10 offset1:1
	s_add_i32 s18, s11, -5
	s_waitcnt lgkmcnt(1)
	v_mul_f32_e32 v14, v7, v17
	v_fma_f32 v14, v6, v16, -v14
	v_mul_f32_e32 v6, v6, v17
	v_fmac_f32_e32 v6, v7, v16
	v_sub_f32_e32 v6, v9, v6
	s_waitcnt lgkmcnt(0)
	v_mul_f32_e32 v9, v12, v39
	v_sub_f32_e32 v7, v8, v14
	v_mul_f32_e32 v8, v13, v39
	v_fmac_f32_e32 v9, v13, v38
	v_fma_f32 v8, v12, v38, -v8
	v_sub_f32_e32 v6, v6, v9
	v_mul_f32_e32 v9, v10, v41
	v_sub_f32_e32 v7, v7, v8
	v_mul_f32_e32 v8, v11, v41
	v_fmac_f32_e32 v9, v11, v40
	v_fma_f32 v8, v10, v40, -v8
	v_sub_f32_e32 v15, v6, v9
	v_mov_b32_e32 v6, s17
	v_sub_f32_e32 v14, v7, v8
	ds_read2_b64 v[6:9], v6 offset1:1
	s_lshl_b32 s17, s18, 9
	s_add_i32 s19, s17, s5
	s_add_i32 s20, s19, -8
	v_mov_b32_e32 v10, s20
	ds_read2_b64 v[10:13], v10 offset1:1
	s_waitcnt lgkmcnt(1)
	v_mul_f32_e32 v18, v9, v55
	v_fma_f32 v18, v8, v54, -v18
	v_mul_f32_e32 v8, v8, v55
	v_fmac_f32_e32 v8, v9, v54
	v_sub_f32_e32 v8, v15, v8
	v_sub_f32_e32 v9, v14, v18
	v_mul_f32_e32 v14, v7, v8
	v_fma_f32 v56, v6, v9, -v14
	v_mul_f32_e32 v57, v6, v8
	s_waitcnt lgkmcnt(0)
	v_mul_f32_e32 v6, v13, v17
	v_fmac_f32_e32 v57, v7, v9
	v_fma_f32 v6, v12, v16, -v6
	v_mul_f32_e32 v7, v12, v17
	v_fmac_f32_e32 v7, v13, v16
	s_waitcnt vmcnt(3)
	v_sub_f32_e32 v2, v2, v6
	v_mul_f32_e32 v6, v11, v39
	v_sub_f32_e32 v3, v3, v7
	v_fma_f32 v6, v10, v38, -v6
	v_mul_f32_e32 v7, v10, v39
	s_sub_i32 s19, s19, 24
	v_fmac_f32_e32 v7, v11, v38
	v_sub_f32_e32 v2, v2, v6
	v_mov_b32_e32 v6, s19
	v_sub_f32_e32 v3, v3, v7
	ds_read2_b64 v[6:9], v6 offset1:1
	s_lshl_b32 s18, s18, 3
	s_add_i32 s18, s17, s18
	v_mov_b32_e32 v10, s18
	ds_read2_b64 v[18:21], v10 offset1:1
	s_waitcnt lgkmcnt(1)
	v_mul_f32_e32 v10, v9, v41
	v_fma_f32 v10, v8, v40, -v10
	v_sub_f32_e32 v2, v2, v10
	scratch_load_dwordx4 v[10:13], off, off offset:56
	v_mul_f32_e32 v8, v8, v41
	v_fmac_f32_e32 v8, v9, v40
	v_sub_f32_e32 v3, v3, v8
	v_mul_f32_e32 v8, v7, v55
	v_fma_f32 v8, v6, v54, -v8
	v_mul_f32_e32 v6, v6, v55
	v_fmac_f32_e32 v6, v7, v54
	s_waitcnt lgkmcnt(0)
	v_mul_f32_e32 v7, v20, v57
	v_sub_f32_e32 v3, v3, v6
	v_mul_f32_e32 v6, v21, v57
	v_fmac_f32_e32 v7, v21, v56
	s_add_i32 s19, s11, -6
	v_sub_f32_e32 v2, v2, v8
	v_fma_f32 v6, v20, v56, -v6
	v_sub_f32_e32 v3, v3, v7
	s_lshl_b32 s18, s19, 9
	v_sub_f32_e32 v2, v2, v6
	v_mul_f32_e32 v6, v19, v3
	v_mul_f32_e32 v63, v18, v3
	s_add_i32 s20, s18, s5
	v_fma_f32 v62, v18, v2, -v6
	v_fmac_f32_e32 v63, v19, v2
	v_mov_b32_e32 v2, s20
	ds_read_b64 v[2:3], v2
	s_add_i32 s21, s20, -16
	v_mov_b32_e32 v6, s21
	ds_read2_b64 v[6:9], v6 offset1:1
	s_sub_i32 s20, s20, 32
	s_waitcnt lgkmcnt(1)
	v_mul_f32_e32 v14, v3, v17
	v_fma_f32 v14, v2, v16, -v14
	v_mul_f32_e32 v2, v2, v17
	v_fmac_f32_e32 v2, v3, v16
	v_sub_f32_e32 v2, v5, v2
	s_waitcnt lgkmcnt(0)
	v_mul_f32_e32 v5, v8, v39
	v_sub_f32_e32 v3, v4, v14
	v_mul_f32_e32 v4, v9, v39
	v_fmac_f32_e32 v5, v9, v38
	v_fma_f32 v4, v8, v38, -v4
	v_sub_f32_e32 v2, v2, v5
	v_mul_f32_e32 v5, v6, v41
	v_sub_f32_e32 v3, v3, v4
	v_mul_f32_e32 v4, v7, v41
	v_fmac_f32_e32 v5, v7, v40
	v_fma_f32 v4, v6, v40, -v4
	v_sub_f32_e32 v15, v2, v5
	v_mov_b32_e32 v2, s20
	v_sub_f32_e32 v14, v3, v4
	ds_read2_b64 v[2:5], v2 offset1:1
	s_lshl_b32 s19, s19, 3
	s_add_i32 s19, s18, s19
	v_mov_b32_e32 v6, s19
	ds_read2_b64 v[6:9], v6 offset1:1
	s_waitcnt lgkmcnt(1)
	v_mul_f32_e32 v18, v5, v55
	v_fma_f32 v18, v4, v54, -v18
	v_mul_f32_e32 v4, v4, v55
	v_fmac_f32_e32 v4, v5, v54
	v_sub_f32_e32 v5, v14, v18
	v_mul_f32_e32 v14, v3, v57
	v_fma_f32 v14, v2, v56, -v14
	v_mul_f32_e32 v2, v2, v57
	s_add_i32 s20, s11, -7
	v_sub_f32_e32 v4, v15, v4
	v_fmac_f32_e32 v2, v3, v56
	v_sub_f32_e32 v3, v5, v14
	s_waitcnt lgkmcnt(0)
	v_mul_f32_e32 v5, v8, v63
	s_lshl_b32 s19, s20, 9
	v_sub_f32_e32 v2, v4, v2
	v_mul_f32_e32 v4, v9, v63
	v_fmac_f32_e32 v5, v9, v62
	s_add_i32 s21, s19, s5
	v_fma_f32 v4, v8, v62, -v4
	v_sub_f32_e32 v2, v2, v5
	s_add_i32 s22, s21, -8
	v_sub_f32_e32 v3, v3, v4
	v_mul_f32_e32 v4, v7, v2
	v_mul_f32_e32 v65, v6, v2
	v_mov_b32_e32 v2, s22
	v_fma_f32 v64, v6, v3, -v4
	v_fmac_f32_e32 v65, v7, v3
	ds_read2_b64 v[2:5], v2 offset1:1
	s_sub_i32 s22, s21, 24
	v_mov_b32_e32 v6, s22
	ds_read2_b64 v[18:21], v6 offset1:1
	scratch_store_dwordx2 off, v[40:41], off offset:16
	s_waitcnt lgkmcnt(1)
	v_mul_f32_e32 v6, v5, v17
	v_fma_f32 v14, v4, v16, -v6
	v_mul_f32_e32 v4, v4, v17
	v_fmac_f32_e32 v4, v5, v16
	s_waitcnt vmcnt(1)
	v_sub_f32_e32 v5, v10, v14
	v_mul_f32_e32 v10, v3, v39
	v_fma_f32 v10, v2, v38, -v10
	v_mul_f32_e32 v2, v2, v39
	v_sub_f32_e32 v4, v11, v4
	v_fmac_f32_e32 v2, v3, v38
	v_sub_f32_e32 v3, v5, v10
	v_sub_f32_e32 v2, v4, v2
	s_waitcnt lgkmcnt(0)
	v_mul_f32_e32 v4, v21, v41
	v_mul_f32_e32 v5, v20, v41
	v_fma_f32 v4, v20, v40, -v4
	v_fmac_f32_e32 v5, v21, v40
	scratch_store_dwordx2 off, v[54:55], off offset:24
	v_sub_f32_e32 v3, v3, v4
	v_sub_f32_e32 v2, v2, v5
	v_mul_f32_e32 v4, v19, v55
	v_mul_f32_e32 v5, v18, v55
	v_fma_f32 v4, v18, v54, -v4
	v_fmac_f32_e32 v5, v19, v54
	scratch_load_dwordx4 v[18:21], off, off offset:16
	s_sub_i32 s21, s21, 40
	scratch_store_dwordx2 off, v[56:57], off offset:32
	scratch_store_dwordx2 off, v[62:63], off offset:40
	scratch_load_dwordx4 v[30:33], off, off offset:32
	v_sub_f32_e32 v11, v2, v5
	v_mov_b32_e32 v2, s21
	v_sub_f32_e32 v10, v3, v4
	ds_read2_b64 v[2:5], v2 offset1:1
	s_lshl_b32 s20, s20, 3
	s_add_i32 s20, s19, s20
	v_mov_b32_e32 v14, s20
	ds_read2_b64 v[26:29], v14 offset1:1
	s_waitcnt lgkmcnt(1)
	v_mul_f32_e32 v14, v5, v57
	v_fma_f32 v14, v4, v56, -v14
	v_mul_f32_e32 v4, v4, v57
	v_fmac_f32_e32 v4, v5, v56
	v_sub_f32_e32 v5, v10, v14
	v_mul_f32_e32 v10, v3, v63
	v_fma_f32 v10, v2, v62, -v10
	v_mul_f32_e32 v2, v2, v63
	v_sub_f32_e32 v4, v11, v4
	v_fmac_f32_e32 v2, v3, v62
	v_sub_f32_e32 v3, v5, v10
	s_waitcnt lgkmcnt(0)
	v_mul_f32_e32 v5, v28, v65
	v_sub_f32_e32 v2, v4, v2
	v_mul_f32_e32 v4, v29, v65
	v_fmac_f32_e32 v5, v29, v64
	v_fma_f32 v4, v28, v64, -v4
	v_sub_f32_e32 v2, v2, v5
	v_sub_f32_e32 v3, v3, v4
	v_mul_f32_e32 v4, v27, v2
	v_mul_f32_e32 v15, v26, v2
	v_fma_f32 v14, v26, v3, -v4
	v_fmac_f32_e32 v15, v27, v3
	scratch_store_dwordx2 off, v[64:65], off offset:48
	scratch_store_dwordx2 off, v[14:15], off offset:56
	scratch_load_dwordx4 v[2:5], off, off offset:48
	s_add_i32 s21, s11, -8
	s_lshl_b32 s20, s21, 9
	s_add_i32 s22, s20, s5
	v_mov_b32_e32 v10, s22
	scratch_load_dwordx4 v[26:29], off, off
	ds_read_b64 v[10:11], v10
	s_add_i32 s23, s22, -16
	scratch_load_dwordx4 v[6:9], off, off offset:72
	v_mov_b32_e32 v34, s23
	ds_read2_b64 v[34:37], v34 offset1:1
	s_waitcnt lgkmcnt(1)
	v_mul_f32_e32 v42, v11, v23
	v_fma_f32 v42, v10, v22, -v42
	v_mul_f32_e32 v10, v10, v23
	v_fmac_f32_e32 v10, v11, v22
	v_sub_f32_e32 v11, v12, v42
	v_sub_f32_e32 v10, v13, v10
	s_waitcnt lgkmcnt(0)
	v_mul_f32_e32 v12, v37, v25
	v_mul_f32_e32 v13, v36, v25
	v_fma_f32 v12, v36, v24, -v12
	v_fmac_f32_e32 v13, v37, v24
	v_sub_f32_e32 v22, v11, v12
	v_sub_f32_e32 v23, v10, v13
	scratch_load_dwordx4 v[10:13], off, off offset:16
	s_sub_i32 s23, s22, 32
	scratch_load_dwordx4 v[42:45], off, off offset:32
	s_sub_i32 s22, s22, 48
	s_lshl_b32 s21, s21, 3
	s_add_i32 s21, s20, s21
	s_waitcnt vmcnt(10)
	v_mul_f32_e32 v24, v35, v19
	v_fma_f32 v24, v34, v18, -v24
	v_mul_f32_e32 v19, v34, v19
	v_fmac_f32_e32 v19, v35, v18
	v_sub_f32_e32 v18, v22, v24
	v_mov_b32_e32 v22, s23
	v_sub_f32_e32 v19, v23, v19
	ds_read2_b64 v[22:25], v22 offset1:1
	v_mov_b32_e32 v34, s22
	ds_read2_b64 v[34:37], v34 offset1:1
	s_add_i32 s22, s11, -9
	s_waitcnt lgkmcnt(1)
	v_mul_f32_e32 v46, v25, v21
	v_mul_f32_e32 v21, v24, v21
	v_fmac_f32_e32 v21, v25, v20
	v_fma_f32 v46, v24, v20, -v46
	v_sub_f32_e32 v19, v19, v21
	s_waitcnt vmcnt(7)
	v_mul_f32_e32 v20, v23, v31
	v_mul_f32_e32 v21, v22, v31
	v_sub_f32_e32 v18, v18, v46
	v_fma_f32 v20, v22, v30, -v20
	v_fmac_f32_e32 v21, v23, v30
	v_sub_f32_e32 v18, v18, v20
	v_sub_f32_e32 v19, v19, v21
	s_waitcnt lgkmcnt(0)
	v_mul_f32_e32 v20, v37, v33
	v_mul_f32_e32 v21, v36, v33
	v_fma_f32 v20, v36, v32, -v20
	v_fmac_f32_e32 v21, v37, v32
	v_sub_f32_e32 v22, v18, v20
	v_sub_f32_e32 v23, v19, v21
	scratch_load_dwordx4 v[18:21], off, off offset:48
	scratch_load_dwordx4 v[46:49], off, off
	s_waitcnt vmcnt(6)
	v_mul_f32_e32 v24, v35, v3
	v_fma_f32 v24, v34, v2, -v24
	v_mul_f32_e32 v3, v34, v3
	v_fmac_f32_e32 v3, v35, v2
	v_sub_f32_e32 v2, v22, v24
	v_mov_b32_e32 v22, s21
	v_sub_f32_e32 v3, v23, v3
	ds_read2_b64 v[22:25], v22 offset1:1
	s_lshl_b32 s21, s22, 9
	s_add_i32 s23, s21, s5
	s_add_i32 s24, s23, -8
	v_mov_b32_e32 v30, s24
	ds_read2_b64 v[30:33], v30 offset1:1
	s_waitcnt lgkmcnt(1)
	v_mul_f32_e32 v34, v25, v15
	v_mul_f32_e32 v15, v24, v15
	v_fmac_f32_e32 v15, v25, v14
	v_fma_f32 v34, v24, v14, -v34
	v_sub_f32_e32 v3, v3, v15
	v_sub_f32_e32 v14, v2, v34
	v_mul_f32_e32 v2, v23, v3
	v_mul_f32_e32 v3, v22, v3
	v_fma_f32 v2, v22, v14, -v2
	v_fmac_f32_e32 v3, v23, v14
	s_waitcnt vmcnt(5) lgkmcnt(0)
	v_mul_f32_e32 v14, v33, v27
	v_fma_f32 v14, v32, v26, -v14
	s_waitcnt vmcnt(4)
	v_sub_f32_e32 v6, v6, v14
	v_mul_f32_e32 v14, v31, v29
	v_fma_f32 v14, v30, v28, -v14
	s_sub_i32 s24, s23, 24
	scratch_store_dword off, v6, off offset:72
	v_sub_f32_e32 v6, v6, v14
	v_mov_b32_e32 v14, s24
	v_mul_f32_e32 v15, v32, v27
	ds_read2_b64 v[22:25], v14 offset1:1
	v_fmac_f32_e32 v15, v33, v26
	s_sub_i32 s24, s23, 40
	v_sub_f32_e32 v7, v7, v15
	v_mul_f32_e32 v15, v30, v29
	v_mov_b32_e32 v14, s24
	v_fmac_f32_e32 v15, v31, v28
	ds_read2_b64 v[26:29], v14 offset1:1
	s_waitcnt vmcnt(4) lgkmcnt(1)
	v_mul_f32_e32 v14, v25, v11
	v_mul_f32_e32 v11, v24, v11
	scratch_load_dwordx4 v[30:33], off, off offset:16
	v_sub_f32_e32 v7, v7, v15
	v_fma_f32 v14, v24, v10, -v14
	v_fmac_f32_e32 v11, v25, v10
	v_mul_f32_e32 v10, v23, v13
	v_sub_f32_e32 v6, v6, v14
	v_sub_f32_e32 v7, v7, v11
	v_fma_f32 v10, v22, v12, -v10
	v_mul_f32_e32 v11, v22, v13
	v_fmac_f32_e32 v11, v23, v12
	v_sub_f32_e32 v6, v6, v10
	s_waitcnt vmcnt(4) lgkmcnt(0)
	v_mul_f32_e32 v10, v29, v43
	v_sub_f32_e32 v7, v7, v11
	v_fma_f32 v10, v28, v42, -v10
	v_mul_f32_e32 v11, v28, v43
	v_fmac_f32_e32 v11, v29, v42
	v_sub_f32_e32 v6, v6, v10
	v_mul_f32_e32 v10, v27, v45
	v_sub_f32_e32 v7, v7, v11
	v_fma_f32 v10, v26, v44, -v10
	v_mul_f32_e32 v11, v26, v45
	s_sub_i32 s23, s23, 56
	v_fmac_f32_e32 v11, v27, v44
	v_sub_f32_e32 v6, v6, v10
	v_mov_b32_e32 v10, s23
	v_sub_f32_e32 v7, v7, v11
	ds_read2_b64 v[10:13], v10 offset1:1
	s_lshl_b32 s22, s22, 3
	scratch_load_dwordx4 v[34:37], off, off offset:32
	s_add_i32 s22, s21, s22
	v_mov_b32_e32 v14, s22
	ds_read2_b64 v[22:25], v14 offset1:1
	s_waitcnt vmcnt(4) lgkmcnt(1)
	v_mul_f32_e32 v14, v13, v19
	v_fma_f32 v14, v12, v18, -v14
	v_mul_f32_e32 v12, v12, v19
	scratch_load_dwordx4 v[26:29], off, off offset:48
	v_fmac_f32_e32 v12, v13, v18
	v_sub_f32_e32 v7, v7, v12
	v_mul_f32_e32 v12, v11, v21
	v_fma_f32 v12, v10, v20, -v12
	v_mul_f32_e32 v10, v10, v21
	v_fmac_f32_e32 v10, v11, v20
	s_waitcnt lgkmcnt(0)
	v_mul_f32_e32 v11, v24, v3
	v_sub_f32_e32 v6, v6, v14
	v_sub_f32_e32 v7, v7, v10
	v_mul_f32_e32 v10, v25, v3
	v_fmac_f32_e32 v11, v25, v2
	v_sub_f32_e32 v6, v6, v12
	v_fma_f32 v10, v24, v2, -v10
	v_sub_f32_e32 v7, v7, v11
	v_sub_f32_e32 v10, v6, v10
	v_mul_f32_e32 v6, v23, v7
	v_mul_f32_e32 v7, v22, v7
	v_fma_f32 v6, v22, v10, -v6
	v_fmac_f32_e32 v7, v23, v10
	scratch_store_dwordx2 off, v[2:3], off offset:64
	scratch_store_dwordx2 off, v[6:7], off offset:72
	scratch_load_dwordx4 v[22:25], off, off offset:64
	s_add_i32 s23, s11, -10
	s_lshl_b32 s22, s23, 9
	s_add_i32 s24, s22, s5
	s_add_i32 s25, s24, -8
	v_mov_b32_e32 v10, s25
	ds_read2_b64 v[18:21], v10 offset1:1
	s_add_i32 s25, s24, -16
	s_waitcnt vmcnt(7)
	v_mov_b32_e32 v44, v46
	v_mov_b32_e32 v51, v47
	v_mov_b32_e32 v10, s25
	s_waitcnt lgkmcnt(0)
	v_pk_mul_f32 v[46:47], v[20:21], v[46:47]
	v_mov_b32_e32 v43, v20
	v_sub_f32_e32 v20, v46, v47
	ds_read_b64 v[10:11], v10
	v_mov_b32_e32 v45, v48
	v_sub_f32_e32 v8, v8, v20
	v_mov_b32_e32 v20, v21
	v_mov_b32_e32 v21, v18
	;; [unrolled: 1-line block ×4, first 2 shown]
	v_pk_mul_f32 v[20:21], v[20:21], v[44:45]
	v_mul_f32_e32 v19, v19, v48
	v_pk_fma_f32 v[44:45], v[42:43], v[50:51], v[20:21] op_sel:[0,0,1] op_sel_hi:[1,1,0] neg_lo:[1,0,0] neg_hi:[1,0,0]
	v_pk_fma_f32 v[20:21], v[42:43], v[50:51], v[20:21] op_sel:[0,0,1] op_sel_hi:[1,1,0]
	v_fmac_f32_e32 v19, v18, v49
	v_mov_b32_e32 v45, v21
	v_pk_add_f32 v[8:9], v[8:9], v[44:45] neg_lo:[0,1] neg_hi:[0,1]
	scratch_store_dwordx2 off, v[8:9], off offset:80
	v_sub_f32_e32 v42, v9, v19
	s_waitcnt vmcnt(6) lgkmcnt(0)
	v_mul_f32_e32 v9, v11, v31
	v_fma_f32 v9, v10, v30, -v9
	v_mul_f32_e32 v31, v10, v31
	s_sub_i32 s25, s24, 32
	v_fmac_f32_e32 v31, v11, v30
	v_sub_f32_e32 v30, v8, v9
	v_mov_b32_e32 v8, s25
	ds_read2_b64 v[8:11], v8 offset1:1
	s_sub_i32 s25, s24, 48
	v_sub_f32_e32 v31, v42, v31
	v_mov_b32_e32 v42, s25
	ds_read2_b64 v[42:45], v42 offset1:1
	s_waitcnt lgkmcnt(1)
	v_mul_f32_e32 v46, v11, v33
	v_fma_f32 v46, v10, v32, -v46
	v_mul_f32_e32 v10, v10, v33
	v_fmac_f32_e32 v10, v11, v32
	v_sub_f32_e32 v11, v30, v46
	v_sub_f32_e32 v10, v31, v10
	s_sub_i32 s24, s24, 64
	s_lshl_b32 s23, s23, 3
	s_add_i32 s23, s22, s23
	s_waitcnt vmcnt(5)
	v_mul_f32_e32 v46, v9, v35
	v_fma_f32 v46, v8, v34, -v46
	v_mul_f32_e32 v8, v8, v35
	v_fmac_f32_e32 v8, v9, v34
	v_sub_f32_e32 v9, v11, v46
	s_waitcnt lgkmcnt(0)
	v_mul_f32_e32 v11, v44, v37
	v_sub_f32_e32 v8, v10, v8
	v_mul_f32_e32 v10, v45, v37
	v_fmac_f32_e32 v11, v45, v36
	v_fma_f32 v10, v44, v36, -v10
	v_sub_f32_e32 v8, v8, v11
	s_waitcnt vmcnt(4)
	v_mul_f32_e32 v11, v42, v27
	v_sub_f32_e32 v9, v9, v10
	v_mul_f32_e32 v10, v43, v27
	v_fmac_f32_e32 v11, v43, v26
	v_fma_f32 v10, v42, v26, -v10
	v_sub_f32_e32 v27, v8, v11
	v_mov_b32_e32 v8, s24
	v_sub_f32_e32 v26, v9, v10
	ds_read2_b64 v[8:11], v8 offset1:1
	v_mov_b32_e32 v42, s23
	ds_read2_b64 v[46:49], v42 offset1:1
	scratch_load_dwordx4 v[12:15], off, off
	scratch_load_dwordx4 v[18:21], off, off offset:16
	s_waitcnt lgkmcnt(1)
	v_mul_f32_e32 v42, v11, v29
	v_fma_f32 v42, v10, v28, -v42
	v_mul_f32_e32 v10, v10, v29
	v_fmac_f32_e32 v10, v11, v28
	v_sub_f32_e32 v11, v26, v42
	s_waitcnt vmcnt(3)
	v_mul_f32_e32 v26, v9, v23
	v_fma_f32 v26, v8, v22, -v26
	v_mul_f32_e32 v8, v8, v23
	v_sub_f32_e32 v10, v27, v10
	v_fmac_f32_e32 v8, v9, v22
	v_sub_f32_e32 v8, v10, v8
	s_waitcnt lgkmcnt(0)
	v_mul_f32_e32 v10, v49, v7
	v_mul_f32_e32 v7, v48, v7
	v_fmac_f32_e32 v7, v49, v6
	v_sub_f32_e32 v9, v11, v26
	v_fma_f32 v10, v48, v6, -v10
	v_sub_f32_e32 v7, v8, v7
	v_sub_f32_e32 v6, v9, v10
	v_mul_f32_e32 v8, v47, v7
	v_mul_f32_e32 v67, v46, v7
	v_fma_f32 v66, v46, v6, -v8
	v_fmac_f32_e32 v67, v47, v6
	scratch_store_dwordx2 off, v[66:67], off offset:80
	scratch_load_dwordx4 v[30:33], off, off offset:32
	scratch_load_dwordx4 v[34:37], off, off offset:48
	;; [unrolled: 1-line block ×7, first 2 shown]
	v_add_u32_e32 v6, s14, v1
	ds_write_b64 v6, v[38:39]
	v_add_u32_e32 v6, s15, v1
	ds_write_b64 v6, v[40:41]
	scratch_load_dwordx4 v[38:41], off, off offset:40
	v_add_u32_e32 v6, s13, v1
	ds_write_b64 v6, v[54:55]
	v_add_u32_e32 v6, s16, v1
	ds_write_b64 v6, v[56:57]
	;; [unrolled: 2-line block ×4, first 2 shown]
	scratch_load_dwordx4 v[62:65], off, off offset:56
	v_add_u32_e32 v6, s19, v1
	ds_write_b64 v6, v[4:5]
	v_add_u32_e32 v4, s20, v1
	s_add_i32 s13, s11, -11
	ds_write_b64 v4, v[2:3]
	v_add_u32_e32 v2, s21, v1
	s_lshl_b32 s16, s13, 9
	ds_write_b64 v2, v[24:25]
	v_add_u32_e32 v2, s22, v1
	s_add_i32 s14, s16, s5
	ds_write_b64 v68, v[16:17]
	v_mov_b32_e32 v4, s14
	s_add_i32 s15, s14, -4
	s_add_i32 s17, s14, -16
	scratch_load_dwordx4 v[8:11], off, off offset:72
	v_mov_b32_e32 v5, s17
	v_mov_b32_e32 v6, s15
	s_sub_i32 s15, s14, 24
	s_lshl_b32 s13, s13, 3
	s_add_i32 s13, s16, s13
	s_waitcnt vmcnt(12)
	v_mov_b32_e32 v16, v12
	v_mov_b32_e32 v17, v14
	;; [unrolled: 1-line block ×4, first 2 shown]
	s_waitcnt vmcnt(6)
	ds_write_b64 v2, v[52:53]
	ds_read2_b32 v[2:3], v4 offset1:1
	s_waitcnt vmcnt(4)
	v_mov_b32_e32 v24, v26
	v_mov_b32_e32 v25, v28
	;; [unrolled: 1-line block ×3, first 2 shown]
	s_waitcnt lgkmcnt(0)
	v_pk_mul_f32 v[2:3], v[2:3], v[12:13]
	s_nop 0
	v_sub_f32_e32 v3, v2, v3
	ds_read_b32 v2, v4 offset:4
	ds_read_b32 v52, v5
	ds_read2_b32 v[12:13], v6 offset1:1
	ds_read2_b32 v[22:23], v5 offset0:1 offset1:2
	v_sub_f32_e32 v46, v46, v3
	scratch_load_dwordx4 v[4:7], off, off offset:104
	scratch_load_dwordx4 v[54:57], off, off offset:8
	s_waitcnt lgkmcnt(0)
	v_mov_b32_e32 v3, v23
	v_pk_mul_f32 v[2:3], v[2:3], v[16:17]
	s_nop 0
	v_pk_fma_f32 v[16:17], v[12:13], v[14:15], v[2:3] op_sel:[0,0,1] op_sel_hi:[1,1,0] neg_lo:[1,0,0] neg_hi:[1,0,0]
	v_pk_fma_f32 v[2:3], v[12:13], v[14:15], v[2:3] op_sel:[0,0,1] op_sel_hi:[1,1,0]
	v_mov_b32_e32 v13, v52
	v_pk_mul_f32 v[12:13], v[12:13], v[24:25]
	v_mov_b32_e32 v17, v3
	v_pk_fma_f32 v[14:15], v[22:23], v[26:27], v[12:13] op_sel:[0,0,1] op_sel_hi:[1,1,0] neg_lo:[1,0,0] neg_hi:[1,0,0]
	v_pk_fma_f32 v[12:13], v[22:23], v[26:27], v[12:13] op_sel:[0,0,1] op_sel_hi:[1,1,0]
	v_pk_add_f32 v[2:3], v[46:47], v[16:17] neg_lo:[0,1] neg_hi:[0,1]
	v_mov_b32_e32 v15, v13
	v_mul_f32_e32 v12, v22, v28
	v_fmac_f32_e32 v12, v52, v29
	v_pk_add_f32 v[2:3], v[2:3], v[14:15] neg_lo:[0,1] neg_hi:[0,1]
	scratch_store_dwordx2 off, v[2:3], off offset:88
	v_sub_f32_e32 v22, v3, v12
	v_mov_b32_e32 v3, s15
	ds_read_b64 v[16:17], v3
	s_sub_i32 s15, s14, 40
	v_mov_b32_e32 v3, s15
	ds_read2_b64 v[12:15], v3 offset1:1
	s_sub_i32 s15, s14, 56
	s_waitcnt vmcnt(6) lgkmcnt(1)
	v_mul_f32_e32 v3, v17, v59
	v_fma_f32 v3, v16, v58, -v3
	v_mul_f32_e32 v16, v16, v59
	v_fmac_f32_e32 v16, v17, v58
	v_sub_f32_e32 v2, v2, v3
	v_sub_f32_e32 v3, v22, v16
	s_waitcnt lgkmcnt(0)
	v_mul_f32_e32 v16, v15, v61
	v_fma_f32 v16, v14, v60, -v16
	v_mul_f32_e32 v14, v14, v61
	v_fmac_f32_e32 v14, v15, v60
	v_sub_f32_e32 v3, v3, v14
	s_waitcnt vmcnt(5)
	v_mul_f32_e32 v14, v13, v39
	v_sub_f32_e32 v2, v2, v16
	v_fma_f32 v14, v12, v38, -v14
	v_mul_f32_e32 v16, v12, v39
	v_mov_b32_e32 v12, s15
	v_fmac_f32_e32 v16, v13, v38
	v_sub_f32_e32 v2, v2, v14
	ds_read2_b64 v[12:15], v12 offset1:1
	s_addk_i32 s14, 0xffb8
	v_sub_f32_e32 v3, v3, v16
	v_mov_b32_e32 v16, s14
	ds_read2_b64 v[58:61], v16 offset1:1
	s_waitcnt lgkmcnt(1)
	v_mul_f32_e32 v16, v15, v41
	v_fma_f32 v16, v14, v40, -v16
	v_mul_f32_e32 v14, v14, v41
	v_fmac_f32_e32 v14, v15, v40
	v_sub_f32_e32 v3, v3, v14
	s_waitcnt vmcnt(4)
	v_mul_f32_e32 v14, v13, v63
	v_fma_f32 v14, v12, v62, -v14
	v_mul_f32_e32 v12, v12, v63
	v_fmac_f32_e32 v12, v13, v62
	v_sub_f32_e32 v2, v2, v16
	v_sub_f32_e32 v3, v3, v12
	s_waitcnt lgkmcnt(0)
	v_mul_f32_e32 v12, v61, v65
	v_sub_f32_e32 v2, v2, v14
	v_fma_f32 v12, v60, v64, -v12
	v_sub_f32_e32 v2, v2, v12
	v_mul_f32_e32 v12, v59, v51
	v_fma_f32 v12, v58, v50, -v12
	v_sub_f32_e32 v2, v2, v12
	v_mov_b32_e32 v12, s13
	ds_read2_b64 v[14:17], v12 offset1:1
	v_mul_f32_e32 v13, v60, v65
	v_fmac_f32_e32 v13, v61, v64
	v_sub_f32_e32 v3, v3, v13
	v_mul_f32_e32 v13, v58, v51
	v_fmac_f32_e32 v13, v59, v50
	s_waitcnt lgkmcnt(0)
	v_mul_f32_e32 v50, v17, v67
	s_add_i32 s14, s11, -12
	v_fma_f32 v50, v16, v66, -v50
	v_mul_f32_e32 v16, v16, v67
	v_sub_f32_e32 v3, v3, v13
	s_lshl_b32 s13, s14, 9
	v_fmac_f32_e32 v16, v17, v66
	s_add_i32 s15, s13, s5
	v_sub_f32_e32 v3, v3, v16
	s_sub_i32 s17, s15, 24
	v_sub_f32_e32 v17, v2, v50
	v_mul_f32_e32 v2, v15, v3
	v_mul_f32_e32 v3, v14, v3
	v_mov_b32_e32 v47, s15
	v_mov_b32_e32 v12, s17
	v_fma_f32 v2, v14, v17, -v2
	v_fmac_f32_e32 v3, v15, v17
	scratch_load_dwordx4 v[26:29], off, off offset:24
	scratch_load_dwordx4 v[22:25], off, off offset:40
	;; [unrolled: 1-line block ×3, first 2 shown]
	ds_read_b32 v46, v47 offset:4
	ds_read_b32 v72, v12
	ds_read2_b32 v[12:13], v12 offset0:1 offset1:2
	scratch_store_dwordx2 off, v[2:3], off offset:88
	scratch_load_dwordx4 v[58:61], off, off offset:80
	scratch_load_dwordx4 v[62:65], off, off
	v_add_u32_e32 v50, s16, v1
	s_add_i32 s17, s15, -12
	s_add_i32 s16, s15, -4
	v_mov_b32_e32 v68, s16
	s_sub_i32 s16, s15, 32
	scratch_load_dwordx4 v[14:17], off, off offset:80
	s_lshl_b32 s14, s14, 3
	s_add_i32 s14, s13, s14
	s_waitcnt vmcnt(2)
	ds_write_b64 v50, v[60:61]
	ds_read2_b32 v[60:61], v47 offset1:1
	scratch_load_dwordx4 v[50:53], off, off
	s_waitcnt vmcnt(2)
	v_mov_b32_e32 v66, v62
	v_mov_b32_e32 v67, v64
	;; [unrolled: 1-line block ×3, first 2 shown]
	s_waitcnt lgkmcnt(0)
	v_pk_mul_f32 v[60:61], v[60:61], v[62:63]
	v_mov_b32_e32 v65, v63
	v_sub_f32_e32 v47, v60, v61
	v_sub_f32_e32 v48, v48, v47
	v_mov_b32_e32 v47, s17
	ds_read2_b32 v[60:61], v47 offset1:1
	v_mov_b32_e32 v47, s16
	ds_read2_b32 v[62:63], v68 offset1:1
	ds_read_b64 v[68:69], v47
	s_sub_i32 s16, s15, 48
	s_waitcnt lgkmcnt(2)
	v_mov_b32_e32 v47, v61
	v_pk_mul_f32 v[46:47], v[46:47], v[66:67]
	v_mov_b32_e32 v66, v57
	s_waitcnt lgkmcnt(1)
	v_pk_fma_f32 v[70:71], v[62:63], v[64:65], v[46:47] op_sel:[0,0,1] op_sel_hi:[1,1,0] neg_lo:[1,0,0] neg_hi:[1,0,0]
	v_pk_fma_f32 v[46:47], v[62:63], v[64:65], v[46:47] op_sel:[0,0,1] op_sel_hi:[1,1,0]
	v_mov_b32_e32 v67, v55
	v_mov_b32_e32 v71, v47
	v_pk_add_f32 v[46:47], v[48:49], v[70:71] neg_lo:[0,1] neg_hi:[0,1]
	v_mov_b32_e32 v48, v18
	v_mov_b32_e32 v49, v20
	;; [unrolled: 1-line block ×5, first 2 shown]
	v_pk_mul_f32 v[54:55], v[60:61], v[66:67]
	v_mov_b32_e32 v61, v72
	v_mov_b32_e32 v18, v21
	v_pk_fma_f32 v[62:63], v[64:65], v[56:57], v[54:55] neg_lo:[0,0,1] neg_hi:[0,0,1]
	v_pk_fma_f32 v[54:55], v[64:65], v[56:57], v[54:55]
	v_pk_mul_f32 v[48:49], v[60:61], v[48:49]
	v_mov_b32_e32 v63, v55
	v_pk_fma_f32 v[54:55], v[12:13], v[18:19], v[48:49] op_sel:[0,0,1] op_sel_hi:[1,1,0] neg_lo:[1,0,0] neg_hi:[1,0,0]
	v_pk_fma_f32 v[18:19], v[12:13], v[18:19], v[48:49] op_sel:[0,0,1] op_sel_hi:[1,1,0]
	v_pk_add_f32 v[46:47], v[46:47], v[62:63] neg_lo:[0,1] neg_hi:[0,1]
	v_mov_b32_e32 v55, v19
	v_mul_f32_e32 v18, v12, v20
	v_fmac_f32_e32 v18, v72, v21
	v_pk_add_f32 v[12:13], v[46:47], v[54:55] neg_lo:[0,1] neg_hi:[0,1]
	scratch_store_dwordx2 off, v[12:13], off offset:96
	v_sub_f32_e32 v46, v13, v18
	s_waitcnt lgkmcnt(0)
	v_mul_f32_e32 v13, v69, v31
	v_fma_f32 v13, v68, v30, -v13
	v_sub_f32_e32 v12, v12, v13
	v_mov_b32_e32 v13, s16
	ds_read2_b64 v[18:21], v13 offset1:1
	v_mul_f32_e32 v31, v68, v31
	s_sub_i32 s16, s15, 64
	v_fmac_f32_e32 v31, v69, v30
	v_mov_b32_e32 v30, s16
	v_sub_f32_e32 v13, v46, v31
	ds_read2_b64 v[46:49], v30 offset1:1
	s_waitcnt lgkmcnt(1)
	v_mul_f32_e32 v30, v21, v33
	v_fma_f32 v30, v20, v32, -v30
	v_mul_f32_e32 v20, v20, v33
	v_fmac_f32_e32 v20, v21, v32
	v_sub_f32_e32 v13, v13, v20
	v_mul_f32_e32 v20, v19, v35
	v_fma_f32 v20, v18, v34, -v20
	v_mul_f32_e32 v18, v18, v35
	v_fmac_f32_e32 v18, v19, v34
	v_sub_f32_e32 v12, v12, v30
	v_sub_f32_e32 v13, v13, v18
	s_waitcnt lgkmcnt(0)
	v_mul_f32_e32 v18, v49, v37
	v_sub_f32_e32 v12, v12, v20
	v_fma_f32 v18, v48, v36, -v18
	v_mul_f32_e32 v19, v48, v37
	v_fmac_f32_e32 v19, v49, v36
	v_sub_f32_e32 v12, v12, v18
	v_mul_f32_e32 v18, v47, v43
	v_sub_f32_e32 v13, v13, v19
	v_fma_f32 v18, v46, v42, -v18
	v_mul_f32_e32 v19, v46, v43
	s_addk_i32 s15, 0xffb0
	v_fmac_f32_e32 v19, v47, v42
	v_sub_f32_e32 v12, v12, v18
	v_mov_b32_e32 v18, s15
	v_sub_f32_e32 v13, v13, v19
	ds_read2_b64 v[18:21], v18 offset1:1
	v_mov_b32_e32 v30, s14
	ds_read2_b64 v[30:33], v30 offset1:1
	s_waitcnt lgkmcnt(1)
	v_mul_f32_e32 v34, v21, v45
	v_fma_f32 v34, v20, v44, -v34
	v_mul_f32_e32 v20, v20, v45
	v_fmac_f32_e32 v20, v21, v44
	v_sub_f32_e32 v13, v13, v20
	v_mul_f32_e32 v20, v19, v59
	v_fma_f32 v20, v18, v58, -v20
	v_mul_f32_e32 v18, v18, v59
	v_fmac_f32_e32 v18, v19, v58
	v_sub_f32_e32 v13, v13, v18
	s_waitcnt lgkmcnt(0)
	v_mul_f32_e32 v18, v33, v3
	v_mul_f32_e32 v3, v32, v3
	v_sub_f32_e32 v12, v12, v34
	v_fmac_f32_e32 v3, v33, v2
	v_sub_f32_e32 v12, v12, v20
	v_fma_f32 v18, v32, v2, -v18
	v_sub_f32_e32 v3, v13, v3
	v_sub_f32_e32 v12, v12, v18
	v_mul_f32_e32 v2, v31, v3
	v_mul_f32_e32 v3, v30, v3
	v_fma_f32 v2, v30, v12, -v2
	v_fmac_f32_e32 v3, v31, v12
	scratch_store_dwordx2 off, v[2:3], off offset:96
	scratch_load_dwordx4 v[42:45], off, off offset:88
	scratch_load_dwordx4 v[54:57], off, off offset:8
	;; [unrolled: 1-line block ×3, first 2 shown]
	v_add_u32_e32 v12, s13, v1
	s_add_i32 s13, s11, -13
	s_lshl_b32 s14, s13, 9
	s_add_i32 s15, s14, s5
	v_mov_b32_e32 v13, s15
	s_add_i32 s17, s15, -12
	s_add_i32 s16, s15, -4
	s_waitcnt vmcnt(5)
	v_mov_b32_e32 v20, v50
	s_sub_i32 s18, s15, 20
	s_sub_i32 s19, s15, 32
	v_mov_b32_e32 v31, s16
	s_sub_i32 s16, s15, 40
	v_mov_b32_e32 v30, s19
	scratch_load_dwordx4 v[34:37], off, off offset:88
	v_mov_b32_e32 v21, v52
	s_lshl_b32 s13, s13, 3
	s_add_i32 s13, s14, s13
	s_waitcnt vmcnt(3)
	ds_write_b64 v12, v[44:45]
	ds_read_b32 v12, v13 offset:4
	ds_read2_b32 v[18:19], v13 offset1:1
	v_mov_b32_e32 v45, v51
	v_mov_b32_e32 v44, v53
	s_waitcnt vmcnt(2)
	v_mov_b32_e32 v62, v57
	v_mov_b32_e32 v63, v55
	s_waitcnt lgkmcnt(0)
	v_pk_mul_f32 v[18:19], v[18:19], v[50:51]
	v_mov_b32_e32 v57, v54
	v_sub_f32_e32 v13, v18, v19
	v_sub_f32_e32 v4, v4, v13
	v_mov_b32_e32 v13, s17
	ds_read2_b32 v[50:51], v13 offset1:1
	v_mov_b32_e32 v13, s18
	v_mov_b32_e32 v18, s16
	ds_read2_b32 v[52:53], v13 offset1:1
	ds_read_b64 v[58:59], v18
	ds_read_b32 v64, v30
	ds_read2_b32 v[18:19], v31 offset1:1
	ds_read2_b32 v[60:61], v30 offset0:1 offset1:2
	s_waitcnt lgkmcnt(5)
	v_mov_b32_e32 v13, v51
	v_pk_mul_f32 v[12:13], v[12:13], v[20:21]
	v_pk_mul_f32 v[54:55], v[50:51], v[62:63]
	s_waitcnt lgkmcnt(1)
	v_pk_fma_f32 v[20:21], v[18:19], v[44:45], v[12:13] op_sel:[0,0,1] op_sel_hi:[1,1,0] neg_lo:[1,0,0] neg_hi:[1,0,0]
	v_pk_fma_f32 v[12:13], v[18:19], v[44:45], v[12:13] op_sel:[0,0,1] op_sel_hi:[1,1,0]
	s_waitcnt vmcnt(1)
	v_mov_b32_e32 v44, v49
	v_mov_b32_e32 v21, v13
	v_mov_b32_e32 v12, v53
	v_mov_b32_e32 v13, v18
	v_mov_b32_e32 v45, v47
	v_pk_fma_f32 v[62:63], v[12:13], v[56:57], v[54:55] neg_lo:[0,0,1] neg_hi:[0,0,1]
	v_pk_fma_f32 v[12:13], v[12:13], v[56:57], v[54:55]
	s_waitcnt lgkmcnt(0)
	v_mov_b32_e32 v54, v61
	v_mov_b32_e32 v63, v13
	v_mov_b32_e32 v12, v26
	v_mov_b32_e32 v13, v28
	v_mov_b32_e32 v55, v50
	v_mov_b32_e32 v49, v46
	v_pk_mul_f32 v[44:45], v[52:53], v[44:45]
	v_mov_b32_e32 v53, v64
	v_pk_add_f32 v[4:5], v[4:5], v[20:21] neg_lo:[0,1] neg_hi:[0,1]
	v_mov_b32_e32 v26, v29
	v_pk_fma_f32 v[46:47], v[54:55], v[48:49], v[44:45] neg_lo:[0,0,1] neg_hi:[0,0,1]
	v_pk_fma_f32 v[44:45], v[54:55], v[48:49], v[44:45]
	v_pk_mul_f32 v[12:13], v[52:53], v[12:13]
	v_pk_add_f32 v[4:5], v[4:5], v[62:63] neg_lo:[0,1] neg_hi:[0,1]
	v_mov_b32_e32 v47, v45
	v_pk_fma_f32 v[44:45], v[60:61], v[26:27], v[12:13] op_sel:[0,0,1] op_sel_hi:[1,1,0] neg_lo:[1,0,0] neg_hi:[1,0,0]
	v_pk_fma_f32 v[12:13], v[60:61], v[26:27], v[12:13] op_sel:[0,0,1] op_sel_hi:[1,1,0]
	v_pk_add_f32 v[4:5], v[4:5], v[46:47] neg_lo:[0,1] neg_hi:[0,1]
	v_mov_b32_e32 v45, v13
	v_mul_f32_e32 v12, v60, v28
	v_fmac_f32_e32 v12, v64, v29
	v_pk_add_f32 v[4:5], v[4:5], v[44:45] neg_lo:[0,1] neg_hi:[0,1]
	scratch_store_dwordx2 off, v[4:5], off offset:104
	v_sub_f32_e32 v12, v5, v12
	v_mul_f32_e32 v5, v59, v23
	v_fma_f32 v5, v58, v22, -v5
	s_sub_i32 s16, s15, 56
	v_sub_f32_e32 v4, v4, v5
	v_mov_b32_e32 v5, s16
	ds_read2_b64 v[26:29], v5 offset1:1
	v_mul_f32_e32 v13, v58, v23
	v_fmac_f32_e32 v13, v59, v22
	s_add_i32 s16, s15, 0xffffffb8
	v_sub_f32_e32 v5, v12, v13
	v_mov_b32_e32 v12, s16
	ds_read2_b64 v[44:47], v12 offset1:1
	s_waitcnt lgkmcnt(1)
	v_mul_f32_e32 v12, v29, v25
	v_fma_f32 v12, v28, v24, -v12
	v_sub_f32_e32 v4, v4, v12
	v_mul_f32_e32 v12, v27, v39
	v_fma_f32 v12, v26, v38, -v12
	v_sub_f32_e32 v4, v4, v12
	s_waitcnt lgkmcnt(0)
	v_mul_f32_e32 v12, v47, v41
	v_fma_f32 v12, v46, v40, -v12
	v_sub_f32_e32 v4, v4, v12
	v_mul_f32_e32 v12, v45, v9
	v_mul_f32_e32 v9, v44, v9
	s_addk_i32 s15, 0xffa8
	v_mul_f32_e32 v13, v28, v25
	v_fma_f32 v12, v44, v8, -v12
	v_fmac_f32_e32 v9, v45, v8
	v_mov_b32_e32 v8, s15
	v_fmac_f32_e32 v13, v29, v24
	ds_read2_b64 v[22:25], v8 offset1:1
	v_sub_f32_e32 v5, v5, v13
	v_mul_f32_e32 v13, v26, v39
	v_fmac_f32_e32 v13, v27, v38
	v_sub_f32_e32 v5, v5, v13
	v_mul_f32_e32 v13, v46, v41
	v_mov_b32_e32 v8, s13
	v_fmac_f32_e32 v13, v47, v40
	ds_read2_b64 v[26:29], v8 offset1:1
	v_sub_f32_e32 v5, v5, v13
	s_waitcnt lgkmcnt(1)
	v_mul_f32_e32 v8, v25, v11
	v_sub_f32_e32 v4, v4, v12
	v_sub_f32_e32 v5, v5, v9
	v_fma_f32 v8, v24, v10, -v8
	v_mul_f32_e32 v9, v24, v11
	v_fmac_f32_e32 v9, v25, v10
	v_sub_f32_e32 v4, v4, v8
	v_mul_f32_e32 v8, v23, v43
	v_sub_f32_e32 v5, v5, v9
	v_fma_f32 v8, v22, v42, -v8
	v_mul_f32_e32 v9, v22, v43
	v_fmac_f32_e32 v9, v23, v42
	v_sub_f32_e32 v4, v4, v8
	s_waitcnt lgkmcnt(0)
	v_mul_f32_e32 v8, v29, v3
	v_mul_f32_e32 v3, v28, v3
	v_sub_f32_e32 v5, v5, v9
	v_fmac_f32_e32 v3, v29, v2
	v_fma_f32 v8, v28, v2, -v8
	v_sub_f32_e32 v3, v5, v3
	v_sub_f32_e32 v2, v4, v8
	v_mul_f32_e32 v4, v27, v3
	v_mul_f32_e32 v47, v26, v3
	v_fma_f32 v46, v26, v2, -v4
	v_fmac_f32_e32 v47, v27, v2
	scratch_store_dwordx2 off, v[46:47], off offset:104
	scratch_load_dwordx4 v[30:33], off, off offset:8
	scratch_load_dwordx4 v[18:21], off, off offset:16
	;; [unrolled: 1-line block ×3, first 2 shown]
	scratch_load_dwordx4 v[26:29], off, off
	scratch_load_dwordx4 v[42:45], off, off offset:24
	scratch_load_dwordx4 v[8:11], off, off offset:32
	;; [unrolled: 1-line block ×3, first 2 shown]
	scratch_load_dwordx4 v[38:41], off, off
	scratch_load_dwordx4 v[2:5], off, off offset:96
	scratch_load_dwordx4 v[52:55], off, off offset:64
	s_add_i32 s13, s11, -14
	v_add_u32_e32 v12, s14, v1
	s_lshl_b32 s14, s13, 9
	s_add_i32 s15, s14, s5
	v_mov_b32_e32 v13, s15
	s_add_i32 s17, s15, -12
	s_add_i32 s16, s15, -4
	s_sub_i32 s18, s15, 20
	s_sub_i32 s19, s15, 28
	;; [unrolled: 1-line block ×3, first 2 shown]
	v_mov_b32_e32 v65, s16
	s_sub_i32 s16, s15, 48
	v_mov_b32_e32 v64, s20
	s_lshl_b32 s13, s13, 3
	s_add_i32 s13, s14, s13
	s_waitcnt vmcnt(7)
	ds_write_b64 v12, v[24:25]
	ds_read_b32 v12, v13 offset:4
	ds_read2_b32 v[24:25], v13 offset1:1
	s_waitcnt vmcnt(6)
	v_mov_b32_e32 v56, v26
	v_mov_b32_e32 v57, v28
	;; [unrolled: 1-line block ×4, first 2 shown]
	s_waitcnt lgkmcnt(0)
	v_pk_mul_f32 v[24:25], v[24:25], v[26:27]
	v_mov_b32_e32 v26, s19
	v_sub_f32_e32 v13, v24, v25
	v_sub_f32_e32 v6, v6, v13
	v_mov_b32_e32 v13, s17
	ds_read2_b32 v[24:25], v13 offset1:1
	v_mov_b32_e32 v13, s18
	v_mov_b32_e32 v27, s16
	ds_read2_b32 v[58:59], v13 offset1:1
	ds_read2_b32 v[60:61], v26 offset1:1
	ds_read_b64 v[62:63], v27
	ds_read_b32 v68, v64
	ds_read2_b32 v[26:27], v65 offset1:1
	ds_read2_b32 v[64:65], v64 offset0:1 offset1:2
	s_waitcnt lgkmcnt(6)
	v_mov_b32_e32 v13, v25
	v_pk_mul_f32 v[12:13], v[12:13], v[56:57]
	v_mov_b32_e32 v56, v33
	v_mov_b32_e32 v57, v31
	s_waitcnt lgkmcnt(1)
	v_pk_fma_f32 v[66:67], v[26:27], v[28:29], v[12:13] op_sel:[0,0,1] op_sel_hi:[1,1,0] neg_lo:[1,0,0] neg_hi:[1,0,0]
	v_pk_fma_f32 v[12:13], v[26:27], v[28:29], v[12:13] op_sel:[0,0,1] op_sel_hi:[1,1,0]
	v_mov_b32_e32 v33, v30
	v_mov_b32_e32 v67, v13
	;; [unrolled: 1-line block ×4, first 2 shown]
	v_pk_mul_f32 v[28:29], v[24:25], v[56:57]
	v_mov_b32_e32 v26, v21
	v_mov_b32_e32 v27, v19
	v_pk_fma_f32 v[30:31], v[12:13], v[32:33], v[28:29] neg_lo:[0,0,1] neg_hi:[0,0,1]
	v_pk_fma_f32 v[12:13], v[12:13], v[32:33], v[28:29]
	v_mov_b32_e32 v21, v18
	v_mov_b32_e32 v31, v13
	;; [unrolled: 1-line block ×4, first 2 shown]
	v_pk_mul_f32 v[24:25], v[58:59], v[26:27]
	s_waitcnt vmcnt(5)
	v_mov_b32_e32 v18, v45
	v_mov_b32_e32 v19, v43
	v_pk_fma_f32 v[26:27], v[12:13], v[20:21], v[24:25] neg_lo:[0,0,1] neg_hi:[0,0,1]
	v_pk_fma_f32 v[12:13], v[12:13], v[20:21], v[24:25]
	v_pk_add_f32 v[6:7], v[6:7], v[66:67] neg_lo:[0,1] neg_hi:[0,1]
	v_mov_b32_e32 v27, v13
	s_waitcnt vmcnt(4)
	v_mov_b32_e32 v12, v8
	v_mov_b32_e32 v13, v10
	s_waitcnt lgkmcnt(0)
	v_mov_b32_e32 v20, v65
	v_mov_b32_e32 v21, v58
	v_mov_b32_e32 v45, v42
	v_pk_mul_f32 v[18:19], v[60:61], v[18:19]
	v_mov_b32_e32 v61, v68
	v_pk_add_f32 v[6:7], v[6:7], v[30:31] neg_lo:[0,1] neg_hi:[0,1]
	v_mov_b32_e32 v8, v11
	v_pk_fma_f32 v[24:25], v[20:21], v[44:45], v[18:19] neg_lo:[0,0,1] neg_hi:[0,0,1]
	v_pk_fma_f32 v[18:19], v[20:21], v[44:45], v[18:19]
	v_pk_mul_f32 v[12:13], v[60:61], v[12:13]
	v_pk_add_f32 v[6:7], v[6:7], v[26:27] neg_lo:[0,1] neg_hi:[0,1]
	v_mov_b32_e32 v25, v19
	v_pk_fma_f32 v[18:19], v[64:65], v[8:9], v[12:13] op_sel:[0,0,1] op_sel_hi:[1,1,0] neg_lo:[1,0,0] neg_hi:[1,0,0]
	v_pk_fma_f32 v[8:9], v[64:65], v[8:9], v[12:13] op_sel:[0,0,1] op_sel_hi:[1,1,0]
	v_pk_add_f32 v[6:7], v[6:7], v[24:25] neg_lo:[0,1] neg_hi:[0,1]
	v_mov_b32_e32 v19, v9
	v_mul_f32_e32 v8, v64, v10
	v_fmac_f32_e32 v8, v68, v11
	v_pk_add_f32 v[10:11], v[6:7], v[18:19] neg_lo:[0,1] neg_hi:[0,1]
	scratch_store_dwordx2 off, v[10:11], off offset:112
	v_sub_f32_e32 v12, v11, v8
	s_waitcnt vmcnt(4)
	v_mul_f32_e32 v11, v63, v49
	v_fma_f32 v11, v62, v48, -v11
	s_sub_i32 s16, s15, 64
	v_sub_f32_e32 v10, v10, v11
	v_mov_b32_e32 v11, s16
	v_mul_f32_e32 v13, v62, v49
	ds_read2_b64 v[18:21], v11 offset1:1
	v_fmac_f32_e32 v13, v63, v48
	s_add_i32 s16, s15, 0xffffffb0
	v_sub_f32_e32 v11, v12, v13
	v_mov_b32_e32 v12, s16
	ds_read2_b64 v[42:45], v12 offset1:1
	s_waitcnt lgkmcnt(1)
	v_mul_f32_e32 v12, v21, v51
	v_fma_f32 v12, v20, v50, -v12
	v_mul_f32_e32 v13, v20, v51
	s_waitcnt vmcnt(1)
	v_mul_f32_e32 v24, v19, v53
	v_fmac_f32_e32 v13, v21, v50
	v_sub_f32_e32 v20, v10, v12
	v_fma_f32 v24, v18, v52, -v24
	v_mul_f32_e32 v18, v18, v53
	v_sub_f32_e32 v21, v11, v13
	v_fmac_f32_e32 v18, v19, v52
	v_sub_f32_e32 v19, v20, v24
	s_waitcnt lgkmcnt(0)
	v_mul_f32_e32 v20, v45, v55
	v_sub_f32_e32 v18, v21, v18
	v_fma_f32 v20, v44, v54, -v20
	v_mul_f32_e32 v21, v44, v55
	v_fmac_f32_e32 v21, v45, v54
	v_sub_f32_e32 v19, v19, v20
	v_mul_f32_e32 v20, v43, v15
	v_mul_f32_e32 v15, v42, v15
	v_sub_f32_e32 v18, v18, v21
	v_fmac_f32_e32 v15, v43, v14
	s_addk_i32 s15, 0xffa0
	v_fma_f32 v20, v42, v14, -v20
	v_sub_f32_e32 v15, v18, v15
	v_mov_b32_e32 v18, s15
	v_sub_f32_e32 v14, v19, v20
	ds_read2_b64 v[18:21], v18 offset1:1
	v_mov_b32_e32 v24, s13
	ds_read2_b64 v[42:45], v24 offset1:1
	scratch_load_dwordx4 v[30:33], off, off offset:24
	scratch_load_dwordx4 v[26:29], off, off offset:32
	s_waitcnt lgkmcnt(1)
	v_mul_f32_e32 v24, v21, v17
	v_mul_f32_e32 v17, v20, v17
	v_fmac_f32_e32 v17, v21, v16
	v_sub_f32_e32 v15, v15, v17
	v_mul_f32_e32 v17, v18, v23
	v_fma_f32 v24, v20, v16, -v24
	v_mul_f32_e32 v16, v19, v23
	v_fmac_f32_e32 v17, v19, v22
	v_sub_f32_e32 v14, v14, v24
	v_fma_f32 v16, v18, v22, -v16
	v_sub_f32_e32 v15, v15, v17
	s_waitcnt lgkmcnt(0)
	v_mul_f32_e32 v17, v44, v47
	v_sub_f32_e32 v14, v14, v16
	v_mul_f32_e32 v16, v45, v47
	v_fmac_f32_e32 v17, v45, v46
	v_fma_f32 v16, v44, v46, -v16
	v_sub_f32_e32 v15, v15, v17
	v_sub_f32_e32 v16, v14, v16
	v_mul_f32_e32 v14, v43, v15
	v_mul_f32_e32 v15, v42, v15
	v_fma_f32 v14, v42, v16, -v14
	v_fmac_f32_e32 v15, v43, v16
	scratch_store_dwordx2 off, v[14:15], off offset:112
	scratch_load_dwordx4 v[6:9], off, off offset:48
	scratch_load_dwordx4 v[10:13], off, off offset:64
	;; [unrolled: 1-line block ×7, first 2 shown]
	s_add_i32 s13, s11, -15
	v_add_u32_e32 v14, s14, v1
	s_lshl_b32 s14, s13, 9
	s_add_i32 s15, s14, s5
	scratch_load_dwordx4 v[18:21], off, off offset:104
	scratch_load_dwordx4 v[66:69], off, off offset:56
	s_add_i32 s16, s15, -4
	s_add_i32 s17, s15, -12
	s_sub_i32 s18, s15, 20
	s_sub_i32 s19, s15, 28
	;; [unrolled: 1-line block ×4, first 2 shown]
	v_mov_b32_e32 v44, v38
	v_mov_b32_e32 v46, s21
	v_mov_b32_e32 v47, s16
	v_mov_b32_e32 v43, s18
	v_mov_b32_e32 v48, s19
	v_mov_b32_e32 v49, s20
	v_mov_b32_e32 v45, v40
	v_mov_b32_e32 v40, v41
	v_mov_b32_e32 v41, v39
	s_sub_i32 s16, s15, 56
	s_lshl_b32 s13, s13, 3
	s_add_i32 s13, s14, s13
	s_waitcnt vmcnt(6)
	ds_write_b64 v14, v[52:53]
	v_mov_b32_e32 v14, s15
	ds_read_b32 v42, v14 offset:4
	ds_read2_b32 v[14:15], v14 offset1:1
	s_waitcnt vmcnt(4)
	v_mov_b32_e32 v84, v65
	v_mov_b32_e32 v85, v63
	;; [unrolled: 1-line block ×3, first 2 shown]
	s_waitcnt vmcnt(3)
	v_mov_b32_e32 v62, v61
	s_waitcnt lgkmcnt(0)
	v_pk_mul_f32 v[14:15], v[14:15], v[38:39]
	v_mov_b32_e32 v63, v59
	v_sub_f32_e32 v38, v14, v15
	v_sub_f32_e32 v22, v22, v38
	v_mov_b32_e32 v38, s17
	scratch_load_dwordx4 v[14:17], off, off offset:136
	ds_read2_b32 v[38:39], v38 offset1:1
	ds_read2_b32 v[52:53], v43 offset1:1
	;; [unrolled: 1-line block ×4, first 2 shown]
	ds_read_b32 v86, v46
	ds_read2_b32 v[80:81], v47 offset1:1
	ds_read2_b32 v[82:83], v46 offset0:1 offset1:2
	scratch_load_dwordx4 v[46:49], off, off offset:8
	scratch_load_dwordx4 v[70:73], off, off offset:72
	s_waitcnt lgkmcnt(6)
	v_mov_b32_e32 v43, v39
	v_pk_mul_f32 v[42:43], v[42:43], v[44:45]
	v_mov_b32_e32 v61, v58
	s_waitcnt lgkmcnt(1)
	v_pk_fma_f32 v[44:45], v[80:81], v[40:41], v[42:43] op_sel:[0,0,1] op_sel_hi:[1,1,0] neg_lo:[1,0,0] neg_hi:[1,0,0]
	v_pk_fma_f32 v[40:41], v[80:81], v[40:41], v[42:43] op_sel:[0,0,1] op_sel_hi:[1,1,0]
	v_pk_mul_f32 v[58:59], v[52:53], v[62:63]
	v_mov_b32_e32 v45, v41
	v_mov_b32_e32 v40, v53
	;; [unrolled: 1-line block ×3, first 2 shown]
	v_pk_mul_f32 v[80:81], v[38:39], v[84:85]
	v_mov_b32_e32 v39, v31
	v_pk_fma_f32 v[84:85], v[40:41], v[64:65], v[80:81] neg_lo:[0,0,1] neg_hi:[0,0,1]
	v_pk_fma_f32 v[40:41], v[40:41], v[64:65], v[80:81]
	v_pk_add_f32 v[22:23], v[22:23], v[44:45] neg_lo:[0,1] neg_hi:[0,1]
	v_mov_b32_e32 v85, v41
	v_mov_b32_e32 v40, v75
	;; [unrolled: 1-line block ×3, first 2 shown]
	v_pk_fma_f32 v[62:63], v[40:41], v[60:61], v[58:59] neg_lo:[0,0,1] neg_hi:[0,0,1]
	v_pk_fma_f32 v[40:41], v[40:41], v[60:61], v[58:59]
	scratch_load_dwordx2 v[58:59], off, off offset:112
	v_mov_b32_e32 v38, v33
	v_mov_b32_e32 v63, v41
	v_mov_b32_e32 v40, v79
	v_mov_b32_e32 v41, v52
	v_mov_b32_e32 v33, v30
	v_pk_mul_f32 v[38:39], v[74:75], v[38:39]
	v_pk_add_f32 v[22:23], v[22:23], v[84:85] neg_lo:[0,1] neg_hi:[0,1]
	v_pk_fma_f32 v[52:53], v[40:41], v[32:33], v[38:39] neg_lo:[0,0,1] neg_hi:[0,0,1]
	v_pk_fma_f32 v[32:33], v[40:41], v[32:33], v[38:39]
	v_pk_add_f32 v[22:23], v[22:23], v[62:63] neg_lo:[0,1] neg_hi:[0,1]
	v_mov_b32_e32 v30, v29
	v_mov_b32_e32 v31, v27
	;; [unrolled: 1-line block ×3, first 2 shown]
	v_pk_add_f32 v[22:23], v[22:23], v[52:53] neg_lo:[0,1] neg_hi:[0,1]
	s_waitcnt lgkmcnt(0)
	v_mov_b32_e32 v52, v83
	v_mov_b32_e32 v53, v74
	;; [unrolled: 1-line block ×3, first 2 shown]
	v_pk_mul_f32 v[26:27], v[78:79], v[30:31]
	s_waitcnt vmcnt(6)
	v_mov_b32_e32 v32, v54
	v_mov_b32_e32 v33, v56
	v_pk_fma_f32 v[30:31], v[52:53], v[28:29], v[26:27] neg_lo:[0,0,1] neg_hi:[0,0,1]
	v_pk_fma_f32 v[26:27], v[52:53], v[28:29], v[26:27]
	v_mov_b32_e32 v79, v86
	v_mov_b32_e32 v54, v57
	;; [unrolled: 1-line block ×3, first 2 shown]
	v_pk_mul_f32 v[26:27], v[78:79], v[32:33]
	v_pk_add_f32 v[22:23], v[22:23], v[30:31] neg_lo:[0,1] neg_hi:[0,1]
	v_pk_fma_f32 v[28:29], v[82:83], v[54:55], v[26:27] op_sel:[0,0,1] op_sel_hi:[1,1,0] neg_lo:[1,0,0] neg_hi:[1,0,0]
	v_pk_fma_f32 v[26:27], v[82:83], v[54:55], v[26:27] op_sel:[0,0,1] op_sel_hi:[1,1,0]
	scratch_load_dwordx4 v[42:45], off, off offset:16
	v_mov_b32_e32 v29, v27
	v_mul_f32_e32 v26, v82, v56
	v_fmac_f32_e32 v26, v86, v57
	v_pk_add_f32 v[22:23], v[22:23], v[28:29] neg_lo:[0,1] neg_hi:[0,1]
	scratch_store_dwordx2 off, v[22:23], off offset:120
	v_sub_f32_e32 v28, v23, v26
	v_mov_b32_e32 v23, s16
	ds_read_b64 v[26:27], v23
	s_add_i32 s16, s15, 0xffffffb8
	v_mov_b32_e32 v23, s16
	ds_read2_b64 v[52:55], v23 offset1:1
	s_add_i32 s16, s15, 0xffffffa8
	s_waitcnt vmcnt(6) lgkmcnt(1)
	v_mul_f32_e32 v23, v27, v67
	v_fma_f32 v23, v26, v66, -v23
	v_mul_f32_e32 v26, v26, v67
	v_fmac_f32_e32 v26, v27, v66
	v_sub_f32_e32 v22, v22, v23
	v_sub_f32_e32 v23, v28, v26
	s_waitcnt lgkmcnt(0)
	v_mul_f32_e32 v26, v55, v69
	v_fma_f32 v26, v54, v68, -v26
	v_mul_f32_e32 v27, v54, v69
	v_sub_f32_e32 v22, v22, v26
	v_fmac_f32_e32 v27, v55, v68
	v_sub_f32_e32 v23, v23, v27
	s_addk_i32 s15, 0xff98
	scratch_load_dwordx4 v[38:41], off, off offset:40
	scratch_load_dwordx4 v[30:33], off, off offset:56
	;; [unrolled: 1-line block ×3, first 2 shown]
	s_waitcnt vmcnt(6)
	v_mul_f32_e32 v54, v53, v71
	v_fma_f32 v54, v52, v70, -v54
	v_mul_f32_e32 v56, v52, v71
	v_mov_b32_e32 v52, s16
	v_fmac_f32_e32 v56, v53, v70
	v_sub_f32_e32 v22, v22, v54
	ds_read2_b64 v[52:55], v52 offset1:1
	v_sub_f32_e32 v23, v23, v56
	v_mov_b32_e32 v56, s15
	ds_read2_b64 v[60:63], v56 offset1:1
	s_add_i32 s15, s11, -16
	s_waitcnt lgkmcnt(1)
	v_mul_f32_e32 v56, v55, v73
	v_fma_f32 v56, v54, v72, -v56
	v_mul_f32_e32 v54, v54, v73
	v_fmac_f32_e32 v54, v55, v72
	v_sub_f32_e32 v23, v23, v54
	v_mul_f32_e32 v54, v53, v35
	v_mul_f32_e32 v35, v52, v35
	v_sub_f32_e32 v22, v22, v56
	v_fma_f32 v54, v52, v34, -v54
	v_fmac_f32_e32 v35, v53, v34
	s_waitcnt lgkmcnt(0)
	v_mul_f32_e32 v34, v63, v37
	v_sub_f32_e32 v22, v22, v54
	v_fma_f32 v34, v62, v36, -v34
	v_sub_f32_e32 v22, v22, v34
	v_mul_f32_e32 v34, v61, v51
	v_sub_f32_e32 v23, v23, v35
	v_mul_f32_e32 v35, v62, v37
	v_fma_f32 v34, v60, v50, -v34
	v_fmac_f32_e32 v35, v63, v36
	v_sub_f32_e32 v57, v22, v34
	v_mov_b32_e32 v22, s13
	s_lshl_b32 s13, s15, 9
	v_sub_f32_e32 v23, v23, v35
	v_mul_f32_e32 v35, v60, v51
	s_add_i32 s16, s13, s5
	v_fmac_f32_e32 v35, v61, v50
	s_sub_i32 s17, s16, 56
	v_sub_f32_e32 v60, v23, v35
	v_mov_b32_e32 v23, s17
	v_mov_b32_e32 v55, s16
	ds_read2_b64 v[50:53], v22 offset1:1
	ds_read_b32 v54, v55 offset:4
	ds_read_b32 v56, v23
	ds_read2_b32 v[22:23], v23 offset0:1 offset1:2
	scratch_load_dwordx4 v[34:37], off, off offset:104
	s_waitcnt vmcnt(6) lgkmcnt(3)
	v_mul_f32_e32 v61, v53, v59
	v_fma_f32 v61, v52, v58, -v61
	v_mul_f32_e32 v52, v52, v59
	v_fmac_f32_e32 v52, v53, v58
	v_sub_f32_e32 v53, v60, v52
	v_sub_f32_e32 v57, v57, v61
	v_mul_f32_e32 v52, v51, v53
	v_mul_f32_e32 v53, v50, v53
	v_fma_f32 v52, v50, v57, -v52
	v_fmac_f32_e32 v53, v51, v57
	scratch_store_dwordx2 off, v[52:53], off offset:120
	scratch_load_dwordx4 v[50:53], off, off offset:112
	s_nop 0
	scratch_load_dwordx4 v[58:61], off, off
	scratch_load_dword v61, off, off offset:4
	scratch_load_dwordx4 v[62:65], off, off offset:24
	scratch_load_dwordx4 v[72:75], off, off offset:32
	v_add_u32_e32 v57, s14, v1
	s_add_i32 s17, s16, -12
	s_add_i32 s14, s16, -4
	s_sub_i32 s19, s16, 28
	s_sub_i32 s18, s16, 20
	v_mov_b32_e32 v84, s19
	scratch_load_dwordx4 v[68:71], off, off offset:112
	scratch_load_dwordx4 v[78:81], off, off
	s_sub_i32 s20, s16, 36
	s_sub_i32 s21, s16, 44
	s_waitcnt vmcnt(6)
	ds_write_b64 v57, v[52:53]
	ds_read2_b32 v[52:53], v55 offset1:1
	s_waitcnt vmcnt(5)
	v_mov_b32_e32 v66, v58
	s_waitcnt vmcnt(4)
	v_mov_b32_e32 v67, v61
	v_mov_b32_e32 v57, s14
	;; [unrolled: 1-line block ×3, first 2 shown]
	s_waitcnt lgkmcnt(0)
	v_pk_mul_f32 v[52:53], v[52:53], v[66:67]
	v_mov_b32_e32 v59, v60
	v_sub_f32_e32 v52, v52, v53
	v_sub_f32_e32 v24, v24, v52
	v_mov_b32_e32 v52, s17
	ds_read2_b32 v[52:53], v52 offset1:1
	ds_read2_b32 v[66:67], v57 offset1:1
	ds_read2_b32 v[82:83], v55 offset1:1
	ds_read2_b32 v[84:85], v84 offset1:1
	v_mov_b32_e32 v60, v47
	s_sub_i32 s14, s16, 64
	s_waitcnt lgkmcnt(3)
	v_mov_b32_e32 v55, v53
	v_pk_mul_f32 v[54:55], v[54:55], v[58:59]
	v_mov_b32_e32 v58, v47
	v_mov_b32_e32 v59, v49
	s_waitcnt lgkmcnt(2)
	v_pk_fma_f32 v[86:87], v[66:67], v[58:59], v[54:55] op_sel:[0,0,1] op_sel_hi:[1,1,0] neg_lo:[1,0,0] neg_hi:[1,0,0]
	v_pk_fma_f32 v[54:55], v[66:67], v[60:61], v[54:55] op_sel:[0,0,1] op_sel_hi:[1,1,0]
	v_mov_b32_e32 v49, v46
	v_mov_b32_e32 v87, v55
	s_waitcnt lgkmcnt(1)
	v_mov_b32_e32 v54, v83
	v_mov_b32_e32 v55, v66
	v_pk_mul_f32 v[46:47], v[52:53], v[58:59] op_sel:[0,1] op_sel_hi:[1,0]
	v_pk_add_f32 v[24:25], v[24:25], v[86:87] neg_lo:[0,1] neg_hi:[0,1]
	v_pk_fma_f32 v[58:59], v[54:55], v[48:49], v[46:47] neg_lo:[0,0,1] neg_hi:[0,0,1]
	v_pk_fma_f32 v[46:47], v[54:55], v[48:49], v[46:47]
	v_mov_b32_e32 v60, v45
	v_mov_b32_e32 v59, v47
	scratch_load_dwordx4 v[46:49], off, off offset:80
	v_mov_b32_e32 v61, v43
	v_pk_add_f32 v[24:25], v[24:25], v[58:59] neg_lo:[0,1] neg_hi:[0,1]
	s_waitcnt lgkmcnt(0)
	v_mov_b32_e32 v58, v85
	v_mov_b32_e32 v59, v52
	;; [unrolled: 1-line block ×3, first 2 shown]
	v_pk_mul_f32 v[42:43], v[82:83], v[60:61]
	s_waitcnt vmcnt(4)
	v_mov_b32_e32 v66, v65
	v_pk_fma_f32 v[60:61], v[58:59], v[44:45], v[42:43] neg_lo:[0,0,1] neg_hi:[0,0,1]
	v_pk_fma_f32 v[42:43], v[58:59], v[44:45], v[42:43]
	v_mov_b32_e32 v67, v63
	v_mov_b32_e32 v42, s20
	ds_read2_b32 v[58:59], v42 offset1:1
	v_mov_b32_e32 v89, v82
	v_mov_b32_e32 v65, v62
	v_pk_mul_f32 v[66:67], v[84:85], v[66:67]
	v_mov_b32_e32 v61, v43
	s_waitcnt lgkmcnt(0)
	v_mov_b32_e32 v88, v59
	v_pk_fma_f32 v[82:83], v[88:89], v[64:65], v[66:67] neg_lo:[0,0,1] neg_hi:[0,0,1]
	v_pk_fma_f32 v[64:65], v[88:89], v[64:65], v[66:67]
	v_pk_add_f32 v[24:25], v[24:25], v[60:61] neg_lo:[0,1] neg_hi:[0,1]
	v_mov_b32_e32 v42, s21
	v_mov_b32_e32 v83, v65
	scratch_load_dwordx4 v[52:55], off, off offset:24
	v_mov_b32_e32 v43, s14
	ds_read2_b32 v[60:61], v42 offset1:1
	ds_read_b64 v[86:87], v43
	v_pk_add_f32 v[24:25], v[24:25], v[82:83] neg_lo:[0,1] neg_hi:[0,1]
	scratch_load_dwordx2 v[82:83], off, off offset:120
	s_waitcnt vmcnt(5)
	v_mov_b32_e32 v62, v75
	v_mov_b32_e32 v63, v73
	s_waitcnt lgkmcnt(1)
	v_mov_b32_e32 v64, v61
	v_mov_b32_e32 v65, v84
	;; [unrolled: 1-line block ×5, first 2 shown]
	v_pk_mul_f32 v[62:63], v[58:59], v[62:63]
	v_mov_b32_e32 v41, v38
	v_pk_fma_f32 v[72:73], v[64:65], v[74:75], v[62:63] neg_lo:[0,0,1] neg_hi:[0,0,1]
	v_pk_fma_f32 v[62:63], v[64:65], v[74:75], v[62:63]
	v_mov_b32_e32 v64, v23
	v_mov_b32_e32 v65, v58
	v_pk_mul_f32 v[38:39], v[60:61], v[66:67]
	v_mov_b32_e32 v73, v63
	v_mov_b32_e32 v62, v6
	;; [unrolled: 1-line block ×3, first 2 shown]
	v_pk_fma_f32 v[58:59], v[64:65], v[40:41], v[38:39] neg_lo:[0,0,1] neg_hi:[0,0,1]
	v_pk_fma_f32 v[38:39], v[64:65], v[40:41], v[38:39]
	v_mov_b32_e32 v61, v56
	v_mov_b32_e32 v6, v9
	;; [unrolled: 1-line block ×3, first 2 shown]
	v_pk_mul_f32 v[38:39], v[60:61], v[62:63]
	v_pk_add_f32 v[24:25], v[24:25], v[72:73] neg_lo:[0,1] neg_hi:[0,1]
	v_pk_fma_f32 v[40:41], v[22:23], v[6:7], v[38:39] op_sel:[0,0,1] op_sel_hi:[1,1,0] neg_lo:[1,0,0] neg_hi:[1,0,0]
	v_pk_fma_f32 v[6:7], v[22:23], v[6:7], v[38:39] op_sel:[0,0,1] op_sel_hi:[1,1,0]
	v_pk_add_f32 v[24:25], v[24:25], v[58:59] neg_lo:[0,1] neg_hi:[0,1]
	v_mov_b32_e32 v41, v7
	v_mul_f32_e32 v8, v22, v8
	v_fmac_f32_e32 v8, v56, v9
	v_pk_add_f32 v[6:7], v[24:25], v[40:41] neg_lo:[0,1] neg_hi:[0,1]
	s_add_i32 s14, s16, 0xffffffb0
	v_sub_f32_e32 v7, v7, v8
	s_waitcnt lgkmcnt(0)
	v_mul_f32_e32 v8, v87, v11
	v_fma_f32 v8, v86, v10, -v8
	v_sub_f32_e32 v6, v6, v8
	v_mov_b32_e32 v8, s14
	ds_read2_b64 v[22:25], v8 offset1:1
	s_add_i32 s14, s16, 0xffffffa0
	v_mov_b32_e32 v8, s14
	v_mul_f32_e32 v9, v86, v11
	ds_read2_b64 v[38:41], v8 offset1:1
	v_fmac_f32_e32 v9, v87, v10
	v_sub_f32_e32 v7, v7, v9
	s_waitcnt lgkmcnt(1)
	v_mul_f32_e32 v8, v25, v13
	v_mul_f32_e32 v9, v24, v13
	v_fma_f32 v8, v24, v12, -v8
	v_fmac_f32_e32 v9, v25, v12
	v_sub_f32_e32 v10, v6, v8
	v_sub_f32_e32 v11, v7, v9
	s_add_i32 s14, s16, 0xffffff90
	scratch_load_dwordx4 v[42:45], off, off offset:32
	s_waitcnt vmcnt(3)
	v_mul_f32_e32 v12, v23, v47
	v_fma_f32 v12, v22, v46, -v12
	v_mul_f32_e32 v13, v22, v47
	v_sub_f32_e32 v10, v10, v12
	s_waitcnt lgkmcnt(0)
	v_mul_f32_e32 v12, v41, v49
	v_fmac_f32_e32 v13, v23, v46
	v_fma_f32 v12, v40, v48, -v12
	v_sub_f32_e32 v11, v11, v13
	v_mul_f32_e32 v13, v40, v49
	v_sub_f32_e32 v10, v10, v12
	v_mul_f32_e32 v12, v39, v3
	v_fmac_f32_e32 v13, v41, v48
	v_fma_f32 v12, v38, v2, -v12
	v_mul_f32_e32 v3, v38, v3
	v_sub_f32_e32 v11, v11, v13
	v_fmac_f32_e32 v3, v39, v2
	v_sub_f32_e32 v2, v10, v12
	v_mov_b32_e32 v10, s14
	v_sub_f32_e32 v3, v11, v3
	ds_read2_b64 v[10:13], v10 offset1:1
	s_lshl_b32 s14, s15, 3
	s_add_i32 s14, s13, s14
	v_mov_b32_e32 v22, s14
	ds_read2_b64 v[22:25], v22 offset1:1
	s_waitcnt lgkmcnt(1)
	v_mul_f32_e32 v38, v13, v5
	v_mul_f32_e32 v5, v12, v5
	v_fmac_f32_e32 v5, v13, v4
	v_sub_f32_e32 v3, v3, v5
	v_mul_f32_e32 v5, v10, v51
	v_fma_f32 v38, v12, v4, -v38
	v_mul_f32_e32 v4, v11, v51
	v_fmac_f32_e32 v5, v11, v50
	v_sub_f32_e32 v2, v2, v38
	v_fma_f32 v4, v10, v50, -v4
	v_sub_f32_e32 v3, v3, v5
	s_waitcnt vmcnt(1) lgkmcnt(0)
	v_mul_f32_e32 v5, v24, v83
	v_sub_f32_e32 v2, v2, v4
	v_mul_f32_e32 v4, v25, v83
	v_fmac_f32_e32 v5, v25, v82
	v_fma_f32 v4, v24, v82, -v4
	v_sub_f32_e32 v3, v3, v5
	v_sub_f32_e32 v4, v2, v4
	v_mul_f32_e32 v2, v23, v3
	v_mul_f32_e32 v3, v22, v3
	v_fma_f32 v2, v22, v4, -v2
	v_fmac_f32_e32 v3, v23, v4
	scratch_store_dwordx2 off, v[2:3], off offset:128
	scratch_load_dwordx4 v[6:9], off, off offset:80
	s_nop 0
	scratch_load_dwordx4 v[2:5], off, off offset:120
	scratch_load_dwordx4 v[22:25], off, off offset:16
	s_sub_i32 s14, s11, 17
	v_add_u32_e32 v38, s13, v1
	s_lshl_b32 s13, s14, 9
	s_add_i32 s15, s13, s5
	v_mov_b32_e32 v84, s15
	scratch_load_dwordx4 v[46:49], off, off offset:16
	scratch_load_dwordx4 v[56:59], off, off offset:48
	s_add_i32 s16, s15, -4
	s_add_i32 s17, s15, -12
	s_sub_i32 s18, s15, 20
	s_sub_i32 s20, s15, 36
	s_sub_i32 s23, s15, 64
	s_sub_i32 s19, s15, 28
	v_mov_b32_e32 v85, s23
	v_mov_b32_e32 v74, s20
	scratch_load_dwordx4 v[10:13], off, off offset:120
	v_mov_b32_e32 v65, v79
	s_waitcnt vmcnt(2)
	v_mov_b32_e32 v49, s19
	v_mov_b32_e32 v64, v81
	v_mov_b32_e32 v50, v80
	v_mov_b32_e32 v60, v80
	v_mov_b32_e32 v61, v78
	v_mov_b32_e32 v83, v81
	s_sub_i32 s21, s15, 44
	s_sub_i32 s22, s15, 52
	s_lshl_b32 s14, s14, 3
	s_add_i32 s14, s13, s14
	ds_write_b64 v38, v[4:5]
	ds_read2_b32 v[62:63], v84 offset1:1
	scratch_load_dwordx4 v[38:41], off, off offset:40
	v_mov_b32_e32 v4, s16
	ds_read2_b32 v[4:5], v4 offset1:1
	v_mov_b32_e32 v51, v22
	s_waitcnt lgkmcnt(1)
	v_pk_mul_f32 v[62:63], v[62:63], v[78:79]
	v_mov_b32_e32 v82, v23
	v_sub_f32_e32 v47, v62, v63
	v_sub_f32_e32 v14, v14, v47
	v_mov_b32_e32 v47, s17
	ds_read2_b32 v[62:63], v47 offset1:1
	v_mov_b32_e32 v47, s18
	ds_read2_b32 v[66:67], v47 offset1:1
	ds_read2_b32 v[72:73], v49 offset1:1
	;; [unrolled: 1-line block ×3, first 2 shown]
	ds_read_b32 v79, v84 offset:4
	ds_read_b32 v47, v85
	ds_read2_b32 v[84:85], v85 offset0:1 offset1:2
	s_waitcnt lgkmcnt(7)
	v_pk_mul_f32 v[64:65], v[4:5], v[64:65]
	s_waitcnt lgkmcnt(6)
	v_mov_b32_e32 v78, v63
	v_pk_fma_f32 v[50:51], v[62:63], v[50:51], v[64:65] op_sel:[1,0,0] op_sel_hi:[0,1,1] neg_lo:[0,0,1] neg_hi:[0,0,1]
	s_waitcnt lgkmcnt(2)
	v_pk_fma_f32 v[60:61], v[78:79], v[60:61], v[64:65]
	v_mov_b32_e32 v5, v80
	v_mov_b32_e32 v51, v61
	v_pk_add_f32 v[14:15], v[14:15], v[50:51] neg_lo:[0,1] neg_hi:[0,1]
	v_mov_b32_e32 v50, v67
	v_mov_b32_e32 v51, v4
	;; [unrolled: 1-line block ×3, first 2 shown]
	v_pk_mul_f32 v[64:65], v[62:63], v[82:83]
	v_mov_b32_e32 v60, v25
	v_pk_fma_f32 v[78:79], v[50:51], v[4:5], v[64:65] neg_lo:[0,0,1] neg_hi:[0,0,1]
	v_pk_fma_f32 v[4:5], v[50:51], v[4:5], v[64:65]
	v_mov_b32_e32 v61, v23
	v_mov_b32_e32 v79, v5
	v_pk_add_f32 v[4:5], v[14:15], v[78:79] neg_lo:[0,1] neg_hi:[0,1]
	v_mov_b32_e32 v14, v73
	v_mov_b32_e32 v15, v62
	;; [unrolled: 1-line block ×3, first 2 shown]
	v_pk_mul_f32 v[22:23], v[66:67], v[60:61]
	v_mov_b32_e32 v50, v55
	v_pk_fma_f32 v[60:61], v[14:15], v[24:25], v[22:23] neg_lo:[0,0,1] neg_hi:[0,0,1]
	v_pk_fma_f32 v[14:15], v[14:15], v[24:25], v[22:23]
	scratch_load_dwordx4 v[22:25], off, off offset:88
	v_mov_b32_e32 v51, v53
	v_mov_b32_e32 v61, v15
	;; [unrolled: 1-line block ×5, first 2 shown]
	v_pk_mul_f32 v[50:51], v[72:73], v[50:51]
	v_pk_add_f32 v[4:5], v[4:5], v[60:61] neg_lo:[0,1] neg_hi:[0,1]
	v_pk_fma_f32 v[60:61], v[14:15], v[54:55], v[50:51] neg_lo:[0,0,1] neg_hi:[0,0,1]
	v_pk_fma_f32 v[14:15], v[14:15], v[54:55], v[50:51]
	v_mov_b32_e32 v53, v43
	v_mov_b32_e32 v14, s21
	;; [unrolled: 1-line block ×3, first 2 shown]
	s_add_i32 s16, s15, 0xffffffb8
	v_mov_b32_e32 v52, v45
	v_mov_b32_e32 v61, v15
	ds_read2_b32 v[14:15], v14 offset1:1
	v_mov_b32_e32 v45, s16
	ds_read2_b32 v[50:51], v43 offset1:1
	ds_read_b64 v[54:55], v45
	v_mov_b32_e32 v65, v72
	scratch_load_dwordx2 v[72:73], off, off offset:128
	s_waitcnt lgkmcnt(2)
	v_mov_b32_e32 v64, v15
	v_mov_b32_e32 v45, v42
	v_pk_mul_f32 v[42:43], v[74:75], v[52:53]
	v_pk_add_f32 v[4:5], v[4:5], v[60:61] neg_lo:[0,1] neg_hi:[0,1]
	v_pk_fma_f32 v[52:53], v[64:65], v[44:45], v[42:43] neg_lo:[0,0,1] neg_hi:[0,0,1]
	v_pk_fma_f32 v[42:43], v[64:65], v[44:45], v[42:43]
	s_add_i32 s16, s15, 0xffffffa8
	v_mov_b32_e32 v53, v43
	v_pk_add_f32 v[4:5], v[4:5], v[52:53] neg_lo:[0,1] neg_hi:[0,1]
	s_waitcnt lgkmcnt(1)
	v_mov_b32_e32 v52, v51
	v_mov_b32_e32 v53, v74
	scratch_load_dwordx4 v[60:63], off, off offset:40
	scratch_load_dwordx4 v[42:45], off, off offset:48
	s_waitcnt vmcnt(4)
	v_mov_b32_e32 v66, v41
	v_mov_b32_e32 v67, v39
	;; [unrolled: 1-line block ×5, first 2 shown]
	v_pk_mul_f32 v[64:65], v[14:15], v[66:67]
	v_mov_b32_e32 v59, v56
	v_pk_fma_f32 v[66:67], v[52:53], v[40:41], v[64:65] neg_lo:[0,0,1] neg_hi:[0,0,1]
	v_pk_fma_f32 v[40:41], v[52:53], v[40:41], v[64:65]
	v_mov_b32_e32 v52, v85
	v_mov_b32_e32 v53, v14
	v_pk_mul_f32 v[14:15], v[50:51], v[38:39]
	v_mov_b32_e32 v67, v41
	v_mov_b32_e32 v40, v30
	;; [unrolled: 1-line block ×3, first 2 shown]
	v_pk_fma_f32 v[38:39], v[52:53], v[58:59], v[14:15] neg_lo:[0,0,1] neg_hi:[0,0,1]
	v_pk_fma_f32 v[14:15], v[52:53], v[58:59], v[14:15]
	v_mov_b32_e32 v51, v47
	v_pk_add_f32 v[4:5], v[4:5], v[66:67] neg_lo:[0,1] neg_hi:[0,1]
	v_mov_b32_e32 v30, v33
	v_mov_b32_e32 v39, v15
	v_pk_mul_f32 v[14:15], v[50:51], v[40:41]
	v_pk_add_f32 v[4:5], v[4:5], v[38:39] neg_lo:[0,1] neg_hi:[0,1]
	v_pk_fma_f32 v[38:39], v[84:85], v[30:31], v[14:15] op_sel:[0,0,1] op_sel_hi:[1,1,0] neg_lo:[1,0,0] neg_hi:[1,0,0]
	v_pk_fma_f32 v[14:15], v[84:85], v[30:31], v[14:15] op_sel:[0,0,1] op_sel_hi:[1,1,0]
	scratch_load_dwordx4 v[64:67], off, off offset:24
	v_mov_b32_e32 v39, v15
	v_mul_f32_e32 v14, v84, v32
	v_fmac_f32_e32 v14, v47, v33
	v_pk_add_f32 v[4:5], v[4:5], v[38:39] neg_lo:[0,1] neg_hi:[0,1]
	s_waitcnt lgkmcnt(0)
	v_mul_f32_e32 v15, v54, v27
	v_sub_f32_e32 v5, v5, v14
	v_mul_f32_e32 v14, v55, v27
	v_fma_f32 v14, v54, v26, -v14
	v_sub_f32_e32 v4, v4, v14
	v_mov_b32_e32 v14, s16
	ds_read2_b64 v[50:53], v14 offset1:1
	s_add_i32 s16, s15, 0xffffff98
	scratch_load_dwordx4 v[38:41], off, off
	v_mov_b32_e32 v14, s16
	v_fmac_f32_e32 v15, v55, v26
	ds_read2_b64 v[54:57], v14 offset1:1
	s_waitcnt lgkmcnt(1)
	v_mul_f32_e32 v14, v53, v29
	v_fma_f32 v14, v52, v28, -v14
	v_sub_f32_e32 v4, v4, v14
	s_waitcnt vmcnt(5)
	v_mul_f32_e32 v14, v51, v23
	v_fma_f32 v14, v50, v22, -v14
	v_sub_f32_e32 v5, v5, v15
	v_mul_f32_e32 v15, v52, v29
	v_sub_f32_e32 v4, v4, v14
	s_waitcnt lgkmcnt(0)
	v_mul_f32_e32 v14, v57, v25
	v_fmac_f32_e32 v15, v53, v28
	v_fma_f32 v14, v56, v24, -v14
	v_sub_f32_e32 v5, v5, v15
	v_mul_f32_e32 v15, v50, v23
	v_sub_f32_e32 v4, v4, v14
	v_mul_f32_e32 v14, v55, v19
	v_fmac_f32_e32 v15, v51, v22
	v_fma_f32 v14, v54, v18, -v14
	s_addk_i32 s15, 0xff88
	v_sub_f32_e32 v5, v5, v15
	v_mul_f32_e32 v15, v56, v25
	v_sub_f32_e32 v4, v4, v14
	v_mov_b32_e32 v14, s15
	v_fmac_f32_e32 v15, v57, v24
	ds_read2_b64 v[22:25], v14 offset1:1
	scratch_load_dword v14, off, off offset:20
	v_sub_f32_e32 v5, v5, v15
	v_mul_f32_e32 v15, v54, v19
	v_fmac_f32_e32 v15, v55, v18
	v_sub_f32_e32 v5, v5, v15
	v_mov_b32_e32 v15, s14
	ds_read2_b64 v[50:53], v15 offset1:1
	s_waitcnt lgkmcnt(1)
	v_mul_f32_e32 v15, v25, v21
	v_mul_f32_e32 v18, v24, v21
	v_fma_f32 v15, v24, v20, -v15
	v_fmac_f32_e32 v18, v25, v20
	scratch_load_dwordx4 v[24:27], off, off offset:32
	v_sub_f32_e32 v4, v4, v15
	v_mul_f32_e32 v15, v23, v3
	v_mul_f32_e32 v3, v22, v3
	v_sub_f32_e32 v5, v5, v18
	v_fmac_f32_e32 v3, v23, v2
	v_fma_f32 v15, v22, v2, -v15
	v_sub_f32_e32 v3, v5, v3
	s_waitcnt vmcnt(6) lgkmcnt(0)
	v_mul_f32_e32 v5, v52, v73
	v_sub_f32_e32 v2, v4, v15
	v_mul_f32_e32 v4, v53, v73
	v_fmac_f32_e32 v5, v53, v72
	s_sub_i32 s15, s11, 18
	v_fma_f32 v4, v52, v72, -v4
	v_sub_f32_e32 v3, v3, v5
	s_lshl_b32 s14, s15, 9
	v_sub_f32_e32 v4, v2, v4
	v_mul_f32_e32 v2, v51, v3
	v_mul_f32_e32 v3, v50, v3
	s_add_i32 s16, s14, s5
	v_fma_f32 v2, v50, v4, -v2
	v_fmac_f32_e32 v3, v51, v4
	s_add_i32 s17, s16, -4
	scratch_store_dwordx2 off, v[2:3], off offset:136
	v_mov_b32_e32 v2, s16
	s_add_i32 s18, s16, 0xffffffb8
	v_mov_b32_e32 v4, s17
	scratch_load_dwordx4 v[28:31], off, off offset:88
	scratch_load_dwordx4 v[20:23], off, off offset:128
	v_mov_b32_e32 v15, s18
	ds_read_b32 v3, v2 offset:4
	ds_read_b32 v88, v15
	ds_read2_b32 v[4:5], v4 offset1:1
	ds_read2_b32 v[32:33], v15 offset0:1 offset1:2
	scratch_load_dwordx4 v[52:55], off, off
	scratch_load_dwordx4 v[72:75], off, off offset:56
	s_add_i32 s17, s16, -12
	s_sub_i32 s18, s16, 20
	s_sub_i32 s19, s16, 28
	;; [unrolled: 1-line block ×3, first 2 shown]
	v_mov_b32_e32 v15, s19
	v_mov_b32_e32 v49, s20
	;; [unrolled: 1-line block ×4, first 2 shown]
	s_waitcnt vmcnt(7) lgkmcnt(3)
	v_mul_f32_e32 v2, v3, v39
	s_waitcnt lgkmcnt(1)
	v_fma_f32 v2, v5, v38, -v2
	v_sub_f32_e32 v16, v16, v2
	v_mov_b32_e32 v2, s17
	ds_read2_b32 v[18:19], v2 offset1:1
	v_mov_b32_e32 v2, s18
	ds_read2_b32 v[56:57], v2 offset1:1
	ds_read2_b32 v[82:83], v15 offset1:1
	;; [unrolled: 1-line block ×3, first 2 shown]
	scratch_load_dwordx4 v[78:81], off, off offset:64
	scratch_load_dwordx2 v[124:125], off, off offset:16
	v_mov_b32_e32 v59, v38
	v_mov_b32_e32 v38, v41
	;; [unrolled: 1-line block ×3, first 2 shown]
	s_waitcnt lgkmcnt(3)
	v_mov_b32_e32 v2, v19
	v_mov_b32_e32 v58, v40
	v_mul_f32_e32 v40, v19, v40
	v_pk_mul_f32 v[86:87], v[4:5], v[38:39]
	v_pk_fma_f32 v[38:39], v[4:5], v[38:39], v[40:41] op_sel_hi:[1,1,0] neg_lo:[1,0,0] neg_hi:[1,0,0]
	v_pk_fma_f32 v[2:3], v[2:3], v[58:59], v[86:87]
	v_mov_b32_e32 v15, v41
	v_mov_b32_e32 v39, v3
	v_pk_add_f32 v[16:17], v[16:17], v[38:39] neg_lo:[0,1] neg_hi:[0,1]
	s_waitcnt lgkmcnt(2)
	v_mov_b32_e32 v38, v57
	v_mov_b32_e32 v39, v4
	;; [unrolled: 1-line block ×4, first 2 shown]
	s_sub_i32 s21, s16, 44
	s_sub_i32 s22, s16, 52
	;; [unrolled: 1-line block ×3, first 2 shown]
	s_waitcnt vmcnt(8)
	v_mov_b32_e32 v41, v14
	v_pk_mul_f32 v[14:15], v[18:19], v[14:15]
	v_mov_b32_e32 v19, v65
	v_pk_fma_f32 v[58:59], v[38:39], v[46:47], v[14:15] neg_lo:[0,0,1] neg_hi:[0,0,1]
	v_pk_fma_f32 v[14:15], v[38:39], v[50:51], v[14:15]
	v_pk_mul_f32 v[38:39], v[56:57], v[40:41]
	v_mov_b32_e32 v59, v15
	v_pk_add_f32 v[14:15], v[16:17], v[58:59] neg_lo:[0,1] neg_hi:[0,1]
	s_waitcnt lgkmcnt(1)
	v_mov_b32_e32 v16, v83
	v_mov_b32_e32 v17, v18
	;; [unrolled: 1-line block ×3, first 2 shown]
	v_pk_fma_f32 v[40:41], v[16:17], v[48:49], v[38:39] neg_lo:[0,0,1] neg_hi:[0,0,1]
	v_pk_fma_f32 v[16:17], v[16:17], v[48:49], v[38:39]
	v_mov_b32_e32 v67, v64
	v_mov_b32_e32 v41, v17
	s_waitcnt lgkmcnt(0)
	v_mov_b32_e32 v16, v85
	v_mov_b32_e32 v17, v56
	v_pk_mul_f32 v[18:19], v[82:83], v[18:19]
	v_pk_add_f32 v[14:15], v[14:15], v[40:41] neg_lo:[0,1] neg_hi:[0,1]
	v_pk_fma_f32 v[38:39], v[16:17], v[66:67], v[18:19] neg_lo:[0,0,1] neg_hi:[0,0,1]
	v_pk_fma_f32 v[16:17], v[16:17], v[66:67], v[18:19]
	v_mov_b32_e32 v18, s22
	v_mov_b32_e32 v39, v17
	v_pk_add_f32 v[14:15], v[14:15], v[38:39] neg_lo:[0,1] neg_hi:[0,1]
	scratch_load_dwordx4 v[38:41], off, off offset:96
	v_mov_b32_e32 v16, s21
	ds_read2_b32 v[16:17], v16 offset1:1
	s_add_i32 s17, s16, 0xffffffb0
	scratch_load_dwordx4 v[2:5], off, off offset:24
	scratch_load_dwordx4 v[56:59], off, off offset:32
	s_waitcnt vmcnt(10)
	v_mov_b32_e32 v46, v27
	v_mov_b32_e32 v47, v25
	;; [unrolled: 1-line block ×4, first 2 shown]
	ds_read2_b32 v[48:49], v18 offset1:1
	ds_read2_b32 v[50:51], v19 offset1:1
	ds_read_b64 v[86:87], v25
	s_waitcnt lgkmcnt(3)
	v_mov_b32_e32 v18, v17
	v_mov_b32_e32 v19, v82
	;; [unrolled: 1-line block ×3, first 2 shown]
	v_pk_mul_f32 v[46:47], v[84:85], v[46:47]
	v_mov_b32_e32 v24, v63
	v_mov_b32_e32 v25, v61
	v_pk_fma_f32 v[64:65], v[18:19], v[26:27], v[46:47] neg_lo:[0,0,1] neg_hi:[0,0,1]
	v_pk_fma_f32 v[18:19], v[18:19], v[26:27], v[46:47]
	v_mov_b32_e32 v63, v60
	v_mov_b32_e32 v65, v19
	s_waitcnt lgkmcnt(2)
	v_mov_b32_e32 v18, v49
	v_mov_b32_e32 v19, v84
	v_pk_mul_f32 v[24:25], v[16:17], v[24:25]
	v_mov_b32_e32 v26, v45
	v_mov_b32_e32 v27, v43
	v_pk_fma_f32 v[46:47], v[18:19], v[62:63], v[24:25] neg_lo:[0,0,1] neg_hi:[0,0,1]
	v_pk_fma_f32 v[18:19], v[18:19], v[62:63], v[24:25]
	v_mov_b32_e32 v45, v42
	v_mov_b32_e32 v47, v19
	s_waitcnt lgkmcnt(1)
	v_mov_b32_e32 v18, v51
	v_mov_b32_e32 v19, v16
	v_pk_mul_f32 v[24:25], v[48:49], v[26:27]
	v_pk_add_f32 v[14:15], v[14:15], v[64:65] neg_lo:[0,1] neg_hi:[0,1]
	v_pk_fma_f32 v[26:27], v[18:19], v[44:45], v[24:25] neg_lo:[0,0,1] neg_hi:[0,0,1]
	v_pk_fma_f32 v[18:19], v[18:19], v[44:45], v[24:25]
	v_pk_add_f32 v[14:15], v[14:15], v[46:47] neg_lo:[0,1] neg_hi:[0,1]
	v_mov_b32_e32 v27, v19
	scratch_load_dwordx2 v[18:19], off, off offset:136
	s_waitcnt vmcnt(6)
	v_mov_b32_e32 v16, v75
	v_mov_b32_e32 v17, v73
	v_pk_add_f32 v[14:15], v[14:15], v[26:27] neg_lo:[0,1] neg_hi:[0,1]
	v_mov_b32_e32 v26, v33
	v_mov_b32_e32 v27, v48
	;; [unrolled: 1-line block ×3, first 2 shown]
	v_pk_mul_f32 v[16:17], v[50:51], v[16:17]
	s_waitcnt vmcnt(5)
	v_mov_b32_e32 v24, v78
	v_pk_fma_f32 v[42:43], v[26:27], v[74:75], v[16:17] neg_lo:[0,0,1] neg_hi:[0,0,1]
	v_pk_fma_f32 v[16:17], v[26:27], v[74:75], v[16:17]
	v_mov_b32_e32 v25, v80
	v_mov_b32_e32 v43, v17
	v_pk_add_f32 v[14:15], v[14:15], v[42:43] neg_lo:[0,1] neg_hi:[0,1]
	scratch_load_dwordx4 v[42:45], off, off offset:152
	v_mov_b32_e32 v51, v88
	v_mov_b32_e32 v78, v81
	v_pk_mul_f32 v[16:17], v[50:51], v[24:25]
	s_add_i32 s17, s16, 0xffffffa0
	v_pk_fma_f32 v[24:25], v[32:33], v[78:79], v[16:17] op_sel:[0,0,1] op_sel_hi:[1,1,0] neg_lo:[1,0,0] neg_hi:[1,0,0]
	v_pk_fma_f32 v[16:17], v[32:33], v[78:79], v[16:17] op_sel:[0,0,1] op_sel_hi:[1,1,0]
	scratch_load_dwordx4 v[72:75], off, off offset:16
	v_mov_b32_e32 v25, v17
	v_mul_f32_e32 v16, v32, v80
	v_fmac_f32_e32 v16, v88, v81
	v_pk_add_f32 v[14:15], v[14:15], v[24:25] neg_lo:[0,1] neg_hi:[0,1]
	s_lshl_b32 s15, s15, 3
	v_sub_f32_e32 v15, v15, v16
	s_waitcnt lgkmcnt(0)
	v_mul_f32_e32 v16, v87, v7
	v_fma_f32 v16, v86, v6, -v16
	v_mul_f32_e32 v7, v86, v7
	v_fmac_f32_e32 v7, v87, v6
	v_sub_f32_e32 v6, v14, v16
	v_mov_b32_e32 v14, s17
	ds_read2_b64 v[24:27], v14 offset1:1
	s_add_i32 s17, s16, 0xffffff90
	v_mov_b32_e32 v14, s17
	ds_read2_b64 v[46:49], v14 offset1:1
	v_sub_f32_e32 v7, v15, v7
	s_waitcnt lgkmcnt(1)
	v_mul_f32_e32 v14, v27, v9
	v_mul_f32_e32 v9, v26, v9
	v_fma_f32 v14, v26, v8, -v14
	v_fmac_f32_e32 v9, v27, v8
	s_waitcnt vmcnt(5)
	v_mul_f32_e32 v8, v25, v39
	v_sub_f32_e32 v6, v6, v14
	v_sub_f32_e32 v7, v7, v9
	v_fma_f32 v8, v24, v38, -v8
	v_mul_f32_e32 v9, v24, v39
	v_fmac_f32_e32 v9, v25, v38
	v_sub_f32_e32 v6, v6, v8
	s_waitcnt lgkmcnt(0)
	v_mul_f32_e32 v8, v49, v41
	v_sub_f32_e32 v7, v7, v9
	v_fma_f32 v8, v48, v40, -v8
	v_mul_f32_e32 v9, v48, v41
	v_fmac_f32_e32 v9, v49, v40
	v_sub_f32_e32 v6, v6, v8
	v_mul_f32_e32 v8, v47, v69
	v_sub_f32_e32 v7, v7, v9
	v_fma_f32 v8, v46, v68, -v8
	v_mul_f32_e32 v9, v46, v69
	s_addk_i32 s16, 0xff80
	v_fmac_f32_e32 v9, v47, v68
	v_sub_f32_e32 v24, v6, v8
	v_mov_b32_e32 v6, s16
	v_sub_f32_e32 v25, v7, v9
	ds_read2_b64 v[6:9], v6 offset1:1
	s_add_i32 s15, s14, s15
	v_mov_b32_e32 v26, s15
	ds_read2_b64 v[38:41], v26 offset1:1
	s_sub_i32 s16, s11, 19
	s_waitcnt lgkmcnt(1)
	v_mul_f32_e32 v26, v9, v71
	v_fma_f32 v26, v8, v70, -v26
	v_mul_f32_e32 v8, v8, v71
	v_mul_f32_e32 v32, v7, v21
	v_fmac_f32_e32 v8, v9, v70
	v_sub_f32_e32 v9, v24, v26
	v_fma_f32 v32, v6, v20, -v32
	v_mul_f32_e32 v6, v6, v21
	v_sub_f32_e32 v8, v25, v8
	v_fmac_f32_e32 v6, v7, v20
	v_sub_f32_e32 v20, v9, v32
	s_waitcnt vmcnt(2) lgkmcnt(0)
	v_mul_f32_e32 v32, v41, v19
	v_mul_f32_e32 v19, v40, v19
	v_sub_f32_e32 v21, v8, v6
	v_fmac_f32_e32 v19, v41, v18
	v_fma_f32 v32, v40, v18, -v32
	v_sub_f32_e32 v19, v21, v19
	s_lshl_b32 s15, s16, 9
	v_sub_f32_e32 v20, v20, v32
	v_mul_f32_e32 v18, v39, v19
	v_mul_f32_e32 v19, v38, v19
	s_add_i32 s17, s15, s5
	v_fma_f32 v18, v38, v20, -v18
	v_fmac_f32_e32 v19, v39, v20
	s_add_i32 s18, s17, -4
	scratch_store_dwordx2 off, v[18:19], off offset:144
	v_mov_b32_e32 v18, s18
	scratch_load_dwordx4 v[64:67], off, off offset:56
	scratch_load_dwordx4 v[60:63], off, off offset:64
	scratch_load_dwordx4 v[14:17], off, off offset:96
	scratch_load_dwordx4 v[24:27], off, off offset:128
	scratch_load_dwordx4 v[6:9], off, off offset:128
	scratch_load_dwordx4 v[48:51], off, off offset:136
	v_mov_b32_e32 v19, s17
	ds_read2_b32 v[32:33], v18 offset1:1
	ds_read_b32 v38, v19 offset:4
	s_add_i32 s18, s17, 0xffffffb0
	scratch_load_dwordx4 v[18:21], off, off offset:40
	v_mov_b32_e32 v39, s18
	ds_read_b32 v104, v39
	ds_read2_b32 v[46:47], v39 offset0:1 offset1:2
	s_waitcnt lgkmcnt(2)
	v_mul_f32_e32 v39, v38, v53
	v_fma_f32 v68, v33, v52, -v39
	s_waitcnt vmcnt(9)
	v_sub_f32_e32 v42, v42, v68
	scratch_load_dwordx4 v[68:71], off, off offset:48
	v_mul_f32_e32 v53, v33, v53
	s_add_i32 s18, s17, -12
	v_fmac_f32_e32 v53, v38, v52
	s_sub_i32 s19, s17, 20
	s_sub_i32 s20, s17, 28
	;; [unrolled: 1-line block ×3, first 2 shown]
	v_mov_b32_e32 v52, s18
	ds_read2_b32 v[86:87], v52 offset1:1
	v_mov_b32_e32 v52, s19
	v_mov_b32_e32 v78, s20
	;; [unrolled: 1-line block ×3, first 2 shown]
	scratch_load_dwordx4 v[38:41], off, off offset:168
	ds_read2_b32 v[88:89], v52 offset1:1
	ds_read2_b32 v[90:91], v78 offset1:1
	;; [unrolled: 1-line block ×3, first 2 shown]
	scratch_load_dwordx4 v[78:81], off, off offset:16
	scratch_load_dwordx4 v[82:85], off, off offset:72
	v_mul_f32_e32 v33, v32, v55
	s_waitcnt lgkmcnt(3)
	v_fma_f32 v52, v87, v54, -v33
	v_mov_b32_e32 v33, v54
	s_waitcnt vmcnt(12)
	v_mov_b32_e32 v54, v73
	s_waitcnt lgkmcnt(2)
	v_mov_b32_e32 v96, v89
	v_mov_b32_e32 v97, v32
	;; [unrolled: 1-line block ×3, first 2 shown]
	v_mul_f32_e32 v98, v89, v72
	v_pk_mul_f32 v[100:101], v[86:87], v[54:55]
	v_pk_fma_f32 v[54:55], v[86:87], v[54:55], v[98:99] op_sel_hi:[1,1,0] neg_lo:[1,0,0] neg_hi:[1,0,0]
	v_pk_fma_f32 v[32:33], v[96:97], v[32:33], v[100:101]
	v_pk_add_f32 v[42:43], v[42:43], v[52:53] neg_lo:[0,1] neg_hi:[0,1]
	v_mov_b32_e32 v95, v72
	v_mov_b32_e32 v72, v75
	;; [unrolled: 1-line block ×6, first 2 shown]
	v_pk_add_f32 v[32:33], v[42:43], v[54:55] neg_lo:[0,1] neg_hi:[0,1]
	s_waitcnt lgkmcnt(1)
	v_mov_b32_e32 v42, v91
	v_mov_b32_e32 v43, v86
	v_pk_mul_f32 v[72:73], v[88:89], v[72:73]
	v_mov_b32_e32 v54, v57
	v_pk_fma_f32 v[52:53], v[42:43], v[52:53], v[72:73] neg_lo:[0,0,1] neg_hi:[0,0,1]
	v_pk_fma_f32 v[42:43], v[42:43], v[94:95], v[72:73]
	v_mov_b32_e32 v55, v75
	v_mov_b32_e32 v53, v43
	v_pk_add_f32 v[32:33], v[32:33], v[52:53] neg_lo:[0,1] neg_hi:[0,1]
	s_waitcnt lgkmcnt(0)
	v_mov_b32_e32 v42, v93
	v_mov_b32_e32 v43, v88
	v_mov_b32_e32 v52, v56
	v_mov_b32_e32 v53, v74
	v_pk_mul_f32 v[54:55], v[90:91], v[54:55]
	s_sub_i32 s22, s17, 44
	s_sub_i32 s23, s17, 52
	s_sub_i32 s24, s17, 60
	s_add_i32 s25, s17, 0xffffffbc
	v_pk_fma_f32 v[72:73], v[42:43], v[52:53], v[54:55] neg_lo:[0,0,1] neg_hi:[0,0,1]
	v_pk_fma_f32 v[42:43], v[42:43], v[52:53], v[54:55]
	v_mov_b32_e32 v52, s23
	v_mov_b32_e32 v73, v43
	v_mov_b32_e32 v42, s22
	v_mov_b32_e32 v53, s24
	v_mov_b32_e32 v54, s25
	v_pk_add_f32 v[32:33], v[32:33], v[72:73] neg_lo:[0,1] neg_hi:[0,1]
	ds_read2_b32 v[42:43], v42 offset1:1
	ds_read2_b32 v[88:89], v52 offset1:1
	;; [unrolled: 1-line block ×4, first 2 shown]
	scratch_load_dwordx4 v[72:75], off, off offset:40
	scratch_load_dwordx4 v[52:55], off, off offset:104
	v_mov_b32_e32 v86, v59
	v_mov_b32_e32 v87, v57
	s_waitcnt lgkmcnt(3)
	v_mov_b32_e32 v98, v43
	v_mov_b32_e32 v99, v90
	;; [unrolled: 1-line block ×3, first 2 shown]
	v_pk_mul_f32 v[56:57], v[92:93], v[86:87]
	s_add_i32 s18, s17, 0xffffffa8
	v_pk_fma_f32 v[86:87], v[98:99], v[58:59], v[56:57] neg_lo:[0,0,1] neg_hi:[0,0,1]
	v_pk_fma_f32 v[56:57], v[98:99], v[58:59], v[56:57]
	s_waitcnt vmcnt(6)
	v_mov_b32_e32 v90, v21
	v_mov_b32_e32 v91, v19
	;; [unrolled: 1-line block ×3, first 2 shown]
	v_pk_add_f32 v[32:33], v[32:33], v[86:87] neg_lo:[0,1] neg_hi:[0,1]
	s_waitcnt lgkmcnt(2)
	v_mov_b32_e32 v86, v89
	v_mov_b32_e32 v87, v92
	;; [unrolled: 1-line block ×3, first 2 shown]
	v_pk_mul_f32 v[90:91], v[42:43], v[90:91]
	s_waitcnt vmcnt(5)
	v_mov_b32_e32 v18, v71
	v_pk_fma_f32 v[92:93], v[86:87], v[20:21], v[90:91] neg_lo:[0,0,1] neg_hi:[0,0,1]
	v_pk_fma_f32 v[20:21], v[86:87], v[20:21], v[90:91]
	v_mov_b32_e32 v19, v69
	v_mov_b32_e32 v93, v21
	v_pk_add_f32 v[20:21], v[32:33], v[92:93] neg_lo:[0,1] neg_hi:[0,1]
	s_waitcnt lgkmcnt(1)
	v_mov_b32_e32 v32, v95
	v_mov_b32_e32 v33, v42
	;; [unrolled: 1-line block ×3, first 2 shown]
	v_pk_mul_f32 v[18:19], v[88:89], v[18:19]
	v_mov_b32_e32 v42, v67
	v_pk_fma_f32 v[68:69], v[32:33], v[70:71], v[18:19] neg_lo:[0,0,1] neg_hi:[0,0,1]
	v_pk_fma_f32 v[18:19], v[32:33], v[70:71], v[18:19]
	v_mov_b32_e32 v43, v65
	v_mov_b32_e32 v69, v19
	v_pk_add_f32 v[18:19], v[20:21], v[68:69] neg_lo:[0,1] neg_hi:[0,1]
	s_waitcnt lgkmcnt(0)
	v_mov_b32_e32 v20, v97
	v_mov_b32_e32 v21, v88
	;; [unrolled: 1-line block ×5, first 2 shown]
	v_pk_mul_f32 v[42:43], v[94:95], v[42:43]
	v_mov_b32_e32 v63, v60
	v_pk_fma_f32 v[64:65], v[20:21], v[66:67], v[42:43] neg_lo:[0,0,1] neg_hi:[0,0,1]
	v_pk_fma_f32 v[20:21], v[20:21], v[66:67], v[42:43]
	v_mov_b32_e32 v42, v47
	v_mov_b32_e32 v43, v94
	v_pk_mul_f32 v[32:33], v[96:97], v[32:33]
	v_mov_b32_e32 v65, v21
	v_pk_fma_f32 v[60:61], v[42:43], v[62:63], v[32:33] neg_lo:[0,0,1] neg_hi:[0,0,1]
	v_pk_fma_f32 v[32:33], v[42:43], v[62:63], v[32:33]
	v_pk_add_f32 v[18:19], v[18:19], v[64:65] neg_lo:[0,1] neg_hi:[0,1]
	v_mov_b32_e32 v61, v33
	scratch_load_dwordx2 v[32:33], off, off offset:144
	scratch_load_dwordx4 v[64:67], off, off
	s_waitcnt vmcnt(4)
	v_mov_b32_e32 v20, v82
	v_mov_b32_e32 v21, v84
	v_mov_b32_e32 v97, v104
	v_mov_b32_e32 v82, v85
	v_pk_mul_f32 v[20:21], v[96:97], v[20:21]
	scratch_load_dword v90, off, off offset:36
	v_pk_fma_f32 v[42:43], v[46:47], v[82:83], v[20:21] op_sel:[0,0,1] op_sel_hi:[1,1,0] neg_lo:[1,0,0] neg_hi:[1,0,0]
	v_pk_fma_f32 v[20:21], v[46:47], v[82:83], v[20:21] op_sel:[0,0,1] op_sel_hi:[1,1,0]
	v_mul_f32_e32 v46, v46, v84
	v_fmac_f32_e32 v46, v104, v85
	scratch_load_dwordx4 v[82:85], off, off offset:32
	v_mov_b32_e32 v20, s18
	v_mov_b32_e32 v43, v21
	ds_read_b64 v[20:21], v20
	v_pk_add_f32 v[18:19], v[18:19], v[60:61] neg_lo:[0,1] neg_hi:[0,1]
	s_add_i32 s18, s17, 0xffffff98
	v_pk_add_f32 v[18:19], v[18:19], v[42:43] neg_lo:[0,1] neg_hi:[0,1]
	v_mov_b32_e32 v42, s18
	ds_read2_b64 v[60:63], v42 offset1:1
	s_waitcnt lgkmcnt(1)
	v_mul_f32_e32 v42, v21, v29
	v_fma_f32 v42, v20, v28, -v42
	v_mul_f32_e32 v20, v20, v29
	v_sub_f32_e32 v19, v19, v46
	v_fmac_f32_e32 v20, v21, v28
	v_sub_f32_e32 v19, v19, v20
	s_waitcnt lgkmcnt(0)
	v_mul_f32_e32 v20, v63, v31
	v_sub_f32_e32 v18, v18, v42
	v_fma_f32 v20, v62, v30, -v20
	s_waitcnt vmcnt(4)
	v_mul_f32_e32 v29, v61, v53
	v_sub_f32_e32 v28, v18, v20
	v_fma_f32 v29, v60, v52, -v29
	s_add_i32 s18, s17, 0xffffff88
	v_mul_f32_e32 v21, v62, v31
	v_sub_f32_e32 v46, v28, v29
	v_mov_b32_e32 v28, s18
	v_fmac_f32_e32 v21, v63, v30
	ds_read2_b64 v[28:31], v28 offset1:1
	v_mul_f32_e32 v43, v60, v53
	v_sub_f32_e32 v42, v19, v21
	v_fmac_f32_e32 v43, v61, v52
	s_addk_i32 s17, 0xff78
	v_sub_f32_e32 v42, v42, v43
	v_mov_b32_e32 v43, s17
	ds_read2_b64 v[60:63], v43 offset1:1
	s_waitcnt lgkmcnt(1)
	v_mul_f32_e32 v43, v31, v55
	v_fma_f32 v43, v30, v54, -v43
	v_mul_f32_e32 v30, v30, v55
	v_fmac_f32_e32 v30, v31, v54
	v_sub_f32_e32 v30, v42, v30
	v_mul_f32_e32 v42, v29, v11
	v_mul_f32_e32 v11, v28, v11
	v_sub_f32_e32 v31, v46, v43
	v_fma_f32 v42, v28, v10, -v42
	v_fmac_f32_e32 v11, v29, v10
	s_waitcnt lgkmcnt(0)
	v_mul_f32_e32 v28, v63, v13
	v_mul_f32_e32 v13, v62, v13
	v_sub_f32_e32 v10, v31, v42
	v_sub_f32_e32 v11, v30, v11
	v_fma_f32 v28, v62, v12, -v28
	v_fmac_f32_e32 v13, v63, v12
	v_mul_f32_e32 v12, v61, v49
	s_lshl_b32 s16, s16, 3
	v_sub_f32_e32 v10, v10, v28
	v_sub_f32_e32 v11, v11, v13
	v_fma_f32 v12, v60, v48, -v12
	v_mul_f32_e32 v13, v60, v49
	s_add_i32 s16, s15, s16
	v_fmac_f32_e32 v13, v61, v48
	v_sub_f32_e32 v46, v10, v12
	v_mov_b32_e32 v10, s16
	v_sub_f32_e32 v47, v11, v13
	ds_read2_b64 v[10:13], v10 offset1:1
	s_sub_i32 s17, s11, 20
	s_lshl_b32 s16, s17, 9
	s_add_i32 s18, s16, s5
	s_add_i32 s19, s18, -4
	v_mov_b32_e32 v42, s19
	ds_read2_b32 v[42:43], v42 offset1:1
	s_waitcnt vmcnt(3) lgkmcnt(1)
	v_mul_f32_e32 v48, v13, v33
	v_fma_f32 v48, v12, v32, -v48
	v_mul_f32_e32 v12, v12, v33
	v_fmac_f32_e32 v12, v13, v32
	v_sub_f32_e32 v13, v47, v12
	v_sub_f32_e32 v32, v46, v48
	v_mul_f32_e32 v12, v11, v13
	v_mul_f32_e32 v13, v10, v13
	v_fma_f32 v12, v10, v32, -v12
	v_fmac_f32_e32 v13, v11, v32
	s_add_i32 s19, s18, -12
	scratch_load_dwordx4 v[56:59], off, off offset:48
	scratch_load_dwordx4 v[68:71], off, off offset:72
	;; [unrolled: 1-line block ×4, first 2 shown]
	scratch_load_dwordx2 v[144:145], off, off offset:144
	scratch_load_dwordx2 v[138:139], off, off offset:144
	v_mov_b32_e32 v10, s18
	scratch_store_dwordx2 off, v[12:13], off offset:152
	v_mov_b32_e32 v11, s19
	s_add_i32 s19, s18, 0xffffffa8
	scratch_load_dwordx4 v[52:55], off, off offset:144
	v_mov_b32_e32 v12, s19
	ds_read_b32 v10, v10 offset:4
	ds_read2_b32 v[32:33], v11 offset1:1
	ds_read_b32 v108, v12
	ds_read2_b32 v[92:93], v12 offset0:1 offset1:2
	s_waitcnt vmcnt(10) lgkmcnt(4)
	v_mul_f32_e32 v47, v43, v65
	s_waitcnt lgkmcnt(3)
	v_mul_f32_e32 v11, v10, v65
	v_fma_f32 v11, v43, v64, -v11
	v_fmac_f32_e32 v47, v10, v64
	v_mul_f32_e32 v10, v42, v67
	v_sub_f32_e32 v44, v44, v11
	s_waitcnt lgkmcnt(2)
	v_fma_f32 v46, v33, v66, -v10
	scratch_load_dwordx4 v[10:13], off, off offset:56
	v_mul_f32_e32 v49, v33, v67
	s_sub_i32 s19, s18, 20
	v_fmac_f32_e32 v49, v42, v66
	v_mov_b32_e32 v42, s19
	v_pk_add_f32 v[46:47], v[44:45], v[46:47] neg_lo:[0,1] neg_hi:[0,1]
	ds_read2_b32 v[64:65], v42 offset1:1
	scratch_load_dwordx4 v[42:45], off, off offset:64
	s_sub_i32 s20, s18, 28
	s_sub_i32 s21, s18, 36
	;; [unrolled: 1-line block ×3, first 2 shown]
	v_mov_b32_e32 v48, s20
	v_mov_b32_e32 v60, s21
	;; [unrolled: 1-line block ×3, first 2 shown]
	scratch_load_dwordx4 v[86:89], off, off
	ds_read2_b32 v[66:67], v48 offset1:1
	ds_read2_b32 v[94:95], v60 offset1:1
	;; [unrolled: 1-line block ×3, first 2 shown]
	scratch_load_dwordx4 v[60:63], off, off offset:80
	scratch_load_dwordx2 v[126:127], off, off offset:32
	v_mul_f32_e32 v33, v32, v79
	s_waitcnt lgkmcnt(3)
	v_fma_f32 v48, v65, v78, -v33
	v_mov_b32_e32 v33, v78
	v_mov_b32_e32 v78, v81
	;; [unrolled: 1-line block ×3, first 2 shown]
	s_waitcnt lgkmcnt(2)
	v_mov_b32_e32 v104, v67
	v_mov_b32_e32 v105, v32
	;; [unrolled: 1-line block ×3, first 2 shown]
	v_mul_f32_e32 v80, v67, v80
	v_pk_mul_f32 v[106:107], v[64:65], v[78:79]
	v_pk_fma_f32 v[78:79], v[64:65], v[78:79], v[80:81] op_sel_hi:[1,1,0] neg_lo:[1,0,0] neg_hi:[1,0,0]
	v_pk_fma_f32 v[32:33], v[104:105], v[32:33], v[106:107]
	v_pk_add_f32 v[98:99], v[46:47], v[48:49] neg_lo:[0,1] neg_hi:[0,1]
	v_mov_b32_e32 v91, v81
	v_mov_b32_e32 v79, v33
	s_waitcnt vmcnt(13)
	v_mov_b32_e32 v83, v84
	v_mov_b32_e32 v100, v82
	v_pk_add_f32 v[32:33], v[98:99], v[78:79] neg_lo:[0,1] neg_hi:[0,1]
	s_waitcnt lgkmcnt(1)
	v_mov_b32_e32 v78, v95
	v_mov_b32_e32 v79, v64
	v_pk_mul_f32 v[80:81], v[66:67], v[90:91]
	v_mov_b32_e32 v64, v73
	v_mov_b32_e32 v65, v90
	v_pk_fma_f32 v[90:91], v[78:79], v[82:83], v[80:81] neg_lo:[0,0,1] neg_hi:[0,0,1]
	v_pk_fma_f32 v[78:79], v[78:79], v[100:101], v[80:81]
	v_mov_b32_e32 v85, v82
	v_mov_b32_e32 v91, v79
	s_waitcnt lgkmcnt(0)
	v_mov_b32_e32 v78, v97
	v_mov_b32_e32 v79, v66
	v_pk_mul_f32 v[64:65], v[94:95], v[64:65]
	s_sub_i32 s23, s18, 52
	s_sub_i32 s24, s18, 60
	s_add_i32 s26, s18, 0xffffffb4
	v_pk_fma_f32 v[80:81], v[78:79], v[84:85], v[64:65] neg_lo:[0,0,1] neg_hi:[0,0,1]
	v_pk_fma_f32 v[64:65], v[78:79], v[84:85], v[64:65]
	s_add_i32 s25, s18, 0xffffffbc
	v_pk_add_f32 v[32:33], v[32:33], v[90:91] neg_lo:[0,1] neg_hi:[0,1]
	v_mov_b32_e32 v67, v73
	v_mov_b32_e32 v81, v65
	;; [unrolled: 1-line block ×5, first 2 shown]
	scratch_load_dwordx4 v[46:49], off, off offset:32
	v_mov_b32_e32 v66, v75
	v_pk_add_f32 v[32:33], v[32:33], v[80:81] neg_lo:[0,1] neg_hi:[0,1]
	ds_read2_b32 v[64:65], v64 offset1:1
	v_mov_b32_e32 v75, s25
	ds_read2_b32 v[90:91], v73 offset1:1
	ds_read2_b32 v[98:99], v75 offset1:1
	;; [unrolled: 1-line block ×3, first 2 shown]
	scratch_load_dwordx4 v[78:81], off, off offset:112
	v_mov_b32_e32 v83, v94
	s_waitcnt lgkmcnt(3)
	v_mov_b32_e32 v82, v65
	v_mov_b32_e32 v75, v72
	v_pk_mul_f32 v[66:67], v[96:97], v[66:67]
	s_waitcnt vmcnt(14)
	v_mov_b32_e32 v72, v59
	v_mov_b32_e32 v73, v57
	v_pk_fma_f32 v[84:85], v[82:83], v[74:75], v[66:67] neg_lo:[0,0,1] neg_hi:[0,0,1]
	v_pk_fma_f32 v[66:67], v[82:83], v[74:75], v[66:67]
	v_mov_b32_e32 v59, v56
	v_mov_b32_e32 v85, v67
	s_waitcnt lgkmcnt(2)
	v_mov_b32_e32 v66, v91
	v_mov_b32_e32 v67, v96
	v_pk_mul_f32 v[56:57], v[64:65], v[72:73]
	s_waitcnt vmcnt(6)
	v_mov_b32_e32 v74, v13
	v_mov_b32_e32 v75, v11
	v_pk_fma_f32 v[72:73], v[66:67], v[58:59], v[56:57] neg_lo:[0,0,1] neg_hi:[0,0,1]
	v_pk_fma_f32 v[56:57], v[66:67], v[58:59], v[56:57]
	v_pk_add_f32 v[32:33], v[32:33], v[84:85] neg_lo:[0,1] neg_hi:[0,1]
	v_mov_b32_e32 v73, v57
	s_waitcnt lgkmcnt(1)
	v_mov_b32_e32 v66, v99
	v_mov_b32_e32 v67, v64
	;; [unrolled: 1-line block ×3, first 2 shown]
	v_pk_mul_f32 v[64:65], v[90:91], v[74:75]
	v_pk_add_f32 v[32:33], v[32:33], v[72:73] neg_lo:[0,1] neg_hi:[0,1]
	v_pk_fma_f32 v[72:73], v[66:67], v[12:13], v[64:65] neg_lo:[0,0,1] neg_hi:[0,0,1]
	v_pk_fma_f32 v[12:13], v[66:67], v[12:13], v[64:65]
	s_waitcnt vmcnt(5)
	v_mov_b32_e32 v10, v45
	v_mov_b32_e32 v11, v43
	;; [unrolled: 1-line block ×3, first 2 shown]
	v_pk_add_f32 v[12:13], v[32:33], v[72:73] neg_lo:[0,1] neg_hi:[0,1]
	s_waitcnt lgkmcnt(0)
	v_mov_b32_e32 v32, v101
	v_mov_b32_e32 v33, v90
	v_mov_b32_e32 v45, v42
	v_mov_b32_e32 v42, v71
	v_mov_b32_e32 v43, v69
	v_pk_mul_f32 v[10:11], v[98:99], v[10:11]
	v_mov_b32_e32 v71, v68
	v_pk_fma_f32 v[64:65], v[32:33], v[44:45], v[10:11] neg_lo:[0,0,1] neg_hi:[0,0,1]
	v_pk_fma_f32 v[10:11], v[32:33], v[44:45], v[10:11]
	v_mov_b32_e32 v32, v93
	v_mov_b32_e32 v33, v98
	v_pk_mul_f32 v[42:43], v[100:101], v[42:43]
	v_mov_b32_e32 v65, v11
	v_pk_fma_f32 v[44:45], v[32:33], v[70:71], v[42:43] neg_lo:[0,0,1] neg_hi:[0,0,1]
	v_pk_fma_f32 v[32:33], v[32:33], v[70:71], v[42:43]
	v_pk_add_f32 v[10:11], v[12:13], v[64:65] neg_lo:[0,1] neg_hi:[0,1]
	v_mov_b32_e32 v45, v33
	scratch_load_dwordx2 v[32:33], off, off offset:152
	s_waitcnt vmcnt(4)
	v_mov_b32_e32 v12, v60
	v_mov_b32_e32 v13, v62
	;; [unrolled: 1-line block ×4, first 2 shown]
	v_pk_mul_f32 v[12:13], v[100:101], v[12:13]
	s_add_i32 s19, s18, 0xffffffa0
	v_pk_fma_f32 v[42:43], v[92:93], v[60:61], v[12:13] op_sel:[0,0,1] op_sel_hi:[1,1,0] neg_lo:[1,0,0] neg_hi:[1,0,0]
	v_pk_fma_f32 v[12:13], v[92:93], v[60:61], v[12:13] op_sel:[0,0,1] op_sel_hi:[1,1,0]
	v_pk_add_f32 v[10:11], v[10:11], v[44:45] neg_lo:[0,1] neg_hi:[0,1]
	v_mov_b32_e32 v12, s19
	v_mov_b32_e32 v43, v13
	ds_read_b64 v[12:13], v12
	v_mul_f32_e32 v44, v92, v62
	s_add_i32 s19, s18, 0xffffff90
	v_fmac_f32_e32 v44, v108, v63
	v_pk_add_f32 v[10:11], v[10:11], v[42:43] neg_lo:[0,1] neg_hi:[0,1]
	v_mov_b32_e32 v42, s19
	v_sub_f32_e32 v11, v11, v44
	ds_read2_b64 v[42:45], v42 offset1:1
	s_waitcnt lgkmcnt(1)
	v_mul_f32_e32 v60, v13, v15
	v_fma_f32 v60, v12, v14, -v60
	v_mul_f32_e32 v12, v12, v15
	v_fmac_f32_e32 v12, v13, v14
	v_sub_f32_e32 v11, v11, v12
	s_waitcnt lgkmcnt(0)
	v_mul_f32_e32 v12, v45, v17
	v_sub_f32_e32 v10, v10, v60
	v_fma_f32 v12, v44, v16, -v12
	v_mul_f32_e32 v13, v44, v17
	v_sub_f32_e32 v14, v10, v12
	v_fmac_f32_e32 v13, v45, v16
	s_add_i32 s19, s18, 0xffffff80
	s_waitcnt vmcnt(1)
	v_mul_f32_e32 v15, v43, v79
	v_fma_f32 v15, v42, v78, -v15
	v_sub_f32_e32 v68, v14, v15
	scratch_load_dwordx4 v[14:17], off, off offset:16
	v_mul_f32_e32 v61, v42, v79
	v_mov_b32_e32 v42, s19
	v_fmac_f32_e32 v61, v43, v78
	ds_read2_b64 v[42:45], v42 offset1:1
	v_sub_f32_e32 v60, v11, v13
	v_sub_f32_e32 v69, v60, v61
	s_addk_i32 s18, 0xff70
	v_mov_b32_e32 v60, s18
	s_waitcnt lgkmcnt(0)
	v_mul_f32_e32 v70, v45, v81
	v_fma_f32 v70, v44, v80, -v70
	v_mul_f32_e32 v44, v44, v81
	v_fmac_f32_e32 v44, v45, v80
	v_sub_f32_e32 v45, v68, v70
	v_mul_f32_e32 v68, v43, v25
	v_fma_f32 v68, v42, v24, -v68
	v_mul_f32_e32 v25, v42, v25
	v_sub_f32_e32 v44, v69, v44
	v_fmac_f32_e32 v25, v43, v24
	v_sub_f32_e32 v24, v45, v68
	scratch_load_dwordx4 v[68:71], off, off offset:48
	ds_read2_b64 v[60:63], v60 offset1:1
	s_lshl_b32 s17, s17, 3
	s_add_i32 s17, s16, s17
	s_sub_i32 s18, s11, 21
	v_sub_f32_e32 v25, v44, v25
	s_waitcnt lgkmcnt(0)
	v_mul_f32_e32 v42, v63, v27
	v_mul_f32_e32 v27, v62, v27
	v_fma_f32 v42, v62, v26, -v42
	v_fmac_f32_e32 v27, v63, v26
	v_mul_f32_e32 v26, v61, v53
	v_sub_f32_e32 v24, v24, v42
	v_fma_f32 v26, v60, v52, -v26
	v_sub_f32_e32 v44, v24, v26
	v_mov_b32_e32 v24, s17
	s_lshl_b32 s17, s18, 9
	s_add_i32 s19, s17, s5
	v_sub_f32_e32 v25, v25, v27
	v_mul_f32_e32 v27, v60, v53
	s_add_i32 s20, s19, -4
	v_fmac_f32_e32 v27, v61, v52
	v_mov_b32_e32 v42, s20
	scratch_load_dwordx4 v[82:85], off, off offset:56
	scratch_load_dwordx4 v[56:59], off, off offset:64
	scratch_load_dwordx4 v[64:67], off, off offset:80
	scratch_load_dwordx4 v[10:13], off, off offset:112
	scratch_load_dwordx4 v[72:75], off, off offset:144
	v_sub_f32_e32 v45, v25, v27
	ds_read2_b64 v[24:27], v24 offset1:1
	ds_read2_b32 v[42:43], v42 offset1:1
	s_add_i32 s20, s19, -12
	scratch_load_dwordx2 v[148:149], off, off offset:152
	scratch_load_dwordx2 v[142:143], off, off offset:152
	;; [unrolled: 1-line block ×3, first 2 shown]
	s_sub_i32 s21, s19, 36
	s_waitcnt vmcnt(10) lgkmcnt(1)
	v_mul_f32_e32 v52, v27, v33
	v_fma_f32 v52, v26, v32, -v52
	v_mul_f32_e32 v26, v26, v33
	v_fmac_f32_e32 v26, v27, v32
	v_sub_f32_e32 v27, v45, v26
	v_sub_f32_e32 v32, v44, v52
	v_mul_f32_e32 v26, v25, v27
	v_mul_f32_e32 v27, v24, v27
	v_fma_f32 v26, v24, v32, -v26
	v_fmac_f32_e32 v27, v25, v32
	v_mov_b32_e32 v25, s20
	s_sub_i32 s20, s19, 20
	scratch_store_dwordx2 off, v[26:27], off offset:160
	v_mov_b32_e32 v24, s19
	v_mov_b32_e32 v26, s20
	s_add_i32 s20, s19, 0xffffffa0
	scratch_load_dwordx4 v[60:63], off, off offset:152
	ds_read_b32 v24, v24 offset:4
	v_mov_b32_e32 v44, s20
	ds_read2_b32 v[32:33], v25 offset1:1
	ds_read2_b32 v[52:53], v26 offset1:1
	ds_read_b32 v104, v44
	scratch_load_dwordx4 v[78:81], off, off offset:72
	s_waitcnt lgkmcnt(4)
	v_mul_f32_e32 v26, v43, v87
	s_waitcnt lgkmcnt(3)
	v_mul_f32_e32 v25, v24, v87
	v_fma_f32 v25, v43, v86, -v25
	v_fmac_f32_e32 v26, v24, v86
	v_sub_f32_e32 v24, v38, v25
	v_mul_f32_e32 v25, v42, v89
	s_waitcnt lgkmcnt(2)
	v_fma_f32 v25, v33, v88, -v25
	v_mul_f32_e32 v43, v33, v89
	s_waitcnt vmcnt(12)
	v_mul_f32_e32 v33, v32, v15
	v_sub_f32_e32 v39, v39, v26
	v_fmac_f32_e32 v43, v42, v88
	v_sub_f32_e32 v38, v24, v25
	s_waitcnt lgkmcnt(1)
	v_fma_f32 v42, v53, v14, -v33
	v_mul_f32_e32 v15, v53, v15
	s_sub_i32 s20, s19, 28
	v_fmac_f32_e32 v15, v32, v14
	v_pk_add_f32 v[32:33], v[38:39], v[42:43] neg_lo:[0,1] neg_hi:[0,1]
	v_mov_b32_e32 v38, s20
	ds_read2_b32 v[38:39], v38 offset1:1
	s_sub_i32 s22, s19, 44
	v_mov_b32_e32 v42, s21
	scratch_load_dwordx4 v[24:27], off, off offset:16
	v_mov_b32_e32 v43, s22
	ds_read2_b32 v[86:87], v42 offset1:1
	ds_read2_b32 v[88:89], v43 offset1:1
	ds_read2_b32 v[90:91], v44 offset0:1 offset1:2
	v_mul_f32_e32 v14, v52, v17
	s_waitcnt lgkmcnt(3)
	v_fma_f32 v14, v39, v16, -v14
	v_pk_add_f32 v[32:33], v[32:33], v[14:15] neg_lo:[0,1] neg_hi:[0,1]
	v_mov_b32_e32 v53, v16
	s_waitcnt lgkmcnt(2)
	v_mul_f32_e32 v14, v87, v46
	v_mov_b32_e32 v16, v47
	v_pk_mul_f32 v[98:99], v[38:39], v[16:17]
	v_pk_fma_f32 v[100:101], v[38:39], v[16:17], v[14:15] op_sel_hi:[1,1,0] neg_lo:[1,0,0] neg_hi:[1,0,0]
	scratch_load_dwordx4 v[14:17], off, off offset:88
	v_mov_b32_e32 v96, v87
	v_mov_b32_e32 v97, v52
	;; [unrolled: 1-line block ×5, first 2 shown]
	v_pk_fma_f32 v[52:53], v[96:97], v[52:53], v[98:99]
	s_sub_i32 s23, s19, 52
	v_mov_b32_e32 v92, v48
	scratch_load_dwordx4 v[42:45], off, off offset:48
	s_waitcnt vmcnt(14)
	v_mov_b32_e32 v93, v68
	v_mov_b32_e32 v94, v48
	;; [unrolled: 1-line block ×3, first 2 shown]
	s_waitcnt lgkmcnt(1)
	v_mov_b32_e32 v52, v89
	v_mov_b32_e32 v53, v38
	v_pk_mul_f32 v[46:47], v[86:87], v[46:47]
	s_waitcnt vmcnt(0)
	v_mov_b32_e32 v43, s23
	v_pk_fma_f32 v[92:93], v[52:53], v[92:93], v[46:47] neg_lo:[0,0,1] neg_hi:[0,0,1]
	v_pk_fma_f32 v[46:47], v[52:53], v[94:95], v[46:47]
	s_sub_i32 s24, s19, 60
	v_mov_b32_e32 v93, v47
	ds_read2_b32 v[46:47], v43 offset1:1
	s_add_i32 s25, s19, 0xffffffbc
	s_add_i32 s26, s19, 0xffffffb4
	v_pk_add_f32 v[32:33], v[32:33], v[100:101] neg_lo:[0,1] neg_hi:[0,1]
	v_mov_b32_e32 v43, s24
	v_mov_b32_e32 v38, v69
	;; [unrolled: 1-line block ×3, first 2 shown]
	v_pk_add_f32 v[32:33], v[32:33], v[92:93] neg_lo:[0,1] neg_hi:[0,1]
	v_mov_b32_e32 v45, s25
	v_mov_b32_e32 v49, s26
	ds_read2_b32 v[52:53], v43 offset1:1
	ds_read2_b32 v[92:93], v45 offset1:1
	ds_read2_b32 v[94:95], v49 offset1:1
	s_waitcnt lgkmcnt(3)
	v_mov_b32_e32 v96, v47
	v_mov_b32_e32 v97, v86
	;; [unrolled: 1-line block ×4, first 2 shown]
	v_pk_mul_f32 v[38:39], v[88:89], v[38:39]
	v_mov_b32_e32 v48, v71
	v_mov_b32_e32 v49, v69
	v_pk_fma_f32 v[98:99], v[96:97], v[86:87], v[38:39] neg_lo:[0,0,1] neg_hi:[0,0,1]
	v_pk_fma_f32 v[38:39], v[96:97], v[86:87], v[38:39]
	v_mov_b32_e32 v71, v68
	v_mov_b32_e32 v99, v39
	s_waitcnt lgkmcnt(2)
	v_mov_b32_e32 v38, v53
	v_mov_b32_e32 v39, v88
	v_pk_mul_f32 v[48:49], v[46:47], v[48:49]
	v_mov_b32_e32 v86, v85
	v_pk_fma_f32 v[88:89], v[38:39], v[70:71], v[48:49] neg_lo:[0,0,1] neg_hi:[0,0,1]
	v_pk_fma_f32 v[38:39], v[38:39], v[70:71], v[48:49]
	scratch_load_dwordx4 v[68:71], off, off offset:120
	v_mov_b32_e32 v87, v83
	v_mov_b32_e32 v89, v39
	s_waitcnt lgkmcnt(1)
	v_mov_b32_e32 v38, v93
	v_mov_b32_e32 v39, v46
	;; [unrolled: 1-line block ×3, first 2 shown]
	v_pk_mul_f32 v[46:47], v[52:53], v[86:87]
	v_mov_b32_e32 v82, v59
	v_mov_b32_e32 v83, v57
	v_pk_fma_f32 v[48:49], v[38:39], v[84:85], v[46:47] neg_lo:[0,0,1] neg_hi:[0,0,1]
	v_pk_fma_f32 v[38:39], v[38:39], v[84:85], v[46:47]
	v_mov_b32_e32 v59, v56
	v_mov_b32_e32 v49, v39
	s_waitcnt lgkmcnt(0)
	v_mov_b32_e32 v38, v95
	v_mov_b32_e32 v39, v52
	v_pk_mul_f32 v[56:57], v[92:93], v[82:83]
	s_add_i32 s27, s19, 0xffffffac
	v_pk_fma_f32 v[82:83], v[38:39], v[58:59], v[56:57] neg_lo:[0,0,1] neg_hi:[0,0,1]
	v_pk_fma_f32 v[38:39], v[38:39], v[58:59], v[56:57]
	scratch_load_dwordx2 v[86:87], off, off offset:160
	v_mov_b32_e32 v38, s27
	v_mov_b32_e32 v83, v39
	ds_read2_b32 v[38:39], v38 offset1:1
	v_mov_b32_e32 v52, v81
	v_mov_b32_e32 v53, v79
	v_mov_b32_e32 v57, v92
	v_mov_b32_e32 v81, v78
	s_waitcnt lgkmcnt(0)
	v_mov_b32_e32 v56, v39
	v_mov_b32_e32 v78, v67
	;; [unrolled: 1-line block ×3, first 2 shown]
	v_pk_mul_f32 v[52:53], v[94:95], v[52:53]
	v_mov_b32_e32 v67, v64
	v_pk_fma_f32 v[58:59], v[56:57], v[80:81], v[52:53] neg_lo:[0,0,1] neg_hi:[0,0,1]
	v_pk_fma_f32 v[52:53], v[56:57], v[80:81], v[52:53]
	v_mov_b32_e32 v80, v91
	v_mov_b32_e32 v81, v94
	v_pk_mul_f32 v[64:65], v[38:39], v[78:79]
	v_pk_add_f32 v[32:33], v[32:33], v[98:99] neg_lo:[0,1] neg_hi:[0,1]
	v_pk_fma_f32 v[78:79], v[80:81], v[66:67], v[64:65] neg_lo:[0,0,1] neg_hi:[0,0,1]
	v_pk_fma_f32 v[64:65], v[80:81], v[66:67], v[64:65]
	v_pk_add_f32 v[32:33], v[32:33], v[88:89] neg_lo:[0,1] neg_hi:[0,1]
	v_mov_b32_e32 v79, v65
	scratch_load_dwordx4 v[64:67], off, off
	s_add_i32 s20, s19, 0xffffff98
	v_pk_add_f32 v[32:33], v[32:33], v[48:49] neg_lo:[0,1] neg_hi:[0,1]
	v_mov_b32_e32 v43, s20
	v_pk_add_f32 v[32:33], v[32:33], v[82:83] neg_lo:[0,1] neg_hi:[0,1]
	ds_read_b64 v[82:83], v43
	v_mov_b32_e32 v59, v53
	v_mov_b32_e32 v52, v14
	;; [unrolled: 1-line block ×5, first 2 shown]
	v_pk_mul_f32 v[38:39], v[38:39], v[52:53]
	v_pk_add_f32 v[32:33], v[32:33], v[58:59] neg_lo:[0,1] neg_hi:[0,1]
	v_pk_fma_f32 v[52:53], v[90:91], v[14:15], v[38:39] op_sel:[0,0,1] op_sel_hi:[1,1,0] neg_lo:[1,0,0] neg_hi:[1,0,0]
	v_pk_fma_f32 v[14:15], v[90:91], v[14:15], v[38:39] op_sel:[0,0,1] op_sel_hi:[1,1,0]
	v_pk_add_f32 v[32:33], v[32:33], v[78:79] neg_lo:[0,1] neg_hi:[0,1]
	v_mov_b32_e32 v53, v15
	v_mul_f32_e32 v16, v90, v16
	v_fmac_f32_e32 v16, v104, v17
	v_pk_add_f32 v[14:15], v[32:33], v[52:53] neg_lo:[0,1] neg_hi:[0,1]
	s_waitcnt lgkmcnt(0)
	v_mul_f32_e32 v17, v82, v19
	v_sub_f32_e32 v15, v15, v16
	v_mul_f32_e32 v16, v83, v19
	v_fma_f32 v16, v82, v18, -v16
	s_add_i32 s20, s19, 0xffffff88
	v_fmac_f32_e32 v17, v83, v18
	v_sub_f32_e32 v18, v14, v16
	v_mov_b32_e32 v14, s20
	v_sub_f32_e32 v19, v15, v17
	ds_read2_b64 v[14:17], v14 offset1:1
	s_add_i32 s20, s19, 0xffffff78
	v_mov_b32_e32 v32, s20
	ds_read2_b64 v[78:81], v32 offset1:1
	s_addk_i32 s19, 0xff68
	s_waitcnt lgkmcnt(1)
	v_mul_f32_e32 v32, v17, v21
	v_fma_f32 v32, v16, v20, -v32
	v_mul_f32_e32 v16, v16, v21
	v_fmac_f32_e32 v16, v17, v20
	v_sub_f32_e32 v17, v18, v32
	s_waitcnt vmcnt(2)
	v_mul_f32_e32 v32, v15, v69
	v_fma_f32 v32, v14, v68, -v32
	v_mul_f32_e32 v14, v14, v69
	v_sub_f32_e32 v16, v19, v16
	v_fmac_f32_e32 v14, v15, v68
	v_sub_f32_e32 v15, v17, v32
	v_sub_f32_e32 v14, v16, v14
	s_waitcnt lgkmcnt(0)
	v_mul_f32_e32 v16, v81, v71
	v_mul_f32_e32 v17, v80, v71
	v_fma_f32 v16, v80, v70, -v16
	v_fmac_f32_e32 v17, v81, v70
	v_sub_f32_e32 v15, v15, v16
	v_sub_f32_e32 v14, v14, v17
	v_mul_f32_e32 v16, v79, v29
	v_mul_f32_e32 v17, v78, v29
	v_fma_f32 v16, v78, v28, -v16
	v_fmac_f32_e32 v17, v79, v28
	scratch_load_dwordx4 v[78:81], off, off offset:32
	v_sub_f32_e32 v29, v14, v17
	v_mov_b32_e32 v14, s19
	v_sub_f32_e32 v28, v15, v16
	ds_read2_b64 v[14:17], v14 offset1:1
	s_lshl_b32 s18, s18, 3
	s_add_i32 s18, s17, s18
	v_mov_b32_e32 v32, s18
	ds_read2_b64 v[82:85], v32 offset1:1
	s_waitcnt lgkmcnt(1)
	v_mul_f32_e32 v32, v17, v31
	v_fma_f32 v32, v16, v30, -v32
	v_mul_f32_e32 v16, v16, v31
	v_fmac_f32_e32 v16, v17, v30
	v_sub_f32_e32 v17, v28, v32
	v_mul_f32_e32 v28, v15, v61
	v_fma_f32 v28, v14, v60, -v28
	v_mul_f32_e32 v14, v14, v61
	s_waitcnt vmcnt(2) lgkmcnt(0)
	v_mul_f32_e32 v30, v85, v87
	v_mul_f32_e32 v31, v84, v87
	scratch_load_dword v52, off, off offset:52
	v_sub_f32_e32 v16, v29, v16
	v_fmac_f32_e32 v14, v15, v60
	v_fma_f32 v30, v84, v86, -v30
	v_fmac_f32_e32 v31, v85, v86
	scratch_load_dwordx4 v[84:87], off, off offset:56
	v_sub_f32_e32 v29, v16, v14
	s_sub_i32 s19, s11, 22
	v_sub_f32_e32 v28, v17, v28
	v_sub_f32_e32 v29, v29, v31
	s_lshl_b32 s18, s19, 9
	v_sub_f32_e32 v30, v28, v30
	v_mul_f32_e32 v28, v83, v29
	v_mul_f32_e32 v29, v82, v29
	s_add_i32 s20, s18, s5
	v_fma_f32 v28, v82, v30, -v28
	v_fmac_f32_e32 v29, v83, v30
	s_add_i32 s21, s20, -4
	scratch_store_dwordx2 off, v[28:29], off offset:168
	v_mov_b32_e32 v28, s21
	s_add_i32 s21, s20, -12
	v_mov_b32_e32 v29, s20
	v_mov_b32_e32 v30, s21
	s_sub_i32 s21, s20, 20
	scratch_load_dwordx4 v[46:49], off, off offset:72
	scratch_load_dwordx4 v[56:59], off, off offset:88
	;; [unrolled: 1-line block ×6, first 2 shown]
	v_mov_b32_e32 v31, s21
	ds_read_b32 v43, v29 offset:4
	ds_read2_b32 v[28:29], v28 offset1:1
	ds_read2_b32 v[38:39], v30 offset1:1
	;; [unrolled: 1-line block ×3, first 2 shown]
	s_sub_i32 s21, s20, 28
	s_waitcnt vmcnt(10) lgkmcnt(3)
	v_mul_f32_e32 v45, v43, v65
	s_waitcnt lgkmcnt(2)
	v_fma_f32 v45, v29, v64, -v45
	v_mul_f32_e32 v29, v29, v65
	v_fmac_f32_e32 v29, v43, v64
	v_sub_f32_e32 v29, v41, v29
	v_mul_f32_e32 v41, v28, v67
	s_waitcnt lgkmcnt(1)
	v_fma_f32 v41, v39, v66, -v41
	v_mul_f32_e32 v39, v39, v67
	v_fmac_f32_e32 v39, v28, v66
	scratch_load_dwordx4 v[64:67], off, off offset:64
	v_sub_f32_e32 v40, v40, v45
	v_sub_f32_e32 v39, v29, v39
	v_mul_f32_e32 v29, v38, v25
	v_sub_f32_e32 v28, v40, v41
	s_waitcnt lgkmcnt(0)
	v_fma_f32 v29, v61, v24, -v29
	v_mul_f32_e32 v25, v61, v25
	s_add_i32 s22, s20, 0xffffff98
	v_fmac_f32_e32 v25, v38, v24
	v_sub_f32_e32 v38, v28, v29
	v_mov_b32_e32 v24, s21
	s_sub_i32 s21, s20, 36
	v_mov_b32_e32 v28, s22
	scratch_load_dwordx4 v[30:33], off, off
	ds_read2_b32 v[40:41], v24 offset1:1
	v_mov_b32_e32 v29, s21
	ds_read_b32 v132, v28
	ds_read2_b32 v[82:83], v29 offset1:1
	ds_read2_b32 v[108:109], v28 offset0:1 offset1:2
	scratch_load_dwordx4 v[94:97], off, off offset:80
	v_mul_f32_e32 v24, v60, v27
	s_waitcnt lgkmcnt(3)
	v_fma_f32 v24, v41, v26, -v24
	v_mul_f32_e32 v61, v41, v27
	s_waitcnt vmcnt(12)
	v_mul_f32_e32 v41, v40, v79
	s_sub_i32 s21, s20, 44
	v_fmac_f32_e32 v61, v60, v26
	s_sub_i32 s22, s20, 52
	v_pk_add_f32 v[24:25], v[38:39], v[24:25] neg_lo:[0,1] neg_hi:[0,1]
	s_waitcnt lgkmcnt(1)
	v_fma_f32 v60, v83, v78, -v41
	v_mov_b32_e32 v38, s21
	s_sub_i32 s23, s20, 60
	s_add_i32 s24, s20, 0xffffffbc
	v_pk_add_f32 v[24:25], v[24:25], v[60:61] neg_lo:[0,1] neg_hi:[0,1]
	ds_read2_b32 v[60:61], v38 offset1:1
	v_mov_b32_e32 v38, s22
	scratch_load_dwordx4 v[26:29], off, off offset:32
	v_mov_b32_e32 v39, s23
	v_mov_b32_e32 v41, s24
	ds_read2_b32 v[98:99], v38 offset1:1
	ds_read2_b32 v[100:101], v39 offset1:1
	;; [unrolled: 1-line block ×3, first 2 shown]
	scratch_load_dwordx4 v[104:107], off, off offset:96
	v_mov_b32_e32 v41, v78
	v_mov_b32_e32 v78, v81
	;; [unrolled: 1-line block ×3, first 2 shown]
	s_waitcnt lgkmcnt(3)
	v_mov_b32_e32 v38, v61
	v_mov_b32_e32 v39, v40
	;; [unrolled: 1-line block ×3, first 2 shown]
	v_mul_f32_e32 v80, v61, v80
	v_pk_mul_f32 v[128:129], v[82:83], v[78:79]
	v_pk_fma_f32 v[78:79], v[82:83], v[78:79], v[80:81] op_sel_hi:[1,1,0] neg_lo:[1,0,0] neg_hi:[1,0,0]
	v_pk_fma_f32 v[38:39], v[38:39], v[40:41], v[128:129]
	v_mov_b32_e32 v53, v81
	v_mov_b32_e32 v79, v39
	;; [unrolled: 1-line block ×4, first 2 shown]
	v_pk_add_f32 v[24:25], v[24:25], v[78:79] neg_lo:[0,1] neg_hi:[0,1]
	s_waitcnt lgkmcnt(2)
	v_mov_b32_e32 v78, v99
	v_mov_b32_e32 v79, v82
	s_waitcnt vmcnt(13)
	v_mov_b32_e32 v81, v52
	v_pk_mul_f32 v[52:53], v[60:61], v[52:53]
	s_waitcnt vmcnt(12)
	v_mov_b32_e32 v80, v85
	v_pk_fma_f32 v[82:83], v[78:79], v[42:43], v[52:53] neg_lo:[0,0,1] neg_hi:[0,0,1]
	v_pk_fma_f32 v[52:53], v[78:79], v[88:89], v[52:53]
	v_mov_b32_e32 v45, v42
	v_mov_b32_e32 v83, v53
	s_waitcnt lgkmcnt(1)
	v_mov_b32_e32 v52, v101
	v_mov_b32_e32 v53, v60
	v_pk_mul_f32 v[60:61], v[98:99], v[80:81]
	v_mov_b32_e32 v42, v87
	v_mov_b32_e32 v43, v85
	v_pk_fma_f32 v[78:79], v[52:53], v[44:45], v[60:61] neg_lo:[0,0,1] neg_hi:[0,0,1]
	v_pk_fma_f32 v[44:45], v[52:53], v[44:45], v[60:61]
	v_mov_b32_e32 v87, v84
	v_mov_b32_e32 v79, v45
	s_waitcnt lgkmcnt(0)
	v_mov_b32_e32 v44, v131
	v_mov_b32_e32 v45, v98
	v_pk_mul_f32 v[42:43], v[100:101], v[42:43]
	s_add_i32 s25, s20, 0xffffffb4
	v_pk_fma_f32 v[60:61], v[44:45], v[86:87], v[42:43] neg_lo:[0,0,1] neg_hi:[0,0,1]
	v_pk_fma_f32 v[42:43], v[44:45], v[86:87], v[42:43]
	scratch_load_dwordx4 v[86:89], off, off offset:128
	v_mov_b32_e32 v42, s25
	v_mov_b32_e32 v61, v43
	ds_read2_b32 v[42:43], v42 offset1:1
	v_pk_add_f32 v[24:25], v[24:25], v[82:83] neg_lo:[0,1] neg_hi:[0,1]
	s_add_i32 s26, s20, 0xffffffac
	s_add_i32 s27, s20, 0xffffffa4
	v_pk_add_f32 v[24:25], v[24:25], v[78:79] neg_lo:[0,1] neg_hi:[0,1]
	v_mov_b32_e32 v44, s26
	v_pk_add_f32 v[24:25], v[24:25], v[60:61] neg_lo:[0,1] neg_hi:[0,1]
	v_mov_b32_e32 v60, s27
	s_add_i32 s21, s20, 0xffffff90
	scratch_load_dwordx4 v[38:41], off, off offset:56
	scratch_load_dwordx2 v[128:129], off, off offset:48
	scratch_load_dwordx4 v[82:85], off, off offset:64
	s_waitcnt vmcnt(8)
	v_mov_b32_e32 v52, v67
	v_mov_b32_e32 v53, v65
	;; [unrolled: 1-line block ×3, first 2 shown]
	ds_read2_b32 v[44:45], v44 offset1:1
	ds_read2_b32 v[60:61], v60 offset1:1
	ds_read_b64 v[78:79], v65
	s_waitcnt lgkmcnt(3)
	v_mov_b32_e32 v80, v43
	v_mov_b32_e32 v81, v100
	;; [unrolled: 1-line block ×3, first 2 shown]
	v_pk_mul_f32 v[52:53], v[130:131], v[52:53]
	v_mov_b32_e32 v64, v49
	v_mov_b32_e32 v65, v47
	v_pk_fma_f32 v[98:99], v[80:81], v[66:67], v[52:53] neg_lo:[0,0,1] neg_hi:[0,0,1]
	v_pk_fma_f32 v[52:53], v[80:81], v[66:67], v[52:53]
	v_mov_b32_e32 v49, v46
	v_mov_b32_e32 v99, v53
	s_waitcnt lgkmcnt(2)
	v_mov_b32_e32 v52, v45
	v_mov_b32_e32 v53, v130
	v_pk_mul_f32 v[64:65], v[42:43], v[64:65]
	s_waitcnt vmcnt(6)
	v_mov_b32_e32 v46, v97
	v_mov_b32_e32 v47, v95
	v_pk_fma_f32 v[66:67], v[52:53], v[48:49], v[64:65] neg_lo:[0,0,1] neg_hi:[0,0,1]
	v_pk_fma_f32 v[48:49], v[52:53], v[48:49], v[64:65]
	v_mov_b32_e32 v97, v94
	v_mov_b32_e32 v67, v49
	s_waitcnt lgkmcnt(1)
	v_mov_b32_e32 v48, v61
	v_mov_b32_e32 v49, v42
	v_pk_mul_f32 v[46:47], v[44:45], v[46:47]
	v_pk_add_f32 v[24:25], v[24:25], v[98:99] neg_lo:[0,1] neg_hi:[0,1]
	v_pk_fma_f32 v[52:53], v[48:49], v[96:97], v[46:47] neg_lo:[0,0,1] neg_hi:[0,0,1]
	v_pk_fma_f32 v[46:47], v[48:49], v[96:97], v[46:47]
	v_pk_add_f32 v[24:25], v[24:25], v[66:67] neg_lo:[0,1] neg_hi:[0,1]
	v_mov_b32_e32 v53, v47
	v_pk_add_f32 v[24:25], v[24:25], v[52:53] neg_lo:[0,1] neg_hi:[0,1]
	scratch_load_dwordx2 v[52:53], off, off offset:168
	v_mov_b32_e32 v42, v59
	v_mov_b32_e32 v43, v57
	;; [unrolled: 1-line block ×5, first 2 shown]
	v_pk_mul_f32 v[42:43], v[60:61], v[42:43]
	s_waitcnt vmcnt(5)
	v_mov_b32_e32 v46, v104
	v_mov_b32_e32 v47, v106
	v_pk_fma_f32 v[44:45], v[48:49], v[58:59], v[42:43] neg_lo:[0,0,1] neg_hi:[0,0,1]
	v_pk_fma_f32 v[42:43], v[48:49], v[58:59], v[42:43]
	v_mov_b32_e32 v61, v132
	v_mov_b32_e32 v104, v107
	;; [unrolled: 1-line block ×3, first 2 shown]
	v_pk_mul_f32 v[42:43], v[60:61], v[46:47]
	v_pk_add_f32 v[24:25], v[24:25], v[44:45] neg_lo:[0,1] neg_hi:[0,1]
	v_pk_fma_f32 v[44:45], v[108:109], v[104:105], v[42:43] op_sel:[0,0,1] op_sel_hi:[1,1,0] neg_lo:[1,0,0] neg_hi:[1,0,0]
	v_pk_fma_f32 v[42:43], v[108:109], v[104:105], v[42:43] op_sel:[0,0,1] op_sel_hi:[1,1,0]
	s_add_i32 s21, s20, 0xffffff80
	v_mov_b32_e32 v45, v43
	v_mul_f32_e32 v42, v108, v106
	v_fmac_f32_e32 v42, v132, v107
	v_pk_add_f32 v[24:25], v[24:25], v[44:45] neg_lo:[0,1] neg_hi:[0,1]
	s_waitcnt lgkmcnt(0)
	v_mul_f32_e32 v46, v78, v11
	v_sub_f32_e32 v25, v25, v42
	v_mul_f32_e32 v42, v79, v11
	v_fma_f32 v42, v78, v10, -v42
	v_sub_f32_e32 v24, v24, v42
	v_mov_b32_e32 v42, s21
	ds_read2_b64 v[42:45], v42 offset1:1
	v_fmac_f32_e32 v46, v79, v10
	s_add_i32 s21, s20, 0xffffff70
	v_sub_f32_e32 v25, v25, v46
	v_mov_b32_e32 v46, s21
	s_waitcnt lgkmcnt(0)
	v_mul_f32_e32 v56, v45, v13
	ds_read2_b64 v[46:49], v46 offset1:1
	v_fma_f32 v56, v44, v12, -v56
	v_mul_f32_e32 v44, v44, v13
	v_fmac_f32_e32 v44, v45, v12
	v_sub_f32_e32 v25, v25, v44
	s_waitcnt vmcnt(4)
	v_mul_f32_e32 v44, v43, v87
	v_fma_f32 v44, v42, v86, -v44
	v_mul_f32_e32 v42, v42, v87
	v_fmac_f32_e32 v42, v43, v86
	v_sub_f32_e32 v24, v24, v56
	v_sub_f32_e32 v25, v25, v42
	s_waitcnt lgkmcnt(0)
	v_mul_f32_e32 v42, v49, v89
	v_sub_f32_e32 v24, v24, v44
	v_fma_f32 v42, v48, v88, -v42
	v_mul_f32_e32 v43, v48, v89
	v_fmac_f32_e32 v43, v49, v88
	v_sub_f32_e32 v24, v24, v42
	v_mul_f32_e32 v42, v47, v73
	v_sub_f32_e32 v25, v25, v43
	v_fma_f32 v42, v46, v72, -v42
	v_mul_f32_e32 v43, v46, v73
	s_addk_i32 s20, 0xff60
	v_fmac_f32_e32 v43, v47, v72
	v_sub_f32_e32 v24, v24, v42
	v_mov_b32_e32 v42, s20
	v_sub_f32_e32 v25, v25, v43
	ds_read2_b64 v[42:45], v42 offset1:1
	s_lshl_b32 s19, s19, 3
	s_add_i32 s19, s18, s19
	v_mov_b32_e32 v46, s19
	ds_read2_b64 v[46:49], v46 offset1:1
	s_waitcnt lgkmcnt(1)
	v_mul_f32_e32 v56, v45, v75
	v_fma_f32 v56, v44, v74, -v56
	v_mul_f32_e32 v44, v44, v75
	v_fmac_f32_e32 v44, v45, v74
	v_sub_f32_e32 v25, v25, v44
	v_mul_f32_e32 v44, v43, v91
	v_fma_f32 v44, v42, v90, -v44
	v_mul_f32_e32 v42, v42, v91
	v_fmac_f32_e32 v42, v43, v90
	v_sub_f32_e32 v24, v24, v56
	v_sub_f32_e32 v25, v25, v42
	;; [unrolled: 1-line block ×3, first 2 shown]
	scratch_load_dwordx4 v[98:101], off, off offset:80
	scratch_load_dwordx4 v[94:97], off, off offset:96
	s_waitcnt vmcnt(2) lgkmcnt(0)
	v_mul_f32_e32 v43, v48, v53
	v_mul_f32_e32 v42, v49, v53
	v_fmac_f32_e32 v43, v49, v52
	v_fma_f32 v42, v48, v52, -v42
	v_sub_f32_e32 v25, v25, v43
	v_sub_f32_e32 v24, v24, v42
	v_mul_f32_e32 v42, v47, v25
	v_mul_f32_e32 v153, v46, v25
	v_fma_f32 v152, v46, v24, -v42
	v_fmac_f32_e32 v153, v47, v24
	scratch_load_dwordx4 v[78:81], off, off offset:128
	scratch_load_dwordx4 v[64:67], off, off offset:160
	scratch_load_dwordx2 v[156:157], off, off offset:168
	scratch_load_dwordx2 v[150:151], off, off offset:168
	;; [unrolled: 1-line block ×3, first 2 shown]
	v_add_u32_e32 v24, s13, v1
	scratch_store_dwordx2 off, v[152:153], off offset:176
	scratch_load_dwordx4 v[58:61], off, off offset:168
	scratch_load_dwordx2 v[90:91], off, off
	scratch_load_dwordx4 v[46:49], off, off offset:8
	scratch_load_dwordx4 v[42:45], off, off offset:16
	scratch_load_dwordx2 v[134:135], off, off offset:16
	scratch_load_dwordx2 v[140:141], off, off offset:32
	;; [unrolled: 1-line block ×4, first 2 shown]
	ds_write_b64 v24, v[22:23]
	v_add_u32_e32 v22, s14, v1
	ds_write_b64 v22, v[50:51]
	v_add_u32_e32 v22, s15, v1
	ds_write_b64 v22, v[54:55]
	scratch_load_dwordx4 v[54:57], off, off offset:40
	v_add_u32_e32 v50, s18, v1
	s_sub_i32 s14, s11, 23
	s_lshl_b32 s13, s14, 9
	s_add_i32 s15, s13, s5
	v_add_u32_e32 v22, s16, v1
	s_add_i32 s16, s15, -4
	ds_write_b64 v22, v[62:63]
	v_add_u32_e32 v22, s17, v1
	ds_write_b64 v22, v[92:93]
	v_mov_b32_e32 v62, s15
	scratch_load_dwordx4 v[22:25], off, off offset:168
	s_sub_i32 s17, s15, 52
	s_sub_i32 s18, s15, 60
	s_add_i32 s19, s15, 0xffffffbc
	s_add_i32 s20, s15, 0xffffffb4
	;; [unrolled: 1-line block ×5, first 2 shown]
	s_lshl_b32 s14, s14, 3
	s_add_i32 s14, s13, s14
	s_waitcnt vmcnt(9)
	ds_write_b64 v50, v[60:61]
	scratch_load_dwordx4 v[50:53], off, off offset:48
	v_mov_b32_e32 v60, s16
	s_add_i32 s16, s15, -12
	v_mov_b32_e32 v63, s16
	s_sub_i32 s16, s15, 20
	v_mov_b32_e32 v92, s16
	ds_read2_b32 v[60:61], v60 offset1:1
	ds_read_b32 v104, v62 offset:4
	ds_read2_b32 v[62:63], v63 offset1:1
	ds_read2_b32 v[92:93], v92 offset1:1
	s_sub_i32 s16, s15, 28
	scratch_load_dwordx2 v[164:165], off, off
	scratch_load_dwordx2 v[160:161], off, off
	;; [unrolled: 1-line block ×3, first 2 shown]
	s_waitcnt vmcnt(12) lgkmcnt(2)
	v_mul_f32_e32 v105, v104, v91
	v_fma_f32 v105, v61, v90, -v105
	v_mul_f32_e32 v61, v61, v91
	v_mul_f32_e32 v91, v60, v33
	v_fmac_f32_e32 v61, v104, v90
	v_sub_f32_e32 v90, v102, v105
	s_waitcnt lgkmcnt(1)
	v_fma_f32 v91, v63, v32, -v91
	v_mul_f32_e32 v33, v63, v33
	s_waitcnt vmcnt(11)
	v_mul_f32_e32 v63, v62, v49
	v_fmac_f32_e32 v33, v60, v32
	v_sub_f32_e32 v60, v90, v91
	s_waitcnt lgkmcnt(0)
	v_fma_f32 v63, v93, v48, -v63
	v_mul_f32_e32 v49, v93, v49
	v_fmac_f32_e32 v49, v62, v48
	v_sub_f32_e32 v48, v60, v63
	v_mov_b32_e32 v60, s16
	ds_read2_b32 v[90:91], v60 offset1:1
	v_sub_f32_e32 v61, v103, v61
	v_sub_f32_e32 v61, v61, v33
	s_sub_i32 s16, s15, 36
	v_sub_f32_e32 v49, v61, v49
	v_mov_b32_e32 v61, s16
	s_add_i32 s16, s15, 0xffffff90
	s_waitcnt vmcnt(10)
	v_mul_f32_e32 v60, v92, v45
	v_mov_b32_e32 v62, s16
	scratch_load_dwordx2 v[32:33], off, off offset:16
	scratch_load_dwordx2 v[166:167], off, off offset:24
	ds_read2_b32 v[102:103], v61 offset1:1
	ds_read_b32 v177, v62
	ds_read2_b32 v[178:179], v62 offset0:1 offset1:2
	s_waitcnt lgkmcnt(3)
	v_fma_f32 v93, v91, v44, -v60
	scratch_load_dwordx4 v[60:63], off, off offset:72
	v_mul_f32_e32 v45, v91, v45
	v_fmac_f32_e32 v45, v92, v44
	v_mul_f32_e32 v44, v90, v5
	scratch_load_dwordx4 v[168:171], off, off offset:88
	v_sub_f32_e32 v48, v48, v93
	s_waitcnt lgkmcnt(2)
	v_fma_f32 v44, v103, v4, -v44
	v_mul_f32_e32 v5, v103, v5
	s_sub_i32 s16, s15, 44
	v_fmac_f32_e32 v5, v90, v4
	v_pk_add_f32 v[44:45], v[48:49], v[44:45] neg_lo:[0,1] neg_hi:[0,1]
	v_mov_b32_e32 v48, s16
	v_mov_b32_e32 v90, s17
	;; [unrolled: 1-line block ×3, first 2 shown]
	ds_read2_b32 v[48:49], v48 offset1:1
	v_mov_b32_e32 v103, s19
	ds_read2_b32 v[90:91], v90 offset1:1
	ds_read2_b32 v[92:93], v92 offset1:1
	;; [unrolled: 1-line block ×3, first 2 shown]
	scratch_load_dwordx4 v[172:175], off, off offset:104
	v_mul_f32_e32 v4, v102, v29
	s_waitcnt lgkmcnt(3)
	v_fma_f32 v4, v49, v28, -v4
	v_mov_b32_e32 v103, v28
	s_waitcnt vmcnt(10)
	v_mov_b32_e32 v28, v57
	s_waitcnt lgkmcnt(2)
	v_mov_b32_e32 v108, v91
	v_mov_b32_e32 v109, v102
	;; [unrolled: 1-line block ×3, first 2 shown]
	v_mul_f32_e32 v180, v91, v56
	v_pk_mul_f32 v[182:183], v[48:49], v[28:29]
	v_pk_fma_f32 v[28:29], v[48:49], v[28:29], v[180:181] op_sel_hi:[1,1,0] neg_lo:[1,0,0] neg_hi:[1,0,0]
	v_pk_fma_f32 v[102:103], v[108:109], v[102:103], v[182:183]
	v_pk_add_f32 v[4:5], v[44:45], v[4:5] neg_lo:[0,1] neg_hi:[0,1]
	v_mov_b32_e32 v105, v56
	v_mov_b32_e32 v29, v103
	;; [unrolled: 1-line block ×3, first 2 shown]
	v_pk_add_f32 v[4:5], v[4:5], v[28:29] neg_lo:[0,1] neg_hi:[0,1]
	s_waitcnt lgkmcnt(1)
	v_mov_b32_e32 v28, v93
	v_mov_b32_e32 v29, v48
	;; [unrolled: 1-line block ×3, first 2 shown]
	scratch_load_dwordx2 v[158:159], off, off offset:56
	scratch_load_dwordx2 v[162:163], off, off offset:48
	s_add_i32 s16, s15, 0xffffff88
	s_waitcnt vmcnt(10)
	v_mov_b32_e32 v56, v53
	v_mov_b32_e32 v44, v52
	;; [unrolled: 1-line block ×3, first 2 shown]
	v_pk_mul_f32 v[56:57], v[90:91], v[56:57]
	v_mov_b32_e32 v49, v53
	v_pk_fma_f32 v[44:45], v[28:29], v[44:45], v[56:57] neg_lo:[0,0,1] neg_hi:[0,0,1]
	v_pk_fma_f32 v[28:29], v[28:29], v[104:105], v[56:57]
	v_pk_mul_f32 v[48:49], v[92:93], v[48:49]
	v_mov_b32_e32 v45, v29
	v_pk_add_f32 v[4:5], v[4:5], v[44:45] neg_lo:[0,1] neg_hi:[0,1]
	s_waitcnt lgkmcnt(0)
	v_mov_b32_e32 v28, v107
	v_mov_b32_e32 v29, v90
	;; [unrolled: 1-line block ×4, first 2 shown]
	v_pk_fma_f32 v[56:57], v[28:29], v[44:45], v[48:49] neg_lo:[0,0,1] neg_hi:[0,0,1]
	v_pk_fma_f32 v[28:29], v[28:29], v[44:45], v[48:49]
	v_mov_b32_e32 v52, v85
	v_mov_b32_e32 v28, s20
	v_mov_b32_e32 v57, v29
	ds_read2_b32 v[28:29], v28 offset1:1
	v_mov_b32_e32 v53, v83
	v_mov_b32_e32 v91, v92
	;; [unrolled: 1-line block ×3, first 2 shown]
	v_pk_mul_f32 v[52:53], v[106:107], v[52:53]
	s_waitcnt lgkmcnt(0)
	v_mov_b32_e32 v90, v29
	v_pk_fma_f32 v[92:93], v[90:91], v[84:85], v[52:53] neg_lo:[0,0,1] neg_hi:[0,0,1]
	v_pk_fma_f32 v[52:53], v[90:91], v[84:85], v[52:53]
	v_pk_add_f32 v[4:5], v[4:5], v[56:57] neg_lo:[0,1] neg_hi:[0,1]
	v_mov_b32_e32 v44, s21
	v_mov_b32_e32 v48, s22
	;; [unrolled: 1-line block ×4, first 2 shown]
	ds_read2_b32 v[44:45], v44 offset1:1
	ds_read2_b32 v[48:49], v48 offset1:1
	;; [unrolled: 1-line block ×3, first 2 shown]
	v_pk_add_f32 v[4:5], v[4:5], v[92:93] neg_lo:[0,1] neg_hi:[0,1]
	scratch_load_dwordx4 v[90:93], off, off offset:136
	s_waitcnt lgkmcnt(2)
	v_mov_b32_e32 v52, v45
	v_mov_b32_e32 v53, v106
	scratch_load_dwordx4 v[102:105], off, off offset:72
	s_waitcnt vmcnt(6)
	v_mov_b32_e32 v82, v63
	v_mov_b32_e32 v83, v61
	v_mov_b32_e32 v63, v60
	v_pk_mul_f32 v[82:83], v[28:29], v[82:83]
	v_mov_b32_e32 v60, v101
	v_mov_b32_e32 v61, v99
	v_pk_fma_f32 v[84:85], v[52:53], v[62:63], v[82:83] neg_lo:[0,0,1] neg_hi:[0,0,1]
	v_pk_fma_f32 v[52:53], v[52:53], v[62:63], v[82:83]
	v_mov_b32_e32 v101, v98
	v_mov_b32_e32 v85, v53
	s_waitcnt lgkmcnt(1)
	v_mov_b32_e32 v52, v49
	v_mov_b32_e32 v53, v28
	v_pk_mul_f32 v[60:61], v[44:45], v[60:61]
	s_waitcnt vmcnt(5)
	v_mov_b32_e32 v28, v171
	v_mov_b32_e32 v29, v169
	v_pk_fma_f32 v[62:63], v[52:53], v[100:101], v[60:61] neg_lo:[0,0,1] neg_hi:[0,0,1]
	v_pk_fma_f32 v[52:53], v[52:53], v[100:101], v[60:61]
	v_mov_b32_e32 v171, v168
	v_mov_b32_e32 v63, v53
	s_waitcnt lgkmcnt(0)
	v_mov_b32_e32 v52, v57
	v_mov_b32_e32 v53, v44
	v_pk_mul_f32 v[28:29], v[48:49], v[28:29]
	v_mov_b32_e32 v44, v97
	v_mov_b32_e32 v45, v95
	v_pk_fma_f32 v[60:61], v[52:53], v[170:171], v[28:29] neg_lo:[0,0,1] neg_hi:[0,0,1]
	v_pk_fma_f32 v[28:29], v[52:53], v[170:171], v[28:29]
	v_mov_b32_e32 v52, v179
	v_mov_b32_e32 v61, v29
	s_waitcnt vmcnt(4)
	v_mov_b32_e32 v28, v172
	v_mov_b32_e32 v29, v174
	;; [unrolled: 1-line block ×4, first 2 shown]
	v_pk_mul_f32 v[44:45], v[56:57], v[44:45]
	v_mov_b32_e32 v57, v177
	v_pk_add_f32 v[4:5], v[4:5], v[84:85] neg_lo:[0,1] neg_hi:[0,1]
	v_mov_b32_e32 v172, v175
	v_pk_fma_f32 v[48:49], v[52:53], v[96:97], v[44:45] neg_lo:[0,0,1] neg_hi:[0,0,1]
	v_pk_fma_f32 v[44:45], v[52:53], v[96:97], v[44:45]
	v_pk_mul_f32 v[28:29], v[56:57], v[28:29]
	v_pk_add_f32 v[4:5], v[4:5], v[62:63] neg_lo:[0,1] neg_hi:[0,1]
	v_mov_b32_e32 v49, v45
	v_pk_fma_f32 v[44:45], v[178:179], v[172:173], v[28:29] op_sel:[0,0,1] op_sel_hi:[1,1,0] neg_lo:[1,0,0] neg_hi:[1,0,0]
	v_pk_fma_f32 v[28:29], v[178:179], v[172:173], v[28:29] op_sel:[0,0,1] op_sel_hi:[1,1,0]
	v_pk_add_f32 v[4:5], v[4:5], v[60:61] neg_lo:[0,1] neg_hi:[0,1]
	v_mov_b32_e32 v28, s16
	v_pk_add_f32 v[4:5], v[4:5], v[48:49] neg_lo:[0,1] neg_hi:[0,1]
	v_mov_b32_e32 v45, v29
	ds_read_b64 v[28:29], v28
	s_add_i32 s16, s15, 0xffffff78
	v_pk_add_f32 v[4:5], v[4:5], v[44:45] neg_lo:[0,1] neg_hi:[0,1]
	v_mov_b32_e32 v44, s16
	ds_read2_b64 v[82:85], v44 offset1:1
	v_mul_f32_e32 v48, v178, v174
	v_fmac_f32_e32 v48, v177, v175
	s_waitcnt lgkmcnt(1)
	v_mul_f32_e32 v44, v29, v13
	v_mul_f32_e32 v13, v28, v13
	v_sub_f32_e32 v5, v5, v48
	v_fmac_f32_e32 v13, v29, v12
	v_fma_f32 v44, v28, v12, -v44
	v_sub_f32_e32 v5, v5, v13
	s_waitcnt lgkmcnt(0)
	v_mul_f32_e32 v12, v85, v21
	v_mul_f32_e32 v13, v84, v21
	v_sub_f32_e32 v4, v4, v44
	v_fma_f32 v12, v84, v20, -v12
	v_fmac_f32_e32 v13, v85, v20
	v_sub_f32_e32 v4, v4, v12
	v_sub_f32_e32 v5, v5, v13
	scratch_load_dwordx2 v[12:13], off, off offset:8
	scratch_load_dwordx2 v[52:53], off, off offset:32
	v_mul_f32_e32 v20, v83, v89
	v_fma_f32 v20, v82, v88, -v20
	s_add_i32 s16, s15, 0xffffff68
	v_sub_f32_e32 v4, v4, v20
	v_mov_b32_e32 v20, s16
	ds_read2_b64 v[94:97], v20 offset1:1
	s_addk_i32 s15, 0xff58
	v_mov_b32_e32 v20, s15
	ds_read2_b64 v[98:101], v20 offset1:1
	v_mul_f32_e32 v21, v82, v89
	s_waitcnt vmcnt(3) lgkmcnt(1)
	v_mul_f32_e32 v20, v97, v93
	v_fma_f32 v20, v96, v92, -v20
	v_sub_f32_e32 v4, v4, v20
	v_mul_f32_e32 v20, v95, v75
	v_fma_f32 v20, v94, v74, -v20
	v_sub_f32_e32 v4, v4, v20
	s_waitcnt lgkmcnt(0)
	v_mul_f32_e32 v20, v101, v71
	v_fmac_f32_e32 v21, v83, v88
	v_fma_f32 v20, v100, v70, -v20
	v_sub_f32_e32 v5, v5, v21
	v_mul_f32_e32 v21, v96, v93
	v_sub_f32_e32 v4, v4, v20
	v_mul_f32_e32 v20, v99, v67
	v_fmac_f32_e32 v21, v97, v92
	v_fma_f32 v20, v98, v66, -v20
	v_sub_f32_e32 v5, v5, v21
	v_mul_f32_e32 v21, v94, v75
	v_sub_f32_e32 v4, v4, v20
	v_mov_b32_e32 v20, s14
	v_fmac_f32_e32 v21, v95, v74
	ds_read2_b64 v[92:95], v20 offset1:1
	v_sub_f32_e32 v5, v5, v21
	v_mul_f32_e32 v21, v100, v71
	v_fmac_f32_e32 v21, v101, v70
	v_sub_f32_e32 v5, v5, v21
	v_mul_f32_e32 v21, v98, v67
	v_fmac_f32_e32 v21, v99, v66
	s_waitcnt lgkmcnt(0)
	v_mul_f32_e32 v29, v94, v153
	v_sub_f32_e32 v5, v5, v21
	v_mul_f32_e32 v28, v95, v153
	v_fmac_f32_e32 v29, v95, v152
	v_fma_f32 v28, v94, v152, -v28
	v_sub_f32_e32 v5, v5, v29
	scratch_load_dwordx2 v[66:67], off, off offset:40
	s_add_i32 s14, s12, 0xffffd000
	v_sub_f32_e32 v28, v4, v28
	v_mul_f32_e32 v4, v93, v5
	v_mul_f32_e32 v5, v92, v5
	s_add_i32 s15, s14, s5
	v_fma_f32 v4, v92, v28, -v4
	v_fmac_f32_e32 v5, v93, v28
	v_add_u32_e32 v28, s13, v1
	s_add_i32 s16, s15, -4
	ds_write_b64 v28, v[4:5]
	v_mov_b32_e32 v28, s15
	v_mov_b32_e32 v20, s16
	ds_read_b32 v44, v28 offset:4
	ds_read2_b32 v[20:21], v20 offset1:1
	s_add_i32 s13, s15, -12
	v_mov_b32_e32 v28, s13
	s_sub_i32 s13, s15, 20
	v_mov_b32_e32 v45, s13
	s_sub_i32 s13, s15, 28
	scratch_load_dwordx4 v[106:109], off, off offset:88
	scratch_load_dwordx4 v[60:63], off, off offset:104
	;; [unrolled: 1-line block ×3, first 2 shown]
	v_mov_b32_e32 v48, s13
	ds_read2_b32 v[28:29], v28 offset1:1
	ds_read2_b32 v[70:71], v45 offset1:1
	;; [unrolled: 1-line block ×3, first 2 shown]
	s_waitcnt lgkmcnt(4)
	v_mul_f32_e32 v45, v44, v165
	s_waitcnt lgkmcnt(3)
	v_fma_f32 v45, v21, v164, -v45
	v_mul_f32_e32 v21, v21, v165
	v_fmac_f32_e32 v21, v44, v164
	v_sub_f32_e32 v21, v77, v21
	v_sub_f32_e32 v76, v76, v45
	s_sub_i32 s13, s15, 36
	scratch_load_dwordx2 v[56:57], off, off offset:8
	scratch_load_dwordx2 v[48:49], off, off offset:8
	;; [unrolled: 1-line block ×3, first 2 shown]
	s_sub_i32 s16, s15, 60
	s_add_i32 s17, s15, 0xffffffbc
	s_waitcnt vmcnt(8)
	v_mul_f32_e32 v77, v20, v13
	s_waitcnt lgkmcnt(2)
	v_mul_f32_e32 v13, v29, v13
	v_fma_f32 v77, v29, v12, -v77
	v_fmac_f32_e32 v13, v20, v12
	v_mul_f32_e32 v20, v28, v33
	v_sub_f32_e32 v12, v76, v77
	s_waitcnt lgkmcnt(1)
	v_fma_f32 v20, v71, v32, -v20
	v_sub_f32_e32 v13, v21, v13
	v_mul_f32_e32 v21, v71, v33
	v_sub_f32_e32 v12, v12, v20
	v_mul_f32_e32 v20, v70, v167
	v_fmac_f32_e32 v21, v28, v32
	s_waitcnt lgkmcnt(0)
	v_fma_f32 v20, v75, v166, -v20
	v_sub_f32_e32 v13, v13, v21
	v_mul_f32_e32 v21, v75, v167
	v_sub_f32_e32 v12, v12, v20
	v_mov_b32_e32 v20, s13
	v_fmac_f32_e32 v21, v70, v166
	ds_read2_b32 v[70:71], v20 offset1:1
	s_sub_i32 s13, s15, 44
	v_mov_b32_e32 v76, s13
	s_add_i32 s13, s15, 0xffffff88
	s_waitcnt vmcnt(7)
	v_mul_f32_e32 v75, v74, v53
	v_mov_b32_e32 v77, s13
	s_waitcnt lgkmcnt(0)
	v_mul_f32_e32 v95, v71, v53
	v_sub_f32_e32 v13, v13, v21
	scratch_load_dwordx2 v[20:21], off, off offset:32
	scratch_load_dwordx2 v[28:29], off, off offset:32
	;; [unrolled: 1-line block ×3, first 2 shown]
	ds_read2_b32 v[92:93], v76 offset1:1
	ds_read_b32 v177, v77
	ds_read2_b32 v[100:101], v77 offset0:1 offset1:2
	v_fma_f32 v88, v71, v52, -v75
	v_fmac_f32_e32 v95, v74, v52
	scratch_load_dwordx4 v[74:77], off, off offset:80
	v_sub_f32_e32 v12, v12, v88
	scratch_load_dwordx2 v[52:53], off, off offset:40
	scratch_load_dwordx2 v[88:89], off, off offset:40
	;; [unrolled: 1-line block ×3, first 2 shown]
	scratch_load_dwordx4 v[164:167], off, off offset:96
	s_sub_i32 s13, s15, 52
	s_add_i32 s18, s15, 0xffffffb4
	v_mov_b32_e32 v96, s17
	v_mov_b32_e32 v98, s18
	s_waitcnt lgkmcnt(2)
	v_mov_b32_e32 v175, v92
	v_mov_b32_e32 v173, v158
	;; [unrolled: 1-line block ×3, first 2 shown]
	s_add_i32 s19, s15, 0xffffffac
	s_add_i32 s20, s15, 0xffffffa4
	;; [unrolled: 1-line block ×4, first 2 shown]
	s_waitcnt vmcnt(14)
	v_mul_f32_e32 v71, v70, v67
	v_mul_f32_e32 v67, v93, v67
	v_fma_f32 v94, v93, v66, -v71
	v_fmac_f32_e32 v67, v70, v66
	v_mov_b32_e32 v70, s13
	v_mov_b32_e32 v93, s16
	v_pk_add_f32 v[12:13], v[12:13], v[94:95] neg_lo:[0,1] neg_hi:[0,1]
	ds_read2_b32 v[70:71], v70 offset1:1
	ds_read2_b32 v[94:95], v93 offset1:1
	;; [unrolled: 1-line block ×4, first 2 shown]
	scratch_load_dwordx4 v[168:171], off, off offset:112
	v_mul_f32_e32 v66, v92, v163
	v_mov_b32_e32 v93, v162
	s_waitcnt lgkmcnt(3)
	v_fma_f32 v66, v71, v162, -v66
	v_mov_b32_e32 v162, v159
	s_waitcnt lgkmcnt(2)
	v_mov_b32_e32 v174, v95
	v_mov_b32_e32 v92, v158
	v_mul_f32_e32 v178, v95, v158
	v_pk_mul_f32 v[180:181], v[70:71], v[162:163]
	v_mov_b32_e32 v158, v41
	v_pk_fma_f32 v[162:163], v[70:71], v[162:163], v[178:179] op_sel_hi:[1,1,0] neg_lo:[1,0,0] neg_hi:[1,0,0]
	v_pk_fma_f32 v[92:93], v[174:175], v[92:93], v[180:181]
	v_pk_add_f32 v[12:13], v[12:13], v[66:67] neg_lo:[0,1] neg_hi:[0,1]
	v_mov_b32_e32 v66, v40
	v_mov_b32_e32 v67, v102
	;; [unrolled: 1-line block ×3, first 2 shown]
	s_waitcnt lgkmcnt(1)
	v_mov_b32_e32 v92, v97
	v_mov_b32_e32 v93, v70
	v_pk_mul_f32 v[158:159], v[94:95], v[158:159]
	v_pk_add_f32 v[12:13], v[12:13], v[162:163] neg_lo:[0,1] neg_hi:[0,1]
	v_pk_fma_f32 v[66:67], v[92:93], v[66:67], v[158:159] neg_lo:[0,0,1] neg_hi:[0,0,1]
	v_pk_fma_f32 v[92:93], v[92:93], v[172:173], v[158:159]
	v_mov_b32_e32 v70, v103
	v_mov_b32_e32 v71, v41
	;; [unrolled: 1-line block ×3, first 2 shown]
	v_pk_add_f32 v[12:13], v[12:13], v[66:67] neg_lo:[0,1] neg_hi:[0,1]
	s_waitcnt lgkmcnt(0)
	v_mov_b32_e32 v66, v99
	v_mov_b32_e32 v67, v94
	v_mov_b32_e32 v92, v102
	v_mov_b32_e32 v93, v40
	v_pk_mul_f32 v[70:71], v[96:97], v[70:71]
	v_mov_b32_e32 v40, v105
	v_pk_fma_f32 v[94:95], v[66:67], v[92:93], v[70:71] neg_lo:[0,0,1] neg_hi:[0,0,1]
	v_pk_fma_f32 v[66:67], v[66:67], v[92:93], v[70:71]
	scratch_load_dwordx2 v[70:71], off, off offset:136
	v_mov_b32_e32 v66, s19
	v_mov_b32_e32 v95, v67
	ds_read2_b32 v[66:67], v66 offset1:1
	v_mov_b32_e32 v92, s20
	v_mov_b32_e32 v41, v103
	v_pk_add_f32 v[12:13], v[12:13], v[94:95] neg_lo:[0,1] neg_hi:[0,1]
	v_mov_b32_e32 v93, s21
	v_mov_b32_e32 v94, s22
	ds_read2_b32 v[158:159], v92 offset1:1
	ds_read2_b32 v[162:163], v93 offset1:1
	;; [unrolled: 1-line block ×3, first 2 shown]
	s_waitcnt lgkmcnt(3)
	v_mov_b32_e32 v174, v67
	v_mov_b32_e32 v175, v96
	;; [unrolled: 1-line block ×3, first 2 shown]
	v_pk_mul_f32 v[40:41], v[98:99], v[40:41]
	scratch_load_dwordx4 v[92:95], off, off offset:80
	v_pk_fma_f32 v[102:103], v[174:175], v[104:105], v[40:41] neg_lo:[0,0,1] neg_hi:[0,0,1]
	v_pk_fma_f32 v[40:41], v[174:175], v[104:105], v[40:41]
	s_add_i32 s13, s15, 0xffffff80
	v_mov_b32_e32 v103, v41
	s_waitcnt lgkmcnt(2)
	v_mov_b32_e32 v40, v159
	v_mov_b32_e32 v41, v98
	v_pk_add_f32 v[12:13], v[12:13], v[102:103] neg_lo:[0,1] neg_hi:[0,1]
	s_waitcnt vmcnt(7)
	v_mov_b32_e32 v96, v77
	v_mov_b32_e32 v97, v75
	;; [unrolled: 1-line block ×3, first 2 shown]
	v_pk_mul_f32 v[96:97], v[66:67], v[96:97]
	v_mov_b32_e32 v74, v109
	v_pk_fma_f32 v[98:99], v[40:41], v[76:77], v[96:97] neg_lo:[0,0,1] neg_hi:[0,0,1]
	v_pk_fma_f32 v[40:41], v[40:41], v[76:77], v[96:97]
	v_mov_b32_e32 v75, v107
	v_mov_b32_e32 v99, v41
	v_pk_add_f32 v[12:13], v[12:13], v[98:99] neg_lo:[0,1] neg_hi:[0,1]
	v_mov_b32_e32 v41, v66
	scratch_load_dwordx2 v[66:67], off, off offset:160
	scratch_load_dwordx4 v[96:99], off, off offset:96
	scratch_load_dwordx2 v[104:105], off, off offset:176
	s_waitcnt lgkmcnt(1)
	v_mov_b32_e32 v40, v163
	v_mov_b32_e32 v109, v106
	v_pk_mul_f32 v[74:75], v[158:159], v[74:75]
	s_waitcnt vmcnt(6)
	v_mov_b32_e32 v76, v167
	v_mov_b32_e32 v77, v165
	v_pk_fma_f32 v[102:103], v[40:41], v[108:109], v[74:75] neg_lo:[0,0,1] neg_hi:[0,0,1]
	v_pk_fma_f32 v[40:41], v[40:41], v[108:109], v[74:75]
	v_mov_b32_e32 v167, v164
	v_mov_b32_e32 v103, v41
	s_waitcnt lgkmcnt(0)
	v_mov_b32_e32 v40, v173
	v_mov_b32_e32 v41, v158
	v_pk_mul_f32 v[74:75], v[162:163], v[76:77]
	v_pk_add_f32 v[12:13], v[12:13], v[102:103] neg_lo:[0,1] neg_hi:[0,1]
	v_mov_b32_e32 v102, v63
	v_mov_b32_e32 v103, v61
	v_pk_fma_f32 v[76:77], v[40:41], v[166:167], v[74:75] neg_lo:[0,0,1] neg_hi:[0,0,1]
	v_pk_fma_f32 v[40:41], v[40:41], v[166:167], v[74:75]
	v_mov_b32_e32 v106, v101
	v_mov_b32_e32 v77, v41
	s_waitcnt vmcnt(5)
	v_mov_b32_e32 v40, v168
	v_mov_b32_e32 v41, v170
	v_mov_b32_e32 v107, v162
	v_mov_b32_e32 v63, v60
	v_pk_mul_f32 v[60:61], v[172:173], v[102:103]
	v_mov_b32_e32 v173, v177
	v_mov_b32_e32 v168, v171
	v_pk_fma_f32 v[102:103], v[106:107], v[62:63], v[60:61] neg_lo:[0,0,1] neg_hi:[0,0,1]
	v_pk_fma_f32 v[60:61], v[106:107], v[62:63], v[60:61]
	v_pk_mul_f32 v[40:41], v[172:173], v[40:41]
	v_mov_b32_e32 v103, v61
	v_pk_fma_f32 v[60:61], v[100:101], v[168:169], v[40:41] op_sel:[0,0,1] op_sel_hi:[1,1,0] neg_lo:[1,0,0] neg_hi:[1,0,0]
	v_pk_fma_f32 v[40:41], v[100:101], v[168:169], v[40:41] op_sel:[0,0,1] op_sel_hi:[1,1,0]
	v_pk_add_f32 v[12:13], v[12:13], v[76:77] neg_lo:[0,1] neg_hi:[0,1]
	v_mov_b32_e32 v40, s13
	v_mov_b32_e32 v61, v41
	ds_read_b64 v[40:41], v40
	v_pk_add_f32 v[12:13], v[12:13], v[102:103] neg_lo:[0,1] neg_hi:[0,1]
	v_mul_f32_e32 v62, v100, v170
	s_add_i32 s13, s15, 0xffffff70
	v_fmac_f32_e32 v62, v177, v171
	v_pk_add_f32 v[12:13], v[12:13], v[60:61] neg_lo:[0,1] neg_hi:[0,1]
	v_mov_b32_e32 v60, s13
	v_sub_f32_e32 v13, v13, v62
	ds_read2_b64 v[60:63], v60 offset1:1
	s_waitcnt lgkmcnt(1)
	v_mul_f32_e32 v100, v41, v87
	v_fma_f32 v100, v40, v86, -v100
	v_mul_f32_e32 v40, v40, v87
	v_fmac_f32_e32 v40, v41, v86
	v_sub_f32_e32 v13, v13, v40
	s_waitcnt vmcnt(4) lgkmcnt(0)
	v_mul_f32_e32 v40, v63, v71
	v_sub_f32_e32 v12, v12, v100
	v_fma_f32 v40, v62, v70, -v40
	v_mul_f32_e32 v41, v62, v71
	v_sub_f32_e32 v12, v12, v40
	v_mul_f32_e32 v40, v61, v145
	v_fmac_f32_e32 v41, v63, v70
	v_fma_f32 v40, v60, v144, -v40
	s_add_i32 s13, s15, 0xffffff60
	v_sub_f32_e32 v13, v13, v41
	v_mul_f32_e32 v41, v60, v145
	v_sub_f32_e32 v12, v12, v40
	v_mov_b32_e32 v40, s13
	v_fmac_f32_e32 v41, v61, v144
	ds_read2_b64 v[60:63], v40 offset1:1
	s_add_i32 s13, s15, 0xffffff50
	v_mov_b32_e32 v40, s13
	ds_read2_b64 v[100:103], v40 offset1:1
	scratch_load_dwordx2 v[86:87], off, off offset:16
	s_waitcnt lgkmcnt(1)
	v_mul_f32_e32 v40, v63, v149
	v_fma_f32 v40, v62, v148, -v40
	v_sub_f32_e32 v12, v12, v40
	scratch_load_dwordx4 v[74:77], off, off offset:112
	v_sub_f32_e32 v13, v13, v41
	v_mul_f32_e32 v41, v62, v149
	scratch_load_dwordx2 v[168:169], off, off offset:160
	scratch_load_dwordx2 v[158:159], off, off offset:160
	;; [unrolled: 1-line block ×4, first 2 shown]
	v_fmac_f32_e32 v41, v63, v148
	s_waitcnt vmcnt(8)
	v_mul_f32_e32 v40, v61, v67
	v_fma_f32 v40, v60, v66, -v40
	v_sub_f32_e32 v12, v12, v40
	s_waitcnt lgkmcnt(0)
	v_mul_f32_e32 v40, v103, v157
	v_fma_f32 v40, v102, v156, -v40
	v_sub_f32_e32 v13, v13, v41
	v_mul_f32_e32 v41, v60, v67
	v_sub_f32_e32 v12, v12, v40
	s_waitcnt vmcnt(6)
	v_mul_f32_e32 v40, v101, v105
	v_fmac_f32_e32 v41, v61, v66
	v_fma_f32 v40, v100, v104, -v40
	s_add_i32 s13, s4, 0xffffcf40
	v_sub_f32_e32 v13, v13, v41
	v_mul_f32_e32 v41, v102, v157
	v_sub_f32_e32 v12, v12, v40
	v_mov_b32_e32 v40, s13
	v_fmac_f32_e32 v41, v103, v156
	scratch_load_dwordx2 v[166:167], off, off offset:176
	scratch_load_dwordx2 v[156:157], off, off offset:176
	;; [unrolled: 1-line block ×3, first 2 shown]
	ds_read2_b64 v[60:63], v40 offset1:1
	v_sub_f32_e32 v13, v13, v41
	v_mul_f32_e32 v41, v100, v105
	v_fmac_f32_e32 v41, v101, v104
	v_sub_f32_e32 v13, v13, v41
	s_waitcnt lgkmcnt(0)
	v_mul_f32_e32 v70, v63, v5
	v_fma_f32 v70, v62, v4, -v70
	v_mul_f32_e32 v62, v62, v5
	v_fmac_f32_e32 v62, v63, v4
	v_sub_f32_e32 v13, v13, v62
	s_add_i32 s13, s12, 0xffffce00
	v_sub_f32_e32 v63, v12, v70
	v_mul_f32_e32 v12, v61, v13
	v_mul_f32_e32 v13, v60, v13
	s_add_i32 s15, s13, s5
	scratch_load_dwordx2 v[100:101], off, off offset:48
	v_fma_f32 v12, v60, v63, -v12
	v_fmac_f32_e32 v13, v61, v63
	v_add_u32_e32 v60, s14, v1
	s_add_i32 s16, s15, -4
	ds_write_b64 v60, v[12:13]
	v_mov_b32_e32 v60, s15
	v_mov_b32_e32 v40, s16
	ds_read_b32 v60, v60 offset:4
	ds_read2_b32 v[40:41], v40 offset1:1
	s_add_i32 s14, s15, -12
	v_mov_b32_e32 v61, s14
	s_sub_i32 s14, s15, 20
	v_mov_b32_e32 v62, s14
	s_sub_i32 s14, s15, 28
	scratch_load_dwordx2 v[102:103], off, off offset:56
	v_mov_b32_e32 v63, s14
	ds_read2_b32 v[104:105], v61 offset1:1
	ds_read2_b32 v[144:145], v62 offset1:1
	;; [unrolled: 1-line block ×3, first 2 shown]
	s_waitcnt lgkmcnt(4)
	v_mul_f32_e32 v61, v60, v161
	s_waitcnt lgkmcnt(3)
	v_fma_f32 v61, v41, v160, -v61
	v_mul_f32_e32 v41, v41, v161
	v_fmac_f32_e32 v41, v60, v160
	v_mul_f32_e32 v71, v40, v57
	s_waitcnt lgkmcnt(2)
	v_mul_f32_e32 v57, v105, v57
	v_sub_f32_e32 v70, v122, v61
	v_sub_f32_e32 v41, v123, v41
	v_fma_f32 v71, v105, v56, -v71
	v_fmac_f32_e32 v57, v40, v56
	scratch_load_dwordx4 v[60:63], off, off offset:64
	v_sub_f32_e32 v56, v70, v71
	v_sub_f32_e32 v57, v41, v57
	scratch_load_dwordx2 v[190:191], off, off offset:64
	scratch_load_dwordx2 v[172:173], off, off offset:16
	;; [unrolled: 1-line block ×4, first 2 shown]
	s_sub_i32 s14, s15, 36
	s_add_i32 s16, s15, 0xffffffbc
	s_add_i32 s17, s15, 0xffffffb4
	;; [unrolled: 1-line block ×4, first 2 shown]
	s_waitcnt vmcnt(15)
	v_mul_f32_e32 v105, v104, v87
	s_waitcnt lgkmcnt(1)
	v_mul_f32_e32 v87, v145, v87
	v_fma_f32 v105, v145, v86, -v105
	v_fmac_f32_e32 v87, v104, v86
	v_sub_f32_e32 v86, v56, v105
	v_sub_f32_e32 v87, v57, v87
	scratch_load_dwordx2 v[164:165], off, off offset:24
	scratch_load_dwordx2 v[122:123], off, off offset:24
	scratch_load_dwordx2 v[56:57], off, off offset:24
	s_add_i32 s20, s15, 0xffffff9c
	s_waitcnt vmcnt(13)
	v_mul_f32_e32 v104, v144, v107
	s_waitcnt lgkmcnt(0)
	v_fma_f32 v104, v149, v106, -v104
	v_mul_f32_e32 v105, v149, v107
	v_fmac_f32_e32 v105, v144, v106
	v_sub_f32_e32 v106, v86, v104
	v_mov_b32_e32 v86, s14
	v_sub_f32_e32 v107, v87, v105
	ds_read2_b32 v[86:87], v86 offset1:1
	s_sub_i32 s14, s15, 44
	v_mov_b32_e32 v104, s14
	s_sub_i32 s14, s15, 52
	v_mov_b32_e32 v145, s14
	s_add_i32 s14, s15, 0xffffff80
	v_mov_b32_e32 v160, s14
	ds_read2_b32 v[104:105], v104 offset1:1
	ds_read2_b32 v[186:187], v145 offset1:1
	ds_read_b32 v177, v160
	v_mul_f32_e32 v144, v148, v21
	s_waitcnt lgkmcnt(3)
	v_fma_f32 v144, v87, v20, -v144
	v_mul_f32_e32 v21, v87, v21
	v_mul_f32_e32 v87, v86, v53
	v_fmac_f32_e32 v21, v148, v20
	v_sub_f32_e32 v20, v106, v144
	s_waitcnt lgkmcnt(2)
	v_fma_f32 v106, v105, v52, -v87
	v_mul_f32_e32 v87, v105, v53
	v_fmac_f32_e32 v87, v86, v52
	scratch_load_dwordx2 v[174:175], off, off offset:48
	scratch_load_dwordx2 v[148:149], off, off offset:48
	;; [unrolled: 1-line block ×3, first 2 shown]
	scratch_load_dwordx4 v[178:181], off, off offset:88
	v_sub_f32_e32 v21, v107, v21
	v_sub_f32_e32 v20, v20, v106
	s_sub_i32 s14, s15, 60
	s_waitcnt lgkmcnt(1)
	v_mov_b32_e32 v203, v186
	s_add_i32 s21, s15, 0xffffff94
	s_add_i32 s22, s15, 0xffffff8c
	s_waitcnt vmcnt(13)
	v_mul_f32_e32 v86, v104, v101
	v_fma_f32 v86, v187, v100, -v86
	v_mul_f32_e32 v101, v187, v101
	v_pk_add_f32 v[20:21], v[20:21], v[86:87] neg_lo:[0,1] neg_hi:[0,1]
	v_mov_b32_e32 v86, s14
	v_fmac_f32_e32 v101, v104, v100
	scratch_load_dwordx2 v[170:171], off, off offset:56
	scratch_load_dwordx2 v[144:145], off, off offset:56
	;; [unrolled: 1-line block ×3, first 2 shown]
	ds_read2_b32 v[192:193], v86 offset1:1
	v_mov_b32_e32 v86, s16
	v_mov_b32_e32 v87, s17
	scratch_load_dwordx4 v[182:185], off, off offset:104
	ds_read2_b32 v[194:195], v86 offset1:1
	ds_read2_b32 v[196:197], v87 offset1:1
	ds_read2_b32 v[198:199], v160 offset0:1 offset1:2
	scratch_load_dwordx2 v[86:87], off, off offset:72
	scratch_load_dwordx2 v[162:163], off, off offset:64
	;; [unrolled: 1-line block ×4, first 2 shown]
	s_waitcnt lgkmcnt(2)
	v_mov_b32_e32 v202, v195
	s_waitcnt vmcnt(20)
	v_mul_f32_e32 v100, v186, v103
	v_fma_f32 v100, v193, v102, -v100
	v_mov_b32_e32 v205, v102
	v_pk_add_f32 v[20:21], v[20:21], v[100:101] neg_lo:[0,1] neg_hi:[0,1]
	v_mov_b32_e32 v101, v92
	s_add_i32 s14, s15, 0xffffff78
	s_waitcnt vmcnt(18)
	v_mul_f32_e32 v186, v195, v190
	v_mov_b32_e32 v102, v191
	v_pk_mul_f32 v[206:207], v[192:193], v[102:103]
	v_pk_fma_f32 v[102:103], v[192:193], v[102:103], v[186:187] op_sel_hi:[1,1,0] neg_lo:[1,0,0] neg_hi:[1,0,0]
	scratch_load_dwordx4 v[186:189], off, off offset:120
	v_mov_b32_e32 v204, v190
	v_pk_fma_f32 v[202:203], v[202:203], v[204:205], v[206:207]
	v_mov_b32_e32 v201, v190
	v_mov_b32_e32 v190, v63
	;; [unrolled: 1-line block ×5, first 2 shown]
	v_pk_add_f32 v[20:21], v[20:21], v[102:103] neg_lo:[0,1] neg_hi:[0,1]
	s_waitcnt lgkmcnt(1)
	v_mov_b32_e32 v102, v197
	v_mov_b32_e32 v103, v192
	;; [unrolled: 1-line block ×3, first 2 shown]
	v_pk_mul_f32 v[190:191], v[194:195], v[190:191]
	v_mov_b32_e32 v63, s18
	v_pk_fma_f32 v[100:101], v[102:103], v[100:101], v[190:191] neg_lo:[0,0,1] neg_hi:[0,0,1]
	v_pk_fma_f32 v[102:103], v[102:103], v[200:201], v[190:191]
	ds_read2_b32 v[190:191], v63 offset1:1
	v_mov_b32_e32 v101, v103
	v_mov_b32_e32 v63, s19
	v_mov_b32_e32 v192, v93
	v_pk_add_f32 v[20:21], v[20:21], v[100:101] neg_lo:[0,1] neg_hi:[0,1]
	v_mov_b32_e32 v100, s20
	v_mov_b32_e32 v101, s21
	ds_read2_b32 v[200:201], v63 offset1:1
	ds_read2_b32 v[202:203], v100 offset1:1
	;; [unrolled: 1-line block ×3, first 2 shown]
	s_waitcnt lgkmcnt(3)
	v_mov_b32_e32 v100, v191
	v_mov_b32_e32 v101, v194
	;; [unrolled: 1-line block ×4, first 2 shown]
	v_pk_mul_f32 v[192:193], v[196:197], v[192:193]
	v_mov_b32_e32 v62, v95
	v_mov_b32_e32 v63, v93
	v_pk_fma_f32 v[194:195], v[100:101], v[102:103], v[192:193] neg_lo:[0,0,1] neg_hi:[0,0,1]
	v_pk_fma_f32 v[100:101], v[100:101], v[102:103], v[192:193]
	s_waitcnt lgkmcnt(2)
	v_mov_b32_e32 v192, v201
	v_mov_b32_e32 v195, v101
	;; [unrolled: 1-line block ×4, first 2 shown]
	v_pk_mul_f32 v[62:63], v[190:191], v[62:63]
	v_pk_add_f32 v[20:21], v[20:21], v[194:195] neg_lo:[0,1] neg_hi:[0,1]
	s_waitcnt vmcnt(9)
	v_mov_b32_e32 v92, v181
	v_mov_b32_e32 v93, v179
	v_pk_fma_f32 v[194:195], v[192:193], v[94:95], v[62:63] neg_lo:[0,0,1] neg_hi:[0,0,1]
	v_pk_fma_f32 v[62:63], v[192:193], v[94:95], v[62:63]
	v_mov_b32_e32 v181, v178
	v_mov_b32_e32 v195, v63
	s_waitcnt lgkmcnt(1)
	v_mov_b32_e32 v62, v203
	v_mov_b32_e32 v63, v190
	v_pk_mul_f32 v[92:93], v[200:201], v[92:93]
	v_mov_b32_e32 v178, v99
	v_mov_b32_e32 v179, v97
	v_pk_fma_f32 v[94:95], v[62:63], v[180:181], v[92:93] neg_lo:[0,0,1] neg_hi:[0,0,1]
	v_pk_fma_f32 v[62:63], v[62:63], v[180:181], v[92:93]
	v_mov_b32_e32 v99, v96
	v_mov_b32_e32 v95, v63
	s_waitcnt lgkmcnt(0)
	v_mov_b32_e32 v62, v205
	v_mov_b32_e32 v63, v200
	v_pk_mul_f32 v[178:179], v[202:203], v[178:179]
	v_pk_add_f32 v[20:21], v[20:21], v[194:195] neg_lo:[0,1] neg_hi:[0,1]
	v_pk_fma_f32 v[180:181], v[62:63], v[98:99], v[178:179] neg_lo:[0,0,1] neg_hi:[0,0,1]
	v_pk_fma_f32 v[62:63], v[62:63], v[98:99], v[178:179]
	s_waitcnt vmcnt(5)
	v_mov_b32_e32 v96, v185
	v_mov_b32_e32 v62, s22
	;; [unrolled: 1-line block ×3, first 2 shown]
	ds_read2_b32 v[62:63], v62 offset1:1
	v_mov_b32_e32 v97, v183
	v_mov_b32_e32 v98, s14
	ds_read_b64 v[178:179], v98
	v_mov_b32_e32 v99, v202
	s_waitcnt lgkmcnt(1)
	v_mov_b32_e32 v98, v63
	v_mov_b32_e32 v185, v182
	v_pk_mul_f32 v[96:97], v[204:205], v[96:97]
	v_pk_add_f32 v[20:21], v[20:21], v[94:95] neg_lo:[0,1] neg_hi:[0,1]
	v_pk_fma_f32 v[182:183], v[98:99], v[184:185], v[96:97] neg_lo:[0,0,1] neg_hi:[0,0,1]
	v_pk_fma_f32 v[96:97], v[98:99], v[184:185], v[96:97]
	v_pk_add_f32 v[20:21], v[20:21], v[180:181] neg_lo:[0,1] neg_hi:[0,1]
	v_mov_b32_e32 v180, v77
	v_mov_b32_e32 v181, v75
	;; [unrolled: 1-line block ×3, first 2 shown]
	v_pk_add_f32 v[20:21], v[20:21], v[182:183] neg_lo:[0,1] neg_hi:[0,1]
	v_mov_b32_e32 v184, v199
	s_waitcnt vmcnt(0)
	v_mov_b32_e32 v182, v186
	v_mov_b32_e32 v183, v188
	;; [unrolled: 1-line block ×4, first 2 shown]
	v_pk_mul_f32 v[74:75], v[62:63], v[180:181]
	v_mov_b32_e32 v63, v177
	v_mov_b32_e32 v186, v189
	v_pk_fma_f32 v[180:181], v[184:185], v[76:77], v[74:75] neg_lo:[0,0,1] neg_hi:[0,0,1]
	v_pk_fma_f32 v[74:75], v[184:185], v[76:77], v[74:75]
	v_pk_mul_f32 v[62:63], v[62:63], v[182:183]
	v_mov_b32_e32 v181, v75
	v_pk_fma_f32 v[74:75], v[198:199], v[186:187], v[62:63] op_sel:[0,0,1] op_sel_hi:[1,1,0] neg_lo:[1,0,0] neg_hi:[1,0,0]
	v_pk_fma_f32 v[62:63], v[198:199], v[186:187], v[62:63] op_sel:[0,0,1] op_sel_hi:[1,1,0]
	v_pk_add_f32 v[20:21], v[20:21], v[180:181] neg_lo:[0,1] neg_hi:[0,1]
	v_mov_b32_e32 v75, v63
	v_mul_f32_e32 v62, v198, v188
	v_fmac_f32_e32 v62, v177, v189
	v_pk_add_f32 v[20:21], v[20:21], v[74:75] neg_lo:[0,1] neg_hi:[0,1]
	s_add_i32 s14, s15, 0xffffff68
	v_sub_f32_e32 v21, v21, v62
	s_waitcnt lgkmcnt(0)
	v_mul_f32_e32 v62, v179, v91
	v_fma_f32 v62, v178, v90, -v62
	v_sub_f32_e32 v20, v20, v62
	v_mov_b32_e32 v62, s14
	ds_read2_b64 v[74:77], v62 offset1:1
	s_add_i32 s14, s15, 0xffffff58
	v_mul_f32_e32 v63, v178, v91
	v_mov_b32_e32 v62, s14
	v_fmac_f32_e32 v63, v179, v90
	ds_read2_b64 v[178:181], v62 offset1:1
	s_waitcnt lgkmcnt(1)
	v_mul_f32_e32 v62, v77, v139
	v_fma_f32 v62, v76, v138, -v62
	v_sub_f32_e32 v20, v20, v62
	v_mul_f32_e32 v62, v75, v143
	v_fma_f32 v62, v74, v142, -v62
	v_sub_f32_e32 v20, v20, v62
	s_waitcnt lgkmcnt(0)
	v_mul_f32_e32 v62, v181, v169
	v_fma_f32 v62, v180, v168, -v62
	v_sub_f32_e32 v21, v21, v63
	v_mul_f32_e32 v63, v76, v139
	v_sub_f32_e32 v20, v20, v62
	v_mul_f32_e32 v62, v179, v151
	v_fmac_f32_e32 v63, v77, v138
	v_fma_f32 v62, v178, v150, -v62
	s_add_i32 s14, s15, 0xffffff48
	v_sub_f32_e32 v21, v21, v63
	v_mul_f32_e32 v63, v74, v143
	v_sub_f32_e32 v20, v20, v62
	v_mov_b32_e32 v62, s14
	v_fmac_f32_e32 v63, v75, v142
	ds_read2_b64 v[74:77], v62 offset1:1
	v_sub_f32_e32 v21, v21, v63
	v_mul_f32_e32 v63, v180, v169
	v_fmac_f32_e32 v63, v181, v168
	s_add_i32 s14, s4, 0xffffcd38
	v_sub_f32_e32 v21, v21, v63
	v_mul_f32_e32 v63, v178, v151
	v_mov_b32_e32 v62, s14
	v_fmac_f32_e32 v63, v179, v150
	ds_read2_b64 v[178:181], v62 offset1:1
	v_sub_f32_e32 v21, v21, v63
	s_waitcnt lgkmcnt(1)
	v_mul_f32_e32 v63, v76, v167
	v_mul_f32_e32 v62, v77, v167
	v_fmac_f32_e32 v63, v77, v166
	v_fma_f32 v62, v76, v166, -v62
	v_sub_f32_e32 v21, v21, v63
	v_mul_f32_e32 v63, v74, v5
	v_sub_f32_e32 v20, v20, v62
	v_mul_f32_e32 v62, v75, v5
	v_fmac_f32_e32 v63, v75, v4
	v_fma_f32 v62, v74, v4, -v62
	v_sub_f32_e32 v21, v21, v63
	s_waitcnt lgkmcnt(0)
	v_mul_f32_e32 v63, v180, v13
	v_sub_f32_e32 v20, v20, v62
	v_mul_f32_e32 v62, v181, v13
	v_fmac_f32_e32 v63, v181, v12
	v_fma_f32 v62, v180, v12, -v62
	v_sub_f32_e32 v21, v21, v63
	v_sub_f32_e32 v62, v20, v62
	v_mul_f32_e32 v20, v179, v21
	v_mul_f32_e32 v21, v178, v21
	v_fma_f32 v20, v178, v62, -v20
	v_fmac_f32_e32 v21, v179, v62
	v_add_u32_e32 v62, s13, v1
	s_add_i32 s13, s12, 0xffffcc00
	s_add_i32 s14, s13, s5
	s_add_i32 s15, s14, -4
	ds_write_b64 v62, v[20:21]
	v_mov_b32_e32 v62, s15
	v_mov_b32_e32 v74, s14
	scratch_load_dwordx4 v[100:103], off, off offset:88
	scratch_load_dwordx4 v[92:95], off, off offset:104
	;; [unrolled: 1-line block ×3, first 2 shown]
	ds_read2_b32 v[62:63], v62 offset1:1
	ds_read_b32 v74, v74 offset:4
	s_add_i32 s15, s14, -12
	v_mov_b32_e32 v75, s15
	s_sub_i32 s15, s14, 20
	v_mov_b32_e32 v76, s15
	ds_read2_b32 v[90:91], v75 offset1:1
	ds_read2_b32 v[138:139], v76 offset1:1
	s_waitcnt lgkmcnt(2)
	v_mul_f32_e32 v75, v74, v155
	v_fma_f32 v142, v63, v154, -v75
	v_mul_f32_e32 v63, v63, v155
	v_fmac_f32_e32 v63, v74, v154
	v_sub_f32_e32 v63, v121, v63
	v_mul_f32_e32 v121, v62, v49
	s_waitcnt lgkmcnt(1)
	v_mul_f32_e32 v49, v91, v49
	v_sub_f32_e32 v120, v120, v142
	v_fma_f32 v121, v91, v48, -v121
	v_fmac_f32_e32 v49, v62, v48
	v_mul_f32_e32 v62, v90, v173
	v_sub_f32_e32 v48, v120, v121
	v_sub_f32_e32 v49, v63, v49
	s_waitcnt lgkmcnt(0)
	v_fma_f32 v62, v139, v172, -v62
	v_mul_f32_e32 v63, v139, v173
	s_sub_i32 s15, s14, 28
	v_fmac_f32_e32 v63, v90, v172
	v_sub_f32_e32 v139, v48, v62
	v_mov_b32_e32 v48, s15
	s_sub_i32 s15, s14, 36
	v_sub_f32_e32 v142, v49, v63
	ds_read2_b32 v[48:49], v48 offset1:1
	v_mov_b32_e32 v62, s15
	s_sub_i32 s15, s14, 44
	v_mov_b32_e32 v90, s15
	s_sub_i32 s15, s14, 52
	scratch_load_dwordx4 v[74:77], off, off offset:72
	v_mov_b32_e32 v120, s15
	ds_read2_b32 v[62:63], v62 offset1:1
	ds_read2_b32 v[90:91], v90 offset1:1
	;; [unrolled: 1-line block ×3, first 2 shown]
	v_mul_f32_e32 v143, v138, v165
	s_waitcnt lgkmcnt(3)
	v_fma_f32 v143, v49, v164, -v143
	v_mul_f32_e32 v49, v49, v165
	v_fmac_f32_e32 v49, v138, v164
	v_sub_f32_e32 v138, v139, v143
	v_mul_f32_e32 v139, v48, v29
	s_waitcnt lgkmcnt(2)
	v_mul_f32_e32 v29, v63, v29
	v_fma_f32 v139, v63, v28, -v139
	v_fmac_f32_e32 v29, v48, v28
	v_mul_f32_e32 v48, v62, v89
	v_sub_f32_e32 v28, v138, v139
	s_waitcnt lgkmcnt(1)
	v_fma_f32 v48, v91, v88, -v48
	v_sub_f32_e32 v28, v28, v48
	v_mul_f32_e32 v48, v90, v175
	v_sub_f32_e32 v49, v142, v49
	s_waitcnt lgkmcnt(0)
	v_fma_f32 v48, v121, v174, -v48
	s_sub_i32 s15, s14, 60
	v_sub_f32_e32 v29, v49, v29
	v_mul_f32_e32 v49, v91, v89
	v_sub_f32_e32 v28, v28, v48
	v_mov_b32_e32 v48, s15
	v_fmac_f32_e32 v49, v62, v88
	ds_read2_b32 v[62:63], v48 offset1:1
	scratch_load_dwordx4 v[164:167], off, off offset:96
	v_sub_f32_e32 v29, v29, v49
	v_mul_f32_e32 v49, v121, v175
	s_add_i32 s15, s14, 0xffffffbc
	s_add_i32 s16, s14, 0xffffff78
	v_fmac_f32_e32 v49, v90, v174
	v_mul_f32_e32 v48, v120, v171
	v_mov_b32_e32 v90, s16
	v_mov_b32_e32 v88, s15
	s_waitcnt lgkmcnt(0)
	v_mul_f32_e32 v91, v63, v171
	ds_read_b32 v177, v90
	ds_read2_b32 v[88:89], v88 offset1:1
	ds_read2_b32 v[138:139], v90 offset0:1 offset1:2
	v_fma_f32 v48, v63, v170, -v48
	v_fmac_f32_e32 v91, v120, v170
	scratch_load_dwordx4 v[168:171], off, off offset:112
	scratch_load_dwordx2 v[120:121], off, off offset:80
	s_add_i32 s15, s14, 0xffffffb4
	v_pk_add_f32 v[28:29], v[28:29], v[48:49] neg_lo:[0,1] neg_hi:[0,1]
	v_mov_b32_e32 v48, s15
	ds_read2_b32 v[48:49], v48 offset1:1
	v_mul_f32_e32 v63, v62, v163
	s_add_i32 s16, s14, 0xffffffac
	s_add_i32 s17, s14, 0xffffffa4
	;; [unrolled: 1-line block ×3, first 2 shown]
	s_waitcnt lgkmcnt(2)
	v_fma_f32 v90, v89, v162, -v63
	v_mov_b32_e32 v63, s16
	v_mov_b32_e32 v154, s17
	;; [unrolled: 1-line block ×3, first 2 shown]
	ds_read2_b32 v[150:151], v63 offset1:1
	ds_read2_b32 v[154:155], v154 offset1:1
	;; [unrolled: 1-line block ×3, first 2 shown]
	v_mov_b32_e32 v63, v162
	v_mov_b32_e32 v162, v87
	s_waitcnt lgkmcnt(3)
	v_mov_b32_e32 v174, v49
	v_mov_b32_e32 v175, v62
	;; [unrolled: 1-line block ×3, first 2 shown]
	v_mul_f32_e32 v178, v49, v86
	v_pk_mul_f32 v[180:181], v[88:89], v[162:163]
	v_mov_b32_e32 v143, v86
	v_pk_fma_f32 v[162:163], v[88:89], v[162:163], v[178:179] op_sel_hi:[1,1,0] neg_lo:[1,0,0] neg_hi:[1,0,0]
	v_pk_fma_f32 v[62:63], v[174:175], v[62:63], v[180:181]
	v_pk_add_f32 v[28:29], v[28:29], v[90:91] neg_lo:[0,1] neg_hi:[0,1]
	s_waitcnt vmcnt(6)
	v_mov_b32_e32 v91, v100
	v_mov_b32_e32 v163, v63
	s_waitcnt lgkmcnt(2)
	v_mov_b32_e32 v62, v151
	v_mov_b32_e32 v63, v88
	;; [unrolled: 1-line block ×3, first 2 shown]
	v_pk_add_f32 v[28:29], v[28:29], v[162:163] neg_lo:[0,1] neg_hi:[0,1]
	s_add_i32 s19, s14, 0xffffff94
	s_add_i32 s20, s14, 0xffffff8c
	;; [unrolled: 1-line block ×4, first 2 shown]
	s_waitcnt vmcnt(3)
	v_mov_b32_e32 v86, v77
	v_mov_b32_e32 v90, v76
	;; [unrolled: 1-line block ×3, first 2 shown]
	v_pk_mul_f32 v[86:87], v[48:49], v[86:87]
	v_mov_b32_e32 v89, v77
	v_pk_fma_f32 v[90:91], v[62:63], v[90:91], v[86:87] neg_lo:[0,0,1] neg_hi:[0,0,1]
	v_pk_fma_f32 v[62:63], v[62:63], v[142:143], v[86:87]
	v_mov_b32_e32 v49, v76
	v_mov_b32_e32 v91, v63
	s_waitcnt lgkmcnt(1)
	v_mov_b32_e32 v62, v155
	v_mov_b32_e32 v63, v48
	;; [unrolled: 1-line block ×3, first 2 shown]
	v_pk_mul_f32 v[86:87], v[150:151], v[88:89]
	v_mov_b32_e32 v76, v103
	v_mov_b32_e32 v77, v101
	v_pk_fma_f32 v[88:89], v[62:63], v[48:49], v[86:87] neg_lo:[0,0,1] neg_hi:[0,0,1]
	v_pk_fma_f32 v[48:49], v[62:63], v[48:49], v[86:87]
	v_mov_b32_e32 v103, v100
	v_mov_b32_e32 v89, v49
	s_waitcnt lgkmcnt(0)
	v_mov_b32_e32 v48, v173
	v_mov_b32_e32 v49, v150
	v_pk_mul_f32 v[76:77], v[154:155], v[76:77]
	v_pk_add_f32 v[28:29], v[28:29], v[90:91] neg_lo:[0,1] neg_hi:[0,1]
	v_pk_fma_f32 v[90:91], v[48:49], v[102:103], v[76:77] neg_lo:[0,0,1] neg_hi:[0,0,1]
	v_pk_fma_f32 v[48:49], v[48:49], v[102:103], v[76:77]
	v_pk_add_f32 v[28:29], v[28:29], v[88:89] neg_lo:[0,1] neg_hi:[0,1]
	v_mov_b32_e32 v48, s19
	v_mov_b32_e32 v91, v49
	ds_read2_b32 v[48:49], v48 offset1:1
	v_mov_b32_e32 v76, s20
	scratch_load_dwordx4 v[86:89], off, off offset:96
	s_waitcnt vmcnt(3)
	v_mov_b32_e32 v62, v167
	v_mov_b32_e32 v63, v165
	v_pk_add_f32 v[28:29], v[28:29], v[90:91] neg_lo:[0,1] neg_hi:[0,1]
	v_mov_b32_e32 v90, s21
	v_mov_b32_e32 v91, s15
	ds_read2_b32 v[76:77], v76 offset1:1
	ds_read2_b32 v[100:101], v90 offset1:1
	ds_read_b64 v[102:103], v91
	s_waitcnt lgkmcnt(3)
	v_mov_b32_e32 v90, v49
	v_mov_b32_e32 v91, v154
	;; [unrolled: 1-line block ×3, first 2 shown]
	v_pk_mul_f32 v[62:63], v[172:173], v[62:63]
	v_mov_b32_e32 v142, v95
	v_mov_b32_e32 v143, v93
	v_pk_fma_f32 v[150:151], v[90:91], v[166:167], v[62:63] neg_lo:[0,0,1] neg_hi:[0,0,1]
	v_pk_fma_f32 v[62:63], v[90:91], v[166:167], v[62:63]
	v_mov_b32_e32 v95, v92
	v_mov_b32_e32 v151, v63
	s_waitcnt lgkmcnt(2)
	v_mov_b32_e32 v62, v77
	v_mov_b32_e32 v63, v172
	v_pk_mul_f32 v[142:143], v[48:49], v[142:143]
	v_pk_add_f32 v[28:29], v[28:29], v[150:151] neg_lo:[0,1] neg_hi:[0,1]
	s_waitcnt vmcnt(2)
	v_mov_b32_e32 v150, v171
	v_mov_b32_e32 v151, v169
	v_pk_fma_f32 v[154:155], v[62:63], v[94:95], v[142:143] neg_lo:[0,0,1] neg_hi:[0,0,1]
	v_pk_fma_f32 v[62:63], v[62:63], v[94:95], v[142:143]
	v_mov_b32_e32 v171, v168
	v_mov_b32_e32 v155, v63
	s_waitcnt lgkmcnt(1)
	v_mov_b32_e32 v62, v101
	v_mov_b32_e32 v63, v48
	;; [unrolled: 1-line block ×4, first 2 shown]
	v_pk_mul_f32 v[94:95], v[76:77], v[150:151]
	v_mov_b32_e32 v99, v96
	v_pk_fma_f32 v[142:143], v[62:63], v[170:171], v[94:95] neg_lo:[0,0,1] neg_hi:[0,0,1]
	v_pk_fma_f32 v[62:63], v[62:63], v[170:171], v[94:95]
	v_mov_b32_e32 v94, v139
	v_mov_b32_e32 v95, v76
	v_pk_mul_f32 v[48:49], v[100:101], v[48:49]
	v_mov_b32_e32 v143, v63
	v_mov_b32_e32 v62, v78
	;; [unrolled: 1-line block ×3, first 2 shown]
	v_pk_fma_f32 v[76:77], v[94:95], v[98:99], v[48:49] neg_lo:[0,0,1] neg_hi:[0,0,1]
	v_pk_fma_f32 v[48:49], v[94:95], v[98:99], v[48:49]
	v_mov_b32_e32 v101, v177
	v_pk_add_f32 v[28:29], v[28:29], v[154:155] neg_lo:[0,1] neg_hi:[0,1]
	v_mov_b32_e32 v78, v81
	v_mov_b32_e32 v77, v49
	v_pk_mul_f32 v[48:49], v[100:101], v[62:63]
	v_pk_add_f32 v[28:29], v[28:29], v[142:143] neg_lo:[0,1] neg_hi:[0,1]
	v_pk_fma_f32 v[62:63], v[138:139], v[78:79], v[48:49] op_sel:[0,0,1] op_sel_hi:[1,1,0] neg_lo:[1,0,0] neg_hi:[1,0,0]
	v_pk_fma_f32 v[48:49], v[138:139], v[78:79], v[48:49] op_sel:[0,0,1] op_sel_hi:[1,1,0]
	v_pk_add_f32 v[28:29], v[28:29], v[76:77] neg_lo:[0,1] neg_hi:[0,1]
	v_mov_b32_e32 v63, v49
	v_mul_f32_e32 v48, v138, v80
	v_fmac_f32_e32 v48, v177, v81
	v_pk_add_f32 v[28:29], v[28:29], v[62:63] neg_lo:[0,1] neg_hi:[0,1]
	s_waitcnt lgkmcnt(0)
	v_mul_f32_e32 v49, v102, v73
	v_sub_f32_e32 v29, v29, v48
	v_mul_f32_e32 v48, v103, v73
	v_fma_f32 v48, v102, v72, -v48
	v_fmac_f32_e32 v49, v103, v72
	scratch_load_dwordx2 v[72:73], off, off
	s_add_i32 s15, s14, 0xffffff60
	v_sub_f32_e32 v28, v28, v48
	v_mov_b32_e32 v48, s15
	ds_read2_b64 v[76:79], v48 offset1:1
	s_add_i32 s15, s14, 0xffffff50
	v_mov_b32_e32 v48, s15
	ds_read2_b64 v[94:97], v48 offset1:1
	v_sub_f32_e32 v29, v29, v49
	s_waitcnt lgkmcnt(1)
	v_mul_f32_e32 v48, v79, v137
	v_fma_f32 v48, v78, v136, -v48
	v_sub_f32_e32 v28, v28, v48
	v_mul_f32_e32 v48, v77, v159
	v_fma_f32 v48, v76, v158, -v48
	v_sub_f32_e32 v28, v28, v48
	s_waitcnt lgkmcnt(0)
	v_mul_f32_e32 v48, v97, v147
	v_fma_f32 v48, v96, v146, -v48
	v_mul_f32_e32 v49, v78, v137
	v_sub_f32_e32 v28, v28, v48
	v_mul_f32_e32 v48, v95, v157
	v_fmac_f32_e32 v49, v79, v136
	v_fma_f32 v48, v94, v156, -v48
	s_addk_i32 s14, 0xff40
	v_sub_f32_e32 v29, v29, v49
	v_mul_f32_e32 v49, v76, v159
	v_sub_f32_e32 v28, v28, v48
	v_mov_b32_e32 v48, s14
	v_fmac_f32_e32 v49, v77, v158
	ds_read2_b64 v[76:79], v48 offset1:1
	v_sub_f32_e32 v29, v29, v49
	v_mul_f32_e32 v49, v96, v147
	v_fmac_f32_e32 v49, v97, v146
	s_add_i32 s14, s4, 0xffffcb30
	v_sub_f32_e32 v29, v29, v49
	v_mul_f32_e32 v49, v94, v157
	v_mov_b32_e32 v48, s14
	v_fmac_f32_e32 v49, v95, v156
	ds_read2_b64 v[94:97], v48 offset1:1
	v_sub_f32_e32 v29, v29, v49
	s_waitcnt lgkmcnt(1)
	v_mul_f32_e32 v49, v78, v5
	v_mul_f32_e32 v48, v79, v5
	v_fmac_f32_e32 v49, v79, v4
	v_fma_f32 v48, v78, v4, -v48
	v_sub_f32_e32 v29, v29, v49
	v_mul_f32_e32 v49, v76, v13
	v_sub_f32_e32 v28, v28, v48
	v_mul_f32_e32 v48, v77, v13
	v_fmac_f32_e32 v49, v77, v12
	v_fma_f32 v48, v76, v12, -v48
	v_sub_f32_e32 v29, v29, v49
	s_waitcnt lgkmcnt(0)
	v_mul_f32_e32 v49, v96, v21
	v_sub_f32_e32 v28, v28, v48
	v_mul_f32_e32 v48, v97, v21
	v_fmac_f32_e32 v49, v97, v20
	v_fma_f32 v48, v96, v20, -v48
	v_sub_f32_e32 v29, v29, v49
	v_sub_f32_e32 v48, v28, v48
	v_mul_f32_e32 v28, v95, v29
	v_mul_f32_e32 v29, v94, v29
	s_add_i32 s14, s12, 0xffffca00
	v_fma_f32 v28, v94, v48, -v28
	v_fmac_f32_e32 v29, v95, v48
	v_add_u32_e32 v48, s13, v1
	s_add_i32 s13, s14, s5
	s_add_i32 s15, s13, -4
	ds_write_b64 v48, v[28:29]
	v_mov_b32_e32 v48, s15
	s_add_i32 s15, s13, -12
	v_mov_b32_e32 v62, s15
	s_sub_i32 s15, s13, 20
	scratch_load_dwordx4 v[90:93], off, off offset:112
	v_mov_b32_e32 v49, s13
	v_mov_b32_e32 v63, s15
	ds_read2_b32 v[76:77], v48 offset1:1
	ds_read_b32 v96, v49 offset:4
	ds_read2_b32 v[78:79], v62 offset1:1
	ds_read2_b32 v[80:81], v63 offset1:1
	scratch_load_dwordx2 v[94:95], off, off offset:72
	scratch_load_dwordx2 v[98:99], off, off
	scratch_load_dwordx2 v[62:63], off, off
	scratch_load_dwordx2 v[48:49], off, off
	s_sub_i32 s15, s13, 28
	s_add_i32 s16, s13, 0xffffffac
	s_add_i32 s17, s13, 0xffffffa4
	s_waitcnt lgkmcnt(0)
	v_mul_f32_e32 v101, v80, v123
	s_add_i32 s18, s13, 0xffffff9c
	s_waitcnt vmcnt(5)
	v_mul_f32_e32 v97, v96, v73
	v_fma_f32 v97, v77, v72, -v97
	v_mul_f32_e32 v73, v77, v73
	v_mul_f32_e32 v77, v76, v45
	v_fmac_f32_e32 v73, v96, v72
	v_sub_f32_e32 v72, v118, v97
	v_fma_f32 v77, v79, v44, -v77
	v_mul_f32_e32 v45, v79, v45
	v_sub_f32_e32 v73, v119, v73
	v_fmac_f32_e32 v45, v76, v44
	v_sub_f32_e32 v44, v72, v77
	v_mul_f32_e32 v72, v78, v71
	v_mul_f32_e32 v71, v81, v71
	v_sub_f32_e32 v45, v73, v45
	v_fma_f32 v72, v81, v70, -v72
	v_fmac_f32_e32 v71, v78, v70
	v_sub_f32_e32 v81, v44, v72
	v_sub_f32_e32 v100, v45, v71
	scratch_load_dwordx4 v[70:73], off, off offset:80
	v_mov_b32_e32 v44, s15
	s_sub_i32 s15, s13, 36
	ds_read2_b32 v[44:45], v44 offset1:1
	v_mov_b32_e32 v76, s15
	s_sub_i32 s15, s13, 44
	v_mov_b32_e32 v78, s15
	s_sub_i32 s15, s13, 52
	v_mov_b32_e32 v96, s15
	ds_read2_b32 v[76:77], v76 offset1:1
	ds_read2_b32 v[78:79], v78 offset1:1
	;; [unrolled: 1-line block ×3, first 2 shown]
	s_waitcnt lgkmcnt(3)
	v_fma_f32 v101, v45, v122, -v101
	v_mul_f32_e32 v45, v45, v123
	v_fmac_f32_e32 v45, v80, v122
	v_sub_f32_e32 v80, v81, v101
	v_mul_f32_e32 v81, v44, v33
	s_waitcnt lgkmcnt(2)
	v_mul_f32_e32 v33, v77, v33
	v_sub_f32_e32 v45, v100, v45
	v_fma_f32 v81, v77, v32, -v81
	v_fmac_f32_e32 v33, v44, v32
	v_mul_f32_e32 v44, v76, v153
	v_sub_f32_e32 v32, v80, v81
	v_sub_f32_e32 v33, v45, v33
	s_waitcnt lgkmcnt(1)
	v_fma_f32 v44, v79, v152, -v44
	v_mul_f32_e32 v45, v79, v153
	v_fmac_f32_e32 v45, v76, v152
	v_sub_f32_e32 v32, v32, v44
	v_mul_f32_e32 v44, v78, v149
	v_sub_f32_e32 v33, v33, v45
	s_waitcnt lgkmcnt(0)
	v_fma_f32 v44, v97, v148, -v44
	v_mul_f32_e32 v45, v97, v149
	s_sub_i32 s15, s13, 60
	v_fmac_f32_e32 v45, v78, v148
	v_sub_f32_e32 v32, v32, v44
	v_mov_b32_e32 v44, s15
	v_sub_f32_e32 v33, v33, v45
	ds_read2_b32 v[44:45], v44 offset1:1
	s_add_i32 s15, s13, 0xffffffbc
	v_mov_b32_e32 v76, s15
	s_add_i32 s15, s13, 0xffffff70
	v_mov_b32_e32 v79, s15
	ds_read2_b32 v[76:77], v76 offset1:1
	ds_read_b32 v159, v79
	ds_read2_b32 v[122:123], v79 offset0:1 offset1:2
	scratch_load_dwordx4 v[100:103], off, off offset:104
	v_mul_f32_e32 v78, v96, v145
	s_waitcnt lgkmcnt(3)
	v_fma_f32 v78, v45, v144, -v78
	v_mul_f32_e32 v79, v45, v145
	v_mul_f32_e32 v45, v44, v161
	s_waitcnt lgkmcnt(2)
	v_mul_f32_e32 v81, v77, v161
	v_fmac_f32_e32 v79, v96, v144
	v_sub_f32_e32 v32, v32, v78
	v_fma_f32 v78, v77, v160, -v45
	v_fmac_f32_e32 v81, v44, v160
	scratch_load_dwordx2 v[118:119], off, off offset:72
	scratch_load_dwordx2 v[96:97], off, off offset:72
	;; [unrolled: 1-line block ×3, first 2 shown]
	s_add_i32 s15, s13, 0xffffffb4
	scratch_load_dwordx4 v[136:139], off, off offset:120
	v_pk_add_f32 v[32:33], v[32:33], v[78:79] neg_lo:[0,1] neg_hi:[0,1]
	v_mov_b32_e32 v78, s15
	v_mov_b32_e32 v80, s16
	;; [unrolled: 1-line block ×4, first 2 shown]
	ds_read2_b32 v[78:79], v78 offset1:1
	ds_read2_b32 v[146:147], v80 offset1:1
	;; [unrolled: 1-line block ×4, first 2 shown]
	scratch_load_dwordx4 v[142:145], off, off offset:128
	s_waitcnt vmcnt(10)
	v_mul_f32_e32 v77, v76, v95
	s_waitcnt lgkmcnt(2)
	v_mov_b32_e32 v156, v147
	v_fma_f32 v80, v79, v94, -v77
	v_mov_b32_e32 v77, v94
	v_mov_b32_e32 v94, v121
	v_mov_b32_e32 v157, v76
	v_mov_b32_e32 v76, v120
	v_mul_f32_e32 v158, v147, v120
	v_pk_mul_f32 v[160:161], v[78:79], v[94:95]
	v_pk_fma_f32 v[94:95], v[78:79], v[94:95], v[158:159] op_sel_hi:[1,1,0] neg_lo:[1,0,0] neg_hi:[1,0,0]
	v_pk_fma_f32 v[76:77], v[156:157], v[76:77], v[160:161]
	v_pk_add_f32 v[32:33], v[32:33], v[80:81] neg_lo:[0,1] neg_hi:[0,1]
	v_mov_b32_e32 v155, v120
	v_mov_b32_e32 v95, v77
	;; [unrolled: 1-line block ×3, first 2 shown]
	v_pk_add_f32 v[32:33], v[32:33], v[94:95] neg_lo:[0,1] neg_hi:[0,1]
	s_waitcnt lgkmcnt(1)
	v_mov_b32_e32 v76, v149
	v_mov_b32_e32 v77, v78
	s_waitcnt vmcnt(6)
	v_mov_b32_e32 v120, v73
	v_mov_b32_e32 v152, v72
	;; [unrolled: 1-line block ×3, first 2 shown]
	v_pk_mul_f32 v[94:95], v[146:147], v[120:121]
	v_mov_b32_e32 v78, v87
	v_mov_b32_e32 v79, v73
	v_pk_fma_f32 v[120:121], v[76:77], v[152:153], v[94:95] neg_lo:[0,0,1] neg_hi:[0,0,1]
	v_pk_fma_f32 v[76:77], v[76:77], v[154:155], v[94:95]
	v_mov_b32_e32 v94, v86
	v_mov_b32_e32 v121, v77
	s_waitcnt lgkmcnt(0)
	v_mov_b32_e32 v76, v151
	v_mov_b32_e32 v77, v146
	;; [unrolled: 1-line block ×3, first 2 shown]
	v_pk_mul_f32 v[78:79], v[148:149], v[78:79]
	s_add_i32 s19, s13, 0xffffff94
	v_pk_add_f32 v[32:33], v[32:33], v[120:121] neg_lo:[0,1] neg_hi:[0,1]
	v_pk_fma_f32 v[120:121], v[76:77], v[94:95], v[78:79] neg_lo:[0,0,1] neg_hi:[0,0,1]
	v_pk_fma_f32 v[76:77], v[76:77], v[94:95], v[78:79]
	s_add_i32 s20, s13, 0xffffff8c
	s_add_i32 s21, s13, 0xffffff84
	;; [unrolled: 1-line block ×3, first 2 shown]
	v_mov_b32_e32 v76, s19
	v_mov_b32_e32 v121, v77
	ds_read2_b32 v[94:95], v76 offset1:1
	v_mov_b32_e32 v76, s20
	v_mov_b32_e32 v77, s21
	;; [unrolled: 1-line block ×3, first 2 shown]
	scratch_load_dwordx2 v[80:81], off, off offset:88
	v_mov_b32_e32 v72, v89
	v_mov_b32_e32 v73, v87
	v_pk_add_f32 v[32:33], v[32:33], v[120:121] neg_lo:[0,1] neg_hi:[0,1]
	ds_read2_b32 v[120:121], v76 offset1:1
	ds_read2_b32 v[146:147], v77 offset1:1
	;; [unrolled: 1-line block ×3, first 2 shown]
	v_mov_b32_e32 v89, v86
	scratch_load_dwordx2 v[86:87], off, off offset:168
	scratch_load_dwordx4 v[76:79], off, off offset:104
	s_waitcnt lgkmcnt(3)
	v_mov_b32_e32 v154, v95
	v_mov_b32_e32 v155, v148
	v_pk_mul_f32 v[72:73], v[150:151], v[72:73]
	s_add_i32 s15, s13, 0xffffff68
	v_pk_fma_f32 v[156:157], v[154:155], v[88:89], v[72:73] neg_lo:[0,0,1] neg_hi:[0,0,1]
	v_pk_fma_f32 v[72:73], v[154:155], v[88:89], v[72:73]
	s_waitcnt vmcnt(8)
	v_mov_b32_e32 v148, v103
	v_mov_b32_e32 v149, v101
	;; [unrolled: 1-line block ×3, first 2 shown]
	s_waitcnt lgkmcnt(2)
	v_mov_b32_e32 v72, v121
	v_mov_b32_e32 v73, v150
	;; [unrolled: 1-line block ×3, first 2 shown]
	v_pk_mul_f32 v[88:89], v[94:95], v[148:149]
	v_mov_b32_e32 v100, v93
	v_mov_b32_e32 v101, v91
	v_pk_fma_f32 v[148:149], v[72:73], v[102:103], v[88:89] neg_lo:[0,0,1] neg_hi:[0,0,1]
	v_pk_fma_f32 v[72:73], v[72:73], v[102:103], v[88:89]
	v_mov_b32_e32 v93, v90
	v_mov_b32_e32 v149, v73
	s_waitcnt lgkmcnt(1)
	v_mov_b32_e32 v72, v147
	v_mov_b32_e32 v73, v94
	v_pk_mul_f32 v[94:95], v[120:121], v[100:101]
	v_pk_add_f32 v[32:33], v[32:33], v[156:157] neg_lo:[0,1] neg_hi:[0,1]
	s_waitcnt vmcnt(4)
	v_mov_b32_e32 v102, v139
	v_mov_b32_e32 v103, v137
	v_pk_fma_f32 v[100:101], v[72:73], v[92:93], v[94:95] neg_lo:[0,0,1] neg_hi:[0,0,1]
	v_pk_fma_f32 v[72:73], v[72:73], v[92:93], v[94:95]
	v_pk_add_f32 v[32:33], v[32:33], v[148:149] neg_lo:[0,1] neg_hi:[0,1]
	v_mov_b32_e32 v101, v73
	s_waitcnt lgkmcnt(0)
	v_mov_b32_e32 v72, v153
	v_mov_b32_e32 v73, v120
	;; [unrolled: 1-line block ×3, first 2 shown]
	v_pk_mul_f32 v[102:103], v[146:147], v[102:103]
	v_pk_add_f32 v[32:33], v[32:33], v[100:101] neg_lo:[0,1] neg_hi:[0,1]
	s_waitcnt vmcnt(3)
	v_mov_b32_e32 v100, v145
	v_mov_b32_e32 v101, v143
	v_pk_fma_f32 v[120:121], v[72:73], v[138:139], v[102:103] neg_lo:[0,0,1] neg_hi:[0,0,1]
	v_pk_fma_f32 v[72:73], v[72:73], v[138:139], v[102:103]
	v_mov_b32_e32 v102, v123
	v_mov_b32_e32 v121, v73
	;; [unrolled: 1-line block ×4, first 2 shown]
	v_pk_mul_f32 v[100:101], v[152:153], v[100:101]
	v_pk_add_f32 v[32:33], v[32:33], v[120:121] neg_lo:[0,1] neg_hi:[0,1]
	v_pk_fma_f32 v[120:121], v[102:103], v[144:145], v[100:101] neg_lo:[0,0,1] neg_hi:[0,0,1]
	v_pk_fma_f32 v[100:101], v[102:103], v[144:145], v[100:101]
	v_mov_b32_e32 v72, v82
	v_mov_b32_e32 v121, v101
	v_pk_add_f32 v[32:33], v[32:33], v[120:121] neg_lo:[0,1] neg_hi:[0,1]
	scratch_load_dwordx2 v[120:121], off, off offset:8
	v_mov_b32_e32 v73, v84
	v_mov_b32_e32 v153, v159
	;; [unrolled: 1-line block ×3, first 2 shown]
	v_pk_mul_f32 v[72:73], v[152:153], v[72:73]
	scratch_load_dwordx4 v[88:91], off, off offset:120
	v_pk_fma_f32 v[100:101], v[122:123], v[82:83], v[72:73] op_sel:[0,0,1] op_sel_hi:[1,1,0] neg_lo:[1,0,0] neg_hi:[1,0,0]
	v_pk_fma_f32 v[72:73], v[122:123], v[82:83], v[72:73] op_sel:[0,0,1] op_sel_hi:[1,1,0]
	v_mul_f32_e32 v82, v122, v84
	v_mov_b32_e32 v101, v73
	v_fmac_f32_e32 v82, v159, v85
	v_pk_add_f32 v[32:33], v[32:33], v[100:101] neg_lo:[0,1] neg_hi:[0,1]
	v_mov_b32_e32 v72, s15
	s_add_i32 s15, s13, 0xffffff58
	ds_read_b64 v[72:73], v72
	v_sub_f32_e32 v33, v33, v82
	v_mov_b32_e32 v82, s15
	ds_read2_b64 v[82:85], v82 offset1:1
	s_add_i32 s15, s13, 0xffffff48
	s_waitcnt lgkmcnt(1)
	v_mul_f32_e32 v100, v73, v69
	v_mul_f32_e32 v69, v72, v69
	v_fma_f32 v100, v72, v68, -v100
	v_fmac_f32_e32 v69, v73, v68
	s_waitcnt lgkmcnt(0)
	v_mul_f32_e32 v68, v85, v109
	v_sub_f32_e32 v32, v32, v100
	v_fma_f32 v68, v84, v108, -v68
	v_sub_f32_e32 v33, v33, v69
	v_mul_f32_e32 v69, v84, v109
	v_sub_f32_e32 v32, v32, v68
	s_waitcnt vmcnt(3)
	v_mul_f32_e32 v68, v83, v87
	v_fmac_f32_e32 v69, v85, v108
	v_fma_f32 v68, v82, v86, -v68
	v_sub_f32_e32 v33, v33, v69
	v_mul_f32_e32 v69, v82, v87
	v_sub_f32_e32 v32, v32, v68
	v_mov_b32_e32 v68, s15
	v_fmac_f32_e32 v69, v83, v86
	ds_read2_b64 v[82:85], v68 offset1:1
	s_addk_i32 s13, 0xff38
	v_mov_b32_e32 v68, s13
	ds_read2_b64 v[100:103], v68 offset1:1
	v_sub_f32_e32 v33, v33, v69
	s_waitcnt lgkmcnt(1)
	v_mul_f32_e32 v68, v85, v67
	v_mul_f32_e32 v67, v84, v67
	v_fma_f32 v68, v84, v66, -v68
	v_fmac_f32_e32 v67, v85, v66
	v_mul_f32_e32 v66, v83, v5
	v_sub_f32_e32 v32, v32, v68
	v_sub_f32_e32 v33, v33, v67
	v_fma_f32 v66, v82, v4, -v66
	v_mul_f32_e32 v67, v82, v5
	v_fmac_f32_e32 v67, v83, v4
	v_sub_f32_e32 v32, v32, v66
	s_waitcnt lgkmcnt(0)
	v_mul_f32_e32 v66, v103, v13
	v_sub_f32_e32 v33, v33, v67
	v_fma_f32 v66, v102, v12, -v66
	v_mul_f32_e32 v67, v102, v13
	v_fmac_f32_e32 v67, v103, v12
	v_sub_f32_e32 v32, v32, v66
	v_mul_f32_e32 v66, v101, v21
	v_sub_f32_e32 v33, v33, v67
	v_fma_f32 v66, v100, v20, -v66
	v_mul_f32_e32 v67, v100, v21
	s_add_i32 s13, s4, 0xffffc928
	v_fmac_f32_e32 v67, v101, v20
	v_sub_f32_e32 v32, v32, v66
	v_mov_b32_e32 v66, s13
	v_sub_f32_e32 v33, v33, v67
	ds_read2_b64 v[66:69], v66 offset1:1
	scratch_load_dwordx2 v[82:83], off, off offset:40
	s_add_i32 s13, s12, 0xffffc800
	s_add_i32 s15, s13, s5
	s_add_i32 s16, s15, -4
	v_mov_b32_e32 v72, s16
	ds_read2_b32 v[84:85], v72 offset1:1
	s_waitcnt lgkmcnt(1)
	v_mul_f32_e32 v72, v69, v29
	v_fma_f32 v72, v68, v28, -v72
	v_mul_f32_e32 v68, v68, v29
	v_fmac_f32_e32 v68, v69, v28
	v_sub_f32_e32 v33, v33, v68
	v_sub_f32_e32 v69, v32, v72
	v_mul_f32_e32 v32, v67, v33
	v_mul_f32_e32 v33, v66, v33
	v_fma_f32 v32, v66, v69, -v32
	v_fmac_f32_e32 v33, v67, v69
	v_add_u32_e32 v66, s14, v1
	ds_write_b64 v66, v[32:33]
	v_mov_b32_e32 v66, s15
	ds_read_b32 v72, v66 offset:4
	s_add_i32 s14, s15, -12
	v_mov_b32_e32 v66, s14
	s_sub_i32 s14, s15, 20
	v_mov_b32_e32 v68, s14
	s_sub_i32 s14, s15, 28
	scratch_load_dwordx4 v[92:95], off, off offset:128
	scratch_load_dwordx2 v[108:109], off, off offset:168
	v_mov_b32_e32 v73, s14
	ds_read2_b32 v[66:67], v66 offset1:1
	ds_read2_b32 v[68:69], v68 offset1:1
	;; [unrolled: 1-line block ×3, first 2 shown]
	s_waitcnt lgkmcnt(3)
	v_mul_f32_e32 v73, v72, v99
	v_fma_f32 v73, v85, v98, -v73
	v_mul_f32_e32 v85, v85, v99
	s_waitcnt vmcnt(4)
	v_mul_f32_e32 v99, v84, v121
	v_fmac_f32_e32 v85, v72, v98
	s_waitcnt lgkmcnt(2)
	v_fma_f32 v99, v67, v120, -v99
	v_mul_f32_e32 v67, v67, v121
	v_sub_f32_e32 v85, v117, v85
	v_fmac_f32_e32 v67, v84, v120
	v_sub_f32_e32 v98, v116, v73
	v_sub_f32_e32 v67, v85, v67
	v_mul_f32_e32 v85, v66, v41
	s_waitcnt lgkmcnt(1)
	v_mul_f32_e32 v41, v69, v41
	v_sub_f32_e32 v84, v98, v99
	v_fma_f32 v85, v69, v40, -v85
	v_fmac_f32_e32 v41, v66, v40
	v_mul_f32_e32 v66, v68, v57
	scratch_load_dwordx2 v[142:143], off, off offset:80
	scratch_load_dwordx2 v[100:101], off, off offset:8
	;; [unrolled: 1-line block ×3, first 2 shown]
	v_sub_f32_e32 v40, v84, v85
	s_waitcnt lgkmcnt(0)
	v_fma_f32 v66, v87, v56, -v66
	v_mul_f32_e32 v57, v87, v57
	v_sub_f32_e32 v41, v67, v41
	v_fmac_f32_e32 v57, v68, v56
	v_sub_f32_e32 v87, v40, v66
	scratch_load_dwordx4 v[66:69], off, off offset:88
	s_sub_i32 s14, s15, 36
	v_mov_b32_e32 v40, s14
	v_sub_f32_e32 v98, v41, v57
	ds_read2_b32 v[40:41], v40 offset1:1
	s_sub_i32 s14, s15, 44
	v_mov_b32_e32 v56, s14
	s_sub_i32 s14, s15, 52
	v_mov_b32_e32 v84, s14
	s_sub_i32 s14, s15, 60
	v_mul_f32_e32 v99, v86, v141
	v_mov_b32_e32 v102, s14
	ds_read2_b32 v[56:57], v56 offset1:1
	ds_read2_b32 v[84:85], v84 offset1:1
	;; [unrolled: 1-line block ×3, first 2 shown]
	s_waitcnt lgkmcnt(3)
	v_fma_f32 v99, v41, v140, -v99
	v_mul_f32_e32 v41, v41, v141
	v_fmac_f32_e32 v41, v86, v140
	v_sub_f32_e32 v86, v87, v99
	v_sub_f32_e32 v41, v98, v41
	s_add_i32 s14, s15, 0xffffffbc
	scratch_load_dwordx2 v[102:103], off, off offset:40
	scratch_load_dwordx2 v[98:99], off, off offset:40
	s_add_i32 s16, s15, 0xffffffa4
	s_add_i32 s17, s15, 0xffffff9c
	;; [unrolled: 1-line block ×3, first 2 shown]
	v_mov_b32_e32 v149, v80
	v_mov_b32_e32 v147, v76
	s_add_i32 s19, s15, 0xffffff8c
	s_add_i32 s20, s15, 0xffffff84
	s_waitcnt vmcnt(8)
	v_mul_f32_e32 v87, v40, v83
	s_waitcnt lgkmcnt(2)
	v_fma_f32 v87, v57, v82, -v87
	v_mul_f32_e32 v57, v57, v83
	v_fmac_f32_e32 v57, v40, v82
	v_sub_f32_e32 v41, v41, v57
	v_mul_f32_e32 v57, v56, v53
	s_waitcnt lgkmcnt(1)
	v_mul_f32_e32 v53, v85, v53
	v_sub_f32_e32 v40, v86, v87
	v_fma_f32 v57, v85, v52, -v57
	v_fmac_f32_e32 v53, v56, v52
	v_mul_f32_e32 v52, v84, v105
	v_sub_f32_e32 v40, v40, v57
	v_sub_f32_e32 v41, v41, v53
	s_waitcnt lgkmcnt(0)
	v_fma_f32 v52, v117, v104, -v52
	v_mul_f32_e32 v53, v117, v105
	v_fmac_f32_e32 v53, v84, v104
	v_sub_f32_e32 v40, v40, v52
	v_mov_b32_e32 v52, s14
	v_sub_f32_e32 v41, v41, v53
	ds_read2_b32 v[52:53], v52 offset1:1
	s_add_i32 s14, s15, 0xffffffb4
	v_mov_b32_e32 v57, s14
	s_add_i32 s14, s15, 0xffffff68
	v_mov_b32_e32 v84, s14
	ds_read2_b32 v[82:83], v57 offset1:1
	ds_read_b32 v153, v84
	ds_read2_b32 v[140:141], v84 offset0:1 offset1:2
	scratch_load_dwordx4 v[120:123], off, off offset:112
	v_mul_f32_e32 v56, v116, v107
	s_waitcnt lgkmcnt(3)
	v_fma_f32 v56, v53, v106, -v56
	v_mul_f32_e32 v85, v53, v107
	v_mul_f32_e32 v53, v52, v119
	s_add_i32 s14, s15, 0xffffffac
	v_fmac_f32_e32 v85, v116, v106
	v_sub_f32_e32 v40, v40, v56
	s_waitcnt lgkmcnt(2)
	v_fma_f32 v84, v83, v118, -v53
	v_mul_f32_e32 v53, v83, v119
	v_mov_b32_e32 v83, s14
	scratch_load_dwordx2 v[104:105], off, off offset:80
	scratch_load_dwordx2 v[56:57], off, off offset:80
	v_pk_add_f32 v[40:41], v[40:41], v[84:85] neg_lo:[0,1] neg_hi:[0,1]
	ds_read2_b32 v[84:85], v83 offset1:1
	v_mov_b32_e32 v83, s16
	v_mov_b32_e32 v106, s17
	;; [unrolled: 1-line block ×3, first 2 shown]
	v_fmac_f32_e32 v53, v52, v118
	ds_read2_b32 v[86:87], v83 offset1:1
	ds_read2_b32 v[106:107], v106 offset1:1
	;; [unrolled: 1-line block ×3, first 2 shown]
	scratch_load_dwordx4 v[116:119], off, off offset:136
	scratch_load_dwordx4 v[136:139], off, off offset:144
	s_waitcnt vmcnt(10)
	v_mul_f32_e32 v52, v82, v143
	s_waitcnt lgkmcnt(3)
	v_fma_f32 v52, v85, v142, -v52
	v_mov_b32_e32 v83, v142
	v_mov_b32_e32 v142, v81
	s_waitcnt lgkmcnt(2)
	v_mov_b32_e32 v150, v87
	v_mov_b32_e32 v151, v82
	;; [unrolled: 1-line block ×3, first 2 shown]
	v_mul_f32_e32 v152, v87, v80
	v_pk_mul_f32 v[154:155], v[84:85], v[142:143]
	s_waitcnt vmcnt(7)
	v_mov_b32_e32 v80, v69
	v_pk_fma_f32 v[142:143], v[84:85], v[142:143], v[152:153] op_sel_hi:[1,1,0] neg_lo:[1,0,0] neg_hi:[1,0,0]
	v_pk_fma_f32 v[82:83], v[150:151], v[82:83], v[154:155]
	v_pk_add_f32 v[40:41], v[40:41], v[52:53] neg_lo:[0,1] neg_hi:[0,1]
	v_mov_b32_e32 v146, v68
	v_mov_b32_e32 v148, v68
	;; [unrolled: 1-line block ×3, first 2 shown]
	s_waitcnt lgkmcnt(1)
	v_mov_b32_e32 v82, v107
	v_mov_b32_e32 v83, v84
	v_pk_mul_f32 v[80:81], v[86:87], v[80:81]
	v_pk_add_f32 v[40:41], v[40:41], v[142:143] neg_lo:[0,1] neg_hi:[0,1]
	v_mov_b32_e32 v84, v77
	v_mov_b32_e32 v85, v69
	v_pk_fma_f32 v[142:143], v[82:83], v[146:147], v[80:81] neg_lo:[0,0,1] neg_hi:[0,0,1]
	v_pk_fma_f32 v[80:81], v[82:83], v[148:149], v[80:81]
	v_mov_b32_e32 v82, v76
	v_mov_b32_e32 v143, v81
	s_waitcnt lgkmcnt(0)
	v_mov_b32_e32 v80, v145
	v_mov_b32_e32 v81, v86
	v_mov_b32_e32 v83, v68
	v_pk_mul_f32 v[84:85], v[106:107], v[84:85]
	s_add_i32 s22, s15, 0xffffff74
	v_mov_b32_e32 v69, v77
	v_pk_fma_f32 v[86:87], v[80:81], v[82:83], v[84:85] neg_lo:[0,0,1] neg_hi:[0,0,1]
	v_pk_fma_f32 v[80:81], v[80:81], v[82:83], v[84:85]
	v_mov_b32_e32 v77, s19
	s_add_i32 s21, s15, 0xffffff7c
	v_pk_add_f32 v[40:41], v[40:41], v[142:143] neg_lo:[0,1] neg_hi:[0,1]
	v_mov_b32_e32 v87, v81
	ds_read2_b32 v[80:81], v77 offset1:1
	v_mov_b32_e32 v77, s20
	v_mov_b32_e32 v84, s22
	scratch_load_dwordx2 v[52:53], off, off offset:96
	v_mov_b32_e32 v68, v79
	v_pk_add_f32 v[40:41], v[40:41], v[86:87] neg_lo:[0,1] neg_hi:[0,1]
	v_mov_b32_e32 v79, s21
	ds_read2_b32 v[82:83], v77 offset1:1
	ds_read2_b32 v[142:143], v79 offset1:1
	;; [unrolled: 1-line block ×3, first 2 shown]
	scratch_load_dwordx2 v[150:151], off, off offset:176
	scratch_load_dwordx4 v[84:87], off, off offset:112
	s_waitcnt lgkmcnt(3)
	v_mov_b32_e32 v148, v81
	v_mov_b32_e32 v149, v106
	;; [unrolled: 1-line block ×3, first 2 shown]
	v_pk_mul_f32 v[68:69], v[144:145], v[68:69]
	s_add_i32 s14, s15, 0xffffff60
	v_pk_fma_f32 v[106:107], v[148:149], v[78:79], v[68:69] neg_lo:[0,0,1] neg_hi:[0,0,1]
	v_pk_fma_f32 v[68:69], v[148:149], v[78:79], v[68:69]
	v_mov_b32_e32 v78, v91
	v_mov_b32_e32 v107, v69
	s_waitcnt lgkmcnt(2)
	v_mov_b32_e32 v68, v83
	v_mov_b32_e32 v69, v144
	v_pk_add_f32 v[40:41], v[40:41], v[106:107] neg_lo:[0,1] neg_hi:[0,1]
	s_waitcnt vmcnt(7)
	v_mov_b32_e32 v76, v123
	v_mov_b32_e32 v77, v121
	;; [unrolled: 1-line block ×3, first 2 shown]
	v_pk_mul_f32 v[76:77], v[80:81], v[76:77]
	v_mov_b32_e32 v79, v89
	v_pk_fma_f32 v[106:107], v[68:69], v[122:123], v[76:77] neg_lo:[0,0,1] neg_hi:[0,0,1]
	v_pk_fma_f32 v[68:69], v[68:69], v[122:123], v[76:77]
	v_mov_b32_e32 v91, v88
	v_mov_b32_e32 v107, v69
	s_waitcnt lgkmcnt(1)
	v_mov_b32_e32 v68, v143
	v_mov_b32_e32 v69, v80
	v_pk_mul_f32 v[78:79], v[82:83], v[78:79]
	v_mov_b32_e32 v76, v95
	v_mov_b32_e32 v77, v93
	v_pk_fma_f32 v[80:81], v[68:69], v[90:91], v[78:79] neg_lo:[0,0,1] neg_hi:[0,0,1]
	v_pk_fma_f32 v[68:69], v[68:69], v[90:91], v[78:79]
	v_mov_b32_e32 v95, v92
	v_mov_b32_e32 v81, v69
	s_waitcnt lgkmcnt(0)
	v_mov_b32_e32 v68, v147
	v_mov_b32_e32 v69, v82
	v_pk_mul_f32 v[76:77], v[142:143], v[76:77]
	s_waitcnt vmcnt(4)
	v_mov_b32_e32 v88, v119
	v_mov_b32_e32 v89, v117
	v_pk_fma_f32 v[78:79], v[68:69], v[94:95], v[76:77] neg_lo:[0,0,1] neg_hi:[0,0,1]
	v_pk_fma_f32 v[68:69], v[68:69], v[94:95], v[76:77]
	v_pk_add_f32 v[40:41], v[40:41], v[106:107] neg_lo:[0,1] neg_hi:[0,1]
	v_mov_b32_e32 v79, v69
	s_waitcnt vmcnt(3)
	v_mov_b32_e32 v68, v136
	v_mov_b32_e32 v69, v138
	;; [unrolled: 1-line block ×5, first 2 shown]
	v_pk_mul_f32 v[88:89], v[146:147], v[88:89]
	v_mov_b32_e32 v147, v153
	v_pk_add_f32 v[40:41], v[40:41], v[80:81] neg_lo:[0,1] neg_hi:[0,1]
	v_mov_b32_e32 v136, v139
	v_pk_fma_f32 v[92:93], v[90:91], v[118:119], v[88:89] neg_lo:[0,0,1] neg_hi:[0,0,1]
	v_pk_fma_f32 v[88:89], v[90:91], v[118:119], v[88:89]
	v_pk_mul_f32 v[68:69], v[146:147], v[68:69]
	v_pk_add_f32 v[40:41], v[40:41], v[78:79] neg_lo:[0,1] neg_hi:[0,1]
	v_mov_b32_e32 v93, v89
	v_pk_fma_f32 v[88:89], v[140:141], v[136:137], v[68:69] op_sel:[0,0,1] op_sel_hi:[1,1,0] neg_lo:[1,0,0] neg_hi:[1,0,0]
	v_pk_fma_f32 v[68:69], v[140:141], v[136:137], v[68:69] op_sel:[0,0,1] op_sel_hi:[1,1,0]
	v_pk_add_f32 v[40:41], v[40:41], v[92:93] neg_lo:[0,1] neg_hi:[0,1]
	v_mov_b32_e32 v89, v69
	v_mul_f32_e32 v90, v140, v138
	v_mov_b32_e32 v68, s14
	s_add_i32 s14, s15, 0xffffff50
	v_fmac_f32_e32 v90, v153, v139
	v_pk_add_f32 v[40:41], v[40:41], v[88:89] neg_lo:[0,1] neg_hi:[0,1]
	ds_read_b64 v[68:69], v68
	v_mov_b32_e32 v88, s14
	v_sub_f32_e32 v41, v41, v90
	ds_read2_b64 v[88:91], v88 offset1:1
	s_add_i32 s14, s15, 0xffffff40
	s_waitcnt lgkmcnt(1)
	v_mul_f32_e32 v92, v69, v65
	v_mul_f32_e32 v65, v68, v65
	v_fma_f32 v92, v68, v64, -v92
	v_fmac_f32_e32 v65, v69, v64
	s_waitcnt lgkmcnt(0)
	v_mul_f32_e32 v64, v91, v109
	v_sub_f32_e32 v40, v40, v92
	v_fma_f32 v64, v90, v108, -v64
	v_sub_f32_e32 v41, v41, v65
	v_mul_f32_e32 v65, v90, v109
	v_sub_f32_e32 v40, v40, v64
	v_fmac_f32_e32 v65, v91, v108
	s_waitcnt vmcnt(1)
	v_mul_f32_e32 v64, v89, v151
	v_fma_f32 v64, v88, v150, -v64
	v_sub_f32_e32 v41, v41, v65
	v_mul_f32_e32 v65, v88, v151
	v_sub_f32_e32 v40, v40, v64
	v_mov_b32_e32 v64, s14
	scratch_load_dwordx4 v[80:83], off, off offset:136
	scratch_load_dwordx4 v[76:79], off, off offset:144
	scratch_load_dwordx2 v[106:107], off, off offset:176
	scratch_load_dwordx2 v[68:69], off, off offset:176
	v_fmac_f32_e32 v65, v89, v150
	ds_read2_b64 v[88:91], v64 offset1:1
	s_add_i32 s14, s15, 0xffffff30
	v_sub_f32_e32 v41, v41, v65
	scratch_load_dwordx2 v[64:65], off, off offset:24
	v_mov_b32_e32 v92, s14
	s_waitcnt lgkmcnt(0)
	v_mul_f32_e32 v108, v91, v5
	ds_read2_b64 v[92:95], v92 offset1:1
	v_fma_f32 v108, v90, v4, -v108
	v_mul_f32_e32 v90, v90, v5
	v_fmac_f32_e32 v90, v91, v4
	v_sub_f32_e32 v41, v41, v90
	v_mul_f32_e32 v90, v89, v13
	v_fma_f32 v90, v88, v12, -v90
	v_mul_f32_e32 v88, v88, v13
	v_fmac_f32_e32 v88, v89, v12
	v_sub_f32_e32 v40, v40, v108
	v_sub_f32_e32 v41, v41, v88
	s_waitcnt lgkmcnt(0)
	v_mul_f32_e32 v88, v95, v21
	v_sub_f32_e32 v40, v40, v90
	v_fma_f32 v88, v94, v20, -v88
	v_mul_f32_e32 v89, v94, v21
	v_fmac_f32_e32 v89, v95, v20
	v_sub_f32_e32 v40, v40, v88
	v_mul_f32_e32 v88, v93, v29
	v_sub_f32_e32 v41, v41, v89
	v_fma_f32 v88, v92, v28, -v88
	v_mul_f32_e32 v89, v92, v29
	s_add_i32 s14, s4, 0xffffc720
	v_fmac_f32_e32 v89, v93, v28
	v_sub_f32_e32 v40, v40, v88
	v_mov_b32_e32 v88, s14
	v_sub_f32_e32 v41, v41, v89
	ds_read2_b64 v[88:91], v88 offset1:1
	scratch_load_dwordx2 v[108:109], off, off offset:56
	s_add_i32 s14, s12, 0xffffc600
	s_add_i32 s15, s14, s5
	s_add_i32 s16, s15, -4
	s_waitcnt lgkmcnt(0)
	v_mul_f32_e32 v94, v91, v33
	v_fma_f32 v94, v90, v32, -v94
	v_mul_f32_e32 v90, v90, v33
	v_fmac_f32_e32 v90, v91, v32
	v_sub_f32_e32 v41, v41, v90
	v_sub_f32_e32 v91, v40, v94
	v_mul_f32_e32 v40, v89, v41
	v_mul_f32_e32 v41, v88, v41
	v_fma_f32 v40, v88, v91, -v40
	v_fmac_f32_e32 v41, v89, v91
	v_add_u32_e32 v88, s13, v1
	ds_write_b64 v88, v[40:41]
	scratch_load_dwordx2 v[88:89], off, off offset:64
	v_mov_b32_e32 v90, s15
	s_add_i32 s13, s15, -12
	ds_read_b32 v94, v90 offset:4
	v_mov_b32_e32 v90, s13
	s_sub_i32 s13, s15, 20
	v_mov_b32_e32 v95, s13
	s_sub_i32 s13, s15, 28
	v_mov_b32_e32 v92, s16
	v_mov_b32_e32 v118, s13
	ds_read2_b32 v[92:93], v92 offset1:1
	ds_read2_b32 v[90:91], v90 offset1:1
	;; [unrolled: 1-line block ×4, first 2 shown]
	scratch_load_dwordx2 v[122:123], off, off offset:88
	s_waitcnt lgkmcnt(4)
	v_mul_f32_e32 v95, v94, v63
	s_sub_i32 s13, s15, 36
	s_waitcnt lgkmcnt(3)
	v_fma_f32 v95, v93, v62, -v95
	v_mul_f32_e32 v63, v93, v63
	v_mul_f32_e32 v93, v92, v101
	v_fmac_f32_e32 v63, v94, v62
	s_waitcnt lgkmcnt(2)
	v_fma_f32 v93, v91, v100, -v93
	v_mul_f32_e32 v91, v91, v101
	v_sub_f32_e32 v63, v115, v63
	v_fmac_f32_e32 v91, v92, v100
	v_sub_f32_e32 v62, v114, v95
	v_sub_f32_e32 v63, v63, v91
	v_mul_f32_e32 v91, v90, v135
	s_waitcnt lgkmcnt(1)
	v_mul_f32_e32 v92, v117, v135
	v_sub_f32_e32 v62, v62, v93
	v_fma_f32 v91, v117, v134, -v91
	v_fmac_f32_e32 v92, v90, v134
	v_sub_f32_e32 v62, v62, v91
	v_sub_f32_e32 v63, v63, v92
	scratch_load_dwordx2 v[94:95], off, off offset:24
	s_add_i32 s16, s15, 0xffffff9c
	s_waitcnt vmcnt(4)
	v_mul_f32_e32 v90, v116, v65
	s_waitcnt lgkmcnt(0)
	v_fma_f32 v90, v119, v64, -v90
	v_sub_f32_e32 v100, v62, v90
	v_mov_b32_e32 v62, s13
	ds_read2_b32 v[90:91], v62 offset1:1
	s_sub_i32 s13, s15, 44
	v_mov_b32_e32 v92, s13
	s_sub_i32 s13, s15, 52
	v_mul_f32_e32 v65, v119, v65
	v_mov_b32_e32 v114, s13
	s_sub_i32 s13, s15, 60
	v_fmac_f32_e32 v65, v116, v64
	v_mul_f32_e32 v119, v118, v133
	v_mov_b32_e32 v116, s13
	v_sub_f32_e32 v101, v63, v65
	scratch_load_dwordx4 v[62:65], off, off offset:96
	ds_read2_b32 v[92:93], v92 offset1:1
	ds_read2_b32 v[114:115], v114 offset1:1
	;; [unrolled: 1-line block ×3, first 2 shown]
	s_waitcnt lgkmcnt(3)
	v_fma_f32 v119, v91, v132, -v119
	v_mul_f32_e32 v91, v91, v133
	v_fmac_f32_e32 v91, v118, v132
	v_sub_f32_e32 v91, v101, v91
	v_mul_f32_e32 v101, v90, v103
	s_waitcnt lgkmcnt(2)
	v_fma_f32 v101, v93, v102, -v101
	v_mul_f32_e32 v93, v93, v103
	v_sub_f32_e32 v100, v100, v119
	v_fmac_f32_e32 v93, v90, v102
	v_sub_f32_e32 v90, v100, v101
	v_sub_f32_e32 v91, v91, v93
	v_mul_f32_e32 v93, v92, v131
	s_waitcnt lgkmcnt(1)
	v_mul_f32_e32 v100, v115, v131
	v_fma_f32 v93, v115, v130, -v93
	v_fmac_f32_e32 v100, v92, v130
	s_waitcnt vmcnt(4)
	v_mul_f32_e32 v92, v114, v109
	v_sub_f32_e32 v90, v90, v93
	s_waitcnt lgkmcnt(0)
	v_fma_f32 v92, v117, v108, -v92
	v_mul_f32_e32 v93, v117, v109
	s_add_i32 s13, s15, 0xffffffbc
	v_sub_f32_e32 v91, v91, v100
	v_fmac_f32_e32 v93, v114, v108
	v_sub_f32_e32 v114, v90, v92
	v_mov_b32_e32 v90, s13
	v_sub_f32_e32 v115, v91, v93
	ds_read2_b32 v[90:91], v90 offset1:1
	s_add_i32 s13, s15, 0xffffffb4
	v_mov_b32_e32 v92, s13
	s_add_i32 s13, s15, 0xffffffac
	v_mov_b32_e32 v108, s13
	s_add_i32 s13, s15, 0xffffff60
	scratch_load_dwordx2 v[100:101], off, off offset:56
	scratch_load_dwordx2 v[102:103], off, off offset:64
	s_waitcnt vmcnt(5)
	v_mul_f32_e32 v117, v116, v89
	v_mov_b32_e32 v130, s13
	ds_read2_b32 v[92:93], v92 offset1:1
	ds_read2_b32 v[108:109], v108 offset1:1
	ds_read_b32 v146, v130
	s_waitcnt lgkmcnt(3)
	v_mul_f32_e32 v89, v91, v89
	v_fma_f32 v117, v91, v88, -v117
	v_fmac_f32_e32 v89, v116, v88
	v_sub_f32_e32 v88, v114, v117
	v_sub_f32_e32 v89, v115, v89
	v_mul_f32_e32 v91, v90, v97
	scratch_load_dwordx4 v[114:117], off, off offset:120
	s_waitcnt lgkmcnt(2)
	v_fma_f32 v118, v93, v96, -v91
	v_sub_f32_e32 v88, v88, v118
	scratch_load_dwordx4 v[118:121], off, off offset:128
	v_mul_f32_e32 v91, v93, v97
	v_fmac_f32_e32 v91, v90, v96
	v_mul_f32_e32 v90, v92, v105
	s_waitcnt lgkmcnt(1)
	v_fma_f32 v90, v109, v104, -v90
	s_add_i32 s13, s15, 0xffffffa4
	v_pk_add_f32 v[88:89], v[88:89], v[90:91] neg_lo:[0,1] neg_hi:[0,1]
	v_mov_b32_e32 v90, s13
	v_mul_f32_e32 v93, v109, v105
	ds_read2_b32 v[90:91], v90 offset1:1
	v_fmac_f32_e32 v93, v92, v104
	s_add_i32 s17, s15, 0xffffff94
	v_mov_b32_e32 v104, s16
	scratch_load_dwordx2 v[96:97], off, off offset:88
	v_mov_b32_e32 v109, s17
	ds_read2_b32 v[104:105], v104 offset1:1
	ds_read2_b32 v[134:135], v109 offset1:1
	ds_read2_b32 v[136:137], v130 offset0:1 offset1:2
	s_waitcnt vmcnt(7)
	v_mul_f32_e32 v92, v108, v123
	s_waitcnt lgkmcnt(3)
	v_fma_f32 v92, v91, v122, -v92
	v_mov_b32_e32 v109, v122
	s_waitcnt lgkmcnt(2)
	v_mul_f32_e32 v130, v105, v52
	v_mov_b32_e32 v122, v53
	v_pk_mul_f32 v[144:145], v[90:91], v[122:123]
	v_pk_fma_f32 v[122:123], v[90:91], v[122:123], v[130:131] op_sel_hi:[1,1,0] neg_lo:[1,0,0] neg_hi:[1,0,0]
	scratch_load_dwordx4 v[130:133], off, off offset:152
	v_mov_b32_e32 v142, v105
	v_mov_b32_e32 v143, v108
	;; [unrolled: 1-line block ×3, first 2 shown]
	s_add_i32 s18, s15, 0xffffff8c
	v_mov_b32_e32 v141, v52
	v_pk_fma_f32 v[108:109], v[142:143], v[108:109], v[144:145]
	v_pk_add_f32 v[88:89], v[88:89], v[92:93] neg_lo:[0,1] neg_hi:[0,1]
	v_mov_b32_e32 v139, v84
	v_mov_b32_e32 v123, v109
	s_waitcnt vmcnt(6)
	v_mov_b32_e32 v52, v65
	v_mov_b32_e32 v138, v64
	;; [unrolled: 1-line block ×3, first 2 shown]
	s_waitcnt lgkmcnt(1)
	v_mov_b32_e32 v108, v135
	v_mov_b32_e32 v109, v90
	;; [unrolled: 1-line block ×3, first 2 shown]
	v_pk_mul_f32 v[52:53], v[104:105], v[52:53]
	v_mov_b32_e32 v65, s18
	v_pk_add_f32 v[88:89], v[88:89], v[122:123] neg_lo:[0,1] neg_hi:[0,1]
	v_pk_fma_f32 v[122:123], v[108:109], v[138:139], v[52:53] neg_lo:[0,0,1] neg_hi:[0,0,1]
	v_pk_fma_f32 v[52:53], v[108:109], v[140:141], v[52:53]
	ds_read2_b32 v[108:109], v65 offset1:1
	s_add_i32 s19, s15, 0xffffff84
	s_add_i32 s20, s15, 0xffffff7c
	;; [unrolled: 1-line block ×3, first 2 shown]
	v_mov_b32_e32 v123, v53
	v_mov_b32_e32 v65, s19
	scratch_load_dwordx2 v[92:93], off, off offset:104
	v_pk_add_f32 v[52:53], v[88:89], v[122:123] neg_lo:[0,1] neg_hi:[0,1]
	v_mov_b32_e32 v88, s20
	v_mov_b32_e32 v89, s21
	ds_read2_b32 v[122:123], v65 offset1:1
	ds_read2_b32 v[138:139], v88 offset1:1
	;; [unrolled: 1-line block ×3, first 2 shown]
	v_mov_b32_e32 v90, v85
	s_waitcnt lgkmcnt(3)
	v_mov_b32_e32 v88, v109
	v_mov_b32_e32 v89, v104
	;; [unrolled: 1-line block ×6, first 2 shown]
	v_pk_mul_f32 v[90:91], v[134:135], v[90:91]
	v_mov_b32_e32 v87, v84
	v_pk_fma_f32 v[142:143], v[88:89], v[104:105], v[90:91] neg_lo:[0,0,1] neg_hi:[0,0,1]
	v_pk_fma_f32 v[88:89], v[88:89], v[104:105], v[90:91]
	s_waitcnt lgkmcnt(2)
	v_mov_b32_e32 v104, v123
	v_mov_b32_e32 v105, v134
	v_pk_mul_f32 v[64:65], v[108:109], v[64:65]
	v_mov_b32_e32 v143, v89
	v_pk_fma_f32 v[84:85], v[104:105], v[86:87], v[64:65] neg_lo:[0,0,1] neg_hi:[0,0,1]
	v_pk_fma_f32 v[64:65], v[104:105], v[86:87], v[64:65]
	v_pk_add_f32 v[52:53], v[52:53], v[142:143] neg_lo:[0,1] neg_hi:[0,1]
	v_mov_b32_e32 v85, v65
	s_waitcnt lgkmcnt(1)
	v_mov_b32_e32 v64, v139
	v_mov_b32_e32 v65, v108
	v_pk_add_f32 v[52:53], v[52:53], v[84:85] neg_lo:[0,1] neg_hi:[0,1]
	s_waitcnt vmcnt(4)
	v_mov_b32_e32 v134, v117
	v_mov_b32_e32 v135, v115
	v_mov_b32_e32 v117, v114
	v_pk_mul_f32 v[108:109], v[122:123], v[134:135]
	s_waitcnt vmcnt(3)
	v_mov_b32_e32 v104, v121
	v_mov_b32_e32 v105, v119
	v_pk_fma_f32 v[114:115], v[64:65], v[116:117], v[108:109] neg_lo:[0,0,1] neg_hi:[0,0,1]
	v_pk_fma_f32 v[64:65], v[64:65], v[116:117], v[108:109]
	v_mov_b32_e32 v121, v118
	v_mov_b32_e32 v115, v65
	s_waitcnt lgkmcnt(0)
	v_mov_b32_e32 v64, v141
	v_mov_b32_e32 v65, v122
	v_pk_mul_f32 v[104:105], v[138:139], v[104:105]
	s_add_i32 s22, s15, 0xffffff6c
	v_pk_add_f32 v[52:53], v[52:53], v[114:115] neg_lo:[0,1] neg_hi:[0,1]
	v_pk_fma_f32 v[114:115], v[64:65], v[120:121], v[104:105] neg_lo:[0,0,1] neg_hi:[0,0,1]
	v_pk_fma_f32 v[64:65], v[64:65], v[120:121], v[104:105]
	s_add_i32 s13, s15, 0xffffff58
	v_mov_b32_e32 v64, s22
	v_mov_b32_e32 v115, v65
	ds_read2_b32 v[64:65], v64 offset1:1
	v_mov_b32_e32 v108, v83
	v_mov_b32_e32 v109, v81
	v_mov_b32_e32 v81, s13
	v_pk_add_f32 v[52:53], v[52:53], v[114:115] neg_lo:[0,1] neg_hi:[0,1]
	ds_read_b64 v[104:105], v81
	s_waitcnt lgkmcnt(1)
	v_mov_b32_e32 v114, v65
	v_mov_b32_e32 v115, v138
	;; [unrolled: 1-line block ×3, first 2 shown]
	v_pk_mul_f32 v[80:81], v[140:141], v[108:109]
	v_mov_b32_e32 v116, v79
	v_pk_fma_f32 v[108:109], v[114:115], v[82:83], v[80:81] neg_lo:[0,0,1] neg_hi:[0,0,1]
	v_pk_fma_f32 v[80:81], v[114:115], v[82:83], v[80:81]
	v_mov_b32_e32 v117, v77
	v_mov_b32_e32 v109, v81
	v_pk_add_f32 v[52:53], v[52:53], v[108:109] neg_lo:[0,1] neg_hi:[0,1]
	s_waitcnt vmcnt(1)
	v_mov_b32_e32 v108, v130
	v_mov_b32_e32 v109, v132
	;; [unrolled: 1-line block ×5, first 2 shown]
	v_pk_mul_f32 v[76:77], v[64:65], v[116:117]
	v_mov_b32_e32 v65, v146
	v_mov_b32_e32 v130, v133
	v_pk_fma_f32 v[116:117], v[114:115], v[78:79], v[76:77] neg_lo:[0,0,1] neg_hi:[0,0,1]
	v_pk_fma_f32 v[76:77], v[114:115], v[78:79], v[76:77]
	v_pk_mul_f32 v[64:65], v[64:65], v[108:109]
	v_mov_b32_e32 v117, v77
	v_pk_fma_f32 v[76:77], v[136:137], v[130:131], v[64:65] op_sel:[0,0,1] op_sel_hi:[1,1,0] neg_lo:[1,0,0] neg_hi:[1,0,0]
	v_pk_fma_f32 v[64:65], v[136:137], v[130:131], v[64:65] op_sel:[0,0,1] op_sel_hi:[1,1,0]
	v_pk_add_f32 v[52:53], v[52:53], v[116:117] neg_lo:[0,1] neg_hi:[0,1]
	v_mov_b32_e32 v77, v65
	v_mul_f32_e32 v64, v136, v132
	v_fmac_f32_e32 v64, v146, v133
	v_pk_add_f32 v[52:53], v[52:53], v[76:77] neg_lo:[0,1] neg_hi:[0,1]
	s_add_i32 s13, s15, 0xffffff48
	v_sub_f32_e32 v53, v53, v64
	s_waitcnt lgkmcnt(0)
	v_mul_f32_e32 v64, v105, v59
	v_mul_f32_e32 v59, v104, v59
	v_fma_f32 v64, v104, v58, -v64
	v_fmac_f32_e32 v59, v105, v58
	v_mov_b32_e32 v58, s13
	ds_read2_b64 v[76:79], v58 offset1:1
	s_add_i32 s13, s15, 0xffffff38
	v_mov_b32_e32 v58, s13
	ds_read2_b64 v[114:117], v58 offset1:1
	v_sub_f32_e32 v52, v52, v64
	s_waitcnt lgkmcnt(1)
	v_mul_f32_e32 v58, v79, v107
	v_fma_f32 v58, v78, v106, -v58
	v_sub_f32_e32 v52, v52, v58
	v_mul_f32_e32 v58, v77, v5
	v_fma_f32 v58, v76, v4, -v58
	v_sub_f32_e32 v52, v52, v58
	s_waitcnt lgkmcnt(0)
	v_mul_f32_e32 v58, v117, v13
	v_fma_f32 v58, v116, v12, -v58
	v_sub_f32_e32 v53, v53, v59
	v_mul_f32_e32 v59, v78, v107
	v_sub_f32_e32 v52, v52, v58
	v_mul_f32_e32 v58, v115, v21
	v_fmac_f32_e32 v59, v79, v106
	v_fma_f32 v58, v114, v20, -v58
	s_add_i32 s13, s15, 0xffffff28
	v_sub_f32_e32 v53, v53, v59
	v_mul_f32_e32 v59, v76, v5
	v_sub_f32_e32 v52, v52, v58
	v_mov_b32_e32 v58, s13
	v_fmac_f32_e32 v59, v77, v4
	ds_read2_b64 v[76:79], v58 offset1:1
	v_sub_f32_e32 v53, v53, v59
	v_mul_f32_e32 v59, v116, v13
	v_fmac_f32_e32 v59, v117, v12
	s_add_i32 s13, s4, 0xffffc518
	v_sub_f32_e32 v53, v53, v59
	v_mul_f32_e32 v59, v114, v21
	v_mov_b32_e32 v58, s13
	v_fmac_f32_e32 v59, v115, v20
	ds_read2_b64 v[104:107], v58 offset1:1
	v_sub_f32_e32 v53, v53, v59
	s_waitcnt lgkmcnt(1)
	v_mul_f32_e32 v59, v78, v29
	v_mul_f32_e32 v58, v79, v29
	v_fmac_f32_e32 v59, v79, v28
	v_fma_f32 v58, v78, v28, -v58
	v_sub_f32_e32 v53, v53, v59
	v_mul_f32_e32 v59, v76, v33
	v_sub_f32_e32 v52, v52, v58
	v_mul_f32_e32 v58, v77, v33
	v_fmac_f32_e32 v59, v77, v32
	v_fma_f32 v58, v76, v32, -v58
	v_sub_f32_e32 v53, v53, v59
	s_waitcnt lgkmcnt(0)
	v_mul_f32_e32 v59, v106, v41
	v_sub_f32_e32 v52, v52, v58
	v_mul_f32_e32 v58, v107, v41
	v_fmac_f32_e32 v59, v107, v40
	v_fma_f32 v58, v106, v40, -v58
	v_sub_f32_e32 v53, v53, v59
	v_sub_f32_e32 v58, v52, v58
	v_mul_f32_e32 v52, v105, v53
	v_mul_f32_e32 v53, v104, v53
	s_add_i32 s13, s12, 0xffffc400
	v_fma_f32 v52, v104, v58, -v52
	v_fmac_f32_e32 v53, v105, v58
	v_add_u32_e32 v58, s14, v1
	s_add_i32 s14, s13, s5
	s_add_i32 s15, s14, -4
	ds_write_b64 v58, v[52:53]
	v_mov_b32_e32 v58, s15
	scratch_load_dwordx4 v[88:91], off, off offset:120
	scratch_load_dwordx4 v[84:87], off, off offset:128
	;; [unrolled: 1-line block ×3, first 2 shown]
	v_mov_b32_e32 v64, s14
	ds_read2_b32 v[58:59], v58 offset1:1
	ds_read_b32 v78, v64 offset:4
	s_add_i32 s15, s14, -12
	v_mov_b32_e32 v64, s15
	s_sub_i32 s15, s14, 20
	v_mov_b32_e32 v76, s15
	ds_read2_b32 v[64:65], v64 offset1:1
	ds_read2_b32 v[76:77], v76 offset1:1
	s_waitcnt lgkmcnt(2)
	v_mul_f32_e32 v79, v78, v49
	v_fma_f32 v79, v59, v48, -v79
	v_mul_f32_e32 v49, v59, v49
	v_mul_f32_e32 v59, v58, v73
	v_fmac_f32_e32 v49, v78, v48
	v_sub_f32_e32 v48, v112, v79
	s_waitcnt lgkmcnt(1)
	v_fma_f32 v59, v65, v72, -v59
	v_mul_f32_e32 v65, v65, v73
	v_sub_f32_e32 v49, v113, v49
	v_fmac_f32_e32 v65, v58, v72
	v_sub_f32_e32 v48, v48, v59
	s_waitcnt lgkmcnt(0)
	v_mul_f32_e32 v59, v77, v125
	v_sub_f32_e32 v49, v49, v65
	v_mul_f32_e32 v58, v64, v125
	v_fmac_f32_e32 v59, v64, v124
	scratch_load_dwordx2 v[64:65], off, off offset:96
	v_fma_f32 v58, v77, v124, -v58
	s_sub_i32 s15, s14, 28
	v_sub_f32_e32 v77, v48, v58
	v_mov_b32_e32 v48, s15
	v_sub_f32_e32 v104, v49, v59
	ds_read2_b32 v[48:49], v48 offset1:1
	s_sub_i32 s15, s14, 36
	v_mov_b32_e32 v58, s15
	s_sub_i32 s15, s14, 44
	v_mov_b32_e32 v72, s15
	;; [unrolled: 2-line block ×3, first 2 shown]
	v_mul_f32_e32 v105, v76, v95
	ds_read2_b32 v[58:59], v58 offset1:1
	ds_read2_b32 v[72:73], v72 offset1:1
	;; [unrolled: 1-line block ×3, first 2 shown]
	s_waitcnt lgkmcnt(3)
	v_fma_f32 v105, v49, v94, -v105
	v_mul_f32_e32 v49, v49, v95
	v_fmac_f32_e32 v49, v76, v94
	v_sub_f32_e32 v76, v77, v105
	v_mul_f32_e32 v77, v48, v127
	s_waitcnt lgkmcnt(2)
	v_fma_f32 v77, v59, v126, -v77
	v_mul_f32_e32 v59, v59, v127
	v_sub_f32_e32 v49, v104, v49
	v_fmac_f32_e32 v59, v48, v126
	v_sub_f32_e32 v49, v49, v59
	v_mul_f32_e32 v59, v58, v99
	s_waitcnt lgkmcnt(1)
	v_fma_f32 v59, v73, v98, -v59
	v_mul_f32_e32 v73, v73, v99
	v_sub_f32_e32 v48, v76, v77
	v_fmac_f32_e32 v73, v58, v98
	v_mul_f32_e32 v58, v72, v129
	v_sub_f32_e32 v48, v48, v59
	s_waitcnt lgkmcnt(0)
	v_fma_f32 v58, v79, v128, -v58
	v_mul_f32_e32 v59, v79, v129
	s_sub_i32 s15, s14, 60
	v_sub_f32_e32 v49, v49, v73
	v_fmac_f32_e32 v59, v72, v128
	v_sub_f32_e32 v79, v48, v58
	v_mov_b32_e32 v48, s15
	v_sub_f32_e32 v94, v49, v59
	ds_read2_b32 v[48:49], v48 offset1:1
	s_add_i32 s15, s14, 0xffffffbc
	v_mov_b32_e32 v58, s15
	s_add_i32 s15, s14, 0xffffffb4
	v_mov_b32_e32 v72, s15
	;; [unrolled: 2-line block ×3, first 2 shown]
	v_mul_f32_e32 v95, v78, v101
	ds_read2_b32 v[58:59], v58 offset1:1
	ds_read2_b32 v[72:73], v72 offset1:1
	;; [unrolled: 1-line block ×3, first 2 shown]
	s_waitcnt lgkmcnt(3)
	v_fma_f32 v95, v49, v100, -v95
	v_mul_f32_e32 v49, v49, v101
	v_fmac_f32_e32 v49, v78, v100
	v_sub_f32_e32 v78, v79, v95
	v_mul_f32_e32 v79, v48, v103
	s_waitcnt lgkmcnt(2)
	v_fma_f32 v79, v59, v102, -v79
	v_mul_f32_e32 v59, v59, v103
	v_sub_f32_e32 v49, v94, v49
	v_fmac_f32_e32 v59, v48, v102
	v_sub_f32_e32 v49, v49, v59
	v_mul_f32_e32 v59, v58, v45
	v_sub_f32_e32 v48, v78, v79
	s_waitcnt lgkmcnt(1)
	v_fma_f32 v59, v73, v44, -v59
	v_mul_f32_e32 v45, v73, v45
	v_fmac_f32_e32 v45, v58, v44
	v_sub_f32_e32 v44, v48, v59
	v_mul_f32_e32 v48, v72, v57
	s_waitcnt lgkmcnt(0)
	v_fma_f32 v48, v77, v56, -v48
	s_add_i32 s15, s14, 0xffffffa4
	v_sub_f32_e32 v45, v49, v45
	v_mul_f32_e32 v49, v77, v57
	v_sub_f32_e32 v44, v44, v48
	v_mov_b32_e32 v48, s15
	v_fmac_f32_e32 v49, v72, v56
	ds_read2_b32 v[72:73], v48 offset1:1
	s_add_i32 s15, s14, 0xffffff9c
	s_add_i32 s16, s14, 0xffffff58
	v_mov_b32_e32 v56, s16
	v_mov_b32_e32 v57, s15
	ds_read_b32 v117, v56
	ds_read2_b32 v[78:79], v57 offset1:1
	ds_read2_b32 v[102:103], v56 offset0:1 offset1:2
	scratch_load_dwordx4 v[56:59], off, off offset:136
	v_mul_f32_e32 v48, v76, v97
	s_waitcnt lgkmcnt(3)
	v_mul_f32_e32 v77, v73, v97
	v_fma_f32 v48, v73, v96, -v48
	v_fmac_f32_e32 v77, v76, v96
	scratch_load_dwordx4 v[94:97], off, off offset:144
	s_waitcnt vmcnt(2)
	v_mul_f32_e32 v73, v72, v65
	s_add_i32 s15, s14, 0xffffff94
	s_add_i32 s16, s14, 0xffffff8c
	;; [unrolled: 1-line block ×4, first 2 shown]
	v_pk_add_f32 v[44:45], v[44:45], v[48:49] neg_lo:[0,1] neg_hi:[0,1]
	s_waitcnt lgkmcnt(1)
	v_fma_f32 v76, v79, v64, -v73
	v_mov_b32_e32 v48, s15
	v_mov_b32_e32 v73, s16
	;; [unrolled: 1-line block ×4, first 2 shown]
	ds_read2_b32 v[48:49], v48 offset1:1
	ds_read2_b32 v[106:107], v73 offset1:1
	;; [unrolled: 1-line block ×4, first 2 shown]
	scratch_load_dwordx4 v[98:101], off, off offset:160
	v_mov_b32_e32 v73, v64
	v_mov_b32_e32 v64, v93
	s_waitcnt lgkmcnt(3)
	v_mov_b32_e32 v114, v49
	v_mov_b32_e32 v115, v72
	;; [unrolled: 1-line block ×3, first 2 shown]
	v_mul_f32_e32 v116, v49, v92
	v_pk_mul_f32 v[118:119], v[78:79], v[64:65]
	v_pk_fma_f32 v[64:65], v[78:79], v[64:65], v[116:117] op_sel_hi:[1,1,0] neg_lo:[1,0,0] neg_hi:[1,0,0]
	v_pk_fma_f32 v[72:73], v[114:115], v[72:73], v[118:119]
	v_pk_add_f32 v[44:45], v[44:45], v[76:77] neg_lo:[0,1] neg_hi:[0,1]
	v_mov_b32_e32 v105, v92
	v_mov_b32_e32 v92, v37
	;; [unrolled: 1-line block ×6, first 2 shown]
	v_pk_add_f32 v[44:45], v[44:45], v[64:65] neg_lo:[0,1] neg_hi:[0,1]
	s_waitcnt lgkmcnt(2)
	v_mov_b32_e32 v64, v107
	v_mov_b32_e32 v65, v78
	v_pk_mul_f32 v[78:79], v[48:49], v[92:93]
	v_mov_b32_e32 v72, v89
	v_mov_b32_e32 v73, v37
	v_pk_fma_f32 v[76:77], v[64:65], v[76:77], v[78:79] neg_lo:[0,0,1] neg_hi:[0,0,1]
	v_pk_fma_f32 v[64:65], v[64:65], v[104:105], v[78:79]
	v_mov_b32_e32 v49, v36
	v_mov_b32_e32 v77, v65
	s_waitcnt lgkmcnt(1)
	v_mov_b32_e32 v64, v109
	v_mov_b32_e32 v65, v48
	;; [unrolled: 1-line block ×3, first 2 shown]
	v_pk_mul_f32 v[72:73], v[106:107], v[72:73]
	v_pk_add_f32 v[44:45], v[44:45], v[76:77] neg_lo:[0,1] neg_hi:[0,1]
	v_mov_b32_e32 v36, v91
	v_mov_b32_e32 v37, v89
	v_pk_fma_f32 v[76:77], v[64:65], v[48:49], v[72:73] neg_lo:[0,0,1] neg_hi:[0,0,1]
	v_pk_fma_f32 v[48:49], v[64:65], v[48:49], v[72:73]
	v_mov_b32_e32 v91, v88
	v_mov_b32_e32 v77, v49
	s_waitcnt lgkmcnt(0)
	v_mov_b32_e32 v48, v113
	v_mov_b32_e32 v49, v106
	v_pk_mul_f32 v[36:37], v[108:109], v[36:37]
	s_add_i32 s19, s14, 0xffffff74
	v_pk_fma_f32 v[72:73], v[48:49], v[90:91], v[36:37] neg_lo:[0,0,1] neg_hi:[0,0,1]
	v_pk_fma_f32 v[36:37], v[48:49], v[90:91], v[36:37]
	v_pk_add_f32 v[44:45], v[44:45], v[76:77] neg_lo:[0,1] neg_hi:[0,1]
	v_mov_b32_e32 v73, v37
	v_pk_add_f32 v[36:37], v[44:45], v[72:73] neg_lo:[0,1] neg_hi:[0,1]
	v_mov_b32_e32 v44, s19
	ds_read2_b32 v[44:45], v44 offset1:1
	s_add_i32 s20, s14, 0xffffff6c
	s_add_i32 s21, s14, 0xffffff64
	v_mov_b32_e32 v48, s20
	v_mov_b32_e32 v72, s21
	s_add_i32 s15, s14, 0xffffff50
	v_mov_b32_e32 v64, v87
	v_mov_b32_e32 v65, v85
	;; [unrolled: 1-line block ×3, first 2 shown]
	ds_read2_b32 v[48:49], v48 offset1:1
	ds_read2_b32 v[72:73], v72 offset1:1
	ds_read_b64 v[92:93], v76
	s_waitcnt lgkmcnt(3)
	v_mov_b32_e32 v76, v45
	v_mov_b32_e32 v77, v108
	;; [unrolled: 1-line block ×3, first 2 shown]
	v_pk_mul_f32 v[64:65], v[112:113], v[64:65]
	s_waitcnt vmcnt(2)
	v_mov_b32_e32 v84, v59
	v_mov_b32_e32 v85, v57
	v_pk_fma_f32 v[78:79], v[76:77], v[86:87], v[64:65] neg_lo:[0,0,1] neg_hi:[0,0,1]
	v_pk_fma_f32 v[64:65], v[76:77], v[86:87], v[64:65]
	v_mov_b32_e32 v59, v56
	v_mov_b32_e32 v79, v65
	s_waitcnt lgkmcnt(2)
	v_mov_b32_e32 v64, v49
	v_mov_b32_e32 v65, v112
	v_pk_mul_f32 v[84:85], v[44:45], v[84:85]
	s_waitcnt vmcnt(1)
	v_mov_b32_e32 v56, v97
	v_mov_b32_e32 v57, v95
	v_pk_fma_f32 v[86:87], v[64:65], v[58:59], v[84:85] neg_lo:[0,0,1] neg_hi:[0,0,1]
	v_pk_fma_f32 v[58:59], v[64:65], v[58:59], v[84:85]
	v_mov_b32_e32 v97, v94
	v_mov_b32_e32 v87, v59
	s_waitcnt lgkmcnt(1)
	v_mov_b32_e32 v58, v73
	v_mov_b32_e32 v59, v44
	v_pk_mul_f32 v[56:57], v[48:49], v[56:57]
	v_pk_add_f32 v[36:37], v[36:37], v[78:79] neg_lo:[0,1] neg_hi:[0,1]
	v_mov_b32_e32 v44, v83
	v_mov_b32_e32 v45, v81
	v_pk_fma_f32 v[64:65], v[58:59], v[96:97], v[56:57] neg_lo:[0,0,1] neg_hi:[0,0,1]
	v_pk_fma_f32 v[56:57], v[58:59], v[96:97], v[56:57]
	v_pk_add_f32 v[36:37], v[36:37], v[86:87] neg_lo:[0,1] neg_hi:[0,1]
	v_mov_b32_e32 v65, v57
	v_mov_b32_e32 v84, v103
	;; [unrolled: 1-line block ×4, first 2 shown]
	v_pk_mul_f32 v[44:45], v[72:73], v[44:45]
	v_pk_add_f32 v[36:37], v[36:37], v[64:65] neg_lo:[0,1] neg_hi:[0,1]
	s_waitcnt vmcnt(0)
	v_mov_b32_e32 v64, v98
	v_mov_b32_e32 v65, v100
	v_pk_fma_f32 v[48:49], v[84:85], v[82:83], v[44:45] neg_lo:[0,0,1] neg_hi:[0,0,1]
	v_pk_fma_f32 v[44:45], v[84:85], v[82:83], v[44:45]
	v_mov_b32_e32 v73, v117
	v_mov_b32_e32 v98, v101
	;; [unrolled: 1-line block ×3, first 2 shown]
	v_pk_mul_f32 v[44:45], v[72:73], v[64:65]
	v_pk_add_f32 v[36:37], v[36:37], v[48:49] neg_lo:[0,1] neg_hi:[0,1]
	v_pk_fma_f32 v[48:49], v[102:103], v[98:99], v[44:45] op_sel:[0,0,1] op_sel_hi:[1,1,0] neg_lo:[1,0,0] neg_hi:[1,0,0]
	v_pk_fma_f32 v[44:45], v[102:103], v[98:99], v[44:45] op_sel:[0,0,1] op_sel_hi:[1,1,0]
	s_add_i32 s15, s14, 0xffffff40
	v_mov_b32_e32 v49, v45
	v_mul_f32_e32 v44, v102, v100
	v_fmac_f32_e32 v44, v117, v101
	v_pk_add_f32 v[36:37], v[36:37], v[48:49] neg_lo:[0,1] neg_hi:[0,1]
	scratch_load_dwordx4 v[88:91], off, off offset:136
	v_sub_f32_e32 v37, v37, v44
	s_waitcnt lgkmcnt(0)
	v_mul_f32_e32 v44, v93, v69
	v_fma_f32 v44, v92, v68, -v44
	v_sub_f32_e32 v36, v36, v44
	v_mov_b32_e32 v44, s15
	ds_read2_b64 v[80:83], v44 offset1:1
	s_add_i32 s15, s14, 0xffffff30
	v_mov_b32_e32 v44, s15
	ds_read2_b64 v[84:87], v44 offset1:1
	v_mul_f32_e32 v45, v92, v69
	s_waitcnt lgkmcnt(1)
	v_mul_f32_e32 v44, v83, v5
	v_fma_f32 v44, v82, v4, -v44
	v_sub_f32_e32 v36, v36, v44
	v_mul_f32_e32 v44, v81, v13
	v_fma_f32 v44, v80, v12, -v44
	v_sub_f32_e32 v36, v36, v44
	s_waitcnt lgkmcnt(0)
	v_mul_f32_e32 v44, v87, v21
	v_fmac_f32_e32 v45, v93, v68
	v_fma_f32 v44, v86, v20, -v44
	v_sub_f32_e32 v37, v37, v45
	v_mul_f32_e32 v45, v82, v5
	v_sub_f32_e32 v36, v36, v44
	v_mul_f32_e32 v44, v85, v29
	v_fmac_f32_e32 v45, v83, v4
	v_fma_f32 v44, v84, v28, -v44
	s_addk_i32 s14, 0xff20
	v_sub_f32_e32 v37, v37, v45
	v_mul_f32_e32 v45, v80, v13
	v_sub_f32_e32 v36, v36, v44
	v_mov_b32_e32 v44, s14
	v_fmac_f32_e32 v45, v81, v12
	ds_read2_b64 v[80:83], v44 offset1:1
	scratch_load_dwordx4 v[76:79], off, off offset:144
	v_sub_f32_e32 v37, v37, v45
	v_mul_f32_e32 v45, v86, v21
	v_fmac_f32_e32 v45, v87, v20
	s_add_i32 s14, s4, 0xffffc310
	v_sub_f32_e32 v37, v37, v45
	v_mul_f32_e32 v45, v84, v29
	v_mov_b32_e32 v44, s14
	v_fmac_f32_e32 v45, v85, v28
	ds_read2_b64 v[84:87], v44 offset1:1
	scratch_load_dwordx4 v[56:59], off, off offset:160
	v_sub_f32_e32 v37, v37, v45
	s_waitcnt lgkmcnt(1)
	v_mul_f32_e32 v45, v82, v33
	v_mul_f32_e32 v44, v83, v33
	v_fmac_f32_e32 v45, v83, v32
	v_fma_f32 v44, v82, v32, -v44
	v_sub_f32_e32 v37, v37, v45
	v_mul_f32_e32 v45, v80, v41
	v_sub_f32_e32 v36, v36, v44
	v_mul_f32_e32 v44, v81, v41
	v_fmac_f32_e32 v45, v81, v40
	v_fma_f32 v44, v80, v40, -v44
	v_sub_f32_e32 v37, v37, v45
	s_waitcnt lgkmcnt(0)
	v_mul_f32_e32 v45, v86, v53
	v_sub_f32_e32 v36, v36, v44
	v_mul_f32_e32 v44, v87, v53
	v_fmac_f32_e32 v45, v87, v52
	v_fma_f32 v44, v86, v52, -v44
	v_sub_f32_e32 v37, v37, v45
	s_addk_i32 s12, 0xc200
	v_sub_f32_e32 v44, v36, v44
	v_mul_f32_e32 v36, v85, v37
	v_mul_f32_e32 v37, v84, v37
	s_add_i32 s5, s12, s5
	v_fma_f32 v36, v84, v44, -v36
	v_fmac_f32_e32 v37, v85, v44
	v_add_u32_e32 v44, s13, v1
	s_add_i32 s13, s5, -4
	ds_write_b64 v44, v[36:37]
	v_mov_b32_e32 v44, s13
	v_mov_b32_e32 v48, s5
	s_add_i32 s13, s5, -12
	ds_read2_b32 v[44:45], v44 offset1:1
	ds_read_b32 v68, v48 offset:4
	v_mov_b32_e32 v48, s13
	s_sub_i32 s13, s5, 20
	v_mov_b32_e32 v64, s13
	ds_read2_b32 v[48:49], v48 offset1:1
	ds_read2_b32 v[64:65], v64 offset1:1
	s_waitcnt lgkmcnt(2)
	v_mul_f32_e32 v69, v68, v31
	v_fma_f32 v69, v45, v30, -v69
	v_mul_f32_e32 v31, v45, v31
	v_mul_f32_e32 v45, v44, v47
	s_waitcnt lgkmcnt(1)
	v_mul_f32_e32 v47, v49, v47
	v_fmac_f32_e32 v31, v68, v30
	v_sub_f32_e32 v30, v110, v69
	v_fma_f32 v45, v49, v46, -v45
	v_fmac_f32_e32 v47, v44, v46
	v_mul_f32_e32 v44, v48, v43
	v_sub_f32_e32 v31, v111, v31
	v_sub_f32_e32 v30, v30, v45
	s_waitcnt lgkmcnt(0)
	v_fma_f32 v44, v65, v42, -v44
	v_mul_f32_e32 v43, v65, v43
	s_sub_i32 s13, s5, 28
	v_sub_f32_e32 v31, v31, v47
	v_fmac_f32_e32 v43, v48, v42
	v_sub_f32_e32 v48, v30, v44
	v_mov_b32_e32 v30, s13
	s_sub_i32 s13, s5, 36
	v_sub_f32_e32 v49, v31, v43
	ds_read2_b32 v[30:31], v30 offset1:1
	v_mov_b32_e32 v42, s13
	s_sub_i32 s13, s5, 44
	v_mov_b32_e32 v44, s13
	s_sub_i32 s13, s5, 52
	v_mov_b32_e32 v46, s13
	ds_read2_b32 v[42:43], v42 offset1:1
	ds_read2_b32 v[44:45], v44 offset1:1
	ds_read2_b32 v[46:47], v46 offset1:1
	v_mul_f32_e32 v65, v64, v3
	s_waitcnt lgkmcnt(3)
	v_mul_f32_e32 v3, v31, v3
	v_fma_f32 v65, v31, v2, -v65
	v_fmac_f32_e32 v3, v64, v2
	v_mul_f32_e32 v31, v30, v27
	s_waitcnt lgkmcnt(2)
	v_mul_f32_e32 v27, v43, v27
	v_sub_f32_e32 v2, v48, v65
	v_sub_f32_e32 v3, v49, v3
	v_fma_f32 v31, v43, v26, -v31
	v_fmac_f32_e32 v27, v30, v26
	v_mul_f32_e32 v26, v42, v55
	v_sub_f32_e32 v2, v2, v31
	v_sub_f32_e32 v3, v3, v27
	s_waitcnt lgkmcnt(1)
	v_fma_f32 v26, v45, v54, -v26
	v_mul_f32_e32 v27, v45, v55
	v_fmac_f32_e32 v27, v42, v54
	v_sub_f32_e32 v2, v2, v26
	v_mul_f32_e32 v26, v44, v51
	v_sub_f32_e32 v3, v3, v27
	s_waitcnt lgkmcnt(0)
	v_fma_f32 v26, v47, v50, -v26
	v_mul_f32_e32 v27, v47, v51
	s_sub_i32 s13, s5, 60
	v_fmac_f32_e32 v27, v44, v50
	v_sub_f32_e32 v44, v2, v26
	v_mov_b32_e32 v2, s13
	s_add_i32 s13, s5, 0xffffffbc
	v_sub_f32_e32 v45, v3, v27
	ds_read2_b32 v[2:3], v2 offset1:1
	v_mov_b32_e32 v26, s13
	s_add_i32 s13, s5, 0xffffffb4
	v_mov_b32_e32 v30, s13
	s_add_i32 s13, s5, 0xffffffac
	v_mov_b32_e32 v42, s13
	ds_read2_b32 v[26:27], v26 offset1:1
	ds_read2_b32 v[30:31], v30 offset1:1
	;; [unrolled: 1-line block ×3, first 2 shown]
	v_mul_f32_e32 v47, v46, v39
	s_waitcnt lgkmcnt(3)
	v_fma_f32 v47, v3, v38, -v47
	v_mul_f32_e32 v3, v3, v39
	v_mul_f32_e32 v39, v2, v61
	v_fmac_f32_e32 v3, v46, v38
	s_waitcnt lgkmcnt(2)
	v_fma_f32 v39, v27, v60, -v39
	v_mul_f32_e32 v27, v27, v61
	v_sub_f32_e32 v3, v45, v3
	v_fmac_f32_e32 v27, v2, v60
	v_sub_f32_e32 v3, v3, v27
	v_mul_f32_e32 v27, v26, v75
	v_sub_f32_e32 v38, v44, v47
	s_waitcnt lgkmcnt(1)
	v_fma_f32 v27, v31, v74, -v27
	v_mul_f32_e32 v31, v31, v75
	v_sub_f32_e32 v2, v38, v39
	v_fmac_f32_e32 v31, v26, v74
	v_mul_f32_e32 v26, v30, v71
	v_sub_f32_e32 v2, v2, v27
	s_waitcnt lgkmcnt(0)
	v_fma_f32 v26, v43, v70, -v26
	v_mul_f32_e32 v27, v43, v71
	s_add_i32 s13, s5, 0xffffffa4
	v_sub_f32_e32 v3, v3, v31
	v_fmac_f32_e32 v27, v30, v70
	v_sub_f32_e32 v2, v2, v26
	v_mov_b32_e32 v26, s13
	v_sub_f32_e32 v3, v3, v27
	ds_read2_b32 v[26:27], v26 offset1:1
	s_add_i32 s13, s5, 0xffffff9c
	v_mov_b32_e32 v30, s13
	s_add_i32 s13, s5, 0xffffff94
	s_add_i32 s14, s5, 0xffffff8c
	v_mov_b32_e32 v38, s13
	v_mov_b32_e32 v44, s14
	ds_read2_b32 v[30:31], v30 offset1:1
	ds_read2_b32 v[38:39], v38 offset1:1
	;; [unrolled: 1-line block ×3, first 2 shown]
	v_mul_f32_e32 v43, v42, v67
	s_waitcnt lgkmcnt(3)
	v_fma_f32 v46, v27, v66, -v43
	v_mul_f32_e32 v43, v27, v67
	v_mul_f32_e32 v27, v26, v63
	v_fmac_f32_e32 v43, v42, v66
	s_waitcnt lgkmcnt(2)
	v_fma_f32 v42, v31, v62, -v27
	v_mul_f32_e32 v27, v31, v63
	v_fmac_f32_e32 v27, v26, v62
	v_mul_f32_e32 v26, v30, v35
	s_waitcnt lgkmcnt(1)
	v_fma_f32 v26, v39, v34, -v26
	v_mov_b32_e32 v31, v34
	v_mov_b32_e32 v34, v11
	v_sub_f32_e32 v2, v2, v46
	s_waitcnt lgkmcnt(0)
	v_mov_b32_e32 v46, v45
	v_mov_b32_e32 v47, v30
	;; [unrolled: 1-line block ×3, first 2 shown]
	v_pk_mul_f32 v[50:51], v[38:39], v[34:35]
	s_add_i32 s13, s5, 0xffffff84
	v_mul_f32_e32 v48, v45, v10
	v_pk_fma_f32 v[30:31], v[46:47], v[30:31], v[50:51]
	v_pk_fma_f32 v[34:35], v[38:39], v[34:35], v[48:49] op_sel_hi:[1,1,0] neg_lo:[1,0,0] neg_hi:[1,0,0]
	v_mov_b32_e32 v30, s13
	v_mov_b32_e32 v35, v31
	ds_read2_b32 v[30:31], v30 offset1:1
	v_pk_add_f32 v[2:3], v[2:3], v[42:43] neg_lo:[0,1] neg_hi:[0,1]
	s_add_i32 s14, s5, 0xffffff7c
	s_add_i32 s16, s5, 0xffffff6c
	v_pk_add_f32 v[2:3], v[2:3], v[26:27] neg_lo:[0,1] neg_hi:[0,1]
	s_add_i32 s15, s5, 0xffffff74
	v_mov_b32_e32 v43, v10
	v_mov_b32_e32 v10, v19
	v_pk_add_f32 v[2:3], v[2:3], v[34:35] neg_lo:[0,1] neg_hi:[0,1]
	v_mov_b32_e32 v34, s14
	v_mov_b32_e32 v48, s16
	;; [unrolled: 1-line block ×6, first 2 shown]
	ds_read2_b32 v[34:35], v34 offset1:1
	ds_read2_b32 v[46:47], v39 offset1:1
	;; [unrolled: 1-line block ×3, first 2 shown]
	s_waitcnt lgkmcnt(3)
	v_mov_b32_e32 v50, v31
	v_mov_b32_e32 v51, v38
	v_pk_mul_f32 v[10:11], v[44:45], v[10:11]
	v_mov_b32_e32 v38, v7
	v_pk_fma_f32 v[26:27], v[50:51], v[26:27], v[10:11] neg_lo:[0,0,1] neg_hi:[0,0,1]
	v_pk_fma_f32 v[10:11], v[50:51], v[42:43], v[10:11]
	v_mov_b32_e32 v39, v19
	v_mov_b32_e32 v27, v11
	v_pk_add_f32 v[2:3], v[2:3], v[26:27] neg_lo:[0,1] neg_hi:[0,1]
	s_waitcnt lgkmcnt(2)
	v_mov_b32_e32 v10, v35
	v_mov_b32_e32 v11, v44
	;; [unrolled: 1-line block ×4, first 2 shown]
	v_pk_mul_f32 v[38:39], v[30:31], v[38:39]
	v_mov_b32_e32 v18, v9
	v_mov_b32_e32 v19, v7
	v_pk_fma_f32 v[42:43], v[10:11], v[26:27], v[38:39] neg_lo:[0,0,1] neg_hi:[0,0,1]
	v_pk_fma_f32 v[10:11], v[10:11], v[26:27], v[38:39]
	v_mov_b32_e32 v9, v6
	v_mov_b32_e32 v43, v11
	s_waitcnt lgkmcnt(1)
	v_mov_b32_e32 v10, v47
	v_mov_b32_e32 v11, v30
	v_pk_mul_f32 v[18:19], v[34:35], v[18:19]
	s_waitcnt vmcnt(2)
	v_mov_b32_e32 v6, v91
	v_mov_b32_e32 v7, v89
	v_pk_fma_f32 v[26:27], v[10:11], v[8:9], v[18:19] neg_lo:[0,0,1] neg_hi:[0,0,1]
	v_pk_fma_f32 v[8:9], v[10:11], v[8:9], v[18:19]
	v_mov_b32_e32 v91, v88
	v_mov_b32_e32 v27, v9
	s_waitcnt lgkmcnt(0)
	v_mov_b32_e32 v8, v49
	v_mov_b32_e32 v9, v34
	v_pk_mul_f32 v[6:7], v[46:47], v[6:7]
	s_add_i32 s17, s5, 0xffffff64
	v_pk_fma_f32 v[18:19], v[8:9], v[90:91], v[6:7] neg_lo:[0,0,1] neg_hi:[0,0,1]
	v_pk_fma_f32 v[6:7], v[8:9], v[90:91], v[6:7]
	s_add_i32 s18, s5, 0xffffff5c
	v_mov_b32_e32 v6, s17
	v_mov_b32_e32 v19, v7
	ds_read2_b32 v[6:7], v6 offset1:1
	v_pk_add_f32 v[2:3], v[2:3], v[42:43] neg_lo:[0,1] neg_hi:[0,1]
	s_add_i32 s19, s5, 0xffffff54
	v_pk_add_f32 v[2:3], v[2:3], v[26:27] neg_lo:[0,1] neg_hi:[0,1]
	v_mov_b32_e32 v8, s18
	s_add_i32 s13, s5, 0xffffff48
	s_waitcnt vmcnt(1)
	v_mov_b32_e32 v10, v79
	v_mov_b32_e32 v11, v77
	v_pk_add_f32 v[2:3], v[2:3], v[18:19] neg_lo:[0,1] neg_hi:[0,1]
	v_mov_b32_e32 v9, s19
	v_mov_b32_e32 v31, s13
	ds_read2_b32 v[18:19], v8 offset1:1
	ds_read2_b32 v[26:27], v9 offset1:1
	ds_read_b32 v30, v31
	s_waitcnt lgkmcnt(3)
	v_mov_b32_e32 v8, v7
	v_mov_b32_e32 v9, v46
	;; [unrolled: 1-line block ×3, first 2 shown]
	v_pk_mul_f32 v[10:11], v[48:49], v[10:11]
	v_mov_b32_e32 v34, v17
	v_mov_b32_e32 v35, v15
	v_pk_fma_f32 v[38:39], v[8:9], v[78:79], v[10:11] neg_lo:[0,0,1] neg_hi:[0,0,1]
	v_pk_fma_f32 v[8:9], v[8:9], v[78:79], v[10:11]
	v_mov_b32_e32 v17, v14
	v_mov_b32_e32 v39, v9
	s_waitcnt lgkmcnt(2)
	v_mov_b32_e32 v8, v19
	v_mov_b32_e32 v9, v48
	v_pk_mul_f32 v[14:15], v[6:7], v[34:35]
	s_waitcnt vmcnt(0)
	v_mov_b32_e32 v10, v59
	v_mov_b32_e32 v11, v57
	v_pk_fma_f32 v[34:35], v[8:9], v[16:17], v[14:15] neg_lo:[0,0,1] neg_hi:[0,0,1]
	v_pk_fma_f32 v[8:9], v[8:9], v[16:17], v[14:15]
	v_mov_b32_e32 v59, v56
	v_mov_b32_e32 v35, v9
	s_waitcnt lgkmcnt(1)
	v_mov_b32_e32 v8, v27
	v_mov_b32_e32 v9, v6
	v_pk_mul_f32 v[10:11], v[18:19], v[10:11]
	v_pk_add_f32 v[2:3], v[2:3], v[38:39] neg_lo:[0,1] neg_hi:[0,1]
	v_pk_fma_f32 v[14:15], v[8:9], v[58:59], v[10:11] neg_lo:[0,0,1] neg_hi:[0,0,1]
	v_pk_fma_f32 v[8:9], v[8:9], v[58:59], v[10:11]
	ds_read2_b32 v[10:11], v31 offset0:1 offset1:2
	v_pk_add_f32 v[2:3], v[2:3], v[34:35] neg_lo:[0,1] neg_hi:[0,1]
	v_mov_b32_e32 v6, v23
	v_mov_b32_e32 v7, v25
	;; [unrolled: 1-line block ×3, first 2 shown]
	s_add_i32 s13, s5, 0xffffff38
	v_pk_add_f32 v[2:3], v[2:3], v[14:15] neg_lo:[0,1] neg_hi:[0,1]
	v_pk_mul_f32 v[14:15], v[26:27], v[6:7] op_sel:[0,1] op_sel_hi:[1,0]
	v_mov_b32_e32 v6, s13
	ds_read2_b64 v[6:9], v6 offset1:1
	s_waitcnt lgkmcnt(1)
	v_mov_b32_e32 v16, v11
	v_mov_b32_e32 v17, v18
	;; [unrolled: 1-line block ×4, first 2 shown]
	v_pk_fma_f32 v[22:23], v[16:17], v[18:19], v[14:15] neg_lo:[0,0,1] neg_hi:[0,0,1]
	v_pk_fma_f32 v[14:15], v[16:17], v[18:19], v[14:15]
	v_mov_b32_e32 v31, v26
	v_mov_b32_e32 v23, v15
	;; [unrolled: 1-line block ×4, first 2 shown]
	v_pk_mul_f32 v[14:15], v[30:31], v[14:15]
	v_mov_b32_e32 v24, v4
	v_pk_add_f32 v[2:3], v[2:3], v[22:23] neg_lo:[0,1] neg_hi:[0,1]
	v_pk_fma_f32 v[14:15], v[10:11], v[24:25], v[14:15]
	v_mul_f32_e32 v5, v10, v5
	v_fma_f32 v4, v30, v4, -v5
	v_sub_f32_e32 v3, v3, v15
	s_waitcnt lgkmcnt(0)
	v_mul_f32_e32 v5, v8, v13
	v_sub_f32_e32 v2, v2, v4
	v_sub_f32_e32 v3, v3, v14
	v_mul_f32_e32 v4, v9, v13
	v_fmac_f32_e32 v5, v9, v12
	v_fma_f32 v4, v8, v12, -v4
	v_sub_f32_e32 v8, v3, v5
	v_mul_f32_e32 v3, v7, v21
	v_sub_f32_e32 v2, v2, v4
	v_fma_f32 v3, v6, v20, -v3
	s_add_i32 s13, s5, 0xffffff28
	v_sub_f32_e32 v10, v2, v3
	v_mov_b32_e32 v2, s13
	ds_read2_b64 v[2:5], v2 offset1:1
	v_mul_f32_e32 v6, v6, v21
	v_fmac_f32_e32 v6, v7, v20
	s_addk_i32 s5, 0xff18
	v_sub_f32_e32 v11, v8, v6
	v_mov_b32_e32 v6, s5
	ds_read2_b64 v[6:9], v6 offset1:1
	s_waitcnt lgkmcnt(1)
	v_mul_f32_e32 v12, v5, v29
	v_fma_f32 v12, v4, v28, -v12
	v_mul_f32_e32 v4, v4, v29
	v_fmac_f32_e32 v4, v5, v28
	v_sub_f32_e32 v5, v10, v12
	v_mul_f32_e32 v10, v3, v33
	v_fma_f32 v10, v2, v32, -v10
	v_mul_f32_e32 v2, v2, v33
	v_sub_f32_e32 v4, v11, v4
	v_fmac_f32_e32 v2, v3, v32
	v_sub_f32_e32 v3, v5, v10
	s_waitcnt lgkmcnt(0)
	v_mul_f32_e32 v5, v8, v41
	v_sub_f32_e32 v2, v4, v2
	v_fmac_f32_e32 v5, v9, v40
	v_mul_f32_e32 v4, v9, v41
	v_sub_f32_e32 v9, v2, v5
	v_mul_f32_e32 v2, v7, v53
	s_addk_i32 s4, 0xc108
	v_fma_f32 v4, v8, v40, -v4
	v_fma_f32 v10, v6, v52, -v2
	v_mov_b32_e32 v2, s4
	v_sub_f32_e32 v8, v3, v4
	ds_read2_b64 v[2:5], v2 offset1:1
	v_mul_f32_e32 v6, v6, v53
	v_fmac_f32_e32 v6, v7, v52
	v_sub_f32_e32 v6, v9, v6
	v_sub_f32_e32 v7, v8, v10
	s_waitcnt lgkmcnt(0)
	v_mul_f32_e32 v9, v4, v37
	v_mul_f32_e32 v8, v5, v37
	v_fmac_f32_e32 v9, v5, v36
	v_fma_f32 v8, v4, v36, -v8
	v_sub_f32_e32 v6, v6, v9
	v_sub_f32_e32 v4, v7, v8
	v_pk_mul_f32 v[6:7], v[2:3], v[6:7] op_sel:[1,0] op_sel_hi:[0,0]
	v_pk_fma_f32 v[8:9], v[2:3], v[4:5], v[6:7] neg_lo:[0,0,1] neg_hi:[0,0,1]
	v_pk_fma_f32 v[2:3], v[2:3], v[4:5], v[6:7] op_sel_hi:[1,0,1]
	s_cmp_gt_i32 s11, 62
	v_mov_b32_e32 v9, v3
	v_add_u32_e32 v2, s12, v1
	s_mov_b32 s4, 31
	ds_write_b64 v2, v[8:9]
	s_cbranch_scc0 .LBB175_33
.LBB175_27:                             ; =>This Loop Header: Depth=1
                                        ;     Child Loop BB175_31 Depth 2
	s_lshl_b32 s12, s4, 9
	v_add_u32_e32 v68, s12, v1
	v_add_u32_e32 v2, 0xfffffe00, v68
	;; [unrolled: 1-line block ×8, first 2 shown]
	ds_read_b64 v[6:7], v68
	ds_read_b64 v[8:9], v2
	;; [unrolled: 1-line block ×8, first 2 shown]
	s_waitcnt lgkmcnt(6)
	scratch_store_dwordx4 off, v[6:9], off
	s_waitcnt lgkmcnt(4)
	scratch_store_dwordx4 off, v[2:5], off offset:16
	s_waitcnt lgkmcnt(2)
	scratch_store_dwordx4 off, v[14:17], off offset:32
	;; [unrolled: 2-line block ×3, first 2 shown]
	v_add_u32_e32 v18, 0xfffff000, v68
	v_add_u32_e32 v20, 0xffffee00, v68
	ds_read_b64 v[18:19], v18
	ds_read_b64 v[20:21], v20
	v_add_u32_e32 v22, 0xffffec00, v68
	v_add_u32_e32 v24, 0xffffea00, v68
	ds_read_b64 v[22:23], v22
	ds_read_b64 v[24:25], v24
	v_add_u32_e32 v26, 0xffffe800, v68
	s_waitcnt lgkmcnt(2)
	scratch_store_dwordx4 off, v[18:21], off offset:64
	v_add_u32_e32 v27, 0xffffe600, v68
	v_add_u32_e32 v28, 0xffffe400, v68
	;; [unrolled: 1-line block ×7, first 2 shown]
	ds_read_b64 v[30:31], v26
	ds_read_b64 v[32:33], v27
	;; [unrolled: 1-line block ×8, first 2 shown]
	s_waitcnt lgkmcnt(8)
	scratch_store_dwordx4 off, v[22:25], off offset:80
	s_waitcnt lgkmcnt(6)
	scratch_store_dwordx4 off, v[30:33], off offset:96
	;; [unrolled: 2-line block ×5, first 2 shown]
	v_add_u32_e32 v42, 0xffffd800, v68
	v_add_u32_e32 v44, 0xffffd600, v68
	v_add_u32_e32 v46, 0xffffd400, v68
	v_add_u32_e32 v47, 0xffffd200, v68
	ds_read_b64 v[42:43], v42
	ds_read_b64 v[44:45], v44
	ds_read_b64 v[50:51], v46
	ds_read_b64 v[102:103], v47
	v_add_u32_e32 v46, 0xffffd000, v68
	v_add_u32_e32 v47, 0xffffce00, v68
	v_add_u32_e32 v48, 0xffffcc00, v68
	v_add_u32_e32 v49, 0xffffca00, v68
	ds_read_b64 v[76:77], v46
	ds_read_b64 v[122:123], v47
	ds_read_b64 v[120:121], v48
	ds_read_b64 v[118:119], v49
	;; [unrolled: 8-line block ×3, first 2 shown]
	s_mov_b32 s11, s4
	s_cmp_gt_i32 s7, s4
	s_mov_b64 s[4:5], -1
	s_waitcnt lgkmcnt(10)
	scratch_store_dwordx4 off, v[42:45], off offset:160
	s_waitcnt lgkmcnt(9)
	scratch_store_dwordx2 off, v[50:51], off offset:176
                                        ; implicit-def: $vgpr47
                                        ; implicit-def: $vgpr52
	s_cbranch_scc1 .LBB175_29
; %bb.28:                               ;   in Loop: Header=BB175_27 Depth=1
	scratch_load_dwordx4 v[46:49], off, off
	scratch_load_dwordx2 v[52:53], off, off offset:16
	s_mov_b64 s[4:5], 0
.LBB175_29:                             ;   in Loop: Header=BB175_27 Depth=1
	s_andn2_b64 vcc, exec, s[4:5]
	s_cbranch_vccnz .LBB175_26
; %bb.30:                               ;   in Loop: Header=BB175_27 Depth=1
	s_add_i32 s4, s10, s12
	s_waitcnt vmcnt(1)
	v_mov_b32_e32 v48, v176
	s_mov_b32 s5, s7
.LBB175_31:                             ;   Parent Loop BB175_27 Depth=1
                                        ; =>  This Inner Loop Header: Depth=2
	v_mov_b32_e32 v49, s4
	ds_read_b64 v[46:47], v48
	s_waitcnt vmcnt(0)
	ds_read2st64_b64 v[52:55], v49 offset0:30 offset1:31
	ds_read2st64_b64 v[56:59], v49 offset0:28 offset1:29
	;; [unrolled: 1-line block ×15, first 2 shown]
	ds_read2st64_b64 v[136:139], v49 offset1:1
	s_add_i32 s5, s5, -1
	s_add_i32 s4, s4, -8
	v_add_u32_e32 v48, 0xfffffe00, v48
	s_waitcnt lgkmcnt(14)
	v_pk_mul_f32 v[74:75], v[54:55], v[46:47] op_sel:[0,1]
	v_pk_mul_f32 v[108:109], v[52:53], v[46:47] op_sel:[0,1]
	;; [unrolled: 1-line block ×4, first 2 shown]
	s_waitcnt lgkmcnt(13)
	v_pk_mul_f32 v[144:145], v[62:63], v[46:47] op_sel:[0,1]
	v_pk_mul_f32 v[146:147], v[60:61], v[46:47] op_sel:[0,1]
	s_waitcnt lgkmcnt(12)
	v_pk_mul_f32 v[148:149], v[66:67], v[46:47] op_sel:[0,1]
	v_pk_mul_f32 v[150:151], v[64:65], v[46:47] op_sel:[0,1]
	;; [unrolled: 3-line block ×14, first 2 shown]
	v_pk_fma_f32 v[202:203], v[54:55], v[46:47], v[74:75] op_sel:[0,0,1] op_sel_hi:[1,1,0] neg_lo:[0,0,1] neg_hi:[0,0,1]
	v_pk_fma_f32 v[54:55], v[54:55], v[46:47], v[74:75] op_sel:[0,0,1] op_sel_hi:[1,0,0]
	v_pk_fma_f32 v[74:75], v[52:53], v[46:47], v[108:109] op_sel:[0,0,1] op_sel_hi:[1,1,0] neg_lo:[0,0,1] neg_hi:[0,0,1]
	v_pk_fma_f32 v[52:53], v[52:53], v[46:47], v[108:109] op_sel:[0,0,1] op_sel_hi:[1,0,0]
	;; [unrolled: 2-line block ×32, first 2 shown]
	v_mov_b32_e32 v203, v55
	v_mov_b32_e32 v75, v53
	;; [unrolled: 1-line block ×32, first 2 shown]
	s_cmp_le_i32 s5, s11
	v_pk_add_f32 v[6:7], v[6:7], v[202:203] neg_lo:[0,1] neg_hi:[0,1]
	v_pk_add_f32 v[8:9], v[8:9], v[74:75] neg_lo:[0,1] neg_hi:[0,1]
	;; [unrolled: 1-line block ×32, first 2 shown]
	s_cbranch_scc0 .LBB175_31
; %bb.32:                               ;   in Loop: Header=BB175_27 Depth=1
	v_mov_b32_e32 v47, v7
	v_mov_b32_e32 v46, v6
	;; [unrolled: 1-line block ×6, first 2 shown]
	scratch_store_dwordx4 off, v[6:9], off
	scratch_store_dwordx4 off, v[2:5], off offset:16
	scratch_store_dwordx4 off, v[14:17], off offset:32
	;; [unrolled: 1-line block ×10, first 2 shown]
	scratch_store_dwordx2 off, v[50:51], off offset:176
	s_branch .LBB175_26
.LBB175_33:
	s_sub_i32 s4, s11, 32
.LBB175_34:
	s_cmp_gt_i32 s4, -1
	s_cbranch_scc0 .LBB175_62
; %bb.35:
	s_cmp_lt_u32 s4, 3
	s_cbranch_scc1 .LBB175_43
; %bb.36:
	v_lshlrev_b32_e32 v2, 3, v0
	s_lshl_b32 s5, s4, 9
	s_lshl_b32 s10, s28, 3
	v_lshl_or_b32 v2, s28, 9, v2
	s_add_i32 s5, s5, s10
	v_add_u32_e32 v10, 0x7e00, v2
	s_addk_i32 s5, 0xf9f8
.LBB175_37:                             ; =>This Loop Header: Depth=1
                                        ;     Child Loop BB175_39 Depth 2
	v_lshl_add_u32 v11, s4, 9, v1
	v_add_u32_e32 v2, 0xfffffe00, v11
	v_add_u32_e32 v3, 0xfffffc00, v11
	;; [unrolled: 1-line block ×3, first 2 shown]
	ds_read_b64 v[6:7], v11
	ds_read_b64 v[8:9], v2
	;; [unrolled: 1-line block ×4, first 2 shown]
	s_cmp_le_i32 s7, s4
	s_waitcnt lgkmcnt(2)
	scratch_store_dwordx4 off, v[6:9], off
	s_waitcnt lgkmcnt(0)
	scratch_store_dwordx4 off, v[2:5], off offset:16
	s_cbranch_scc1 .LBB175_41
; %bb.38:                               ;   in Loop: Header=BB175_37 Depth=1
	s_mov_b32 s10, s5
	v_mov_b32_e32 v12, v10
	s_mov_b32 s11, s7
.LBB175_39:                             ;   Parent Loop BB175_37 Depth=1
                                        ; =>  This Inner Loop Header: Depth=2
	v_mov_b32_e32 v13, s10
	ds_read_b64 v[22:23], v12
	ds_read2st64_b64 v[14:17], v13 offset0:2 offset1:3
	ds_read2st64_b64 v[18:21], v13 offset1:1
	s_add_i32 s11, s11, -1
	s_add_i32 s10, s10, -8
	v_add_u32_e32 v12, 0xfffffe00, v12
	s_waitcnt lgkmcnt(1)
	v_pk_mul_f32 v[24:25], v[16:17], v[22:23] op_sel:[0,1]
	v_pk_mul_f32 v[26:27], v[14:15], v[22:23] op_sel:[0,1]
	s_waitcnt lgkmcnt(0)
	v_pk_mul_f32 v[28:29], v[20:21], v[22:23] op_sel:[0,1]
	v_pk_mul_f32 v[30:31], v[18:19], v[22:23] op_sel:[0,1]
	v_pk_fma_f32 v[32:33], v[16:17], v[22:23], v[24:25] op_sel:[0,0,1] op_sel_hi:[1,1,0] neg_lo:[0,0,1] neg_hi:[0,0,1]
	v_pk_fma_f32 v[16:17], v[16:17], v[22:23], v[24:25] op_sel:[0,0,1] op_sel_hi:[1,0,0]
	v_pk_fma_f32 v[24:25], v[14:15], v[22:23], v[26:27] op_sel:[0,0,1] op_sel_hi:[1,1,0] neg_lo:[0,0,1] neg_hi:[0,0,1]
	v_pk_fma_f32 v[14:15], v[14:15], v[22:23], v[26:27] op_sel:[0,0,1] op_sel_hi:[1,0,0]
	v_pk_fma_f32 v[26:27], v[20:21], v[22:23], v[28:29] op_sel:[0,0,1] op_sel_hi:[1,1,0] neg_lo:[0,0,1] neg_hi:[0,0,1]
	v_pk_fma_f32 v[20:21], v[20:21], v[22:23], v[28:29] op_sel:[0,0,1] op_sel_hi:[1,0,0]
	v_pk_fma_f32 v[28:29], v[18:19], v[22:23], v[30:31] op_sel:[0,0,1] op_sel_hi:[1,1,0] neg_lo:[0,0,1] neg_hi:[0,0,1]
	v_pk_fma_f32 v[18:19], v[18:19], v[22:23], v[30:31] op_sel:[0,0,1] op_sel_hi:[1,0,0]
	v_mov_b32_e32 v33, v17
	v_mov_b32_e32 v25, v15
	;; [unrolled: 1-line block ×4, first 2 shown]
	s_cmp_gt_i32 s11, s4
	v_pk_add_f32 v[6:7], v[6:7], v[32:33] neg_lo:[0,1] neg_hi:[0,1]
	v_pk_add_f32 v[8:9], v[8:9], v[24:25] neg_lo:[0,1] neg_hi:[0,1]
	;; [unrolled: 1-line block ×4, first 2 shown]
	s_cbranch_scc1 .LBB175_39
; %bb.40:                               ;   in Loop: Header=BB175_37 Depth=1
	scratch_store_dwordx4 off, v[6:9], off
	scratch_store_dwordx4 off, v[2:5], off offset:16
.LBB175_41:                             ;   in Loop: Header=BB175_37 Depth=1
	scratch_load_dwordx2 v[28:29], off, off offset:24
	s_mul_i32 s10, s4, 0x208
	s_add_i32 s11, s4, -1
	s_add_i32 s12, s4, -2
	s_lshl_b32 s13, s4, 3
	s_add_i32 s14, s4, -3
	v_mov_b32_e32 v5, s10
	s_lshl_b32 s10, s11, 9
	s_lshl_b32 s11, s11, 3
	;; [unrolled: 1-line block ×5, first 2 shown]
	s_add_i32 s11, s10, s11
	v_add_u32_e32 v36, s10, v1
	s_add_i32 s10, s15, s13
	s_add_i32 s12, s15, s12
	;; [unrolled: 1-line block ×3, first 2 shown]
	v_mov_b32_e32 v16, s10
	v_mov_b32_e32 v17, s12
	;; [unrolled: 1-line block ×3, first 2 shown]
	s_lshl_b32 s14, s14, 3
	v_mov_b32_e32 v7, s11
	s_add_i32 s10, s13, -8
	ds_read_b64 v[30:31], v5
	ds_read2_b64 v[12:15], v7 offset1:1
	ds_read_b64 v[32:33], v16
	ds_read2_b64 v[16:19], v17 offset1:1
	s_add_i32 s14, s16, s14
	v_mov_b32_e32 v5, s10
	v_mov_b32_e32 v24, s14
	s_waitcnt lgkmcnt(3)
	v_pk_mul_f32 v[34:35], v[30:31], v[4:5] op_sel:[1,0] op_sel_hi:[0,0]
	ds_read2_b64 v[20:23], v5 offset1:1
	ds_read2_b64 v[24:27], v24 offset1:1
	v_pk_fma_f32 v[4:5], v[30:31], v[6:7], v[34:35] op_sel_hi:[1,0,1] neg_lo:[0,0,1] neg_hi:[0,0,1]
	v_pk_fma_f32 v[6:7], v[30:31], v[6:7], v[34:35] op_sel_hi:[1,0,1]
	v_add_u32_e32 v37, s15, v1
	s_waitcnt lgkmcnt(4)
	v_mul_f32_e32 v6, v15, v7
	v_mul_f32_e32 v30, v14, v7
	v_mov_b32_e32 v5, v7
	s_waitcnt lgkmcnt(3)
	v_mul_f32_e32 v31, v33, v7
	v_mul_f32_e32 v34, v32, v7
	v_fma_f32 v6, v14, v4, -v6
	v_fmac_f32_e32 v30, v15, v4
	ds_write_b64 v11, v[4:5]
	v_fma_f32 v11, v32, v4, -v31
	v_fmac_f32_e32 v34, v33, v4
	v_sub_f32_e32 v6, v8, v6
	v_sub_f32_e32 v8, v9, v30
	v_sub_f32_e32 v11, v2, v11
	v_sub_f32_e32 v30, v3, v34
	v_pk_mul_f32 v[2:3], v[12:13], v[8:9] op_sel:[1,0] op_sel_hi:[0,0]
	s_waitcnt lgkmcnt(2)
	v_mul_f32_e32 v14, v23, v7
	v_mul_f32_e32 v15, v22, v7
	v_pk_fma_f32 v[8:9], v[12:13], v[6:7], v[2:3] op_sel_hi:[1,0,1] neg_lo:[0,0,1] neg_hi:[0,0,1]
	v_pk_fma_f32 v[6:7], v[12:13], v[6:7], v[2:3] op_sel_hi:[1,0,1]
	v_fma_f32 v14, v22, v4, -v14
	v_mul_f32_e32 v2, v19, v7
	v_mul_f32_e32 v3, v18, v7
	v_mov_b32_e32 v6, v8
	v_fma_f32 v2, v18, v8, -v2
	v_fmac_f32_e32 v3, v19, v8
	v_fmac_f32_e32 v15, v23, v4
	v_mul_f32_e32 v12, v21, v7
	scratch_store_dwordx4 off, v[4:7], off
	v_mov_b32_e32 v9, v7
	v_mul_f32_e32 v13, v20, v7
	v_sub_f32_e32 v4, v11, v2
	v_sub_f32_e32 v2, v30, v3
	v_fma_f32 v5, v20, v8, -v12
	v_pk_mul_f32 v[6:7], v[16:17], v[2:3] op_sel:[1,0] op_sel_hi:[0,0]
	v_pk_fma_f32 v[2:3], v[16:17], v[4:5], v[6:7] op_sel_hi:[1,0,1] neg_lo:[0,0,1] neg_hi:[0,0,1]
	v_pk_fma_f32 v[6:7], v[16:17], v[4:5], v[6:7] op_sel_hi:[1,0,1]
	v_fmac_f32_e32 v13, v21, v8
	v_mov_b32_e32 v3, v7
	ds_write_b64 v37, v[2:3]
	s_waitcnt lgkmcnt(2)
	v_mul_f32_e32 v4, v27, v7
	v_fma_f32 v4, v26, v2, -v4
	ds_write_b64 v36, v[8:9]
	s_add_i32 s10, s4, -4
	s_addk_i32 s5, 0xf800
	s_cmp_gt_i32 s4, 6
	s_waitcnt vmcnt(1)
	v_sub_f32_e32 v3, v28, v14
	v_sub_f32_e32 v6, v29, v15
	;; [unrolled: 1-line block ×4, first 2 shown]
	v_mul_f32_e32 v6, v26, v7
	v_fmac_f32_e32 v6, v27, v2
	v_sub_f32_e32 v6, v5, v6
	v_sub_f32_e32 v4, v3, v4
	v_pk_mul_f32 v[8:9], v[24:25], v[6:7] op_sel:[1,0] op_sel_hi:[0,0]
	v_pk_fma_f32 v[12:13], v[24:25], v[4:5], v[8:9] neg_lo:[0,0,1] neg_hi:[0,0,1]
	v_pk_fma_f32 v[4:5], v[24:25], v[4:5], v[8:9] op_sel_hi:[1,0,1]
	v_mov_b32_e32 v3, v7
	v_mov_b32_e32 v4, v12
	;; [unrolled: 1-line block ×3, first 2 shown]
	scratch_store_dwordx4 off, v[2:5], off offset:16
	s_nop 1
	v_add_u32_e32 v2, s16, v1
	ds_write_b64 v2, v[12:13]
	s_cbranch_scc0 .LBB175_44
; %bb.42:                               ;   in Loop: Header=BB175_37 Depth=1
	s_mov_b32 s4, s10
	s_branch .LBB175_37
.LBB175_43:
	s_mov_b32 s10, s4
.LBB175_44:
	s_cmp_lt_i32 s10, 0
	s_cbranch_scc1 .LBB175_62
; %bb.45:
	s_bitcmp1_b32 s10, 0
	s_cselect_b64 s[4:5], -1, 0
	s_and_b64 vcc, exec, s[4:5]
	s_mov_b32 s4, s10
	s_cbranch_vccnz .LBB175_51
; %bb.46:
	s_lshl_b32 s4, s10, 9
	v_add_u32_e32 v4, s4, v1
	ds_read_b64 v[2:3], v4
	s_cmp_le_i32 s7, s10
	s_waitcnt lgkmcnt(0)
	scratch_store_dwordx2 off, v[2:3], off
	s_cbranch_scc1 .LBB175_50
; %bb.47:
	s_lshl_b32 s5, s28, 3
	v_lshlrev_b32_e32 v5, 3, v0
	s_add_i32 s4, s4, s5
	v_lshl_or_b32 v5, s28, 9, v5
	s_add_i32 s4, s4, -8
	v_add_u32_e32 v5, 0x7e00, v5
	s_mov_b32 s5, s7
.LBB175_48:                             ; =>This Inner Loop Header: Depth=1
	v_mov_b32_e32 v8, s4
	ds_read_b64 v[6:7], v5
	ds_read_b64 v[8:9], v8
	s_add_i32 s5, s5, -1
	s_add_i32 s4, s4, -8
	v_add_u32_e32 v5, 0xfffffe00, v5
	s_cmp_gt_i32 s5, s10
	s_waitcnt lgkmcnt(0)
	v_pk_mul_f32 v[10:11], v[8:9], v[6:7] op_sel:[1,1] op_sel_hi:[0,1]
	v_pk_fma_f32 v[12:13], v[8:9], v[6:7], v[10:11] neg_lo:[0,0,1] neg_hi:[0,0,1]
	v_pk_fma_f32 v[6:7], v[8:9], v[6:7], v[10:11] op_sel_hi:[1,0,1]
	s_nop 0
	v_mov_b32_e32 v13, v7
	v_pk_add_f32 v[2:3], v[2:3], v[12:13] neg_lo:[0,1] neg_hi:[0,1]
	s_cbranch_scc1 .LBB175_48
; %bb.49:
	scratch_store_dwordx2 off, v[2:3], off
.LBB175_50:
	s_mul_i32 s4, s10, 0x208
	v_mov_b32_e32 v5, s4
	ds_read_b64 v[6:7], v5
	v_mov_b32_e32 v8, v3
	s_add_i32 s4, s10, -1
	s_waitcnt lgkmcnt(0)
	v_pk_mul_f32 v[8:9], v[6:7], v[8:9] op_sel:[1,0] op_sel_hi:[0,0]
	v_pk_fma_f32 v[10:11], v[6:7], v[2:3], v[8:9] op_sel_hi:[1,0,1] neg_lo:[0,0,1] neg_hi:[0,0,1]
	v_pk_fma_f32 v[2:3], v[6:7], v[2:3], v[8:9] op_sel_hi:[1,0,1]
	s_nop 0
	v_mov_b32_e32 v11, v3
	scratch_store_dwordx2 off, v[10:11], off
	ds_write_b64 v4, v[10:11]
.LBB175_51:
	s_cmp_eq_u32 s10, 0
	s_cbranch_scc1 .LBB175_62
; %bb.52:
	s_lshl_b32 s5, s4, 9
	s_lshl_b32 s10, s28, 3
	v_lshlrev_b32_e32 v2, 3, v0
	s_add_i32 s10, s5, s10
	v_lshl_or_b32 v2, s28, 9, v2
	s_add_i32 s5, s10, -8
	v_add_u32_e32 v7, 0x7e00, v2
	s_addk_i32 s10, 0xfdf8
	s_branch .LBB175_55
.LBB175_53:                             ;   in Loop: Header=BB175_55 Depth=1
	scratch_store_dwordx2 off, v[2:3], off
.LBB175_54:                             ;   in Loop: Header=BB175_55 Depth=1
	s_addk_i32 s11, 0xfdf8
	v_mov_b32_e32 v4, v3
	v_mov_b32_e32 v3, s11
	ds_read_b64 v[8:9], v3
	s_add_i32 s11, s4, -2
	s_addk_i32 s5, 0xfc00
	s_addk_i32 s10, 0xfc00
	s_cmp_lt_i32 s4, 2
	s_waitcnt lgkmcnt(0)
	v_pk_mul_f32 v[10:11], v[8:9], v[4:5] op_sel:[1,0] op_sel_hi:[0,0]
	v_pk_fma_f32 v[12:13], v[8:9], v[2:3], v[10:11] op_sel_hi:[1,0,1] neg_lo:[0,0,1] neg_hi:[0,0,1]
	v_pk_fma_f32 v[2:3], v[8:9], v[2:3], v[10:11] op_sel_hi:[1,0,1]
	s_mov_b32 s4, s11
	v_mov_b32_e32 v13, v3
	scratch_store_dwordx2 off, v[12:13], off
	ds_write_b64 v5, v[12:13]
	s_cbranch_scc1 .LBB175_62
.LBB175_55:                             ; =>This Loop Header: Depth=1
                                        ;     Child Loop BB175_57 Depth 2
                                        ;     Child Loop BB175_61 Depth 2
	s_lshl_b32 s12, s4, 9
	v_add_u32_e32 v8, s12, v1
	ds_read_b64 v[4:5], v8
	s_cmp_le_i32 s7, s4
	s_waitcnt lgkmcnt(0)
	scratch_store_dwordx2 off, v[4:5], off
	s_cbranch_scc1 .LBB175_59
; %bb.56:                               ;   in Loop: Header=BB175_55 Depth=1
	v_mov_b32_e32 v2, v7
	s_mov_b32 s11, s5
	s_mov_b32 s13, s7
.LBB175_57:                             ;   Parent Loop BB175_55 Depth=1
                                        ; =>  This Inner Loop Header: Depth=2
	v_mov_b32_e32 v3, s11
	ds_read_b64 v[10:11], v2
	ds_read_b64 v[12:13], v3
	s_add_i32 s13, s13, -1
	s_add_i32 s11, s11, -8
	v_add_u32_e32 v2, 0xfffffe00, v2
	s_cmp_gt_i32 s13, s4
	s_waitcnt lgkmcnt(0)
	v_pk_mul_f32 v[14:15], v[12:13], v[10:11] op_sel:[1,1] op_sel_hi:[0,1]
	v_pk_fma_f32 v[16:17], v[12:13], v[10:11], v[14:15] neg_lo:[0,0,1] neg_hi:[0,0,1]
	v_pk_fma_f32 v[10:11], v[12:13], v[10:11], v[14:15] op_sel_hi:[1,0,1]
	s_nop 0
	v_mov_b32_e32 v17, v11
	v_pk_add_f32 v[4:5], v[4:5], v[16:17] neg_lo:[0,1] neg_hi:[0,1]
	s_cbranch_scc1 .LBB175_57
; %bb.58:                               ;   in Loop: Header=BB175_55 Depth=1
	scratch_store_dwordx2 off, v[4:5], off
.LBB175_59:                             ;   in Loop: Header=BB175_55 Depth=1
	s_mul_i32 s11, s4, 0x208
	v_mov_b32_e32 v2, s11
	ds_read_b64 v[10:11], v2
	s_addk_i32 s12, 0xfe00
	v_mov_b32_e32 v6, v5
	v_add_u32_e32 v5, s12, v1
	ds_read_b64 v[2:3], v5
	s_waitcnt lgkmcnt(1)
	v_pk_mul_f32 v[12:13], v[10:11], v[6:7] op_sel:[1,0] op_sel_hi:[0,0]
	v_pk_fma_f32 v[14:15], v[10:11], v[4:5], v[12:13] op_sel_hi:[1,0,1] neg_lo:[0,0,1] neg_hi:[0,0,1]
	v_pk_fma_f32 v[10:11], v[10:11], v[4:5], v[12:13] op_sel_hi:[1,0,1]
	s_cmp_le_i32 s28, s4
	v_mov_b32_e32 v15, v11
	ds_write_b64 v8, v[14:15]
	s_waitcnt lgkmcnt(1)
	scratch_store_dwordx2 off, v[2:3], off
	s_cbranch_scc1 .LBB175_54
; %bb.60:                               ;   in Loop: Header=BB175_55 Depth=1
	v_mov_b32_e32 v4, v7
	s_mov_b32 s12, s10
	s_mov_b32 s13, s28
.LBB175_61:                             ;   Parent Loop BB175_55 Depth=1
                                        ; =>  This Inner Loop Header: Depth=2
	v_mov_b32_e32 v6, s12
	ds_read_b64 v[8:9], v4
	ds_read_b64 v[10:11], v6
	s_add_i32 s13, s13, -1
	s_add_i32 s12, s12, -8
	v_add_u32_e32 v4, 0xfffffe00, v4
	s_cmp_gt_i32 s13, s4
	s_waitcnt lgkmcnt(0)
	v_pk_mul_f32 v[12:13], v[10:11], v[8:9] op_sel:[1,1] op_sel_hi:[0,1]
	v_pk_fma_f32 v[14:15], v[10:11], v[8:9], v[12:13] neg_lo:[0,0,1] neg_hi:[0,0,1]
	v_pk_fma_f32 v[8:9], v[10:11], v[8:9], v[12:13] op_sel_hi:[1,0,1]
	s_nop 0
	v_mov_b32_e32 v15, v9
	v_pk_add_f32 v[2:3], v[2:3], v[14:15] neg_lo:[0,1] neg_hi:[0,1]
	s_cbranch_scc1 .LBB175_61
	s_branch .LBB175_53
.LBB175_62:
	s_mov_b64 s[4:5], 0
.LBB175_63:
	s_and_b64 vcc, exec, s[4:5]
	s_cbranch_vccz .LBB175_91
; %bb.64:
	s_cmp_gt_i32 s6, 31
	s_mov_b32 s4, 0
	s_cbranch_scc0 .LBB175_74
; %bb.65:
	v_mov_b32_e32 v2, 0x8000
	v_lshl_or_b32 v162, v0, 3, v2
	s_mov_b32 s6, 0
	s_mov_b32 s7, 0
.LBB175_66:                             ; =>This Loop Header: Depth=1
                                        ;     Child Loop BB175_68 Depth 2
	s_lshl_b32 s22, s7, 9
	v_add_u32_e32 v181, s22, v1
	ds_read2st64_b64 v[2:5], v181 offset1:1
	ds_read2st64_b64 v[6:9], v181 offset0:2 offset1:3
	ds_read2st64_b64 v[14:17], v181 offset0:4 offset1:5
	;; [unrolled: 1-line block ×3, first 2 shown]
	s_cmp_lg_u32 s7, 0
	s_waitcnt lgkmcnt(3)
	scratch_store_dwordx4 off, v[2:5], off
	s_waitcnt lgkmcnt(2)
	scratch_store_dwordx4 off, v[6:9], off offset:16
	s_waitcnt lgkmcnt(1)
	scratch_store_dwordx4 off, v[14:17], off offset:32
	;; [unrolled: 2-line block ×3, first 2 shown]
	ds_read2st64_b64 v[22:25], v181 offset0:8 offset1:9
	ds_read2st64_b64 v[26:29], v181 offset0:10 offset1:11
	;; [unrolled: 1-line block ×5, first 2 shown]
	s_waitcnt lgkmcnt(4)
	scratch_store_dwordx4 off, v[22:25], off offset:64
	s_waitcnt lgkmcnt(3)
	scratch_store_dwordx4 off, v[26:29], off offset:80
	;; [unrolled: 2-line block ×4, first 2 shown]
	ds_read2st64_b64 v[42:45], v181 offset0:18 offset1:19
	s_waitcnt lgkmcnt(1)
	scratch_store_dwordx4 off, v[38:41], off offset:128
	ds_read2st64_b64 v[46:49], v181 offset0:20 offset1:21
	ds_read2st64_b64 v[10:13], v181 offset0:22 offset1:23
	;; [unrolled: 1-line block ×6, first 2 shown]
	s_waitcnt lgkmcnt(6)
	scratch_store_dwordx4 off, v[42:45], off offset:144
	s_waitcnt lgkmcnt(5)
	scratch_store_dwordx4 off, v[46:49], off offset:160
	s_waitcnt lgkmcnt(4)
	scratch_store_dwordx2 off, v[10:11], off offset:176
	s_cbranch_scc0 .LBB175_73
; %bb.67:                               ;   in Loop: Header=BB175_66 Depth=1
	v_mov_b32_e32 v52, v162
	s_mov_b32 s4, s6
	s_mov_b32 s5, s7
	v_mov_b64_e32 v[144:145], v[12:13]
	s_waitcnt lgkmcnt(3)
	v_mov_b64_e32 v[142:143], v[54:55]
	v_mov_b64_e32 v[130:131], v[56:57]
	s_waitcnt lgkmcnt(2)
	v_mov_b64_e32 v[132:133], v[58:59]
	;; [unrolled: 3-line block ×4, first 2 shown]
	v_mov_b64_e32 v[128:129], v[68:69]
.LBB175_68:                             ;   Parent Loop BB175_66 Depth=1
                                        ; =>  This Inner Loop Header: Depth=2
	v_mov_b32_e32 v53, s4
	ds_read_b64 v[50:51], v52
	ds_read_b128 v[70:73], v53
	ds_read_b128 v[74:77], v53 offset:16
	ds_read_b128 v[78:81], v53 offset:32
	;; [unrolled: 1-line block ×15, first 2 shown]
	s_add_i32 s5, s5, -1
	s_addk_i32 s4, 0x200
	v_add_u32_e32 v52, 0x200, v52
	s_waitcnt lgkmcnt(14)
	v_pk_mul_f32 v[126:127], v[70:71], v[50:51] op_sel:[0,1]
	v_pk_mul_f32 v[154:155], v[72:73], v[50:51] op_sel:[0,1]
	;; [unrolled: 1-line block ×4, first 2 shown]
	s_waitcnt lgkmcnt(13)
	v_pk_mul_f32 v[160:161], v[78:79], v[50:51] op_sel:[0,1]
	v_pk_mul_f32 v[164:165], v[80:81], v[50:51] op_sel:[0,1]
	s_waitcnt lgkmcnt(12)
	v_pk_mul_f32 v[166:167], v[82:83], v[50:51] op_sel:[0,1]
	v_pk_mul_f32 v[168:169], v[84:85], v[50:51] op_sel:[0,1]
	;; [unrolled: 3-line block ×14, first 2 shown]
	v_pk_fma_f32 v[220:221], v[70:71], v[50:51], v[126:127] op_sel:[0,0,1] op_sel_hi:[1,1,0] neg_lo:[0,0,1] neg_hi:[0,0,1]
	v_pk_fma_f32 v[70:71], v[70:71], v[50:51], v[126:127] op_sel:[0,0,1] op_sel_hi:[1,0,0]
	v_pk_fma_f32 v[126:127], v[72:73], v[50:51], v[154:155] op_sel:[0,0,1] op_sel_hi:[1,1,0] neg_lo:[0,0,1] neg_hi:[0,0,1]
	v_pk_fma_f32 v[72:73], v[72:73], v[50:51], v[154:155] op_sel:[0,0,1] op_sel_hi:[1,0,0]
	;; [unrolled: 2-line block ×32, first 2 shown]
	v_mov_b32_e32 v221, v71
	v_mov_b32_e32 v127, v73
	;; [unrolled: 1-line block ×32, first 2 shown]
	s_cmp_eq_u32 s5, 0
	v_pk_add_f32 v[2:3], v[2:3], v[220:221] neg_lo:[0,1] neg_hi:[0,1]
	v_pk_add_f32 v[4:5], v[4:5], v[126:127] neg_lo:[0,1] neg_hi:[0,1]
	;; [unrolled: 1-line block ×32, first 2 shown]
	s_cbranch_scc0 .LBB175_68
; %bb.69:                               ;   in Loop: Header=BB175_66 Depth=1
	scratch_store_dwordx4 off, v[2:5], off
	scratch_store_dwordx4 off, v[6:9], off offset:16
	scratch_store_dwordx4 off, v[14:17], off offset:32
	;; [unrolled: 1-line block ×10, first 2 shown]
	scratch_store_dwordx2 off, v[10:11], off offset:176
	s_branch .LBB175_71
.LBB175_70:                             ;   in Loop: Header=BB175_66 Depth=1
	scratch_load_dwordx4 v[2:5], off, off
	scratch_load_dwordx2 v[6:7], off, off offset:16
	s_waitcnt lgkmcnt(0)
	v_mov_b64_e32 v[128:129], v[68:69]
	v_mov_b64_e32 v[136:137], v[66:67]
	;; [unrolled: 1-line block ×9, first 2 shown]
.LBB175_71:                             ;   in Loop: Header=BB175_66 Depth=1
	scratch_load_dwordx4 v[16:19], off, off offset:24
	scratch_load_dwordx4 v[8:11], off, off offset:40
	s_lshl_b32 s4, s7, 3
	s_or_b32 s10, s22, 0x200
	s_or_b32 s5, s22, 0x400
	s_add_i32 s21, s4, s22
	s_add_i32 s12, s4, s10
	;; [unrolled: 1-line block ×3, first 2 shown]
	v_mov_b32_e32 v174, s21
	v_mov_b32_e32 v167, s12
	;; [unrolled: 1-line block ×3, first 2 shown]
	ds_read_b128 v[20:23], v174
	ds_read_b128 v[24:27], v174 offset:16
	ds_read_b128 v[28:31], v174 offset:32
	ds_read2_b64 v[32:35], v174 offset0:65 offset1:66
	ds_read_b128 v[36:39], v174 offset:1040
	ds_read2_b64 v[40:43], v167 offset0:3 offset1:4
	ds_read2_b64 v[44:47], v174 offset0:195 offset1:196
	ds_read_b128 v[12:15], v173 offset:32
	s_waitcnt vmcnt(3) lgkmcnt(7)
	v_mul_f32_e32 v147, v20, v3
	v_mul_f32_e32 v48, v21, v3
	v_fmac_f32_e32 v147, v21, v2
	v_fma_f32 v146, v20, v2, -v48
	v_mul_f32_e32 v3, v22, v147
	v_mul_f32_e32 v2, v23, v147
	v_fmac_f32_e32 v3, v23, v146
	s_waitcnt lgkmcnt(6)
	v_mul_f32_e32 v20, v25, v147
	v_fma_f32 v2, v22, v146, -v2
	v_sub_f32_e32 v3, v5, v3
	v_fma_f32 v20, v24, v146, -v20
	v_sub_f32_e32 v2, v4, v2
	s_waitcnt lgkmcnt(4)
	v_mul_f32_e32 v149, v32, v3
	v_mul_f32_e32 v21, v24, v147
	s_waitcnt vmcnt(2)
	v_sub_f32_e32 v4, v6, v20
	v_mul_f32_e32 v6, v33, v3
	v_fmac_f32_e32 v149, v33, v2
	v_fmac_f32_e32 v21, v25, v146
	v_fma_f32 v148, v32, v2, -v6
	v_mul_f32_e32 v3, v34, v149
	v_sub_f32_e32 v5, v7, v21
	v_mul_f32_e32 v2, v35, v149
	v_fmac_f32_e32 v3, v35, v148
	v_fma_f32 v2, v34, v148, -v2
	v_sub_f32_e32 v3, v5, v3
	v_mul_f32_e32 v49, v26, v147
	v_sub_f32_e32 v2, v4, v2
	s_waitcnt lgkmcnt(3)
	v_mul_f32_e32 v151, v36, v3
	v_mul_f32_e32 v48, v27, v147
	v_fmac_f32_e32 v49, v27, v146
	s_waitcnt lgkmcnt(2)
	v_mul_f32_e32 v7, v40, v149
	v_mul_f32_e32 v4, v37, v3
	v_fmac_f32_e32 v151, v37, v2
	v_fma_f32 v22, v26, v146, -v48
	v_mul_f32_e32 v6, v41, v149
	v_fmac_f32_e32 v7, v41, v148
	v_fma_f32 v150, v36, v2, -v4
	v_mul_f32_e32 v3, v38, v151
	v_fma_f32 v6, v40, v148, -v6
	v_mul_f32_e32 v2, v39, v151
	v_fmac_f32_e32 v3, v39, v150
	v_mul_f32_e32 v50, v29, v147
	v_fma_f32 v2, v38, v150, -v2
	v_mul_f32_e32 v51, v28, v147
	v_fma_f32 v23, v28, v146, -v50
	v_mul_f32_e32 v20, v43, v149
	v_fmac_f32_e32 v51, v29, v146
	v_mul_f32_e32 v21, v42, v149
	v_fma_f32 v20, v42, v148, -v20
	v_fmac_f32_e32 v21, v43, v148
	s_or_b32 s11, s22, 0x600
	s_add_i32 s13, s4, s11
	v_mov_b32_e32 v168, s13
	s_add_i32 s13, s21, 0xa28
	s_or_b32 s12, s22, 0x800
	s_add_i32 s14, s4, s12
	v_mov_b32_e32 v175, s14
	scratch_store_dwordx2 off, v[146:147], off
	scratch_store_dwordx2 off, v[148:149], off offset:8
	scratch_load_dwordx4 v[24:27], off, off
	s_or_b32 s15, s22, 0xe00
	scratch_store_dwordx2 off, v[150:151], off offset:16
	s_or_b32 s18, s22, 0x1400
	s_add_i32 s20, s4, s18
	v_mov_b32_e32 v178, s20
	s_or_b32 s20, s22, 0x1800
	s_addk_i32 s6, 0x100
	s_waitcnt vmcnt(5)
	v_sub_f32_e32 v5, v17, v49
	v_sub_f32_e32 v4, v16, v22
	;; [unrolled: 1-line block ×6, first 2 shown]
	s_waitcnt lgkmcnt(1)
	v_mul_f32_e32 v4, v45, v3
	v_sub_f32_e32 v16, v18, v23
	v_mul_f32_e32 v153, v44, v3
	v_fma_f32 v152, v44, v2, -v4
	s_waitcnt lgkmcnt(0)
	v_mul_f32_e32 v4, v13, v151
	v_sub_f32_e32 v17, v19, v51
	v_fmac_f32_e32 v153, v45, v2
	v_sub_f32_e32 v2, v16, v20
	v_fma_f32 v4, v12, v150, -v4
	v_mul_f32_e32 v5, v12, v151
	v_sub_f32_e32 v3, v17, v21
	v_fmac_f32_e32 v5, v13, v150
	v_sub_f32_e32 v6, v2, v4
	v_mul_f32_e32 v2, v47, v153
	v_sub_f32_e32 v7, v3, v5
	v_fma_f32 v12, v46, v152, -v2
	ds_read_b128 v[2:5], v174 offset:2080
	v_mul_f32_e32 v13, v46, v153
	ds_read2_b64 v[16:19], v167 offset0:5 offset1:6
	ds_read2_b64 v[20:23], v168 offset0:5 offset1:6
	v_fmac_f32_e32 v13, v47, v152
	v_sub_f32_e32 v7, v7, v13
	v_sub_f32_e32 v6, v6, v12
	s_waitcnt lgkmcnt(2)
	v_mul_f32_e32 v12, v3, v7
	v_fma_f32 v154, v2, v6, -v12
	v_mul_f32_e32 v155, v2, v7
	v_mul_f32_e32 v2, v31, v147
	v_fmac_f32_e32 v155, v3, v6
	v_fma_f32 v2, v30, v146, -v2
	v_mul_f32_e32 v3, v30, v147
	s_waitcnt lgkmcnt(1)
	v_mul_f32_e32 v6, v17, v149
	v_fmac_f32_e32 v3, v31, v146
	s_waitcnt vmcnt(4)
	v_sub_f32_e32 v2, v8, v2
	v_fma_f32 v6, v16, v148, -v6
	v_mul_f32_e32 v7, v16, v149
	v_sub_f32_e32 v3, v9, v3
	v_fmac_f32_e32 v7, v17, v148
	v_sub_f32_e32 v2, v2, v6
	v_mul_f32_e32 v6, v15, v151
	v_sub_f32_e32 v3, v3, v7
	v_fma_f32 v12, v14, v150, -v6
	scratch_load_dwordx4 v[6:9], off, off offset:56
	v_mul_f32_e32 v13, v14, v151
	v_sub_f32_e32 v2, v2, v12
	s_waitcnt lgkmcnt(0)
	v_mul_f32_e32 v12, v21, v153
	v_fmac_f32_e32 v13, v15, v150
	v_fma_f32 v12, v20, v152, -v12
	v_sub_f32_e32 v3, v3, v13
	v_mul_f32_e32 v13, v20, v153
	v_sub_f32_e32 v2, v2, v12
	v_mul_f32_e32 v12, v5, v155
	v_fmac_f32_e32 v13, v21, v152
	v_fma_f32 v16, v4, v154, -v12
	v_mov_b32_e32 v12, s13
	v_sub_f32_e32 v3, v3, v13
	ds_read2_b64 v[12:15], v12 offset1:1
	v_mul_f32_e32 v4, v4, v155
	v_fmac_f32_e32 v4, v5, v154
	v_sub_f32_e32 v17, v3, v4
	v_sub_f32_e32 v16, v2, v16
	s_waitcnt lgkmcnt(0)
	v_mul_f32_e32 v2, v13, v17
	v_fma_f32 v156, v12, v16, -v2
	ds_read_b128 v[2:5], v174 offset:48
	v_mul_f32_e32 v157, v12, v17
	v_fmac_f32_e32 v157, v13, v16
	v_mul_f32_e32 v17, v18, v149
	v_fmac_f32_e32 v17, v19, v148
	s_waitcnt lgkmcnt(0)
	v_mul_f32_e32 v12, v3, v147
	v_fma_f32 v12, v2, v146, -v12
	v_mul_f32_e32 v2, v2, v147
	v_fmac_f32_e32 v2, v3, v146
	v_sub_f32_e32 v3, v10, v12
	v_mul_f32_e32 v10, v19, v149
	v_sub_f32_e32 v2, v11, v2
	v_fma_f32 v16, v18, v148, -v10
	ds_read_b128 v[10:13], v173 offset:48
	v_sub_f32_e32 v3, v3, v16
	v_sub_f32_e32 v2, v2, v17
	ds_read2_b64 v[28:31], v168 offset0:7 offset1:8
	s_or_b32 s13, s22, 0xa00
	s_waitcnt lgkmcnt(1)
	v_mul_f32_e32 v16, v11, v151
	v_fma_f32 v16, v10, v150, -v16
	v_sub_f32_e32 v3, v3, v16
	ds_read_b128 v[16:19], v175 offset:48
	v_mul_f32_e32 v10, v10, v151
	v_fmac_f32_e32 v10, v11, v150
	v_sub_f32_e32 v2, v2, v10
	v_mul_f32_e32 v10, v23, v153
	v_mul_f32_e32 v11, v22, v153
	v_fma_f32 v10, v22, v152, -v10
	v_fmac_f32_e32 v11, v23, v152
	v_sub_f32_e32 v3, v3, v10
	v_sub_f32_e32 v2, v2, v11
	s_waitcnt lgkmcnt(0)
	v_mul_f32_e32 v10, v17, v155
	v_mul_f32_e32 v11, v16, v155
	v_fma_f32 v10, v16, v154, -v10
	v_fmac_f32_e32 v11, v17, v154
	ds_read_b128 v[20:23], v174 offset:3120
	v_sub_f32_e32 v3, v3, v10
	v_sub_f32_e32 v2, v2, v11
	v_mul_f32_e32 v10, v15, v157
	v_mul_f32_e32 v11, v14, v157
	v_fma_f32 v10, v14, v156, -v10
	v_fmac_f32_e32 v11, v15, v156
	ds_read2_b64 v[14:17], v167 offset0:7 offset1:8
	v_sub_f32_e32 v2, v2, v11
	v_sub_f32_e32 v3, v3, v10
	s_waitcnt lgkmcnt(1)
	v_mul_f32_e32 v10, v21, v2
	v_mul_f32_e32 v159, v20, v2
	v_fma_f32 v158, v20, v3, -v10
	v_fmac_f32_e32 v159, v21, v3
	v_mul_f32_e32 v2, v5, v147
	v_mul_f32_e32 v3, v4, v147
	v_fma_f32 v2, v4, v146, -v2
	v_fmac_f32_e32 v3, v5, v146
	s_waitcnt lgkmcnt(0)
	v_mul_f32_e32 v4, v15, v149
	v_mul_f32_e32 v5, v14, v149
	s_add_i32 s14, s4, s13
	v_fma_f32 v4, v14, v148, -v4
	v_fmac_f32_e32 v5, v15, v148
	v_mov_b32_e32 v169, s14
	s_waitcnt vmcnt(0)
	v_sub_f32_e32 v2, v6, v2
	v_sub_f32_e32 v3, v7, v3
	v_sub_f32_e32 v2, v2, v4
	v_sub_f32_e32 v3, v3, v5
	v_mul_f32_e32 v4, v13, v151
	v_mul_f32_e32 v5, v12, v151
	v_fma_f32 v4, v12, v150, -v4
	v_fmac_f32_e32 v5, v13, v150
	ds_read2_b64 v[12:15], v169 offset0:7 offset1:8
	v_sub_f32_e32 v3, v3, v5
	v_mul_f32_e32 v5, v28, v153
	v_fmac_f32_e32 v5, v29, v152
	scratch_store_dwordx2 off, v[152:153], off offset:24
	v_sub_f32_e32 v3, v3, v5
	v_mul_f32_e32 v5, v18, v155
	scratch_load_dwordx4 v[32:35], off, off offset:16
	v_fmac_f32_e32 v5, v19, v154
	v_sub_f32_e32 v2, v2, v4
	v_mul_f32_e32 v4, v29, v153
	v_sub_f32_e32 v3, v3, v5
	s_waitcnt lgkmcnt(0)
	v_mul_f32_e32 v5, v12, v157
	v_fma_f32 v4, v28, v152, -v4
	v_fmac_f32_e32 v5, v13, v156
	s_add_i32 s14, s21, 0xe38
	scratch_store_dwordx2 off, v[154:155], off offset:32
	scratch_store_dwordx2 off, v[156:157], off offset:40
	v_sub_f32_e32 v2, v2, v4
	v_mul_f32_e32 v4, v19, v155
	v_sub_f32_e32 v3, v3, v5
	v_mov_b32_e32 v5, s14
	v_fma_f32 v4, v18, v154, -v4
	scratch_load_dwordx4 v[18:21], off, off offset:32
	ds_read2_b64 v[36:39], v5 offset1:1
	v_sub_f32_e32 v2, v2, v4
	v_mul_f32_e32 v4, v13, v157
	v_fma_f32 v4, v12, v156, -v4
	v_mul_f32_e32 v5, v22, v159
	v_sub_f32_e32 v2, v2, v4
	v_mul_f32_e32 v4, v23, v159
	v_fmac_f32_e32 v5, v23, v158
	v_fma_f32 v4, v22, v158, -v4
	v_sub_f32_e32 v3, v3, v5
	v_sub_f32_e32 v2, v2, v4
	s_waitcnt lgkmcnt(0)
	v_mul_f32_e32 v4, v37, v3
	v_mul_f32_e32 v61, v36, v3
	v_fma_f32 v60, v36, v2, -v4
	v_fmac_f32_e32 v61, v37, v2
	scratch_store_dwordx2 off, v[158:159], off offset:48
	scratch_store_dwordx2 off, v[60:61], off offset:56
	scratch_load_dwordx4 v[4:7], off, off offset:48
	scratch_load_dwordx4 v[40:43], off, off
	scratch_load_dwordx4 v[10:13], off, off offset:72
	scratch_load_dwordx4 v[48:51], off, off offset:16
	;; [unrolled: 1-line block ×4, first 2 shown]
	ds_read_b128 v[44:47], v174 offset:64
	s_or_b32 s14, s22, 0xc00
	s_add_i32 s16, s4, s14
	v_mov_b32_e32 v176, s16
	s_add_i32 s16, s4, s15
	s_waitcnt lgkmcnt(0)
	v_mul_f32_e32 v2, v45, v25
	v_mul_f32_e32 v3, v44, v25
	v_fma_f32 v2, v44, v24, -v2
	v_fmac_f32_e32 v3, v45, v24
	ds_read_b128 v[22:25], v173 offset:64
	v_sub_f32_e32 v2, v8, v2
	v_sub_f32_e32 v3, v9, v3
	v_mul_f32_e32 v8, v17, v27
	v_mul_f32_e32 v9, v16, v27
	v_fma_f32 v8, v16, v26, -v8
	v_fmac_f32_e32 v9, v17, v26
	ds_read_b128 v[26:29], v175 offset:64
	v_sub_f32_e32 v2, v2, v8
	v_sub_f32_e32 v3, v3, v9
	v_mov_b32_e32 v170, s16
	s_add_i32 s16, s21, 0x1248
	s_waitcnt vmcnt(11) lgkmcnt(1)
	v_mul_f32_e32 v8, v23, v33
	v_mul_f32_e32 v9, v22, v33
	v_fma_f32 v8, v22, v32, -v8
	v_fmac_f32_e32 v9, v23, v32
	v_sub_f32_e32 v2, v2, v8
	v_sub_f32_e32 v3, v3, v9
	v_mul_f32_e32 v8, v31, v35
	v_mul_f32_e32 v9, v30, v35
	v_fma_f32 v8, v30, v34, -v8
	v_fmac_f32_e32 v9, v31, v34
	v_sub_f32_e32 v2, v2, v8
	v_sub_f32_e32 v3, v3, v9
	ds_read2_b64 v[30:33], v168 offset0:9 offset1:10
	ds_read2_b64 v[34:37], v169 offset0:9 offset1:10
	s_waitcnt vmcnt(8) lgkmcnt(2)
	v_mul_f32_e32 v8, v27, v19
	v_mul_f32_e32 v9, v26, v19
	v_fma_f32 v8, v26, v18, -v8
	v_fmac_f32_e32 v9, v27, v18
	ds_read_b128 v[16:19], v176 offset:64
	v_sub_f32_e32 v2, v2, v8
	v_mul_f32_e32 v8, v15, v21
	v_fma_f32 v8, v14, v20, -v8
	v_sub_f32_e32 v3, v3, v9
	v_mul_f32_e32 v9, v14, v21
	v_sub_f32_e32 v2, v2, v8
	v_fmac_f32_e32 v9, v15, v20
	v_sub_f32_e32 v3, v3, v9
	v_mul_f32_e32 v15, v38, v61
	v_fmac_f32_e32 v15, v39, v60
	scratch_load_dwordx4 v[20:23], off, off
	s_waitcnt vmcnt(6) lgkmcnt(0)
	v_mul_f32_e32 v8, v17, v5
	v_fma_f32 v8, v16, v4, -v8
	v_mul_f32_e32 v5, v16, v5
	v_fmac_f32_e32 v5, v17, v4
	v_sub_f32_e32 v8, v2, v8
	v_mul_f32_e32 v2, v39, v61
	v_sub_f32_e32 v9, v3, v5
	v_fma_f32 v14, v38, v60, -v2
	ds_read_b128 v[2:5], v174 offset:4160
	v_sub_f32_e32 v9, v9, v15
	v_sub_f32_e32 v8, v8, v14
	s_waitcnt lgkmcnt(0)
	v_mul_f32_e32 v14, v3, v9
	v_fma_f32 v160, v2, v8, -v14
	ds_read2_b64 v[14:17], v167 offset0:9 offset1:10
	v_mul_f32_e32 v161, v2, v9
	v_fmac_f32_e32 v161, v3, v8
	s_waitcnt vmcnt(5)
	v_mul_f32_e32 v3, v46, v41
	v_mul_f32_e32 v2, v47, v41
	v_fmac_f32_e32 v3, v47, v40
	s_waitcnt lgkmcnt(0)
	v_mul_f32_e32 v9, v14, v43
	v_fma_f32 v2, v46, v40, -v2
	s_waitcnt vmcnt(4)
	v_sub_f32_e32 v3, v11, v3
	v_mul_f32_e32 v8, v15, v43
	v_fmac_f32_e32 v9, v15, v42
	v_sub_f32_e32 v2, v10, v2
	v_fma_f32 v8, v14, v42, -v8
	v_sub_f32_e32 v3, v3, v9
	s_waitcnt vmcnt(3)
	v_mul_f32_e32 v9, v24, v49
	scratch_store_dword off, v2, off offset:72
	v_sub_f32_e32 v2, v2, v8
	v_mul_f32_e32 v8, v25, v49
	v_fmac_f32_e32 v9, v25, v48
	v_fma_f32 v8, v24, v48, -v8
	v_sub_f32_e32 v3, v3, v9
	v_mul_f32_e32 v9, v30, v51
	scratch_load_dwordx4 v[24:27], off, off offset:16
	v_fmac_f32_e32 v9, v31, v50
	v_sub_f32_e32 v2, v2, v8
	v_mul_f32_e32 v8, v31, v51
	v_sub_f32_e32 v3, v3, v9
	s_waitcnt vmcnt(4)
	v_mul_f32_e32 v9, v28, v53
	v_fma_f32 v8, v30, v50, -v8
	v_fmac_f32_e32 v9, v29, v52
	ds_read2_b64 v[38:41], v170 offset0:9 offset1:10
	v_sub_f32_e32 v2, v2, v8
	v_mul_f32_e32 v8, v29, v53
	v_sub_f32_e32 v3, v3, v9
	v_mul_f32_e32 v9, v34, v55
	v_fma_f32 v8, v28, v52, -v8
	v_fmac_f32_e32 v9, v35, v54
	v_sub_f32_e32 v2, v2, v8
	v_mul_f32_e32 v8, v35, v55
	v_sub_f32_e32 v3, v3, v9
	s_waitcnt vmcnt(3)
	v_mul_f32_e32 v9, v18, v57
	v_fma_f32 v8, v34, v54, -v8
	v_fmac_f32_e32 v9, v19, v56
	v_sub_f32_e32 v2, v2, v8
	v_mul_f32_e32 v8, v19, v57
	scratch_load_dwordx4 v[28:31], off, off offset:32
	v_sub_f32_e32 v3, v3, v9
	s_waitcnt lgkmcnt(0)
	v_mul_f32_e32 v9, v38, v59
	v_fma_f32 v8, v18, v56, -v8
	v_fmac_f32_e32 v9, v39, v58
	v_sub_f32_e32 v2, v2, v8
	v_mul_f32_e32 v8, v39, v59
	v_sub_f32_e32 v3, v3, v9
	v_mov_b32_e32 v9, s16
	v_fma_f32 v8, v38, v58, -v8
	ds_read2_b64 v[46:49], v9 offset1:1
	v_sub_f32_e32 v2, v2, v8
	v_mul_f32_e32 v8, v5, v161
	v_fma_f32 v8, v4, v160, -v8
	v_mul_f32_e32 v4, v4, v161
	v_fmac_f32_e32 v4, v5, v160
	scratch_load_dwordx4 v[42:45], off, off offset:48
	v_sub_f32_e32 v3, v3, v4
	v_sub_f32_e32 v2, v2, v8
	s_waitcnt lgkmcnt(0)
	v_mul_f32_e32 v4, v47, v3
	v_mul_f32_e32 v63, v46, v3
	v_fma_f32 v62, v46, v2, -v4
	v_fmac_f32_e32 v63, v47, v2
	scratch_store_dwordx2 off, v[160:161], off offset:64
	scratch_store_dwordx2 off, v[62:63], off offset:72
	scratch_load_dwordx4 v[8:11], off, off offset:64
	ds_read_b128 v[50:53], v174 offset:80
	s_waitcnt vmcnt(7)
	v_mov_b32_e32 v4, v21
	v_mov_b32_e32 v5, v23
	;; [unrolled: 1-line block ×4, first 2 shown]
	s_waitcnt lgkmcnt(0)
	v_pk_mul_f32 v[14:15], v[50:51], v[20:21]
	scratch_load_dwordx4 v[18:21], off, off
	v_sub_f32_e32 v14, v14, v15
	v_sub_f32_e32 v12, v12, v14
	v_mov_b32_e32 v14, v51
	v_mov_b32_e32 v51, v17
	;; [unrolled: 1-line block ×3, first 2 shown]
	v_pk_mul_f32 v[4:5], v[50:51], v[4:5]
	s_or_b32 s16, s22, 0x1000
	v_pk_fma_f32 v[34:35], v[14:15], v[2:3], v[4:5] neg_lo:[0,0,1] neg_hi:[0,0,1]
	v_pk_fma_f32 v[14:15], v[14:15], v[2:3], v[4:5]
	scratch_load_dwordx4 v[2:5], off, off offset:88
	scratch_load_dwordx4 v[54:57], off, off offset:8
	ds_read_b128 v[58:61], v173 offset:80
	ds_read_b128 v[66:69], v174 offset:96
	v_pk_mov_b32 v[14:15], v[34:35], v[14:15] op_sel:[1,0]
	s_add_i32 s17, s4, s16
	v_pk_add_f32 v[12:13], v[12:13], v[14:15] neg_lo:[0,1] neg_hi:[0,1]
	v_mul_f32_e32 v14, v17, v22
	v_fmac_f32_e32 v14, v16, v23
	v_sub_f32_e32 v14, v13, v14
	scratch_store_dwordx2 off, v[12:13], off offset:80
	v_mov_b32_e32 v177, s17
	s_or_b32 s17, s22, 0x1200
	s_add_i32 s19, s4, s17
	v_mov_b32_e32 v171, s19
	s_add_i32 s19, s21, 0x1658
	s_waitcnt vmcnt(9) lgkmcnt(1)
	v_mul_f32_e32 v13, v59, v25
	v_mul_f32_e32 v15, v58, v25
	v_fma_f32 v13, v58, v24, -v13
	v_fmac_f32_e32 v15, v59, v24
	v_sub_f32_e32 v12, v12, v13
	v_sub_f32_e32 v13, v14, v15
	v_mul_f32_e32 v14, v33, v27
	v_fma_f32 v22, v32, v26, -v14
	ds_read_b128 v[14:17], v175 offset:80
	v_sub_f32_e32 v12, v12, v22
	v_mul_f32_e32 v23, v32, v27
	v_fmac_f32_e32 v23, v33, v26
	v_sub_f32_e32 v13, v13, v23
	s_addk_i32 s21, 0x1a68
	s_waitcnt vmcnt(8) lgkmcnt(0)
	v_mul_f32_e32 v22, v15, v29
	v_fma_f32 v22, v14, v28, -v22
	v_mul_f32_e32 v14, v14, v29
	v_fmac_f32_e32 v14, v15, v28
	ds_read_b128 v[26:29], v176 offset:80
	v_sub_f32_e32 v12, v12, v22
	scratch_load_dwordx4 v[22:25], off, off offset:24
	v_sub_f32_e32 v13, v13, v14
	v_mul_f32_e32 v14, v37, v31
	v_mul_f32_e32 v15, v36, v31
	v_fma_f32 v14, v36, v30, -v14
	v_fmac_f32_e32 v15, v37, v30
	ds_read_b128 v[34:37], v177 offset:80
	v_sub_f32_e32 v12, v12, v14
	v_sub_f32_e32 v13, v13, v15
	scratch_load_dwordx4 v[30:33], off, off offset:40
	s_waitcnt vmcnt(9) lgkmcnt(1)
	v_mul_f32_e32 v14, v27, v43
	v_fma_f32 v14, v26, v42, -v14
	v_mul_f32_e32 v15, v26, v43
	v_fmac_f32_e32 v15, v27, v42
	v_sub_f32_e32 v12, v12, v14
	v_mul_f32_e32 v14, v41, v45
	v_sub_f32_e32 v13, v13, v15
	v_fma_f32 v14, v40, v44, -v14
	v_mul_f32_e32 v15, v40, v45
	v_fmac_f32_e32 v15, v41, v44
	v_sub_f32_e32 v12, v12, v14
	s_waitcnt vmcnt(6) lgkmcnt(0)
	v_mul_f32_e32 v14, v35, v9
	v_mul_f32_e32 v9, v34, v9
	ds_read_b128 v[42:45], v174 offset:5200
	v_sub_f32_e32 v13, v13, v15
	v_fmac_f32_e32 v9, v35, v8
	v_fma_f32 v14, v34, v8, -v14
	v_sub_f32_e32 v9, v13, v9
	v_mul_f32_e32 v13, v48, v63
	scratch_load_dwordx4 v[38:41], off, off offset:56
	v_sub_f32_e32 v8, v12, v14
	v_mul_f32_e32 v12, v49, v63
	v_fmac_f32_e32 v13, v49, v62
	v_fma_f32 v12, v48, v62, -v12
	v_sub_f32_e32 v9, v9, v13
	v_sub_f32_e32 v12, v8, v12
	s_waitcnt lgkmcnt(0)
	v_mul_f32_e32 v8, v43, v9
	v_mul_f32_e32 v9, v42, v9
	v_fma_f32 v8, v42, v12, -v8
	v_fmac_f32_e32 v9, v43, v12
	scratch_store_dwordx2 off, v[8:9], off offset:80
	scratch_load_dwordx4 v[12:15], off, off offset:72
	ds_read2_b64 v[46:49], v167 offset0:11 offset1:12
	s_waitcnt vmcnt(8)
	v_mov_b32_e32 v26, v18
	v_mov_b32_e32 v27, v20
	;; [unrolled: 1-line block ×3, first 2 shown]
	v_pk_mul_f32 v[18:19], v[52:53], v[18:19]
	v_mov_b32_e32 v34, v53
	s_waitcnt lgkmcnt(0)
	v_mov_b32_e32 v53, v47
	v_mov_b32_e32 v35, v46
	v_pk_mul_f32 v[20:21], v[52:53], v[20:21]
	v_sub_f32_e32 v18, v18, v19
	v_pk_fma_f32 v[50:51], v[34:35], v[26:27], v[20:21] neg_lo:[0,0,1] neg_hi:[0,0,1]
	v_pk_fma_f32 v[20:21], v[34:35], v[26:27], v[20:21]
	s_waitcnt vmcnt(7)
	v_sub_f32_e32 v2, v2, v18
	v_pk_mov_b32 v[20:21], v[50:51], v[20:21] op_sel:[1,0]
	s_waitcnt vmcnt(6)
	v_mov_b32_e32 v42, v55
	v_mov_b32_e32 v43, v57
	v_pk_add_f32 v[2:3], v[2:3], v[20:21] neg_lo:[0,1] neg_hi:[0,1]
	v_mov_b32_e32 v20, v47
	v_mov_b32_e32 v47, v61
	scratch_load_dwordx4 v[50:53], off, off
	v_mov_b32_e32 v18, v54
	v_mov_b32_e32 v19, v56
	;; [unrolled: 1-line block ×3, first 2 shown]
	v_pk_mul_f32 v[26:27], v[46:47], v[42:43]
	scratch_load_dwordx4 v[62:65], off, off offset:8
	v_pk_fma_f32 v[34:35], v[20:21], v[18:19], v[26:27] neg_lo:[0,0,1] neg_hi:[0,0,1]
	v_pk_fma_f32 v[18:19], v[20:21], v[18:19], v[26:27]
	v_mul_f32_e32 v26, v61, v56
	v_pk_mov_b32 v[18:19], v[34:35], v[18:19] op_sel:[1,0]
	v_fmac_f32_e32 v26, v60, v57
	v_pk_add_f32 v[2:3], v[2:3], v[18:19] neg_lo:[0,1] neg_hi:[0,1]
	ds_read2_b64 v[18:21], v168 offset0:11 offset1:12
	v_sub_f32_e32 v26, v3, v26
	scratch_store_dwordx2 off, v[2:3], off offset:88
	scratch_load_dwordx4 v[54:57], off, off offset:16
	ds_read2_b64 v[58:61], v169 offset0:11 offset1:12
	s_waitcnt vmcnt(8) lgkmcnt(1)
	v_mul_f32_e32 v3, v19, v23
	v_fma_f32 v3, v18, v22, -v3
	v_mul_f32_e32 v18, v18, v23
	v_fmac_f32_e32 v18, v19, v22
	v_sub_f32_e32 v2, v2, v3
	v_sub_f32_e32 v3, v26, v18
	v_mul_f32_e32 v18, v17, v25
	v_fma_f32 v18, v16, v24, -v18
	v_mul_f32_e32 v16, v16, v25
	v_fmac_f32_e32 v16, v17, v24
	ds_read2_b64 v[22:25], v170 offset0:11 offset1:12
	v_sub_f32_e32 v3, v3, v16
	s_waitcnt vmcnt(7) lgkmcnt(1)
	v_mul_f32_e32 v16, v59, v31
	v_mul_f32_e32 v17, v58, v31
	v_sub_f32_e32 v2, v2, v18
	v_fma_f32 v16, v58, v30, -v16
	v_fmac_f32_e32 v17, v59, v30
	v_sub_f32_e32 v2, v2, v16
	v_sub_f32_e32 v3, v3, v17
	v_mul_f32_e32 v16, v29, v33
	v_mul_f32_e32 v17, v28, v33
	v_fma_f32 v16, v28, v32, -v16
	v_fmac_f32_e32 v17, v29, v32
	scratch_load_dwordx4 v[26:29], off, off offset:32
	v_sub_f32_e32 v2, v2, v16
	v_sub_f32_e32 v3, v3, v17
	ds_read2_b64 v[30:33], v171 offset0:11 offset1:12
	s_waitcnt vmcnt(7) lgkmcnt(1)
	v_mul_f32_e32 v16, v23, v39
	v_mul_f32_e32 v17, v22, v39
	v_fma_f32 v16, v22, v38, -v16
	v_fmac_f32_e32 v17, v23, v38
	v_sub_f32_e32 v2, v2, v16
	v_sub_f32_e32 v3, v3, v17
	v_mul_f32_e32 v16, v37, v41
	v_mul_f32_e32 v17, v36, v41
	v_fma_f32 v16, v36, v40, -v16
	v_fmac_f32_e32 v17, v37, v40
	scratch_load_dwordx4 v[34:37], off, off offset:48
	v_sub_f32_e32 v2, v2, v16
	s_waitcnt vmcnt(6) lgkmcnt(0)
	v_mul_f32_e32 v16, v31, v13
	v_mul_f32_e32 v13, v30, v13
	v_fma_f32 v16, v30, v12, -v16
	v_fmac_f32_e32 v13, v31, v12
	v_mul_f32_e32 v12, v45, v9
	v_mul_f32_e32 v9, v44, v9
	v_fma_f32 v12, v44, v8, -v12
	v_fmac_f32_e32 v9, v45, v8
	scratch_load_dwordx4 v[42:45], off, off offset:64
	v_sub_f32_e32 v3, v3, v17
	v_sub_f32_e32 v3, v3, v13
	v_mov_b32_e32 v13, s19
	ds_read2_b64 v[38:41], v13 offset1:1
	v_sub_f32_e32 v2, v2, v16
	v_sub_f32_e32 v3, v3, v9
	;; [unrolled: 1-line block ×3, first 2 shown]
	v_mov_b32_e32 v22, v67
	s_waitcnt lgkmcnt(0)
	v_mul_f32_e32 v8, v39, v3
	v_mul_f32_e32 v9, v38, v3
	v_fma_f32 v8, v38, v2, -v8
	s_waitcnt vmcnt(6)
	v_mov_b32_e32 v3, v52
	v_mov_b32_e32 v52, v51
	v_pk_mul_f32 v[12:13], v[66:67], v[50:51]
	v_mov_b32_e32 v67, v49
	v_fmac_f32_e32 v9, v39, v2
	v_mov_b32_e32 v2, v50
	v_pk_mul_f32 v[30:31], v[66:67], v[52:53]
	ds_read_b128 v[50:53], v173 offset:96
	v_mov_b32_e32 v23, v48
	scratch_store_dwordx2 off, v[8:9], off offset:88
	v_sub_f32_e32 v12, v12, v13
	s_waitcnt vmcnt(6)
	v_mov_b32_e32 v13, v64
	v_mov_b32_e32 v64, v63
	v_pk_fma_f32 v[38:39], v[22:23], v[2:3], v[30:31] neg_lo:[0,0,1] neg_hi:[0,0,1]
	v_pk_fma_f32 v[2:3], v[22:23], v[2:3], v[30:31]
	v_mov_b32_e32 v22, v49
	s_waitcnt lgkmcnt(0)
	v_mov_b32_e32 v49, v51
	scratch_load_dwordx4 v[16:19], off, off offset:80
	v_sub_f32_e32 v4, v4, v12
	v_mov_b32_e32 v12, v62
	v_pk_mov_b32 v[2:3], v[38:39], v[2:3] op_sel:[1,0]
	v_mov_b32_e32 v23, v50
	v_pk_mul_f32 v[38:39], v[48:49], v[64:65]
	v_pk_add_f32 v[2:3], v[4:5], v[2:3] neg_lo:[0,1] neg_hi:[0,1]
	v_pk_fma_f32 v[46:47], v[22:23], v[12:13], v[38:39] neg_lo:[0,0,1] neg_hi:[0,0,1]
	v_pk_fma_f32 v[12:13], v[22:23], v[12:13], v[38:39]
	s_waitcnt vmcnt(5)
	v_mov_b32_e32 v30, v55
	v_pk_mov_b32 v[12:13], v[46:47], v[12:13] op_sel:[1,0]
	v_mov_b32_e32 v31, v57
	v_pk_add_f32 v[12:13], v[2:3], v[12:13] neg_lo:[0,1] neg_hi:[0,1]
	v_mov_b32_e32 v2, v51
	v_mov_b32_e32 v51, v21
	;; [unrolled: 1-line block ×4, first 2 shown]
	scratch_load_dwordx4 v[46:49], off, off
	v_mov_b32_e32 v3, v20
	v_pk_mul_f32 v[22:23], v[50:51], v[30:31]
	v_mul_f32_e32 v21, v21, v56
	v_pk_fma_f32 v[30:31], v[2:3], v[4:5], v[22:23] neg_lo:[0,0,1] neg_hi:[0,0,1]
	v_pk_fma_f32 v[2:3], v[2:3], v[4:5], v[22:23]
	v_fmac_f32_e32 v21, v20, v57
	v_pk_mov_b32 v[22:23], v[30:31], v[2:3] op_sel:[1,0]
	scratch_load_dwordx4 v[2:5], off, off offset:104
	scratch_load_dwordx4 v[62:65], off, off offset:8
	ds_read_b128 v[70:73], v175 offset:96
	ds_read_b128 v[74:77], v176 offset:96
	v_pk_add_f32 v[12:13], v[12:13], v[22:23] neg_lo:[0,1] neg_hi:[0,1]
	scratch_store_dwordx2 off, v[12:13], off offset:96
	v_sub_f32_e32 v20, v13, v21
	s_waitcnt vmcnt(8) lgkmcnt(1)
	v_mul_f32_e32 v13, v71, v27
	v_mul_f32_e32 v21, v70, v27
	v_fma_f32 v13, v70, v26, -v13
	v_fmac_f32_e32 v21, v71, v26
	scratch_load_dwordx4 v[54:57], off, off offset:16
	v_sub_f32_e32 v12, v12, v13
	v_sub_f32_e32 v13, v20, v21
	v_mul_f32_e32 v20, v61, v29
	v_mul_f32_e32 v21, v60, v29
	v_fma_f32 v20, v60, v28, -v20
	v_fmac_f32_e32 v21, v61, v28
	ds_read_b128 v[78:81], v177 offset:96
	v_sub_f32_e32 v12, v12, v20
	v_sub_f32_e32 v13, v13, v21
	s_waitcnt vmcnt(8) lgkmcnt(1)
	v_mul_f32_e32 v20, v75, v35
	v_mul_f32_e32 v21, v74, v35
	v_fma_f32 v20, v74, v34, -v20
	scratch_load_dwordx4 v[58:61], off, off offset:24
	v_fmac_f32_e32 v21, v75, v34
	v_sub_f32_e32 v12, v12, v20
	v_sub_f32_e32 v13, v13, v21
	v_mul_f32_e32 v20, v25, v37
	v_mul_f32_e32 v21, v24, v37
	v_fma_f32 v20, v24, v36, -v20
	v_fmac_f32_e32 v21, v25, v36
	v_sub_f32_e32 v12, v12, v20
	v_sub_f32_e32 v13, v13, v21
	s_waitcnt vmcnt(8) lgkmcnt(0)
	v_mul_f32_e32 v20, v79, v43
	v_mul_f32_e32 v21, v78, v43
	v_fma_f32 v20, v78, v42, -v20
	v_fmac_f32_e32 v21, v79, v42
	v_sub_f32_e32 v12, v12, v20
	v_sub_f32_e32 v13, v13, v21
	v_mul_f32_e32 v20, v33, v45
	v_mul_f32_e32 v21, v32, v45
	v_fma_f32 v20, v32, v44, -v20
	v_fmac_f32_e32 v21, v33, v44
	scratch_load_dwordx4 v[32:35], off, off offset:40
	ds_read_b128 v[22:25], v178 offset:96
	ds_read_b128 v[42:45], v174 offset:6240
	ds_read2_b64 v[28:31], v167 offset0:13 offset1:14
	v_sub_f32_e32 v12, v12, v20
	v_sub_f32_e32 v13, v13, v21
	scratch_load_dwordx4 v[82:85], off, off offset:56
	scratch_load_dwordx4 v[90:93], off, off offset:8
	v_mov_b32_e32 v26, v69
	scratch_load_dwordx4 v[86:89], off, off offset:72
	s_waitcnt lgkmcnt(0)
	v_mov_b32_e32 v27, v28
	s_or_b32 s19, s22, 0x1600
	s_waitcnt vmcnt(10)
	v_mul_f32_e32 v20, v23, v17
	v_mul_f32_e32 v17, v22, v17
	v_fma_f32 v20, v22, v16, -v20
	v_fmac_f32_e32 v17, v23, v16
	v_mul_f32_e32 v16, v41, v9
	v_mul_f32_e32 v9, v40, v9
	v_sub_f32_e32 v13, v13, v17
	v_fmac_f32_e32 v9, v41, v8
	v_sub_f32_e32 v12, v12, v20
	v_fma_f32 v16, v40, v8, -v16
	v_sub_f32_e32 v9, v13, v9
	v_sub_f32_e32 v12, v12, v16
	v_mul_f32_e32 v8, v43, v9
	v_mul_f32_e32 v9, v42, v9
	v_fma_f32 v8, v42, v12, -v8
	v_fmac_f32_e32 v9, v43, v12
	scratch_store_dwordx2 off, v[8:9], off offset:96
	s_waitcnt vmcnt(10)
	v_mov_b32_e32 v13, v48
	v_mov_b32_e32 v48, v47
	v_pk_mul_f32 v[16:17], v[68:69], v[46:47]
	v_mov_b32_e32 v69, v29
	v_mov_b32_e32 v12, v46
	v_pk_mul_f32 v[36:37], v[68:69], v[48:49]
	scratch_load_dwordx4 v[20:23], off, off offset:88
	v_pk_fma_f32 v[38:39], v[26:27], v[12:13], v[36:37] neg_lo:[0,0,1] neg_hi:[0,0,1]
	v_pk_fma_f32 v[12:13], v[26:27], v[12:13], v[36:37]
	v_sub_f32_e32 v16, v16, v17
	v_pk_mov_b32 v[12:13], v[38:39], v[12:13] op_sel:[1,0]
	ds_read2_b64 v[38:41], v168 offset0:13 offset1:14
	s_waitcnt vmcnt(9)
	v_mov_b32_e32 v17, v64
	v_mov_b32_e32 v64, v63
	;; [unrolled: 1-line block ×4, first 2 shown]
	v_sub_f32_e32 v2, v2, v16
	v_mov_b32_e32 v16, v62
	v_mov_b32_e32 v27, v52
	v_pk_mul_f32 v[28:29], v[28:29], v[64:65]
	v_pk_add_f32 v[2:3], v[2:3], v[12:13] neg_lo:[0,1] neg_hi:[0,1]
	s_waitcnt vmcnt(7)
	v_mov_b32_e32 v13, v56
	v_mov_b32_e32 v56, v55
	v_pk_fma_f32 v[36:37], v[26:27], v[16:17], v[28:29] neg_lo:[0,0,1] neg_hi:[0,0,1]
	v_pk_fma_f32 v[16:17], v[26:27], v[16:17], v[28:29]
	v_mov_b32_e32 v26, v53
	s_waitcnt lgkmcnt(0)
	v_mov_b32_e32 v53, v39
	v_mov_b32_e32 v12, v54
	v_pk_mov_b32 v[16:17], v[36:37], v[16:17] op_sel:[1,0]
	v_mov_b32_e32 v27, v38
	v_pk_mul_f32 v[36:37], v[52:53], v[56:57]
	v_pk_add_f32 v[2:3], v[2:3], v[16:17] neg_lo:[0,1] neg_hi:[0,1]
	v_pk_fma_f32 v[42:43], v[26:27], v[12:13], v[36:37] neg_lo:[0,0,1] neg_hi:[0,0,1]
	v_pk_fma_f32 v[12:13], v[26:27], v[12:13], v[36:37]
	s_waitcnt vmcnt(6)
	v_mov_b32_e32 v28, v59
	v_pk_mov_b32 v[12:13], v[42:43], v[12:13] op_sel:[1,0]
	v_mov_b32_e32 v29, v61
	v_pk_add_f32 v[2:3], v[2:3], v[12:13] neg_lo:[0,1] neg_hi:[0,1]
	v_mov_b32_e32 v12, v39
	v_mov_b32_e32 v39, v73
	;; [unrolled: 1-line block ×5, first 2 shown]
	v_pk_mul_f32 v[26:27], v[38:39], v[28:29]
	ds_read2_b64 v[50:53], v169 offset0:13 offset1:14
	ds_read2_b64 v[56:59], v170 offset0:13 offset1:14
	v_pk_fma_f32 v[28:29], v[12:13], v[16:17], v[26:27] neg_lo:[0,0,1] neg_hi:[0,0,1]
	v_pk_fma_f32 v[12:13], v[12:13], v[16:17], v[26:27]
	scratch_load_dwordx4 v[62:65], off, off
	v_pk_mov_b32 v[12:13], v[28:29], v[12:13] op_sel:[1,0]
	ds_read2_b64 v[66:69], v171 offset0:13 offset1:14
	v_pk_add_f32 v[2:3], v[2:3], v[12:13] neg_lo:[0,1] neg_hi:[0,1]
	v_mul_f32_e32 v12, v73, v60
	v_fmac_f32_e32 v12, v72, v61
	v_sub_f32_e32 v12, v3, v12
	scratch_store_dwordx2 off, v[2:3], off offset:104
	s_waitcnt vmcnt(7) lgkmcnt(2)
	v_mul_f32_e32 v3, v51, v33
	v_mul_f32_e32 v13, v50, v33
	v_fma_f32 v3, v50, v32, -v3
	v_fmac_f32_e32 v13, v51, v32
	scratch_load_dwordx4 v[48:51], off, off offset:16
	scratch_load_dwordx4 v[70:73], off, off offset:24
	v_sub_f32_e32 v2, v2, v3
	v_sub_f32_e32 v3, v12, v13
	v_mul_f32_e32 v12, v77, v35
	v_mul_f32_e32 v13, v76, v35
	v_fma_f32 v12, v76, v34, -v12
	v_fmac_f32_e32 v13, v77, v34
	scratch_load_dwordx4 v[74:77], off, off offset:32
	v_sub_f32_e32 v3, v3, v13
	s_waitcnt vmcnt(9) lgkmcnt(1)
	v_mul_f32_e32 v13, v56, v83
	s_add_i32 s23, s4, s19
	v_sub_f32_e32 v2, v2, v12
	v_mul_f32_e32 v12, v57, v83
	v_fmac_f32_e32 v13, v57, v82
	v_fma_f32 v12, v56, v82, -v12
	v_sub_f32_e32 v3, v3, v13
	v_mul_f32_e32 v13, v80, v85
	v_mov_b32_e32 v172, s23
	v_sub_f32_e32 v2, v2, v12
	v_mul_f32_e32 v12, v81, v85
	v_fmac_f32_e32 v13, v81, v84
	ds_read2_b64 v[54:57], v172 offset0:13 offset1:14
	v_fma_f32 v12, v80, v84, -v12
	v_sub_f32_e32 v3, v3, v13
	s_waitcnt vmcnt(7) lgkmcnt(1)
	v_mul_f32_e32 v13, v66, v87
	scratch_load_dwordx4 v[78:81], off, off offset:48
	scratch_load_dwordx4 v[82:85], off, off offset:64
	v_fmac_f32_e32 v13, v67, v86
	v_sub_f32_e32 v2, v2, v12
	v_mul_f32_e32 v12, v67, v87
	v_sub_f32_e32 v3, v3, v13
	v_mul_f32_e32 v13, v24, v89
	v_fma_f32 v12, v66, v86, -v12
	v_fmac_f32_e32 v13, v25, v88
	v_sub_f32_e32 v2, v2, v12
	v_mul_f32_e32 v12, v25, v89
	v_sub_f32_e32 v3, v3, v13
	s_waitcnt vmcnt(7) lgkmcnt(0)
	v_mul_f32_e32 v13, v54, v21
	v_fma_f32 v12, v24, v88, -v12
	v_fmac_f32_e32 v13, v55, v20
	v_sub_f32_e32 v2, v2, v12
	v_mul_f32_e32 v12, v55, v21
	v_sub_f32_e32 v3, v3, v13
	v_mov_b32_e32 v13, s21
	v_fma_f32 v12, v54, v20, -v12
	ds_read2_b64 v[32:35], v13 offset1:1
	v_sub_f32_e32 v2, v2, v12
	v_mul_f32_e32 v12, v45, v9
	v_mul_f32_e32 v9, v44, v9
	v_fma_f32 v12, v44, v8, -v12
	v_fmac_f32_e32 v9, v45, v8
	ds_read_b128 v[44:47], v174 offset:112
	v_sub_f32_e32 v3, v3, v9
	ds_read_b128 v[36:39], v173 offset:112
	scratch_load_dwordx4 v[86:89], off, off offset:80
	v_sub_f32_e32 v2, v2, v12
	s_waitcnt lgkmcnt(2)
	v_mul_f32_e32 v8, v33, v3
	v_mul_f32_e32 v9, v32, v3
	v_fma_f32 v8, v32, v2, -v8
	v_fmac_f32_e32 v9, v33, v2
	scratch_store_dwordx2 off, v[8:9], off offset:104
	s_waitcnt lgkmcnt(1)
	v_mov_b32_e32 v16, v45
	scratch_load_dwordx4 v[26:29], off, off offset:96
	v_mov_b32_e32 v17, v30
	s_add_i32 s23, s4, s20
	v_mov_b32_e32 v179, s23
	s_or_b32 s21, s22, 0x1a00
	s_waitcnt vmcnt(9)
	v_mov_b32_e32 v3, v64
	v_mov_b32_e32 v64, v63
	v_pk_mul_f32 v[12:13], v[44:45], v[62:63]
	v_mov_b32_e32 v45, v31
	v_mov_b32_e32 v2, v62
	v_pk_mul_f32 v[20:21], v[44:45], v[64:65]
	ds_read_b128 v[42:45], v175 offset:112
	v_sub_f32_e32 v12, v12, v13
	v_mov_b32_e32 v13, v92
	v_mov_b32_e32 v92, v91
	v_pk_fma_f32 v[24:25], v[16:17], v[2:3], v[20:21] neg_lo:[0,0,1] neg_hi:[0,0,1]
	v_pk_fma_f32 v[2:3], v[16:17], v[2:3], v[20:21]
	v_mov_b32_e32 v16, v31
	s_waitcnt lgkmcnt(1)
	v_mov_b32_e32 v31, v37
	v_sub_f32_e32 v4, v4, v12
	v_mov_b32_e32 v12, v90
	v_pk_mov_b32 v[2:3], v[24:25], v[2:3] op_sel:[1,0]
	v_mov_b32_e32 v17, v36
	v_pk_mul_f32 v[20:21], v[30:31], v[92:93]
	v_pk_add_f32 v[2:3], v[4:5], v[2:3] neg_lo:[0,1] neg_hi:[0,1]
	s_waitcnt vmcnt(7)
	v_mov_b32_e32 v5, v50
	v_mov_b32_e32 v50, v49
	v_pk_fma_f32 v[24:25], v[16:17], v[12:13], v[20:21] neg_lo:[0,0,1] neg_hi:[0,0,1]
	v_pk_fma_f32 v[12:13], v[16:17], v[12:13], v[20:21]
	v_mov_b32_e32 v16, v37
	v_mov_b32_e32 v37, v41
	v_mov_b32_e32 v4, v48
	v_pk_mov_b32 v[12:13], v[24:25], v[12:13] op_sel:[1,0]
	v_mov_b32_e32 v17, v40
	v_pk_mul_f32 v[20:21], v[36:37], v[50:51]
	v_pk_add_f32 v[2:3], v[2:3], v[12:13] neg_lo:[0,1] neg_hi:[0,1]
	s_waitcnt vmcnt(6)
	v_mov_b32_e32 v13, v72
	v_mov_b32_e32 v72, v71
	v_pk_fma_f32 v[24:25], v[16:17], v[4:5], v[20:21] neg_lo:[0,0,1] neg_hi:[0,0,1]
	v_pk_fma_f32 v[4:5], v[16:17], v[4:5], v[20:21]
	v_mov_b32_e32 v16, v41
	s_waitcnt lgkmcnt(0)
	v_mov_b32_e32 v41, v43
	v_mov_b32_e32 v12, v70
	v_pk_mov_b32 v[4:5], v[24:25], v[4:5] op_sel:[1,0]
	v_pk_mul_f32 v[24:25], v[40:41], v[72:73]
	scratch_load_dwordx4 v[70:73], off, off
	v_mov_b32_e32 v17, v42
	v_pk_fma_f32 v[30:31], v[16:17], v[12:13], v[24:25] neg_lo:[0,0,1] neg_hi:[0,0,1]
	v_pk_fma_f32 v[12:13], v[16:17], v[12:13], v[24:25]
	v_pk_add_f32 v[2:3], v[2:3], v[4:5] neg_lo:[0,1] neg_hi:[0,1]
	v_pk_mov_b32 v[12:13], v[30:31], v[12:13] op_sel:[1,0]
	s_waitcnt vmcnt(6)
	v_mov_b32_e32 v20, v75
	v_mov_b32_e32 v21, v77
	v_pk_add_f32 v[12:13], v[2:3], v[12:13] neg_lo:[0,1] neg_hi:[0,1]
	v_mov_b32_e32 v2, v43
	v_mov_b32_e32 v43, v53
	;; [unrolled: 1-line block ×5, first 2 shown]
	v_pk_mul_f32 v[16:17], v[42:43], v[20:21]
	s_add_i32 s23, s4, s21
	v_pk_fma_f32 v[20:21], v[2:3], v[4:5], v[16:17] neg_lo:[0,0,1] neg_hi:[0,0,1]
	v_pk_fma_f32 v[2:3], v[2:3], v[4:5], v[16:17]
	v_mov_b32_e32 v165, s23
	v_pk_mov_b32 v[16:17], v[20:21], v[2:3] op_sel:[1,0]
	scratch_load_dwordx4 v[2:5], off, off offset:120
	scratch_load_dwordx4 v[90:93], off, off offset:8
	ds_read_b128 v[48:51], v176 offset:112
	ds_read_b128 v[60:63], v177 offset:112
	v_pk_add_f32 v[12:13], v[12:13], v[16:17] neg_lo:[0,1] neg_hi:[0,1]
	v_mul_f32_e32 v16, v53, v76
	v_fmac_f32_e32 v16, v52, v77
	scratch_load_dwordx4 v[52:55], off, off offset:16
	scratch_load_dwordx4 v[74:77], off, off offset:24
	v_sub_f32_e32 v16, v13, v16
	scratch_store_dwordx2 off, v[12:13], off offset:112
	s_waitcnt vmcnt(10) lgkmcnt(1)
	v_mul_f32_e32 v13, v49, v79
	v_mul_f32_e32 v17, v48, v79
	v_fma_f32 v13, v48, v78, -v13
	v_fmac_f32_e32 v17, v49, v78
	v_sub_f32_e32 v12, v12, v13
	v_sub_f32_e32 v13, v16, v17
	v_mul_f32_e32 v16, v59, v81
	v_mul_f32_e32 v17, v58, v81
	v_fma_f32 v16, v58, v80, -v16
	v_fmac_f32_e32 v17, v59, v80
	scratch_load_dwordx4 v[78:81], off, off offset:32
	v_sub_f32_e32 v12, v12, v16
	v_sub_f32_e32 v13, v13, v17
	s_waitcnt vmcnt(10) lgkmcnt(0)
	v_mul_f32_e32 v16, v61, v83
	v_mul_f32_e32 v17, v60, v83
	v_fma_f32 v16, v60, v82, -v16
	v_fmac_f32_e32 v17, v61, v82
	v_sub_f32_e32 v12, v12, v16
	v_sub_f32_e32 v13, v13, v17
	v_mul_f32_e32 v16, v69, v85
	ds_read_b128 v[64:67], v178 offset:112
	v_mul_f32_e32 v17, v68, v85
	v_fma_f32 v16, v68, v84, -v16
	v_fmac_f32_e32 v17, v69, v84
	scratch_load_dwordx4 v[82:85], off, off offset:40
	ds_read_b128 v[58:61], v179 offset:112
	v_sub_f32_e32 v12, v12, v16
	s_waitcnt vmcnt(10) lgkmcnt(1)
	v_mul_f32_e32 v16, v65, v87
	v_sub_f32_e32 v13, v13, v17
	v_fma_f32 v16, v64, v86, -v16
	v_mul_f32_e32 v17, v64, v87
	v_fmac_f32_e32 v17, v65, v86
	v_sub_f32_e32 v12, v12, v16
	v_mul_f32_e32 v16, v57, v89
	v_sub_f32_e32 v13, v13, v17
	v_fma_f32 v16, v56, v88, -v16
	v_mul_f32_e32 v17, v56, v89
	v_fmac_f32_e32 v17, v57, v88
	v_sub_f32_e32 v12, v12, v16
	s_waitcnt vmcnt(8) lgkmcnt(0)
	v_mul_f32_e32 v16, v59, v27
	ds_read_b128 v[40:43], v174 offset:7280
	v_sub_f32_e32 v13, v13, v17
	v_fma_f32 v16, v58, v26, -v16
	v_mul_f32_e32 v17, v58, v27
	v_fmac_f32_e32 v17, v59, v26
	v_sub_f32_e32 v12, v12, v16
	v_mul_f32_e32 v16, v35, v9
	v_mul_f32_e32 v9, v34, v9
	v_sub_f32_e32 v13, v13, v17
	v_fmac_f32_e32 v9, v35, v8
	v_fma_f32 v16, v34, v8, -v16
	v_sub_f32_e32 v9, v13, v9
	v_sub_f32_e32 v12, v12, v16
	s_waitcnt lgkmcnt(0)
	v_mul_f32_e32 v8, v41, v9
	v_mul_f32_e32 v9, v40, v9
	v_fma_f32 v8, v40, v12, -v8
	v_fmac_f32_e32 v9, v41, v12
	s_waitcnt vmcnt(7)
	v_mov_b32_e32 v12, v70
	v_mov_b32_e32 v13, v72
	;; [unrolled: 1-line block ×3, first 2 shown]
	v_pk_mul_f32 v[16:17], v[46:47], v[70:71]
	scratch_load_dwordx4 v[68:71], off, off offset:56
	ds_read2_b64 v[34:37], v167 offset0:15 offset1:16
	scratch_load_dwordx4 v[86:89], off, off offset:72
	v_mov_b32_e32 v20, v47
	v_sub_f32_e32 v16, v16, v17
	scratch_store_dwordx2 off, v[8:9], off offset:112
	s_waitcnt lgkmcnt(0)
	v_mov_b32_e32 v47, v35
	v_mov_b32_e32 v21, v34
	v_pk_mul_f32 v[24:25], v[46:47], v[72:73]
	s_waitcnt vmcnt(8)
	v_mov_b32_e32 v17, v92
	v_mov_b32_e32 v92, v91
	v_pk_fma_f32 v[26:27], v[20:21], v[12:13], v[24:25] neg_lo:[0,0,1] neg_hi:[0,0,1]
	v_pk_fma_f32 v[12:13], v[20:21], v[12:13], v[24:25]
	v_mov_b32_e32 v20, v35
	v_mov_b32_e32 v35, v39
	v_sub_f32_e32 v2, v2, v16
	v_mov_b32_e32 v16, v90
	v_pk_mul_f32 v[24:25], v[34:35], v[92:93]
	scratch_load_dwordx4 v[90:93], off, off offset:88
	v_mov_b32_e32 v21, v38
	v_pk_mov_b32 v[12:13], v[26:27], v[12:13] op_sel:[1,0]
	v_pk_fma_f32 v[26:27], v[20:21], v[16:17], v[24:25] neg_lo:[0,0,1] neg_hi:[0,0,1]
	v_pk_fma_f32 v[16:17], v[20:21], v[16:17], v[24:25]
	ds_read2_b64 v[46:49], v169 offset0:15 offset1:16
	v_pk_mov_b32 v[16:17], v[26:27], v[16:17] op_sel:[1,0]
	ds_read2_b64 v[24:27], v168 offset0:15 offset1:16
	v_pk_add_f32 v[2:3], v[2:3], v[12:13] neg_lo:[0,1] neg_hi:[0,1]
	s_waitcnt vmcnt(8)
	v_mov_b32_e32 v13, v54
	v_mov_b32_e32 v54, v53
	;; [unrolled: 1-line block ×3, first 2 shown]
	s_waitcnt lgkmcnt(0)
	v_mov_b32_e32 v39, v25
	scratch_load_dwordx4 v[30:33], off, off offset:104
	v_mov_b32_e32 v12, v52
	v_mov_b32_e32 v21, v24
	v_pk_mul_f32 v[34:35], v[38:39], v[54:55]
	v_pk_add_f32 v[2:3], v[2:3], v[16:17] neg_lo:[0,1] neg_hi:[0,1]
	s_waitcnt vmcnt(8)
	v_mov_b32_e32 v17, v76
	v_mov_b32_e32 v76, v75
	v_pk_fma_f32 v[38:39], v[20:21], v[12:13], v[34:35] neg_lo:[0,0,1] neg_hi:[0,0,1]
	v_pk_fma_f32 v[12:13], v[20:21], v[12:13], v[34:35]
	v_mov_b32_e32 v20, v25
	v_mov_b32_e32 v25, v45
	;; [unrolled: 1-line block ×3, first 2 shown]
	v_pk_mov_b32 v[12:13], v[38:39], v[12:13] op_sel:[1,0]
	v_mov_b32_e32 v21, v44
	v_pk_mul_f32 v[24:25], v[24:25], v[76:77]
	v_pk_add_f32 v[2:3], v[2:3], v[12:13] neg_lo:[0,1] neg_hi:[0,1]
	s_waitcnt vmcnt(6)
	v_mov_b32_e32 v13, v80
	v_mov_b32_e32 v80, v79
	v_pk_fma_f32 v[34:35], v[20:21], v[16:17], v[24:25] neg_lo:[0,0,1] neg_hi:[0,0,1]
	v_pk_fma_f32 v[16:17], v[20:21], v[16:17], v[24:25]
	v_mov_b32_e32 v20, v45
	v_mov_b32_e32 v45, v47
	;; [unrolled: 1-line block ×3, first 2 shown]
	v_pk_mov_b32 v[16:17], v[34:35], v[16:17] op_sel:[1,0]
	v_mov_b32_e32 v21, v46
	v_pk_mul_f32 v[34:35], v[44:45], v[80:81]
	v_pk_add_f32 v[2:3], v[2:3], v[16:17] neg_lo:[0,1] neg_hi:[0,1]
	v_pk_fma_f32 v[38:39], v[20:21], v[12:13], v[34:35] neg_lo:[0,0,1] neg_hi:[0,0,1]
	v_pk_fma_f32 v[12:13], v[20:21], v[12:13], v[34:35]
	s_waitcnt vmcnt(5)
	v_mov_b32_e32 v24, v83
	v_pk_mov_b32 v[12:13], v[38:39], v[12:13] op_sel:[1,0]
	v_mov_b32_e32 v25, v85
	v_pk_add_f32 v[2:3], v[2:3], v[12:13] neg_lo:[0,1] neg_hi:[0,1]
	v_mov_b32_e32 v12, v47
	v_mov_b32_e32 v47, v51
	;; [unrolled: 1-line block ×5, first 2 shown]
	v_pk_mul_f32 v[20:21], v[46:47], v[24:25]
	scratch_load_dwordx4 v[38:41], off, off
	scratch_load_dwordx4 v[74:77], off, off offset:8
	v_pk_fma_f32 v[24:25], v[12:13], v[16:17], v[20:21] neg_lo:[0,0,1] neg_hi:[0,0,1]
	v_pk_fma_f32 v[12:13], v[12:13], v[16:17], v[20:21]
	scratch_load_dword v17, off, off offset:4
	scratch_load_dwordx4 v[78:81], off, off offset:16
	ds_read2_b64 v[56:59], v170 offset0:15 offset1:16
	ds_read_b128 v[44:47], v174 offset:128
	v_pk_mov_b32 v[12:13], v[24:25], v[12:13] op_sel:[1,0]
	s_or_b32 s23, s7, 15
	v_pk_add_f32 v[2:3], v[2:3], v[12:13] neg_lo:[0,1] neg_hi:[0,1]
	v_mul_f32_e32 v12, v51, v84
	v_fmac_f32_e32 v12, v50, v85
	v_sub_f32_e32 v12, v3, v12
	scratch_store_dwordx2 off, v[2:3], off offset:120
	s_waitcnt vmcnt(9) lgkmcnt(1)
	v_mul_f32_e32 v3, v57, v69
	v_mul_f32_e32 v13, v56, v69
	v_fma_f32 v3, v56, v68, -v3
	v_fmac_f32_e32 v13, v57, v68
	ds_read2_b64 v[54:57], v171 offset0:15 offset1:16
	v_sub_f32_e32 v2, v2, v3
	v_sub_f32_e32 v3, v12, v13
	v_mul_f32_e32 v12, v63, v71
	v_mul_f32_e32 v13, v62, v71
	v_fma_f32 v12, v62, v70, -v12
	v_fmac_f32_e32 v13, v63, v70
	v_sub_f32_e32 v2, v2, v12
	v_sub_f32_e32 v3, v3, v13
	s_waitcnt vmcnt(8) lgkmcnt(0)
	v_mul_f32_e32 v12, v55, v87
	v_mul_f32_e32 v13, v54, v87
	v_fma_f32 v12, v54, v86, -v12
	v_fmac_f32_e32 v13, v55, v86
	ds_read2_b64 v[52:55], v172 offset0:15 offset1:16
	v_sub_f32_e32 v2, v2, v12
	v_sub_f32_e32 v3, v3, v13
	v_mul_f32_e32 v12, v67, v89
	v_mul_f32_e32 v13, v66, v89
	v_fma_f32 v12, v66, v88, -v12
	scratch_load_dwordx4 v[82:85], off, off offset:24
	v_fmac_f32_e32 v13, v67, v88
	v_sub_f32_e32 v2, v2, v12
	v_sub_f32_e32 v3, v3, v13
	s_waitcnt vmcnt(7) lgkmcnt(0)
	v_mul_f32_e32 v12, v53, v91
	v_mul_f32_e32 v13, v52, v91
	v_fma_f32 v12, v52, v90, -v12
	v_fmac_f32_e32 v13, v53, v90
	scratch_load_dwordx4 v[50:53], off, off offset:32
	scratch_load_dwordx4 v[66:69], off, off offset:40
	;; [unrolled: 1-line block ×3, first 2 shown]
	ds_read2_b64 v[62:65], v165 offset0:15 offset1:16
	v_sub_f32_e32 v3, v3, v13
	v_mul_f32_e32 v13, v60, v93
	v_fmac_f32_e32 v13, v61, v92
	v_sub_f32_e32 v3, v3, v13
	s_waitcnt vmcnt(9) lgkmcnt(0)
	v_mul_f32_e32 v13, v62, v31
	v_sub_f32_e32 v2, v2, v12
	v_mul_f32_e32 v12, v61, v93
	v_fmac_f32_e32 v13, v63, v30
	s_mul_i32 s25, s23, 0x208
	v_fma_f32 v12, v60, v92, -v12
	v_sub_f32_e32 v3, v3, v13
	v_mov_b32_e32 v13, s25
	v_sub_f32_e32 v2, v2, v12
	ds_read2_b64 v[70:73], v13 offset1:1
	v_mul_f32_e32 v12, v63, v31
	v_fma_f32 v12, v62, v30, -v12
	v_sub_f32_e32 v2, v2, v12
	v_mul_f32_e32 v12, v43, v9
	v_mul_f32_e32 v9, v42, v9
	v_fmac_f32_e32 v9, v43, v8
	v_fma_f32 v12, v42, v8, -v12
	v_sub_f32_e32 v3, v3, v9
	v_sub_f32_e32 v2, v2, v12
	s_waitcnt lgkmcnt(0)
	v_mul_f32_e32 v8, v71, v3
	v_mul_f32_e32 v9, v70, v3
	v_fma_f32 v8, v70, v2, -v8
	v_fmac_f32_e32 v9, v71, v2
	v_mov_b32_e32 v12, v45
	v_mov_b32_e32 v21, v44
	scratch_load_dwordx4 v[90:93], off, off offset:64
	s_waitcnt vmcnt(9)
	v_mov_b32_e32 v2, v38
	v_mov_b32_e32 v39, v40
	;; [unrolled: 1-line block ×3, first 2 shown]
	s_waitcnt vmcnt(8)
	v_mov_b32_e32 v16, v75
	s_waitcnt vmcnt(7)
	v_mov_b32_e32 v3, v17
	v_pk_mul_f32 v[2:3], v[44:45], v[2:3]
	ds_read_b128 v[42:45], v173 offset:128
	v_sub_f32_e32 v2, v2, v3
	v_mov_b32_e32 v3, v76
	v_pk_mul_f32 v[12:13], v[12:13], v[38:39]
	v_mov_b32_e32 v76, v75
	v_mov_b32_e32 v20, v37
	v_pk_fma_f32 v[24:25], v[20:21], v[76:77], v[12:13] op_sel:[0,0,1] op_sel_hi:[1,1,0] neg_lo:[1,0,0] neg_hi:[1,0,0]
	v_pk_fma_f32 v[12:13], v[20:21], v[16:17], v[12:13] op_sel:[0,0,1] op_sel_hi:[1,1,0]
	v_mov_b32_e32 v16, v37
	s_waitcnt lgkmcnt(0)
	v_mov_b32_e32 v37, v43
	v_sub_f32_e32 v4, v4, v2
	v_mov_b32_e32 v2, v74
	v_pk_mul_f32 v[20:21], v[36:37], v[76:77]
	scratch_load_dwordx4 v[74:77], off, off offset:80
	v_mov_b32_e32 v25, v13
	v_mov_b32_e32 v17, v42
	v_pk_add_f32 v[4:5], v[4:5], v[24:25] neg_lo:[0,1] neg_hi:[0,1]
	s_waitcnt vmcnt(7)
	v_mov_b32_e32 v13, v80
	v_mov_b32_e32 v80, v79
	v_pk_fma_f32 v[24:25], v[16:17], v[2:3], v[20:21] neg_lo:[0,0,1] neg_hi:[0,0,1]
	v_pk_fma_f32 v[2:3], v[16:17], v[2:3], v[20:21]
	v_mov_b32_e32 v16, v43
	v_mov_b32_e32 v43, v27
	;; [unrolled: 1-line block ×3, first 2 shown]
	v_pk_mul_f32 v[20:21], v[42:43], v[80:81]
	scratch_load_dwordx4 v[78:81], off, off offset:96
	ds_read_b128 v[36:39], v175 offset:128
	scratch_store_dwordx2 off, v[8:9], off offset:120
	scratch_load_dwordx4 v[60:63], off, off offset:112
	v_pk_mov_b32 v[2:3], v[24:25], v[2:3] op_sel:[1,0]
	v_mov_b32_e32 v17, v26
	ds_read_b128 v[40:43], v176 offset:128
	v_pk_add_f32 v[2:3], v[4:5], v[2:3] neg_lo:[0,1] neg_hi:[0,1]
	s_waitcnt vmcnt(8)
	v_mov_b32_e32 v5, v84
	v_mov_b32_e32 v84, v83
	v_pk_fma_f32 v[24:25], v[16:17], v[12:13], v[20:21] neg_lo:[0,0,1] neg_hi:[0,0,1]
	v_pk_fma_f32 v[12:13], v[16:17], v[12:13], v[20:21]
	v_mov_b32_e32 v16, v27
	s_waitcnt lgkmcnt(1)
	v_mov_b32_e32 v27, v37
	v_mov_b32_e32 v4, v82
	v_pk_mov_b32 v[12:13], v[24:25], v[12:13] op_sel:[1,0]
	v_mov_b32_e32 v17, v36
	v_pk_mul_f32 v[20:21], v[26:27], v[84:85]
	v_pk_add_f32 v[2:3], v[2:3], v[12:13] neg_lo:[0,1] neg_hi:[0,1]
	s_waitcnt vmcnt(7)
	v_mov_b32_e32 v13, v52
	v_mov_b32_e32 v52, v51
	v_pk_fma_f32 v[24:25], v[16:17], v[4:5], v[20:21] neg_lo:[0,0,1] neg_hi:[0,0,1]
	v_pk_fma_f32 v[4:5], v[16:17], v[4:5], v[20:21]
	v_mov_b32_e32 v16, v37
	v_mov_b32_e32 v37, v49
	;; [unrolled: 1-line block ×3, first 2 shown]
	v_pk_mov_b32 v[4:5], v[24:25], v[4:5] op_sel:[1,0]
	v_mov_b32_e32 v17, v48
	v_pk_mul_f32 v[20:21], v[36:37], v[52:53]
	v_pk_add_f32 v[2:3], v[2:3], v[4:5] neg_lo:[0,1] neg_hi:[0,1]
	s_waitcnt vmcnt(6)
	v_mov_b32_e32 v5, v68
	v_mov_b32_e32 v68, v67
	v_pk_fma_f32 v[24:25], v[16:17], v[12:13], v[20:21] neg_lo:[0,0,1] neg_hi:[0,0,1]
	v_pk_fma_f32 v[12:13], v[16:17], v[12:13], v[20:21]
	v_mov_b32_e32 v16, v49
	s_waitcnt lgkmcnt(0)
	v_mov_b32_e32 v49, v41
	v_mov_b32_e32 v4, v66
	v_pk_mov_b32 v[12:13], v[24:25], v[12:13] op_sel:[1,0]
	v_mov_b32_e32 v17, v40
	v_pk_mul_f32 v[24:25], v[48:49], v[68:69]
	v_pk_add_f32 v[2:3], v[2:3], v[12:13] neg_lo:[0,1] neg_hi:[0,1]
	v_pk_fma_f32 v[26:27], v[16:17], v[4:5], v[24:25] neg_lo:[0,0,1] neg_hi:[0,0,1]
	v_pk_fma_f32 v[4:5], v[16:17], v[4:5], v[24:25]
	s_waitcnt vmcnt(5)
	v_mov_b32_e32 v20, v87
	v_pk_mov_b32 v[4:5], v[26:27], v[4:5] op_sel:[1,0]
	v_mov_b32_e32 v21, v89
	v_pk_add_f32 v[2:3], v[2:3], v[4:5] neg_lo:[0,1] neg_hi:[0,1]
	v_mov_b32_e32 v4, v41
	v_mov_b32_e32 v41, v59
	;; [unrolled: 1-line block ×5, first 2 shown]
	v_pk_mul_f32 v[16:17], v[40:41], v[20:21]
	scratch_load_dwordx4 v[34:37], off, off
	v_pk_fma_f32 v[20:21], v[4:5], v[12:13], v[16:17] neg_lo:[0,0,1] neg_hi:[0,0,1]
	v_pk_fma_f32 v[4:5], v[4:5], v[12:13], v[16:17]
	scratch_load_dwordx4 v[84:87], off, off offset:16
	v_pk_mov_b32 v[4:5], v[20:21], v[4:5] op_sel:[1,0]
	ds_read_b128 v[50:53], v177 offset:128
	v_pk_add_f32 v[12:13], v[2:3], v[4:5] neg_lo:[0,1] neg_hi:[0,1]
	scratch_load_dwordx4 v[2:5], off, off offset:136
	v_mul_f32_e32 v16, v59, v88
	v_fmac_f32_e32 v16, v58, v89
	ds_read_b128 v[68:71], v178 offset:128
	v_sub_f32_e32 v16, v13, v16
	scratch_store_dwordx2 off, v[12:13], off offset:128
	s_waitcnt vmcnt(8) lgkmcnt(1)
	v_mul_f32_e32 v13, v51, v91
	v_mul_f32_e32 v17, v50, v91
	v_fma_f32 v13, v50, v90, -v13
	v_fmac_f32_e32 v17, v51, v90
	v_sub_f32_e32 v12, v12, v13
	v_sub_f32_e32 v13, v16, v17
	v_mul_f32_e32 v16, v57, v93
	v_mul_f32_e32 v17, v56, v93
	v_fma_f32 v16, v56, v92, -v16
	v_fmac_f32_e32 v17, v57, v92
	ds_read_b128 v[56:59], v179 offset:128
	s_or_b32 s22, s22, 0x1c00
	v_sub_f32_e32 v13, v13, v17
	s_waitcnt vmcnt(7) lgkmcnt(1)
	v_mul_f32_e32 v17, v68, v75
	s_add_i32 s24, s4, s22
	v_fmac_f32_e32 v17, v69, v74
	v_sub_f32_e32 v12, v12, v16
	v_mul_f32_e32 v16, v69, v75
	v_sub_f32_e32 v13, v13, v17
	v_mul_f32_e32 v17, v54, v77
	v_mov_b32_e32 v180, s24
	v_fma_f32 v16, v68, v74, -v16
	v_fmac_f32_e32 v17, v55, v76
	ds_read_b128 v[66:69], v180 offset:128
	v_sub_f32_e32 v13, v13, v17
	s_waitcnt vmcnt(6) lgkmcnt(1)
	v_mul_f32_e32 v17, v56, v79
	v_sub_f32_e32 v12, v12, v16
	v_mul_f32_e32 v16, v55, v77
	v_fmac_f32_e32 v17, v57, v78
	v_fma_f32 v16, v54, v76, -v16
	v_sub_f32_e32 v13, v13, v17
	v_mul_f32_e32 v17, v64, v81
	scratch_load_dwordx4 v[48:51], off, off offset:24
	scratch_load_dwordx4 v[88:91], off, off offset:40
	v_sub_f32_e32 v12, v12, v16
	v_mul_f32_e32 v16, v57, v79
	v_fmac_f32_e32 v17, v65, v80
	v_fma_f32 v16, v56, v78, -v16
	v_sub_f32_e32 v13, v13, v17
	s_waitcnt vmcnt(6) lgkmcnt(0)
	v_mul_f32_e32 v17, v66, v61
	s_or_b32 s24, s7, 16
	v_sub_f32_e32 v12, v12, v16
	v_mul_f32_e32 v16, v65, v81
	scratch_load_dwordx4 v[74:77], off, off offset:32
	v_fmac_f32_e32 v17, v67, v60
	s_mul_i32 s26, s24, 0x208
	v_fma_f32 v16, v64, v80, -v16
	v_sub_f32_e32 v13, v13, v17
	v_mov_b32_e32 v17, s26
	v_sub_f32_e32 v12, v12, v16
	v_mul_f32_e32 v16, v67, v61
	ds_read_b128 v[80:83], v17
	v_fma_f32 v16, v66, v60, -v16
	v_sub_f32_e32 v12, v12, v16
	v_mul_f32_e32 v16, v73, v9
	v_mul_f32_e32 v9, v72, v9
	scratch_load_dwordx4 v[92:95], off, off offset:48
	v_fmac_f32_e32 v9, v73, v8
	v_fma_f32 v16, v72, v8, -v16
	v_sub_f32_e32 v9, v13, v9
	v_sub_f32_e32 v12, v12, v16
	s_waitcnt lgkmcnt(0)
	v_mul_f32_e32 v8, v81, v9
	v_mul_f32_e32 v9, v80, v9
	v_fma_f32 v8, v80, v12, -v8
	v_fmac_f32_e32 v9, v81, v12
	scratch_load_dwordx4 v[78:81], off, off offset:56
	ds_read2_b64 v[24:27], v167 offset0:17 offset1:18
	scratch_load_dwordx4 v[96:99], off, off offset:72
	s_waitcnt vmcnt(9)
	v_pk_mul_f32 v[20:21], v[46:47], v[34:35]
	v_mov_b32_e32 v13, v34
	v_mov_b32_e32 v16, v37
	v_mov_b32_e32 v17, v35
	v_sub_f32_e32 v20, v20, v21
	s_waitcnt lgkmcnt(0)
	v_mov_b32_e32 v34, v25
	v_mov_b32_e32 v35, v46
	ds_read2_b64 v[54:57], v168 offset0:17 offset1:18
	v_mov_b32_e32 v12, v36
	s_waitcnt vmcnt(7)
	v_sub_f32_e32 v2, v2, v20
	v_mov_b32_e32 v20, v36
	v_mov_b32_e32 v21, v84
	;; [unrolled: 1-line block ×4, first 2 shown]
	v_pk_mul_f32 v[16:17], v[34:35], v[16:17]
	v_mov_b32_e32 v36, v85
	v_pk_fma_f32 v[34:35], v[24:25], v[20:21], v[16:17] neg_lo:[0,0,1] neg_hi:[0,0,1]
	v_pk_fma_f32 v[12:13], v[30:31], v[12:13], v[16:17]
	v_mov_b32_e32 v16, v25
	v_mov_b32_e32 v17, v44
	v_pk_mul_f32 v[16:17], v[16:17], v[20:21]
	v_mov_b32_e32 v20, v45
	v_mov_b32_e32 v21, v24
	;; [unrolled: 1-line block ×3, first 2 shown]
	v_pk_fma_f32 v[24:25], v[20:21], v[36:37], v[16:17] op_sel:[0,0,1] op_sel_hi:[1,1,0] neg_lo:[1,0,0] neg_hi:[1,0,0]
	v_pk_fma_f32 v[16:17], v[20:21], v[36:37], v[16:17] op_sel:[0,0,1] op_sel_hi:[1,1,0]
	v_pk_add_f32 v[2:3], v[2:3], v[34:35] neg_lo:[0,1] neg_hi:[0,1]
	v_mov_b32_e32 v13, v86
	v_mov_b32_e32 v86, v85
	;; [unrolled: 1-line block ×3, first 2 shown]
	s_waitcnt lgkmcnt(0)
	v_mov_b32_e32 v45, v55
	v_pk_add_f32 v[2:3], v[2:3], v[24:25] neg_lo:[0,1] neg_hi:[0,1]
	v_pk_mul_f32 v[24:25], v[44:45], v[86:87]
	scratch_load_dwordx4 v[44:47], off, off offset:88
	v_mov_b32_e32 v12, v84
	scratch_load_dwordx4 v[84:87], off, off offset:104
	ds_read2_b64 v[34:37], v169 offset0:17 offset1:18
	v_mov_b32_e32 v21, v54
	v_pk_fma_f32 v[30:31], v[20:21], v[12:13], v[24:25] neg_lo:[0,0,1] neg_hi:[0,0,1]
	v_pk_fma_f32 v[12:13], v[20:21], v[12:13], v[24:25]
	v_mov_b32_e32 v20, v55
	v_mov_b32_e32 v55, v39
	v_pk_mov_b32 v[12:13], v[30:31], v[12:13] op_sel:[1,0]
	v_mov_b32_e32 v21, v38
	s_waitcnt vmcnt(7)
	v_mov_b32_e32 v17, v50
	v_mov_b32_e32 v50, v49
	;; [unrolled: 1-line block ×3, first 2 shown]
	v_pk_mul_f32 v[24:25], v[54:55], v[50:51]
	ds_read2_b64 v[48:51], v170 offset0:17 offset1:18
	v_pk_add_f32 v[2:3], v[2:3], v[12:13] neg_lo:[0,1] neg_hi:[0,1]
	v_pk_fma_f32 v[30:31], v[20:21], v[16:17], v[24:25] neg_lo:[0,0,1] neg_hi:[0,0,1]
	v_pk_fma_f32 v[16:17], v[20:21], v[16:17], v[24:25]
	v_mov_b32_e32 v20, v39
	s_waitcnt lgkmcnt(1)
	v_mov_b32_e32 v39, v35
	v_pk_mov_b32 v[16:17], v[30:31], v[16:17] op_sel:[1,0]
	s_waitcnt vmcnt(5)
	v_mov_b32_e32 v13, v76
	v_mov_b32_e32 v76, v75
	;; [unrolled: 1-line block ×4, first 2 shown]
	v_pk_mul_f32 v[24:25], v[38:39], v[76:77]
	scratch_store_dwordx2 off, v[8:9], off offset:128
	v_pk_add_f32 v[2:3], v[2:3], v[16:17] neg_lo:[0,1] neg_hi:[0,1]
	v_mov_b32_e32 v17, v90
	v_mov_b32_e32 v90, v89
	v_pk_fma_f32 v[30:31], v[20:21], v[12:13], v[24:25] neg_lo:[0,0,1] neg_hi:[0,0,1]
	v_pk_fma_f32 v[12:13], v[20:21], v[12:13], v[24:25]
	v_mov_b32_e32 v20, v35
	v_mov_b32_e32 v35, v43
	scratch_load_dwordx4 v[64:67], off, off offset:120
	v_mov_b32_e32 v16, v88
	v_pk_mov_b32 v[12:13], v[30:31], v[12:13] op_sel:[1,0]
	v_mov_b32_e32 v21, v42
	v_pk_mul_f32 v[24:25], v[34:35], v[90:91]
	v_pk_add_f32 v[2:3], v[2:3], v[12:13] neg_lo:[0,1] neg_hi:[0,1]
	s_waitcnt vmcnt(6)
	v_mov_b32_e32 v13, v94
	v_mov_b32_e32 v94, v93
	v_pk_fma_f32 v[30:31], v[20:21], v[16:17], v[24:25] neg_lo:[0,0,1] neg_hi:[0,0,1]
	v_pk_fma_f32 v[16:17], v[20:21], v[16:17], v[24:25]
	v_mov_b32_e32 v20, v43
	s_waitcnt lgkmcnt(0)
	v_mov_b32_e32 v43, v49
	v_mov_b32_e32 v12, v92
	v_pk_mov_b32 v[16:17], v[30:31], v[16:17] op_sel:[1,0]
	v_mov_b32_e32 v21, v48
	v_pk_mul_f32 v[30:31], v[42:43], v[94:95]
	v_pk_add_f32 v[2:3], v[2:3], v[16:17] neg_lo:[0,1] neg_hi:[0,1]
	v_pk_fma_f32 v[34:35], v[20:21], v[12:13], v[30:31] neg_lo:[0,0,1] neg_hi:[0,0,1]
	v_pk_fma_f32 v[12:13], v[20:21], v[12:13], v[30:31]
	s_waitcnt vmcnt(5)
	v_mov_b32_e32 v24, v79
	v_pk_mov_b32 v[12:13], v[34:35], v[12:13] op_sel:[1,0]
	v_mov_b32_e32 v25, v81
	v_pk_add_f32 v[2:3], v[2:3], v[12:13] neg_lo:[0,1] neg_hi:[0,1]
	v_mov_b32_e32 v12, v49
	v_mov_b32_e32 v49, v53
	;; [unrolled: 1-line block ×5, first 2 shown]
	v_pk_mul_f32 v[20:21], v[48:49], v[24:25]
	ds_read2_b64 v[74:77], v171 offset0:17 offset1:18
	v_pk_fma_f32 v[24:25], v[12:13], v[16:17], v[20:21] neg_lo:[0,0,1] neg_hi:[0,0,1]
	v_pk_fma_f32 v[12:13], v[12:13], v[16:17], v[20:21]
	scratch_load_dwordx4 v[88:91], off, off
	v_pk_mov_b32 v[12:13], v[24:25], v[12:13] op_sel:[1,0]
	scratch_load_dwordx4 v[92:95], off, off offset:16
	v_pk_add_f32 v[2:3], v[2:3], v[12:13] neg_lo:[0,1] neg_hi:[0,1]
	v_mul_f32_e32 v12, v53, v80
	v_fmac_f32_e32 v12, v52, v81
	v_sub_f32_e32 v12, v3, v12
	scratch_store_dwordx2 off, v[2:3], off offset:136
	s_waitcnt vmcnt(7) lgkmcnt(0)
	v_mul_f32_e32 v3, v75, v97
	v_mul_f32_e32 v13, v74, v97
	v_fma_f32 v3, v74, v96, -v3
	v_fmac_f32_e32 v13, v75, v96
	v_sub_f32_e32 v2, v2, v3
	v_sub_f32_e32 v3, v12, v13
	v_mul_f32_e32 v12, v71, v99
	v_fma_f32 v12, v70, v98, -v12
	v_mul_f32_e32 v13, v70, v99
	ds_read2_b64 v[52:55], v172 offset0:17 offset1:18
	v_fmac_f32_e32 v13, v71, v98
	v_sub_f32_e32 v12, v2, v12
	scratch_load_dwordx4 v[96:99], off, off offset:24
	scratch_load_dword v2, off, off offset:20
	ds_read2_b64 v[72:75], v165 offset0:17 offset1:18
	v_sub_f32_e32 v3, v3, v13
	s_waitcnt vmcnt(8) lgkmcnt(1)
	v_mul_f32_e32 v13, v53, v45
	v_mul_f32_e32 v16, v52, v45
	s_lshl_b32 s23, s23, 9
	v_fma_f32 v13, v52, v44, -v13
	v_fmac_f32_e32 v16, v53, v44
	s_add_i32 s25, s4, s23
	v_sub_f32_e32 v12, v12, v13
	v_sub_f32_e32 v3, v3, v16
	v_mul_f32_e32 v13, v59, v47
	v_mul_f32_e32 v16, v58, v47
	v_fma_f32 v13, v58, v46, -v13
	v_fmac_f32_e32 v16, v59, v46
	v_mov_b32_e32 v163, s25
	v_sub_f32_e32 v12, v12, v13
	v_sub_f32_e32 v3, v3, v16
	ds_read2_b64 v[78:81], v163 offset0:17 offset1:18
	s_waitcnt vmcnt(7) lgkmcnt(1)
	v_mul_f32_e32 v13, v73, v85
	v_mul_f32_e32 v16, v72, v85
	v_fma_f32 v13, v72, v84, -v13
	v_fmac_f32_e32 v16, v73, v84
	v_sub_f32_e32 v12, v12, v13
	v_sub_f32_e32 v3, v3, v16
	v_mul_f32_e32 v13, v69, v87
	v_mul_f32_e32 v16, v68, v87
	v_fma_f32 v13, v68, v86, -v13
	v_fmac_f32_e32 v16, v69, v86
	scratch_load_dwordx4 v[84:87], off, off offset:40
	scratch_load_dwordx4 v[58:61], off, off offset:32
	v_sub_f32_e32 v3, v3, v16
	s_waitcnt vmcnt(7) lgkmcnt(0)
	v_mul_f32_e32 v16, v78, v65
	s_or_b32 s25, s7, 17
	v_fmac_f32_e32 v16, v79, v64
	s_mul_i32 s27, s25, 0x208
	v_sub_f32_e32 v3, v3, v16
	v_mov_b32_e32 v16, s27
	v_sub_f32_e32 v12, v12, v13
	v_mul_f32_e32 v13, v79, v65
	ds_read2_b64 v[70:73], v16 offset1:1
	ds_read_b128 v[38:41], v174 offset:144
	v_fma_f32 v13, v78, v64, -v13
	v_sub_f32_e32 v12, v12, v13
	v_mul_f32_e32 v13, v83, v9
	v_mul_f32_e32 v9, v82, v9
	scratch_load_dwordx4 v[100:103], off, off offset:48
	scratch_load_dwordx4 v[110:113], off, off offset:16
	v_fmac_f32_e32 v9, v83, v8
	v_sub_f32_e32 v3, v3, v9
	scratch_load_dwordx4 v[104:107], off, off offset:56
	v_fma_f32 v13, v82, v8, -v13
	s_waitcnt lgkmcnt(1)
	v_mul_f32_e32 v8, v71, v3
	v_mul_f32_e32 v9, v70, v3
	v_mov_b32_e32 v20, v27
	s_waitcnt lgkmcnt(0)
	v_mov_b32_e32 v21, v38
	ds_read_b128 v[42:45], v173 offset:144
	v_sub_f32_e32 v12, v12, v13
	v_fma_f32 v8, v70, v12, -v8
	v_fmac_f32_e32 v9, v71, v12
	s_waitcnt vmcnt(9)
	v_mul_f32_e32 v3, v39, v89
	v_fma_f32 v3, v38, v88, -v3
	v_mov_b32_e32 v17, v88
	v_mov_b32_e32 v88, v91
	v_pk_mul_f32 v[20:21], v[20:21], v[88:89]
	v_sub_f32_e32 v4, v4, v3
	s_waitcnt vmcnt(8)
	v_mov_b32_e32 v93, v90
	v_mov_b32_e32 v12, v26
	v_mov_b32_e32 v13, v39
	v_mov_b32_e32 v16, v90
	v_mov_b32_e32 v3, v91
	v_pk_fma_f32 v[24:25], v[26:27], v[90:91], v[20:21] neg_lo:[0,0,1] neg_hi:[0,0,1]
	scratch_load_dwordx4 v[88:91], off, off offset:64
	v_pk_fma_f32 v[12:13], v[12:13], v[16:17], v[20:21]
	s_waitcnt lgkmcnt(0)
	v_mov_b32_e32 v16, v42
	v_mov_b32_e32 v25, v13
	v_pk_add_f32 v[4:5], v[4:5], v[24:25] neg_lo:[0,1] neg_hi:[0,1]
	v_mov_b32_e32 v24, v43
	v_mov_b32_e32 v25, v26
	;; [unrolled: 1-line block ×5, first 2 shown]
	s_waitcnt vmcnt(6)
	v_mov_b32_e32 v21, v2
	v_pk_mul_f32 v[2:3], v[24:25], v[2:3]
	ds_read_b128 v[46:49], v175 offset:144
	v_pk_fma_f32 v[24:25], v[42:43], v[12:13], v[2:3] neg_lo:[0,0,1] neg_hi:[0,0,1]
	v_pk_fma_f32 v[2:3], v[16:17], v[92:93], v[2:3]
	scratch_load_dwordx4 v[92:95], off, off offset:80
	v_mov_b32_e32 v25, v3
	v_mov_b32_e32 v16, v43
	;; [unrolled: 1-line block ×4, first 2 shown]
	v_pk_add_f32 v[2:3], v[4:5], v[24:25] neg_lo:[0,1] neg_hi:[0,1]
	v_mov_b32_e32 v5, v98
	v_pk_mul_f32 v[12:13], v[16:17], v[12:13]
	v_mov_b32_e32 v98, v97
	v_mov_b32_e32 v16, v57
	;; [unrolled: 1-line block ×3, first 2 shown]
	s_waitcnt lgkmcnt(0)
	v_mov_b32_e32 v57, v47
	v_mov_b32_e32 v4, v96
	v_pk_fma_f32 v[24:25], v[16:17], v[20:21], v[12:13] op_sel:[0,0,1] op_sel_hi:[1,1,0] neg_lo:[1,0,0] neg_hi:[1,0,0]
	v_pk_fma_f32 v[12:13], v[16:17], v[20:21], v[12:13] op_sel:[0,0,1] op_sel_hi:[1,1,0]
	v_pk_mul_f32 v[20:21], v[56:57], v[98:99]
	scratch_load_dwordx4 v[96:99], off, off offset:96
	v_mov_b32_e32 v25, v13
	v_mov_b32_e32 v17, v46
	v_pk_add_f32 v[2:3], v[2:3], v[24:25] neg_lo:[0,1] neg_hi:[0,1]
	v_pk_fma_f32 v[24:25], v[16:17], v[4:5], v[20:21] neg_lo:[0,0,1] neg_hi:[0,0,1]
	v_pk_fma_f32 v[4:5], v[16:17], v[4:5], v[20:21]
	v_mov_b32_e32 v16, v47
	v_pk_mov_b32 v[4:5], v[24:25], v[4:5] op_sel:[1,0]
	s_waitcnt vmcnt(6)
	v_mov_b32_e32 v13, v60
	v_pk_add_f32 v[2:3], v[2:3], v[4:5] neg_lo:[0,1] neg_hi:[0,1]
	v_mov_b32_e32 v4, v84
	v_mov_b32_e32 v5, v86
	;; [unrolled: 1-line block ×3, first 2 shown]
	scratch_load_dwordx4 v[82:85], off, off offset:112
	v_mov_b32_e32 v60, v59
	v_mov_b32_e32 v47, v37
	;; [unrolled: 1-line block ×4, first 2 shown]
	v_pk_mul_f32 v[20:21], v[46:47], v[60:61]
	scratch_store_dwordx2 off, v[8:9], off offset:136
	v_pk_fma_f32 v[24:25], v[16:17], v[12:13], v[20:21] neg_lo:[0,0,1] neg_hi:[0,0,1]
	v_pk_fma_f32 v[12:13], v[16:17], v[12:13], v[20:21]
	v_mov_b32_e32 v16, v37
	v_pk_mov_b32 v[12:13], v[24:25], v[12:13] op_sel:[1,0]
	ds_read_b128 v[24:27], v176 offset:144
	scratch_load_dwordx4 v[68:71], off, off offset:128
	v_pk_add_f32 v[2:3], v[2:3], v[12:13] neg_lo:[0,1] neg_hi:[0,1]
	s_waitcnt vmcnt(8)
	v_mov_b32_e32 v13, v102
	v_mov_b32_e32 v102, v101
	s_waitcnt lgkmcnt(0)
	v_mov_b32_e32 v37, v25
	v_pk_mul_f32 v[20:21], v[36:37], v[86:87]
	ds_read_b128 v[36:39], v177 offset:144
	v_mov_b32_e32 v17, v24
	v_pk_fma_f32 v[30:31], v[16:17], v[4:5], v[20:21] neg_lo:[0,0,1] neg_hi:[0,0,1]
	v_pk_fma_f32 v[4:5], v[16:17], v[4:5], v[20:21]
	v_mov_b32_e32 v16, v25
	v_mov_b32_e32 v25, v51
	;; [unrolled: 1-line block ×3, first 2 shown]
	v_pk_mov_b32 v[4:5], v[30:31], v[4:5] op_sel:[1,0]
	v_mov_b32_e32 v17, v50
	v_pk_mul_f32 v[20:21], v[24:25], v[102:103]
	v_pk_add_f32 v[2:3], v[2:3], v[4:5] neg_lo:[0,1] neg_hi:[0,1]
	s_waitcnt vmcnt(6)
	v_mov_b32_e32 v5, v106
	v_mov_b32_e32 v106, v105
	v_pk_fma_f32 v[24:25], v[16:17], v[12:13], v[20:21] neg_lo:[0,0,1] neg_hi:[0,0,1]
	v_pk_fma_f32 v[12:13], v[16:17], v[12:13], v[20:21]
	v_mov_b32_e32 v16, v51
	s_waitcnt lgkmcnt(0)
	v_mov_b32_e32 v51, v37
	v_mov_b32_e32 v4, v104
	v_pk_mov_b32 v[12:13], v[24:25], v[12:13] op_sel:[1,0]
	v_mov_b32_e32 v17, v36
	v_pk_mul_f32 v[24:25], v[50:51], v[106:107]
	v_pk_add_f32 v[2:3], v[2:3], v[12:13] neg_lo:[0,1] neg_hi:[0,1]
	v_pk_fma_f32 v[30:31], v[16:17], v[4:5], v[24:25] neg_lo:[0,0,1] neg_hi:[0,0,1]
	v_pk_fma_f32 v[4:5], v[16:17], v[4:5], v[24:25]
	s_waitcnt vmcnt(5)
	v_mov_b32_e32 v20, v89
	v_pk_mov_b32 v[4:5], v[30:31], v[4:5] op_sel:[1,0]
	v_mov_b32_e32 v21, v91
	v_pk_add_f32 v[2:3], v[2:3], v[4:5] neg_lo:[0,1] neg_hi:[0,1]
	v_mov_b32_e32 v4, v37
	v_mov_b32_e32 v37, v77
	ds_read_b128 v[58:61], v178 offset:144
	v_mov_b32_e32 v12, v88
	v_mov_b32_e32 v13, v90
	;; [unrolled: 1-line block ×3, first 2 shown]
	v_pk_mul_f32 v[16:17], v[36:37], v[20:21]
	scratch_load_dwordx4 v[34:37], off, off
	v_pk_fma_f32 v[20:21], v[4:5], v[12:13], v[16:17] neg_lo:[0,0,1] neg_hi:[0,0,1]
	v_pk_fma_f32 v[4:5], v[4:5], v[12:13], v[16:17]
	v_mul_f32_e32 v16, v77, v90
	v_pk_mov_b32 v[4:5], v[20:21], v[4:5] op_sel:[1,0]
	v_fmac_f32_e32 v16, v76, v91
	v_pk_add_f32 v[12:13], v[2:3], v[4:5] neg_lo:[0,1] neg_hi:[0,1]
	scratch_store_dwordx2 off, v[12:13], off offset:144
	v_sub_f32_e32 v16, v13, v16
	s_waitcnt vmcnt(6) lgkmcnt(0)
	v_mul_f32_e32 v13, v59, v93
	v_mul_f32_e32 v17, v58, v93
	v_fma_f32 v13, v58, v92, -v13
	v_fmac_f32_e32 v17, v59, v92
	ds_read_b128 v[56:59], v179 offset:144
	scratch_load_dwordx4 v[2:5], off, off offset:152
	scratch_load_dwordx4 v[86:89], off, off offset:16
	v_sub_f32_e32 v12, v12, v13
	v_sub_f32_e32 v13, v16, v17
	v_mul_f32_e32 v16, v55, v95
	v_mul_f32_e32 v17, v54, v95
	v_fma_f32 v16, v54, v94, -v16
	v_fmac_f32_e32 v17, v55, v94
	v_sub_f32_e32 v12, v12, v16
	v_sub_f32_e32 v13, v13, v17
	s_waitcnt vmcnt(7) lgkmcnt(0)
	v_mul_f32_e32 v16, v57, v97
	v_mul_f32_e32 v17, v56, v97
	v_fma_f32 v16, v56, v96, -v16
	scratch_load_dwordx4 v[90:93], off, off offset:32
	v_fmac_f32_e32 v17, v57, v96
	ds_read_b128 v[54:57], v180 offset:144
	v_sub_f32_e32 v12, v12, v16
	v_sub_f32_e32 v13, v13, v17
	v_mul_f32_e32 v16, v75, v99
	v_mul_f32_e32 v17, v74, v99
	v_fma_f32 v16, v74, v98, -v16
	v_fmac_f32_e32 v17, v75, v98
	v_sub_f32_e32 v12, v12, v16
	v_sub_f32_e32 v13, v13, v17
	s_waitcnt vmcnt(7) lgkmcnt(0)
	v_mul_f32_e32 v16, v55, v83
	v_mul_f32_e32 v17, v54, v83
	v_fma_f32 v16, v54, v82, -v16
	v_fmac_f32_e32 v17, v55, v82
	v_sub_f32_e32 v12, v12, v16
	v_sub_f32_e32 v13, v13, v17
	v_mul_f32_e32 v16, v81, v85
	v_mul_f32_e32 v17, v80, v85
	v_fma_f32 v16, v80, v84, -v16
	v_fmac_f32_e32 v17, v81, v84
	scratch_load_dwordx4 v[78:81], off, off offset:40
	scratch_load_dwordx4 v[82:85], off, off offset:48
	;; [unrolled: 1-line block ×3, first 2 shown]
	s_lshl_b32 s24, s24, 9
	s_add_i32 s26, s4, s24
	v_mov_b32_e32 v182, s26
	ds_read_b128 v[52:55], v182 offset:144
	v_sub_f32_e32 v13, v13, v17
	s_or_b32 s26, s7, 18
	s_mul_i32 s30, s26, 0x208
	v_sub_f32_e32 v12, v12, v16
	s_waitcnt vmcnt(8) lgkmcnt(0)
	v_mul_f32_e32 v17, v52, v69
	v_fmac_f32_e32 v17, v53, v68
	v_sub_f32_e32 v13, v13, v17
	v_mov_b32_e32 v17, s30
	v_mul_f32_e32 v16, v53, v69
	ds_read_b128 v[74:77], v17
	v_fma_f32 v16, v52, v68, -v16
	v_sub_f32_e32 v12, v12, v16
	v_mul_f32_e32 v16, v73, v9
	v_mul_f32_e32 v9, v72, v9
	v_fmac_f32_e32 v9, v73, v8
	scratch_load_dwordx4 v[98:101], off, off offset:64
	v_fma_f32 v16, v72, v8, -v16
	v_sub_f32_e32 v9, v13, v9
	v_sub_f32_e32 v12, v12, v16
	s_waitcnt lgkmcnt(0)
	v_mul_f32_e32 v8, v75, v9
	v_mul_f32_e32 v9, v74, v9
	ds_read2_b64 v[50:53], v167 offset0:19 offset1:20
	v_fma_f32 v8, v74, v12, -v8
	v_fmac_f32_e32 v9, v75, v12
	scratch_store_dwordx2 off, v[8:9], off offset:144
	s_waitcnt vmcnt(9)
	v_mul_f32_e32 v8, v41, v35
	v_mul_f32_e32 v9, v40, v35
	scratch_load_dwordx4 v[102:105], off, off offset:72
	v_fma_f32 v8, v40, v34, -v8
	v_fmac_f32_e32 v9, v41, v34
	ds_read2_b64 v[40:43], v168 offset0:19 offset1:20
	v_mov_b32_e32 v17, v36
	v_mov_b32_e32 v20, v45
	s_waitcnt lgkmcnt(1)
	v_mov_b32_e32 v21, v50
	v_mov_b32_e32 v12, v44
	;; [unrolled: 1-line block ×3, first 2 shown]
	scratch_load_dwordx4 v[106:109], off, off offset:88
	scratch_load_dwordx4 v[72:75], off, off offset:136
	s_lshl_b32 s25, s25, 9
	s_waitcnt vmcnt(10)
	v_sub_f32_e32 v2, v2, v8
	v_mul_f32_e32 v8, v51, v37
	v_fma_f32 v8, v50, v36, -v8
	s_waitcnt vmcnt(9)
	v_mov_b32_e32 v36, v87
	v_pk_add_f32 v[2:3], v[2:3], v[8:9] neg_lo:[0,1] neg_hi:[0,1]
	v_mov_b32_e32 v8, v88
	v_mov_b32_e32 v9, v86
	;; [unrolled: 1-line block ×3, first 2 shown]
	v_pk_mul_f32 v[20:21], v[20:21], v[36:37]
	v_mov_b32_e32 v86, v89
	v_pk_fma_f32 v[24:25], v[44:45], v[8:9], v[20:21] op_sel:[0,1,0] op_sel_hi:[1,0,1] neg_lo:[0,0,1] neg_hi:[0,0,1]
	v_pk_fma_f32 v[12:13], v[12:13], v[16:17], v[20:21]
	s_waitcnt lgkmcnt(0)
	v_mov_b32_e32 v20, v41
	v_mov_b32_e32 v21, v44
	;; [unrolled: 1-line block ×4, first 2 shown]
	v_pk_mul_f32 v[20:21], v[20:21], v[86:87]
	v_mov_b32_e32 v25, v13
	v_mov_b32_e32 v12, v88
	s_waitcnt vmcnt(8)
	v_mov_b32_e32 v13, v90
	v_pk_fma_f32 v[8:9], v[16:17], v[8:9], v[20:21]
	v_mov_b32_e32 v16, v41
	v_mov_b32_e32 v17, v48
	v_pk_add_f32 v[2:3], v[2:3], v[24:25] neg_lo:[0,1] neg_hi:[0,1]
	v_mov_b32_e32 v88, v91
	v_pk_fma_f32 v[24:25], v[40:41], v[12:13], v[20:21] neg_lo:[0,0,1] neg_hi:[0,0,1]
	v_pk_mul_f32 v[12:13], v[16:17], v[12:13]
	v_mov_b32_e32 v16, v49
	v_mov_b32_e32 v17, v40
	ds_read2_b64 v[44:47], v169 offset0:19 offset1:20
	v_pk_fma_f32 v[20:21], v[16:17], v[88:89], v[12:13] op_sel:[0,0,1] op_sel_hi:[1,1,0] neg_lo:[1,0,0] neg_hi:[1,0,0]
	v_pk_fma_f32 v[12:13], v[16:17], v[88:89], v[12:13] op_sel:[0,0,1] op_sel_hi:[1,1,0]
	scratch_load_dwordx4 v[86:89], off, off offset:104
	v_mov_b32_e32 v25, v9
	ds_read2_b64 v[34:37], v170 offset0:19 offset1:20
	v_pk_add_f32 v[2:3], v[2:3], v[24:25] neg_lo:[0,1] neg_hi:[0,1]
	v_mov_b32_e32 v9, v92
	v_mov_b32_e32 v92, v91
	;; [unrolled: 1-line block ×3, first 2 shown]
	s_waitcnt lgkmcnt(1)
	v_mov_b32_e32 v49, v45
	v_mov_b32_e32 v8, v90
	v_pk_add_f32 v[2:3], v[2:3], v[20:21] neg_lo:[0,1] neg_hi:[0,1]
	v_mov_b32_e32 v17, v44
	v_pk_mul_f32 v[20:21], v[48:49], v[92:93]
	s_waitcnt vmcnt(8)
	v_mov_b32_e32 v13, v80
	v_mov_b32_e32 v80, v79
	v_pk_fma_f32 v[24:25], v[16:17], v[8:9], v[20:21] neg_lo:[0,0,1] neg_hi:[0,0,1]
	v_pk_fma_f32 v[8:9], v[16:17], v[8:9], v[20:21]
	v_mov_b32_e32 v16, v45
	v_mov_b32_e32 v45, v27
	scratch_load_dwordx4 v[90:93], off, off offset:120
	v_mov_b32_e32 v12, v78
	v_pk_mov_b32 v[8:9], v[24:25], v[8:9] op_sel:[1,0]
	v_mov_b32_e32 v17, v26
	v_pk_mul_f32 v[20:21], v[44:45], v[80:81]
	v_pk_add_f32 v[2:3], v[2:3], v[8:9] neg_lo:[0,1] neg_hi:[0,1]
	s_waitcnt vmcnt(8)
	v_mov_b32_e32 v9, v84
	v_mov_b32_e32 v84, v83
	v_pk_fma_f32 v[24:25], v[16:17], v[12:13], v[20:21] neg_lo:[0,0,1] neg_hi:[0,0,1]
	v_pk_fma_f32 v[12:13], v[16:17], v[12:13], v[20:21]
	v_mov_b32_e32 v16, v27
	s_waitcnt lgkmcnt(0)
	v_mov_b32_e32 v27, v35
	v_mov_b32_e32 v8, v82
	v_pk_mov_b32 v[12:13], v[24:25], v[12:13] op_sel:[1,0]
	v_mov_b32_e32 v17, v34
	v_pk_mul_f32 v[20:21], v[26:27], v[84:85]
	v_pk_add_f32 v[2:3], v[2:3], v[12:13] neg_lo:[0,1] neg_hi:[0,1]
	s_waitcnt vmcnt(7)
	v_mov_b32_e32 v13, v96
	v_mov_b32_e32 v96, v95
	v_pk_fma_f32 v[24:25], v[16:17], v[8:9], v[20:21] neg_lo:[0,0,1] neg_hi:[0,0,1]
	v_pk_fma_f32 v[8:9], v[16:17], v[8:9], v[20:21]
	v_mov_b32_e32 v16, v35
	v_mov_b32_e32 v35, v39
	;; [unrolled: 1-line block ×4, first 2 shown]
	v_pk_mul_f32 v[20:21], v[34:35], v[96:97]
	v_pk_mov_b32 v[8:9], v[24:25], v[8:9] op_sel:[1,0]
	v_pk_fma_f32 v[24:25], v[16:17], v[12:13], v[20:21] neg_lo:[0,0,1] neg_hi:[0,0,1]
	v_pk_fma_f32 v[12:13], v[16:17], v[12:13], v[20:21]
	scratch_load_dwordx2 v[16:17], off, off offset:144
	scratch_load_dwordx4 v[94:97], off, off
	v_pk_mov_b32 v[12:13], v[24:25], v[12:13] op_sel:[1,0]
	ds_read2_b64 v[24:27], v171 offset0:19 offset1:20
	v_pk_add_f32 v[2:3], v[2:3], v[8:9] neg_lo:[0,1] neg_hi:[0,1]
	s_waitcnt vmcnt(8)
	v_mov_b32_e32 v9, v100
	v_mov_b32_e32 v100, v99
	v_mov_b32_e32 v20, v39
	s_waitcnt lgkmcnt(0)
	v_mov_b32_e32 v39, v25
	v_mov_b32_e32 v8, v98
	v_mov_b32_e32 v21, v24
	v_pk_mul_f32 v[34:35], v[38:39], v[100:101]
	v_pk_add_f32 v[2:3], v[2:3], v[12:13] neg_lo:[0,1] neg_hi:[0,1]
	v_pk_fma_f32 v[38:39], v[20:21], v[8:9], v[34:35] neg_lo:[0,0,1] neg_hi:[0,0,1]
	v_pk_fma_f32 v[8:9], v[20:21], v[8:9], v[34:35]
	s_waitcnt vmcnt(6)
	v_mov_b32_e32 v30, v103
	v_pk_mov_b32 v[8:9], v[38:39], v[8:9] op_sel:[1,0]
	v_mov_b32_e32 v31, v105
	v_pk_add_f32 v[2:3], v[2:3], v[8:9] neg_lo:[0,1] neg_hi:[0,1]
	v_mov_b32_e32 v8, v25
	v_mov_b32_e32 v25, v61
	;; [unrolled: 1-line block ×5, first 2 shown]
	v_pk_mul_f32 v[20:21], v[24:25], v[30:31]
	ds_read2_b64 v[82:85], v172 offset0:19 offset1:20
	v_pk_fma_f32 v[24:25], v[8:9], v[12:13], v[20:21] neg_lo:[0,0,1] neg_hi:[0,0,1]
	v_pk_fma_f32 v[8:9], v[8:9], v[12:13], v[20:21]
	ds_read2_b64 v[48:51], v165 offset0:19 offset1:20
	v_pk_mov_b32 v[8:9], v[24:25], v[8:9] op_sel:[1,0]
	ds_read2_b64 v[100:103], v163 offset0:19 offset1:20
	v_pk_add_f32 v[2:3], v[2:3], v[8:9] neg_lo:[0,1] neg_hi:[0,1]
	v_mul_f32_e32 v8, v61, v104
	v_fmac_f32_e32 v8, v60, v105
	v_sub_f32_e32 v8, v3, v8
	scratch_store_dwordx2 off, v[2:3], off offset:152
	s_waitcnt vmcnt(6) lgkmcnt(2)
	v_mul_f32_e32 v3, v83, v107
	v_mul_f32_e32 v9, v82, v107
	v_fma_f32 v3, v82, v106, -v3
	v_fmac_f32_e32 v9, v83, v106
	v_sub_f32_e32 v2, v2, v3
	v_sub_f32_e32 v3, v8, v9
	v_mul_f32_e32 v8, v59, v109
	v_fma_f32 v8, v58, v108, -v8
	v_sub_f32_e32 v2, v2, v8
	s_waitcnt vmcnt(4) lgkmcnt(1)
	v_mul_f32_e32 v8, v49, v87
	v_mul_f32_e32 v9, v58, v109
	v_fma_f32 v8, v48, v86, -v8
	v_fmac_f32_e32 v9, v59, v108
	v_sub_f32_e32 v2, v2, v8
	v_mul_f32_e32 v8, v57, v89
	s_add_i32 s27, s4, s25
	v_sub_f32_e32 v3, v3, v9
	v_mul_f32_e32 v9, v48, v87
	v_fma_f32 v8, v56, v88, -v8
	v_fmac_f32_e32 v9, v49, v86
	scratch_load_dwordx4 v[58:61], off, off offset:32
	v_sub_f32_e32 v2, v2, v8
	scratch_load_dwordx4 v[104:107], off, off offset:40
	scratch_load_dword v8, off, off offset:36
	v_mov_b32_e32 v164, s27
	v_sub_f32_e32 v3, v3, v9
	v_mul_f32_e32 v9, v56, v89
	ds_read2_b64 v[80:83], v164 offset0:19 offset1:20
	ds_read_b128 v[38:41], v174 offset:160
	v_fmac_f32_e32 v9, v57, v88
	s_waitcnt vmcnt(6) lgkmcnt(2)
	v_mul_f32_e32 v12, v100, v91
	v_sub_f32_e32 v3, v3, v9
	v_mul_f32_e32 v9, v101, v91
	v_fmac_f32_e32 v12, v101, v90
	s_or_b32 s27, s7, 19
	v_fma_f32 v9, v100, v90, -v9
	v_sub_f32_e32 v3, v3, v12
	v_mul_f32_e32 v12, v54, v93
	s_mul_i32 s31, s27, 0x208
	v_sub_f32_e32 v2, v2, v9
	v_mul_f32_e32 v9, v55, v93
	v_fmac_f32_e32 v12, v55, v92
	v_mov_b32_e32 v13, s31
	v_fma_f32 v9, v54, v92, -v9
	v_sub_f32_e32 v3, v3, v12
	s_waitcnt lgkmcnt(1)
	v_mul_f32_e32 v12, v80, v73
	ds_read2_b64 v[98:101], v13 offset1:1
	ds_read_b128 v[88:91], v173 offset:160
	v_sub_f32_e32 v2, v2, v9
	v_mul_f32_e32 v9, v81, v73
	v_fmac_f32_e32 v12, v81, v72
	v_fma_f32 v9, v80, v72, -v9
	v_sub_f32_e32 v3, v3, v12
	s_waitcnt vmcnt(5)
	v_mul_f32_e32 v12, v76, v17
	v_sub_f32_e32 v2, v2, v9
	v_mul_f32_e32 v9, v77, v17
	v_fmac_f32_e32 v12, v77, v16
	v_fma_f32 v9, v76, v16, -v9
	v_sub_f32_e32 v3, v3, v12
	v_sub_f32_e32 v9, v2, v9
	s_waitcnt lgkmcnt(1)
	v_mul_f32_e32 v2, v99, v3
	v_mul_f32_e32 v3, v98, v3
	v_fma_f32 v2, v98, v9, -v2
	v_fmac_f32_e32 v3, v99, v9
	scratch_load_dwordx4 v[114:117], off, off offset:48
	scratch_load_dwordx4 v[118:121], off, off offset:56
	s_waitcnt vmcnt(6)
	v_mul_f32_e32 v13, v52, v97
	scratch_store_dwordx2 off, v[2:3], off offset:152
	v_mul_f32_e32 v2, v39, v95
	v_fma_f32 v2, v38, v94, -v2
	v_mul_f32_e32 v3, v38, v95
	v_sub_f32_e32 v4, v4, v2
	v_mul_f32_e32 v2, v53, v97
	v_fmac_f32_e32 v3, v39, v94
	v_fma_f32 v2, v52, v96, -v2
	v_pk_add_f32 v[2:3], v[4:5], v[2:3] neg_lo:[0,1] neg_hi:[0,1]
	s_waitcnt lgkmcnt(0)
	v_mul_f32_e32 v4, v89, v111
	scratch_load_dwordx4 v[92:95], off, off offset:64
	v_fmac_f32_e32 v13, v53, v96
	v_fma_f32 v12, v88, v110, -v4
	v_pk_add_f32 v[12:13], v[2:3], v[12:13] neg_lo:[0,1] neg_hi:[0,1]
	scratch_load_dwordx4 v[2:5], off, off offset:72
	v_mov_b32_e32 v17, v89
	v_mov_b32_e32 v25, v88
	scratch_load_dwordx4 v[86:89], off, off offset:80
	ds_read_b128 v[52:55], v175 offset:160
	ds_read_b128 v[96:99], v180 offset:160
	v_mov_b32_e32 v21, v110
	v_mov_b32_e32 v24, v43
	;; [unrolled: 1-line block ×5, first 2 shown]
	v_pk_mul_f32 v[24:25], v[24:25], v[110:111]
	v_mov_b32_e32 v9, v113
	v_pk_fma_f32 v[30:31], v[42:43], v[112:113], v[24:25] neg_lo:[0,0,1] neg_hi:[0,0,1]
	v_pk_fma_f32 v[16:17], v[16:17], v[20:21], v[24:25]
	s_waitcnt vmcnt(8)
	v_mov_b32_e32 v59, v112
	v_mov_b32_e32 v31, v17
	v_pk_add_f32 v[12:13], v[12:13], v[30:31] neg_lo:[0,1] neg_hi:[0,1]
	s_waitcnt lgkmcnt(1)
	v_mov_b32_e32 v30, v53
	v_mov_b32_e32 v31, v42
	;; [unrolled: 1-line block ×6, first 2 shown]
	s_waitcnt vmcnt(6)
	v_mov_b32_e32 v25, v8
	v_pk_mul_f32 v[8:9], v[30:31], v[8:9]
	scratch_load_dwordx4 v[108:111], off, off offset:96
	v_pk_fma_f32 v[30:31], v[52:53], v[16:17], v[8:9] neg_lo:[0,0,1] neg_hi:[0,0,1]
	v_pk_fma_f32 v[8:9], v[20:21], v[58:59], v[8:9]
	ds_read_b128 v[58:61], v176 offset:160
	v_mov_b32_e32 v31, v9
	v_mov_b32_e32 v20, v53
	;; [unrolled: 1-line block ×4, first 2 shown]
	v_pk_add_f32 v[8:9], v[12:13], v[30:31] neg_lo:[0,1] neg_hi:[0,1]
	v_mov_b32_e32 v13, v106
	v_pk_mul_f32 v[16:17], v[20:21], v[16:17]
	v_mov_b32_e32 v106, v105
	v_mov_b32_e32 v20, v47
	;; [unrolled: 1-line block ×3, first 2 shown]
	s_waitcnt lgkmcnt(0)
	v_mov_b32_e32 v47, v59
	v_pk_fma_f32 v[30:31], v[20:21], v[24:25], v[16:17] op_sel:[0,0,1] op_sel_hi:[1,1,0] neg_lo:[1,0,0] neg_hi:[1,0,0]
	v_pk_fma_f32 v[16:17], v[20:21], v[24:25], v[16:17] op_sel:[0,0,1] op_sel_hi:[1,1,0]
	v_pk_mul_f32 v[24:25], v[46:47], v[106:107]
	scratch_load_dwordx4 v[46:49], off, off offset:112
	ds_read_b128 v[42:45], v177 offset:160
	v_mov_b32_e32 v12, v104
	scratch_load_dwordx4 v[104:107], off, off offset:128
	v_mov_b32_e32 v31, v17
	v_mov_b32_e32 v21, v58
	v_pk_add_f32 v[8:9], v[8:9], v[30:31] neg_lo:[0,1] neg_hi:[0,1]
	v_pk_fma_f32 v[30:31], v[20:21], v[12:13], v[24:25] neg_lo:[0,0,1] neg_hi:[0,0,1]
	v_pk_fma_f32 v[12:13], v[20:21], v[12:13], v[24:25]
	v_mov_b32_e32 v20, v59
	v_mov_b32_e32 v59, v37
	v_pk_mov_b32 v[12:13], v[30:31], v[12:13] op_sel:[1,0]
	v_mov_b32_e32 v21, v36
	scratch_load_dwordx4 v[78:81], off, off offset:144
	v_pk_add_f32 v[8:9], v[8:9], v[12:13] neg_lo:[0,1] neg_hi:[0,1]
	s_lshl_b32 s26, s26, 9
	s_add_i32 s30, s4, s26
	v_mov_b32_e32 v183, s30
	s_or_b32 s30, s7, 20
	s_waitcnt vmcnt(9)
	v_mov_b32_e32 v17, v116
	v_mov_b32_e32 v116, v115
	;; [unrolled: 1-line block ×3, first 2 shown]
	v_pk_mul_f32 v[24:25], v[58:59], v[116:117]
	s_waitcnt vmcnt(8)
	v_mov_b32_e32 v13, v120
	v_mov_b32_e32 v120, v119
	v_pk_fma_f32 v[30:31], v[20:21], v[16:17], v[24:25] neg_lo:[0,0,1] neg_hi:[0,0,1]
	v_pk_fma_f32 v[16:17], v[20:21], v[16:17], v[24:25]
	v_mov_b32_e32 v20, v37
	s_waitcnt lgkmcnt(0)
	v_mov_b32_e32 v37, v43
	v_mov_b32_e32 v12, v118
	;; [unrolled: 1-line block ×3, first 2 shown]
	v_pk_mul_f32 v[24:25], v[36:37], v[120:121]
	v_pk_mov_b32 v[16:17], v[30:31], v[16:17] op_sel:[1,0]
	v_pk_fma_f32 v[30:31], v[20:21], v[12:13], v[24:25] neg_lo:[0,0,1] neg_hi:[0,0,1]
	v_pk_fma_f32 v[12:13], v[20:21], v[12:13], v[24:25]
	v_pk_add_f32 v[8:9], v[8:9], v[16:17] neg_lo:[0,1] neg_hi:[0,1]
	s_waitcnt vmcnt(6)
	v_mov_b32_e32 v17, v94
	v_mov_b32_e32 v94, v93
	v_pk_mov_b32 v[12:13], v[30:31], v[12:13] op_sel:[1,0]
	v_mov_b32_e32 v20, v43
	v_mov_b32_e32 v43, v27
	ds_read_b128 v[56:59], v178 offset:160
	v_mov_b32_e32 v16, v92
	v_pk_add_f32 v[8:9], v[8:9], v[12:13] neg_lo:[0,1] neg_hi:[0,1]
	s_waitcnt vmcnt(5)
	v_mov_b32_e32 v12, v2
	v_mov_b32_e32 v13, v4
	;; [unrolled: 1-line block ×4, first 2 shown]
	v_pk_mul_f32 v[2:3], v[42:43], v[94:95]
	scratch_load_dwordx4 v[34:37], off, off offset:16
	v_pk_fma_f32 v[24:25], v[20:21], v[16:17], v[2:3] neg_lo:[0,0,1] neg_hi:[0,0,1]
	v_pk_fma_f32 v[2:3], v[20:21], v[16:17], v[2:3]
	scratch_load_dwordx2 v[16:17], off, off offset:152
	v_mov_b32_e32 v20, v27
	s_waitcnt lgkmcnt(0)
	v_mov_b32_e32 v27, v57
	v_mov_b32_e32 v21, v56
	v_pk_mul_f32 v[4:5], v[26:27], v[4:5]
	v_pk_mov_b32 v[2:3], v[24:25], v[2:3] op_sel:[1,0]
	v_pk_fma_f32 v[26:27], v[20:21], v[12:13], v[4:5] neg_lo:[0,0,1] neg_hi:[0,0,1]
	v_pk_fma_f32 v[4:5], v[20:21], v[12:13], v[4:5]
	v_pk_add_f32 v[2:3], v[8:9], v[2:3] neg_lo:[0,1] neg_hi:[0,1]
	v_pk_mov_b32 v[4:5], v[26:27], v[4:5] op_sel:[1,0]
	s_waitcnt vmcnt(6)
	v_mov_b32_e32 v24, v87
	v_mov_b32_e32 v25, v89
	v_pk_add_f32 v[2:3], v[2:3], v[4:5] neg_lo:[0,1] neg_hi:[0,1]
	v_mov_b32_e32 v4, v57
	v_mov_b32_e32 v57, v85
	;; [unrolled: 1-line block ×5, first 2 shown]
	v_pk_mul_f32 v[12:13], v[56:57], v[24:25]
	scratch_load_dwordx4 v[24:27], off, off
	v_pk_fma_f32 v[20:21], v[4:5], v[8:9], v[12:13] neg_lo:[0,0,1] neg_hi:[0,0,1]
	v_pk_fma_f32 v[4:5], v[4:5], v[8:9], v[12:13]
	ds_read_b128 v[92:95], v179 offset:160
	v_pk_mov_b32 v[4:5], v[20:21], v[4:5] op_sel:[1,0]
	v_mul_f32_e32 v12, v85, v88
	v_pk_add_f32 v[8:9], v[2:3], v[4:5] neg_lo:[0,1] neg_hi:[0,1]
	scratch_load_dwordx4 v[2:5], off, off offset:168
	v_fmac_f32_e32 v12, v84, v89
	v_sub_f32_e32 v12, v9, v12
	scratch_store_dwordx2 off, v[8:9], off offset:160
	s_waitcnt vmcnt(8) lgkmcnt(0)
	v_mul_f32_e32 v9, v93, v109
	v_mul_f32_e32 v13, v92, v109
	v_fma_f32 v9, v92, v108, -v9
	v_fmac_f32_e32 v13, v93, v108
	v_sub_f32_e32 v8, v8, v9
	v_sub_f32_e32 v9, v12, v13
	v_mul_f32_e32 v13, v50, v111
	v_mul_f32_e32 v12, v51, v111
	v_fmac_f32_e32 v13, v51, v110
	ds_read_b128 v[86:89], v182 offset:160
	v_fma_f32 v12, v50, v110, -v12
	scratch_load_dwordx4 v[108:111], off, off offset:32
	v_sub_f32_e32 v9, v9, v13
	s_waitcnt vmcnt(8)
	v_mul_f32_e32 v13, v96, v47
	v_fmac_f32_e32 v13, v97, v46
	v_sub_f32_e32 v8, v8, v12
	v_mul_f32_e32 v12, v97, v47
	v_sub_f32_e32 v9, v9, v13
	v_mul_f32_e32 v13, v102, v49
	v_fma_f32 v12, v96, v46, -v12
	v_fmac_f32_e32 v13, v103, v48
	ds_read_b128 v[50:53], v183 offset:160
	v_sub_f32_e32 v8, v8, v12
	v_mul_f32_e32 v12, v103, v49
	v_sub_f32_e32 v9, v9, v13
	scratch_load_dwordx4 v[112:115], off, off offset:48
	s_waitcnt vmcnt(8) lgkmcnt(1)
	v_mul_f32_e32 v13, v86, v105
	v_fma_f32 v12, v102, v48, -v12
	v_fmac_f32_e32 v13, v87, v104
	v_sub_f32_e32 v8, v8, v12
	v_mul_f32_e32 v12, v87, v105
	v_sub_f32_e32 v9, v9, v13
	v_mul_f32_e32 v13, v82, v107
	v_fma_f32 v12, v86, v104, -v12
	v_fmac_f32_e32 v13, v83, v106
	scratch_load_dwordx4 v[102:105], off, off offset:56
	v_sub_f32_e32 v8, v8, v12
	v_mul_f32_e32 v12, v83, v107
	v_sub_f32_e32 v9, v9, v13
	s_waitcnt vmcnt(8) lgkmcnt(0)
	v_mul_f32_e32 v13, v50, v79
	v_fma_f32 v12, v82, v106, -v12
	v_fmac_f32_e32 v13, v51, v78
	s_mul_i32 s33, s30, 0x208
	v_sub_f32_e32 v8, v8, v12
	v_mul_f32_e32 v12, v51, v79
	v_sub_f32_e32 v9, v9, v13
	v_mov_b32_e32 v13, s33
	v_fma_f32 v12, v50, v78, -v12
	ds_read_b128 v[76:79], v13
	v_sub_f32_e32 v8, v8, v12
	s_waitcnt vmcnt(6)
	v_mul_f32_e32 v13, v100, v17
	v_mul_f32_e32 v12, v101, v17
	v_fmac_f32_e32 v13, v101, v16
	v_fma_f32 v12, v100, v16, -v12
	v_sub_f32_e32 v9, v9, v13
	v_sub_f32_e32 v12, v8, v12
	s_waitcnt lgkmcnt(0)
	v_mul_f32_e32 v8, v77, v9
	v_mul_f32_e32 v9, v76, v9
	v_fma_f32 v8, v76, v12, -v8
	v_fmac_f32_e32 v9, v77, v12
	scratch_store_dwordx2 off, v[8:9], off offset:160
	scratch_load_dwordx4 v[116:119], off, off offset:64
	scratch_load_dwordx4 v[84:87], off, off offset:152
	ds_read2_b64 v[48:51], v167 offset0:21 offset1:22
	s_lshl_b32 s27, s27, 9
	s_add_i32 s31, s4, s27
	v_mov_b32_e32 v166, s31
	ds_read2_b64 v[124:127], v166 offset0:21 offset1:22
	v_mul_f32_e32 v13, v90, v35
	v_fmac_f32_e32 v13, v91, v34
	s_waitcnt vmcnt(8)
	v_mul_f32_e32 v8, v41, v25
	v_mul_f32_e32 v9, v40, v25
	v_fma_f32 v8, v40, v24, -v8
	v_fmac_f32_e32 v9, v41, v24
	scratch_load_dwordx4 v[120:123], off, off offset:88
	ds_read2_b64 v[40:43], v169 offset0:21 offset1:22
	v_mov_b32_e32 v17, v36
	s_waitcnt vmcnt(8)
	v_sub_f32_e32 v2, v2, v8
	v_sub_f32_e32 v3, v3, v9
	s_waitcnt lgkmcnt(2)
	v_mul_f32_e32 v8, v49, v27
	v_mul_f32_e32 v9, v48, v27
	v_fma_f32 v8, v48, v26, -v8
	v_fmac_f32_e32 v9, v49, v26
	scratch_load_dwordx4 v[24:27], off, off offset:72
	v_sub_f32_e32 v2, v2, v8
	v_mul_f32_e32 v8, v91, v35
	v_fma_f32 v8, v90, v34, -v8
	scratch_load_dwordx4 v[90:93], off, off offset:80
	ds_read2_b64 v[46:49], v168 offset0:21 offset1:22
	v_pk_add_f32 v[2:3], v[2:3], v[8:9] neg_lo:[0,1] neg_hi:[0,1]
	v_mov_b32_e32 v20, v55
	s_or_b32 s31, s7, 21
	s_waitcnt vmcnt(8)
	v_mov_b32_e32 v9, v108
	s_waitcnt lgkmcnt(0)
	v_mul_f32_e32 v8, v47, v37
	v_fma_f32 v12, v46, v36, -v8
	v_mov_b32_e32 v21, v46
	v_mov_b32_e32 v36, v109
	v_pk_add_f32 v[2:3], v[2:3], v[12:13] neg_lo:[0,1] neg_hi:[0,1]
	v_mov_b32_e32 v8, v110
	v_mov_b32_e32 v12, v54
	;; [unrolled: 1-line block ×4, first 2 shown]
	v_pk_mul_f32 v[20:21], v[20:21], v[36:37]
	v_mov_b32_e32 v108, v111
	v_pk_fma_f32 v[30:31], v[54:55], v[8:9], v[20:21] op_sel:[0,1,0] op_sel_hi:[1,0,1] neg_lo:[0,0,1] neg_hi:[0,0,1]
	v_pk_fma_f32 v[12:13], v[12:13], v[16:17], v[20:21]
	v_mov_b32_e32 v20, v41
	v_mov_b32_e32 v21, v54
	;; [unrolled: 1-line block ×4, first 2 shown]
	v_pk_mul_f32 v[20:21], v[20:21], v[108:109]
	scratch_load_dwordx4 v[106:109], off, off offset:104
	v_mov_b32_e32 v31, v13
	v_mov_b32_e32 v12, v110
	s_waitcnt vmcnt(8)
	v_mov_b32_e32 v13, v112
	v_pk_fma_f32 v[8:9], v[16:17], v[8:9], v[20:21]
	v_mov_b32_e32 v16, v41
	v_mov_b32_e32 v17, v60
	v_pk_add_f32 v[2:3], v[2:3], v[30:31] neg_lo:[0,1] neg_hi:[0,1]
	v_mov_b32_e32 v110, v113
	v_pk_fma_f32 v[30:31], v[40:41], v[12:13], v[20:21] neg_lo:[0,0,1] neg_hi:[0,0,1]
	v_pk_mul_f32 v[12:13], v[16:17], v[12:13]
	v_mov_b32_e32 v16, v61
	v_mov_b32_e32 v17, v40
	v_pk_fma_f32 v[20:21], v[16:17], v[110:111], v[12:13] op_sel:[0,0,1] op_sel_hi:[1,1,0] neg_lo:[1,0,0] neg_hi:[1,0,0]
	v_pk_fma_f32 v[12:13], v[16:17], v[110:111], v[12:13] op_sel:[0,0,1] op_sel_hi:[1,1,0]
	v_mov_b32_e32 v31, v9
	v_mov_b32_e32 v21, v13
	s_waitcnt vmcnt(7)
	v_mov_b32_e32 v12, v102
	v_mov_b32_e32 v13, v104
	;; [unrolled: 1-line block ×3, first 2 shown]
	scratch_load_dwordx4 v[100:103], off, off offset:120
	v_mov_b32_e32 v8, v112
	v_mov_b32_e32 v9, v114
	;; [unrolled: 1-line block ×3, first 2 shown]
	scratch_load_dwordx4 v[110:113], off, off offset:136
	ds_read2_b64 v[34:37], v170 offset0:21 offset1:22
	ds_read2_b64 v[38:41], v171 offset0:21 offset1:22
	v_pk_add_f32 v[2:3], v[2:3], v[30:31] neg_lo:[0,1] neg_hi:[0,1]
	ds_read2_b64 v[54:57], v163 offset0:21 offset1:22
	v_pk_add_f32 v[2:3], v[2:3], v[20:21] neg_lo:[0,1] neg_hi:[0,1]
	s_waitcnt lgkmcnt(2)
	v_mov_b32_e32 v61, v35
	v_mov_b32_e32 v17, v34
	v_pk_mul_f32 v[20:21], v[60:61], v[114:115]
	s_mul_i32 s34, s31, 0x208
	v_pk_fma_f32 v[30:31], v[16:17], v[8:9], v[20:21] neg_lo:[0,0,1] neg_hi:[0,0,1]
	v_pk_fma_f32 v[8:9], v[16:17], v[8:9], v[20:21]
	v_mov_b32_e32 v16, v35
	v_mov_b32_e32 v35, v45
	v_pk_mov_b32 v[8:9], v[30:31], v[8:9] op_sel:[1,0]
	v_mov_b32_e32 v17, v44
	v_pk_mul_f32 v[20:21], v[34:35], v[104:105]
	v_pk_add_f32 v[2:3], v[2:3], v[8:9] neg_lo:[0,1] neg_hi:[0,1]
	s_waitcnt vmcnt(7)
	v_mov_b32_e32 v9, v118
	v_mov_b32_e32 v118, v117
	v_pk_fma_f32 v[30:31], v[16:17], v[12:13], v[20:21] neg_lo:[0,0,1] neg_hi:[0,0,1]
	v_pk_fma_f32 v[12:13], v[16:17], v[12:13], v[20:21]
	v_mov_b32_e32 v16, v45
	s_waitcnt lgkmcnt(1)
	v_mov_b32_e32 v45, v39
	v_mov_b32_e32 v8, v116
	v_pk_mov_b32 v[12:13], v[30:31], v[12:13] op_sel:[1,0]
	v_mov_b32_e32 v17, v38
	v_pk_mul_f32 v[20:21], v[44:45], v[118:119]
	v_pk_add_f32 v[2:3], v[2:3], v[12:13] neg_lo:[0,1] neg_hi:[0,1]
	s_waitcnt vmcnt(4)
	v_mov_b32_e32 v12, v24
	v_mov_b32_e32 v13, v26
	;; [unrolled: 1-line block ×3, first 2 shown]
	v_pk_fma_f32 v[24:25], v[16:17], v[8:9], v[20:21] neg_lo:[0,0,1] neg_hi:[0,0,1]
	v_pk_fma_f32 v[8:9], v[16:17], v[8:9], v[20:21]
	v_mov_b32_e32 v16, v39
	v_mov_b32_e32 v39, v59
	;; [unrolled: 1-line block ×3, first 2 shown]
	v_pk_mul_f32 v[20:21], v[38:39], v[26:27]
	v_pk_mov_b32 v[8:9], v[24:25], v[8:9] op_sel:[1,0]
	v_pk_fma_f32 v[24:25], v[16:17], v[12:13], v[20:21] neg_lo:[0,0,1] neg_hi:[0,0,1]
	v_pk_fma_f32 v[12:13], v[16:17], v[12:13], v[20:21]
	scratch_load_dwordx2 v[16:17], off, off offset:160
	v_pk_mov_b32 v[12:13], v[24:25], v[12:13] op_sel:[1,0]
	ds_read2_b64 v[24:27], v172 offset0:21 offset1:22
	v_pk_add_f32 v[2:3], v[2:3], v[8:9] neg_lo:[0,1] neg_hi:[0,1]
	s_waitcnt vmcnt(4)
	v_mov_b32_e32 v9, v92
	v_mov_b32_e32 v92, v91
	;; [unrolled: 1-line block ×3, first 2 shown]
	s_waitcnt lgkmcnt(0)
	v_mov_b32_e32 v59, v25
	v_mov_b32_e32 v8, v90
	v_pk_mul_f32 v[34:35], v[58:59], v[92:93]
	scratch_load_dwordx4 v[90:93], off, off
	v_mov_b32_e32 v21, v24
	v_pk_fma_f32 v[38:39], v[20:21], v[8:9], v[34:35] neg_lo:[0,0,1] neg_hi:[0,0,1]
	v_pk_fma_f32 v[8:9], v[20:21], v[8:9], v[34:35]
	v_pk_add_f32 v[2:3], v[2:3], v[12:13] neg_lo:[0,1] neg_hi:[0,1]
	v_pk_mov_b32 v[8:9], v[38:39], v[8:9] op_sel:[1,0]
	v_mov_b32_e32 v30, v121
	v_mov_b32_e32 v31, v123
	v_pk_add_f32 v[2:3], v[2:3], v[8:9] neg_lo:[0,1] neg_hi:[0,1]
	v_mov_b32_e32 v8, v25
	v_mov_b32_e32 v25, v95
	;; [unrolled: 1-line block ×5, first 2 shown]
	v_pk_mul_f32 v[20:21], v[24:25], v[30:31]
	ds_read2_b64 v[44:47], v165 offset0:21 offset1:22
	v_pk_fma_f32 v[24:25], v[8:9], v[12:13], v[20:21] neg_lo:[0,0,1] neg_hi:[0,0,1]
	v_pk_fma_f32 v[8:9], v[8:9], v[12:13], v[20:21]
	ds_read2_b64 v[58:61], v164 offset0:21 offset1:22
	v_pk_mov_b32 v[8:9], v[24:25], v[8:9] op_sel:[1,0]
	scratch_load_dwordx4 v[114:117], off, off offset:32
	v_pk_add_f32 v[2:3], v[2:3], v[8:9] neg_lo:[0,1] neg_hi:[0,1]
	v_mul_f32_e32 v8, v95, v122
	v_fmac_f32_e32 v8, v94, v123
	v_sub_f32_e32 v8, v3, v8
	scratch_store_dwordx2 off, v[2:3], off offset:168
	s_waitcnt vmcnt(6) lgkmcnt(1)
	v_mul_f32_e32 v3, v45, v107
	v_mul_f32_e32 v9, v44, v107
	v_fma_f32 v3, v44, v106, -v3
	v_fmac_f32_e32 v9, v45, v106
	scratch_load_dwordx4 v[94:97], off, off offset:16
	v_sub_f32_e32 v2, v2, v3
	v_sub_f32_e32 v3, v8, v9
	v_mul_f32_e32 v8, v99, v109
	v_fma_f32 v8, v98, v108, -v8
	v_mul_f32_e32 v9, v98, v109
	v_fmac_f32_e32 v9, v99, v108
	v_sub_f32_e32 v2, v2, v8
	s_waitcnt vmcnt(6)
	v_mul_f32_e32 v8, v55, v101
	v_sub_f32_e32 v3, v3, v9
	v_fma_f32 v8, v54, v100, -v8
	v_mul_f32_e32 v9, v54, v101
	v_fmac_f32_e32 v9, v55, v100
	v_sub_f32_e32 v2, v2, v8
	v_mul_f32_e32 v8, v89, v103
	v_sub_f32_e32 v3, v3, v9
	v_fma_f32 v8, v88, v102, -v8
	v_mul_f32_e32 v9, v88, v103
	v_fmac_f32_e32 v9, v89, v102
	v_sub_f32_e32 v2, v2, v8
	s_waitcnt vmcnt(5) lgkmcnt(0)
	v_mul_f32_e32 v8, v59, v111
	v_sub_f32_e32 v3, v3, v9
	v_fma_f32 v8, v58, v110, -v8
	v_mul_f32_e32 v9, v58, v111
	v_fmac_f32_e32 v9, v59, v110
	v_sub_f32_e32 v8, v2, v8
	v_mul_f32_e32 v2, v53, v113
	v_sub_f32_e32 v3, v3, v9
	v_fma_f32 v9, v52, v112, -v2
	scratch_load_dwordx4 v[118:121], off, off offset:48
	scratch_load_dwordx4 v[184:187], off, off offset:56
	scratch_load_dword v2, off, off offset:52
	v_mul_f32_e32 v12, v52, v113
	v_fmac_f32_e32 v12, v53, v112
	v_sub_f32_e32 v3, v3, v12
	v_mul_f32_e32 v12, v124, v85
	v_sub_f32_e32 v8, v8, v9
	v_mul_f32_e32 v9, v125, v85
	v_fmac_f32_e32 v12, v125, v84
	v_fma_f32 v9, v124, v84, -v9
	v_sub_f32_e32 v3, v3, v12
	v_mov_b32_e32 v12, s34
	v_sub_f32_e32 v8, v8, v9
	s_waitcnt vmcnt(7)
	v_mul_f32_e32 v9, v79, v17
	ds_read2_b64 v[52:55], v12 offset1:1
	ds_read_b128 v[110:113], v175 offset:176
	v_mul_f32_e32 v12, v78, v17
	v_fma_f32 v9, v78, v16, -v9
	v_fmac_f32_e32 v12, v79, v16
	scratch_load_dwordx4 v[76:79], off, off offset:64
	ds_read_b128 v[102:105], v174 offset:176
	ds_read_b128 v[106:109], v173 offset:176
	v_sub_f32_e32 v3, v3, v12
	v_sub_f32_e32 v13, v8, v9
	s_waitcnt lgkmcnt(3)
	v_mul_f32_e32 v8, v53, v3
	v_mul_f32_e32 v9, v52, v3
	v_fma_f32 v8, v52, v13, -v8
	v_fmac_f32_e32 v9, v53, v13
	scratch_store_dwordx2 off, v[8:9], off offset:168
	s_waitcnt vmcnt(8) lgkmcnt(1)
	v_mul_f32_e32 v3, v103, v91
	v_mul_f32_e32 v8, v102, v91
	v_fma_f32 v3, v102, v90, -v3
	v_fmac_f32_e32 v8, v103, v90
	scratch_load_dwordx4 v[88:91], off, off offset:72
	v_sub_f32_e32 v3, v4, v3
	v_sub_f32_e32 v4, v5, v8
	v_mul_f32_e32 v5, v51, v93
	v_mul_f32_e32 v8, v50, v93
	v_fma_f32 v5, v50, v92, -v5
	v_fmac_f32_e32 v8, v51, v92
	v_sub_f32_e32 v3, v3, v5
	v_sub_f32_e32 v5, v4, v8
	scratch_load_dwordx4 v[50:53], off, off offset:80
	ds_read_b128 v[100:103], v176 offset:176
	v_mov_b32_e32 v16, v43
	v_mov_b32_e32 v17, v110
	scratch_load_dwordx4 v[188:191], off, off offset:96
	s_waitcnt vmcnt(7)
	v_mov_b32_e32 v119, v116
	s_waitcnt lgkmcnt(0)
	v_mov_b32_e32 v25, v100
	scratch_load_dwordx4 v[82:85], off, off offset:128
	v_mov_b32_e32 v24, v37
	v_mul_f32_e32 v4, v107, v95
	v_fma_f32 v4, v106, v94, -v4
	v_mul_f32_e32 v9, v106, v95
	v_sub_f32_e32 v4, v3, v4
	v_mul_f32_e32 v3, v49, v97
	v_fmac_f32_e32 v9, v107, v94
	v_fma_f32 v8, v48, v96, -v3
	v_mul_f32_e32 v13, v48, v97
	v_mul_f32_e32 v3, v111, v115
	scratch_load_dwordx4 v[92:95], off, off offset:88
	v_fmac_f32_e32 v13, v49, v96
	v_pk_add_f32 v[4:5], v[4:5], v[8:9] neg_lo:[0,1] neg_hi:[0,1]
	v_fma_f32 v12, v110, v114, -v3
	v_pk_add_f32 v[4:5], v[4:5], v[12:13] neg_lo:[0,1] neg_hi:[0,1]
	v_mov_b32_e32 v13, v114
	v_mov_b32_e32 v114, v117
	;; [unrolled: 1-line block ×5, first 2 shown]
	v_pk_mul_f32 v[16:17], v[16:17], v[114:115]
	v_mov_b32_e32 v3, v117
	v_pk_fma_f32 v[20:21], v[42:43], v[116:117], v[16:17] neg_lo:[0,0,1] neg_hi:[0,0,1]
	v_pk_fma_f32 v[8:9], v[8:9], v[12:13], v[16:17]
	v_mov_b32_e32 v12, v100
	v_mov_b32_e32 v21, v9
	v_pk_add_f32 v[4:5], v[4:5], v[20:21] neg_lo:[0,1] neg_hi:[0,1]
	v_mov_b32_e32 v20, v101
	v_mov_b32_e32 v21, v42
	;; [unrolled: 1-line block ×5, first 2 shown]
	s_waitcnt vmcnt(7)
	v_mov_b32_e32 v17, v2
	v_pk_mul_f32 v[2:3], v[20:21], v[2:3]
	v_mov_b32_e32 v16, v185
	v_pk_fma_f32 v[20:21], v[100:101], v[8:9], v[2:3] neg_lo:[0,0,1] neg_hi:[0,0,1]
	v_pk_fma_f32 v[2:3], v[12:13], v[118:119], v[2:3]
	ds_read_b128 v[114:117], v178 offset:176
	v_mov_b32_e32 v21, v3
	v_mov_b32_e32 v2, v101
	;; [unrolled: 1-line block ×3, first 2 shown]
	v_pk_add_f32 v[12:13], v[4:5], v[20:21] neg_lo:[0,1] neg_hi:[0,1]
	v_pk_mul_f32 v[8:9], v[2:3], v[8:9]
	scratch_load_dwordx4 v[2:5], off, off offset:112
	ds_read_b128 v[98:101], v177 offset:176
	v_mov_b32_e32 v21, v186
	v_mov_b32_e32 v186, v185
	v_pk_fma_f32 v[30:31], v[24:25], v[16:17], v[8:9] op_sel:[0,0,1] op_sel_hi:[1,1,0] neg_lo:[1,0,0] neg_hi:[1,0,0]
	v_pk_fma_f32 v[8:9], v[24:25], v[16:17], v[8:9] op_sel:[0,0,1] op_sel_hi:[1,1,0]
	v_mov_b32_e32 v16, v37
	s_waitcnt lgkmcnt(0)
	v_mov_b32_e32 v37, v99
	v_mov_b32_e32 v20, v184
	;; [unrolled: 1-line block ×4, first 2 shown]
	v_pk_mul_f32 v[24:25], v[36:37], v[186:187]
	v_pk_add_f32 v[8:9], v[12:13], v[30:31] neg_lo:[0,1] neg_hi:[0,1]
	s_waitcnt vmcnt(7)
	v_mov_b32_e32 v13, v78
	v_mov_b32_e32 v78, v77
	v_pk_fma_f32 v[30:31], v[16:17], v[20:21], v[24:25] neg_lo:[0,0,1] neg_hi:[0,0,1]
	v_pk_fma_f32 v[16:17], v[16:17], v[20:21], v[24:25]
	v_mov_b32_e32 v20, v99
	v_mov_b32_e32 v99, v41
	;; [unrolled: 1-line block ×3, first 2 shown]
	v_pk_mul_f32 v[24:25], v[98:99], v[78:79]
	scratch_load_dwordx4 v[76:79], off, off offset:144
	scratch_load_dwordx4 v[122:125], off, off offset:160
	v_pk_mov_b32 v[16:17], v[30:31], v[16:17] op_sel:[1,0]
	v_mov_b32_e32 v21, v40
	v_pk_add_f32 v[8:9], v[8:9], v[16:17] neg_lo:[0,1] neg_hi:[0,1]
	s_waitcnt vmcnt(7)
	v_mov_b32_e32 v17, v90
	v_mov_b32_e32 v90, v89
	v_pk_fma_f32 v[30:31], v[20:21], v[12:13], v[24:25] neg_lo:[0,0,1] neg_hi:[0,0,1]
	v_pk_fma_f32 v[12:13], v[20:21], v[12:13], v[24:25]
	v_mov_b32_e32 v20, v41
	v_mov_b32_e32 v41, v115
	;; [unrolled: 1-line block ×4, first 2 shown]
	v_pk_mul_f32 v[24:25], v[40:41], v[90:91]
	v_pk_mov_b32 v[12:13], v[30:31], v[12:13] op_sel:[1,0]
	v_pk_fma_f32 v[30:31], v[20:21], v[16:17], v[24:25] neg_lo:[0,0,1] neg_hi:[0,0,1]
	v_pk_fma_f32 v[16:17], v[20:21], v[16:17], v[24:25]
	scratch_load_dwordx2 v[24:25], off, off offset:168
	ds_read_b128 v[118:121], v179 offset:176
	v_pk_add_f32 v[8:9], v[8:9], v[12:13] neg_lo:[0,1] neg_hi:[0,1]
	s_waitcnt vmcnt(7)
	v_mov_b32_e32 v13, v52
	v_mov_b32_e32 v52, v51
	;; [unrolled: 1-line block ×5, first 2 shown]
	v_pk_mov_b32 v[16:17], v[30:31], v[16:17] op_sel:[1,0]
	v_mov_b32_e32 v21, v26
	v_pk_mul_f32 v[30:31], v[114:115], v[52:53]
	v_pk_add_f32 v[8:9], v[8:9], v[16:17] neg_lo:[0,1] neg_hi:[0,1]
	s_waitcnt vmcnt(4)
	v_mov_b32_e32 v17, v94
	v_mov_b32_e32 v94, v93
	v_pk_fma_f32 v[34:35], v[20:21], v[12:13], v[30:31] neg_lo:[0,0,1] neg_hi:[0,0,1]
	v_pk_fma_f32 v[12:13], v[20:21], v[12:13], v[30:31]
	v_mov_b32_e32 v20, v27
	s_waitcnt lgkmcnt(0)
	v_mov_b32_e32 v27, v119
	v_mov_b32_e32 v16, v92
	;; [unrolled: 1-line block ×3, first 2 shown]
	v_pk_mul_f32 v[26:27], v[26:27], v[94:95]
	v_pk_mov_b32 v[12:13], v[34:35], v[12:13] op_sel:[1,0]
	v_pk_fma_f32 v[34:35], v[20:21], v[16:17], v[26:27] neg_lo:[0,0,1] neg_hi:[0,0,1]
	v_pk_fma_f32 v[16:17], v[20:21], v[16:17], v[26:27]
	v_pk_add_f32 v[8:9], v[8:9], v[12:13] neg_lo:[0,1] neg_hi:[0,1]
	v_pk_mov_b32 v[16:17], v[34:35], v[16:17] op_sel:[1,0]
	v_mov_b32_e32 v30, v189
	v_mov_b32_e32 v31, v191
	v_pk_add_f32 v[8:9], v[8:9], v[16:17] neg_lo:[0,1] neg_hi:[0,1]
	v_mov_b32_e32 v16, v119
	v_mov_b32_e32 v119, v47
	;; [unrolled: 1-line block ×5, first 2 shown]
	v_pk_mul_f32 v[20:21], v[118:119], v[30:31]
	ds_read_b128 v[96:99], v180 offset:176
	v_pk_fma_f32 v[26:27], v[16:17], v[12:13], v[20:21] neg_lo:[0,0,1] neg_hi:[0,0,1]
	v_pk_fma_f32 v[12:13], v[16:17], v[12:13], v[20:21]
	s_lshl_b32 s30, s30, 9
	v_pk_mov_b32 v[12:13], v[26:27], v[12:13] op_sel:[1,0]
	s_add_i32 s33, s4, s30
	v_pk_add_f32 v[8:9], v[8:9], v[12:13] neg_lo:[0,1] neg_hi:[0,1]
	v_mul_f32_e32 v12, v47, v190
	v_fmac_f32_e32 v12, v46, v191
	v_sub_f32_e32 v9, v9, v12
	s_waitcnt vmcnt(3) lgkmcnt(0)
	v_mul_f32_e32 v12, v97, v3
	v_mul_f32_e32 v13, v96, v3
	v_fma_f32 v12, v96, v2, -v12
	v_fmac_f32_e32 v13, v97, v2
	ds_read_b128 v[94:97], v182 offset:176
	v_sub_f32_e32 v8, v8, v12
	v_sub_f32_e32 v9, v9, v13
	v_mul_f32_e32 v12, v57, v5
	v_mul_f32_e32 v13, v56, v5
	v_fma_f32 v12, v56, v4, -v12
	v_fmac_f32_e32 v13, v57, v4
	v_sub_f32_e32 v8, v8, v12
	v_sub_f32_e32 v9, v9, v13
	s_waitcnt lgkmcnt(0)
	v_mul_f32_e32 v12, v95, v83
	v_mul_f32_e32 v13, v94, v83
	v_fma_f32 v12, v94, v82, -v12
	v_fmac_f32_e32 v13, v95, v82
	ds_read_b128 v[92:95], v183 offset:176
	v_sub_f32_e32 v8, v8, v12
	v_sub_f32_e32 v9, v9, v13
	v_mul_f32_e32 v12, v61, v85
	v_mul_f32_e32 v13, v60, v85
	v_fma_f32 v12, v60, v84, -v12
	v_fmac_f32_e32 v13, v61, v84
	v_sub_f32_e32 v8, v8, v12
	v_sub_f32_e32 v9, v9, v13
	s_waitcnt vmcnt(2) lgkmcnt(0)
	v_mul_f32_e32 v12, v93, v77
	v_mul_f32_e32 v13, v92, v77
	v_mov_b32_e32 v184, s33
	v_fma_f32 v12, v92, v76, -v12
	v_fmac_f32_e32 v13, v93, v76
	ds_read_b128 v[90:93], v184 offset:176
	v_sub_f32_e32 v9, v9, v13
	v_mul_f32_e32 v13, v126, v79
	v_fmac_f32_e32 v13, v127, v78
	v_sub_f32_e32 v8, v8, v12
	v_mul_f32_e32 v12, v127, v79
	v_sub_f32_e32 v9, v9, v13
	s_waitcnt vmcnt(1) lgkmcnt(0)
	v_mul_f32_e32 v13, v90, v123
	s_or_b32 s33, s7, 22
	v_fma_f32 v12, v126, v78, -v12
	v_fmac_f32_e32 v13, v91, v122
	s_mul_i32 s34, s33, 0x208
	v_sub_f32_e32 v8, v8, v12
	v_mul_f32_e32 v12, v91, v123
	v_sub_f32_e32 v9, v9, v13
	v_mov_b32_e32 v13, s34
	v_fma_f32 v12, v90, v122, -v12
	ds_read_b128 v[88:91], v13
	s_waitcnt vmcnt(0)
	v_mul_f32_e32 v13, v54, v25
	v_sub_f32_e32 v8, v8, v12
	v_mul_f32_e32 v12, v55, v25
	v_fmac_f32_e32 v13, v55, v24
	v_fma_f32 v12, v54, v24, -v12
	v_sub_f32_e32 v9, v9, v13
	v_sub_f32_e32 v8, v8, v12
	s_waitcnt lgkmcnt(0)
	v_mul_f32_e32 v12, v89, v9
	v_mul_f32_e32 v107, v88, v9
	v_fma_f32 v106, v88, v8, -v12
	v_fmac_f32_e32 v107, v89, v8
	scratch_store_dwordx2 off, v[106:107], off offset:176
	scratch_load_dwordx4 v[24:27], off, off offset:168
	scratch_load_dwordx2 v[16:17], off, off
	scratch_load_dwordx4 v[54:57], off, off
	scratch_load_dwordx4 v[58:61], off, off offset:8
	scratch_load_dwordx4 v[46:49], off, off offset:16
	v_add_u32_e32 v8, s10, v1
	ds_write_b64 v8, v[148:149]
	v_add_u32_e32 v8, s5, v1
	ds_write_b64 v8, v[150:151]
	v_add_u32_e32 v8, s11, v1
	scratch_load_dwordx4 v[50:53], off, off offset:24
	scratch_load_dwordx4 v[38:41], off, off offset:32
	ds_write_b64 v8, v[152:153]
	v_add_u32_e32 v8, s12, v1
	ds_write_b64 v181, v[146:147]
	ds_write_b64 v8, v[154:155]
	v_add_u32_e32 v8, s13, v1
	scratch_load_dwordx4 v[34:37], off, off offset:48
	scratch_load_dwordx4 v[42:45], off, off offset:40
	ds_write_b64 v8, v[156:157]
	v_add_u32_e32 v8, s14, v1
	ds_write_b64 v8, v[158:159]
	v_add_u32_e32 v8, s15, v1
	;; [unrolled: 2-line block ×4, first 2 shown]
	ds_write_b64 v6, v[10:11]
	scratch_load_dwordx4 v[8:11], off, off offset:64
	v_add_u32_e32 v6, s18, v1
	ds_write_b64 v6, v[14:15]
	scratch_load_dwordx4 v[12:15], off, off offset:72
	v_add_u32_e32 v6, s19, v1
	ds_write_b64 v6, v[18:19]
	v_add_u32_e32 v6, s20, v1
	ds_write_b64 v6, v[22:23]
	;; [unrolled: 2-line block ×5, first 2 shown]
	scratch_load_dwordx4 v[62:65], off, off offset:80
	v_add_u32_e32 v6, s24, v1
	ds_write_b64 v6, v[66:67]
	v_add_u32_e32 v6, s25, v1
	ds_write_b64 v6, v[70:71]
	;; [unrolled: 2-line block ×3, first 2 shown]
	v_add_u32_e32 v6, s27, v1
	ds_read2_b64 v[72:75], v167 offset0:23 offset1:24
	ds_write_b64 v6, v[80:81]
	v_add_u32_e32 v6, s30, v1
	s_lshl_b32 s5, s31, 9
	ds_write_b64 v6, v[86:87]
	v_add_u32_e32 v6, s5, v1
	s_add_i32 s10, s4, s5
	s_lshl_b32 s5, s33, 9
	ds_write_b64 v6, v[124:125]
	v_add_u32_e32 v6, s5, v1
	scratch_load_dwordx4 v[86:89], off, off offset:88
	ds_read2_b64 v[20:23], v169 offset0:23 offset1:24
	ds_read2_b64 v[30:33], v170 offset0:23 offset1:24
	v_mov_b32_e32 v28, v103
	s_add_i32 s5, s4, s5
	s_waitcnt lgkmcnt(1)
	v_mov_b32_e32 v29, v20
	s_waitcnt vmcnt(12)
	ds_write_b64 v6, v[26:27]
	s_waitcnt vmcnt(11)
	v_mul_f32_e32 v6, v105, v17
	v_mul_f32_e32 v7, v104, v17
	v_fma_f32 v6, v104, v16, -v6
	v_fmac_f32_e32 v7, v105, v16
	s_waitcnt vmcnt(10)
	v_mul_f32_e32 v16, v73, v57
	v_mul_f32_e32 v17, v72, v57
	v_fma_f32 v16, v72, v56, -v16
	v_fmac_f32_e32 v17, v73, v56
	ds_read2_b64 v[70:73], v168 offset0:23 offset1:24
	v_sub_f32_e32 v6, v144, v6
	v_sub_f32_e32 v6, v6, v16
	s_waitcnt vmcnt(9)
	v_mul_f32_e32 v16, v109, v61
	v_sub_f32_e32 v7, v145, v7
	v_fma_f32 v16, v108, v60, -v16
	v_sub_f32_e32 v7, v7, v17
	v_mul_f32_e32 v17, v108, v61
	v_sub_f32_e32 v6, v6, v16
	s_waitcnt vmcnt(8) lgkmcnt(0)
	v_mul_f32_e32 v16, v71, v49
	v_fmac_f32_e32 v17, v109, v60
	v_fma_f32 v16, v70, v48, -v16
	v_sub_f32_e32 v7, v7, v17
	v_mul_f32_e32 v17, v70, v49
	v_sub_f32_e32 v6, v6, v16
	s_waitcnt vmcnt(7)
	v_mul_f32_e32 v16, v113, v53
	scratch_load_dwordx4 v[108:111], off, off offset:96
	v_fmac_f32_e32 v17, v71, v48
	v_fma_f32 v16, v112, v52, -v16
	v_mul_f32_e32 v19, v112, v53
	v_pk_add_f32 v[6:7], v[6:7], v[16:17] neg_lo:[0,1] neg_hi:[0,1]
	s_waitcnt vmcnt(7)
	v_mul_f32_e32 v16, v21, v41
	v_fmac_f32_e32 v19, v113, v52
	v_fma_f32 v18, v20, v40, -v16
	v_mov_b32_e32 v27, v40
	s_waitcnt vmcnt(5)
	v_mov_b32_e32 v40, v45
	v_pk_add_f32 v[6:7], v[6:7], v[18:19] neg_lo:[0,1] neg_hi:[0,1]
	v_mov_b32_e32 v16, v36
	v_mov_b32_e32 v17, v44
	;; [unrolled: 1-line block ×5, first 2 shown]
	v_pk_mul_f32 v[20:21], v[28:29], v[40:41]
	scratch_load_dwordx4 v[112:115], off, off offset:104
	v_mov_b32_e32 v44, v37
	v_pk_fma_f32 v[28:29], v[102:103], v[16:17], v[20:21] op_sel:[0,1,0] op_sel_hi:[1,0,1] neg_lo:[0,0,1] neg_hi:[0,0,1]
	v_pk_fma_f32 v[18:19], v[18:19], v[26:27], v[20:21]
	v_mov_b32_e32 v26, v31
	v_mov_b32_e32 v27, v102
	;; [unrolled: 1-line block ×4, first 2 shown]
	s_waitcnt vmcnt(5)
	v_mov_b32_e32 v19, v8
	v_mov_b32_e32 v20, v30
	;; [unrolled: 1-line block ×3, first 2 shown]
	v_pk_mul_f32 v[26:27], v[26:27], v[44:45]
	v_pk_add_f32 v[6:7], v[6:7], v[28:29] neg_lo:[0,1] neg_hi:[0,1]
	v_pk_fma_f32 v[28:29], v[30:31], v[18:19], v[26:27] neg_lo:[0,0,1] neg_hi:[0,0,1]
	v_pk_fma_f32 v[16:17], v[20:21], v[16:17], v[26:27]
	v_mov_b32_e32 v20, v31
	v_mov_b32_e32 v29, v17
	;; [unrolled: 1-line block ×4, first 2 shown]
	v_pk_add_f32 v[6:7], v[6:7], v[28:29] neg_lo:[0,1] neg_hi:[0,1]
	v_mov_b32_e32 v16, v8
	v_mov_b32_e32 v17, v10
	v_pk_mul_f32 v[18:19], v[20:21], v[18:19]
	v_mov_b32_e32 v10, v9
	v_mov_b32_e32 v8, v101
	;; [unrolled: 1-line block ×3, first 2 shown]
	ds_read2_b64 v[28:31], v171 offset0:23 offset1:24
	v_pk_fma_f32 v[20:21], v[8:9], v[36:37], v[18:19] op_sel:[0,0,1] op_sel_hi:[1,1,0] neg_lo:[1,0,0] neg_hi:[1,0,0]
	v_pk_fma_f32 v[8:9], v[8:9], v[36:37], v[18:19] op_sel:[0,0,1] op_sel_hi:[1,1,0]
	s_waitcnt vmcnt(4)
	v_mov_b32_e32 v26, v12
	v_mov_b32_e32 v21, v9
	v_pk_add_f32 v[18:19], v[6:7], v[20:21] neg_lo:[0,1] neg_hi:[0,1]
	scratch_load_dwordx4 v[6:9], off, off offset:120
	v_mov_b32_e32 v20, v101
	s_waitcnt lgkmcnt(0)
	v_mov_b32_e32 v101, v29
	v_mov_b32_e32 v21, v28
	v_pk_mul_f32 v[10:11], v[100:101], v[10:11]
	v_mov_b32_e32 v27, v14
	v_mov_b32_e32 v14, v13
	v_pk_fma_f32 v[12:13], v[20:21], v[16:17], v[10:11] neg_lo:[0,0,1] neg_hi:[0,0,1]
	v_pk_fma_f32 v[10:11], v[20:21], v[16:17], v[10:11]
	ds_read2_b64 v[68:71], v172 offset0:23 offset1:24
	v_pk_mov_b32 v[10:11], v[12:13], v[10:11] op_sel:[1,0]
	v_mov_b32_e32 v16, v29
	v_pk_add_f32 v[10:11], v[18:19], v[10:11] neg_lo:[0,1] neg_hi:[0,1]
	scratch_load_dwordx4 v[18:21], off, off offset:136
	v_mov_b32_e32 v29, v117
	v_mov_b32_e32 v17, v116
	v_pk_mul_f32 v[14:15], v[28:29], v[14:15]
	s_waitcnt vmcnt(5)
	v_mov_b32_e32 v13, v64
	v_pk_fma_f32 v[28:29], v[16:17], v[26:27], v[14:15] neg_lo:[0,0,1] neg_hi:[0,0,1]
	v_pk_fma_f32 v[14:15], v[16:17], v[26:27], v[14:15]
	v_mov_b32_e32 v64, v63
	v_pk_mov_b32 v[14:15], v[28:29], v[14:15] op_sel:[1,0]
	v_mov_b32_e32 v12, v62
	v_pk_add_f32 v[10:11], v[10:11], v[14:15] neg_lo:[0,1] neg_hi:[0,1]
	v_mov_b32_e32 v14, v117
	s_waitcnt lgkmcnt(0)
	v_mov_b32_e32 v117, v69
	v_mov_b32_e32 v15, v68
	v_pk_mul_f32 v[16:17], v[116:117], v[64:65]
	s_waitcnt vmcnt(4)
	v_mov_b32_e32 v27, v88
	v_pk_fma_f32 v[28:29], v[14:15], v[12:13], v[16:17] neg_lo:[0,0,1] neg_hi:[0,0,1]
	v_pk_fma_f32 v[12:13], v[14:15], v[12:13], v[16:17]
	scratch_load_dwordx4 v[14:17], off, off offset:152
	v_pk_mov_b32 v[12:13], v[28:29], v[12:13] op_sel:[1,0]
	v_mov_b32_e32 v88, v87
	v_pk_add_f32 v[28:29], v[10:11], v[12:13] neg_lo:[0,1] neg_hi:[0,1]
	scratch_load_dwordx4 v[10:13], off, off offset:160
	v_mov_b32_e32 v40, v69
	v_mov_b32_e32 v69, v121
	;; [unrolled: 1-line block ×3, first 2 shown]
	v_pk_mul_f32 v[44:45], v[68:69], v[88:89]
	ds_read2_b64 v[86:89], v165 offset0:23 offset1:24
	v_mov_b32_e32 v41, v120
	s_waitcnt vmcnt(5)
	v_mov_b32_e32 v37, v110
	v_mov_b32_e32 v110, v109
	v_pk_fma_f32 v[48:49], v[40:41], v[26:27], v[44:45] neg_lo:[0,0,1] neg_hi:[0,0,1]
	v_pk_fma_f32 v[26:27], v[40:41], v[26:27], v[44:45]
	v_mov_b32_e32 v40, v121
	s_waitcnt lgkmcnt(0)
	v_mov_b32_e32 v121, v87
	v_mov_b32_e32 v36, v108
	v_pk_mov_b32 v[26:27], v[48:49], v[26:27] op_sel:[1,0]
	v_mov_b32_e32 v41, v86
	v_pk_mul_f32 v[48:49], v[120:121], v[110:111]
	v_pk_add_f32 v[26:27], v[28:29], v[26:27] neg_lo:[0,1] neg_hi:[0,1]
	v_pk_fma_f32 v[52:53], v[40:41], v[36:37], v[48:49] neg_lo:[0,0,1] neg_hi:[0,0,1]
	v_pk_fma_f32 v[36:37], v[40:41], v[36:37], v[48:49]
	s_waitcnt vmcnt(4)
	v_mov_b32_e32 v44, v113
	v_pk_mov_b32 v[36:37], v[52:53], v[36:37] op_sel:[1,0]
	v_mov_b32_e32 v45, v115
	v_pk_add_f32 v[26:27], v[26:27], v[36:37] neg_lo:[0,1] neg_hi:[0,1]
	v_mov_b32_e32 v36, v87
	v_mov_b32_e32 v87, v99
	;; [unrolled: 1-line block ×5, first 2 shown]
	v_pk_mul_f32 v[40:41], v[86:87], v[44:45]
	ds_read2_b64 v[108:111], v163 offset0:23 offset1:24
	v_pk_fma_f32 v[44:45], v[36:37], v[28:29], v[40:41] neg_lo:[0,0,1] neg_hi:[0,0,1]
	v_pk_fma_f32 v[28:29], v[36:37], v[28:29], v[40:41]
	scratch_load_dwordx2 v[36:37], off, off
	v_pk_mov_b32 v[28:29], v[44:45], v[28:29] op_sel:[1,0]
	s_waitcnt lgkmcnt(0)
	v_mul_f32_e32 v40, v109, v5
	v_pk_add_f32 v[26:27], v[26:27], v[28:29] neg_lo:[0,1] neg_hi:[0,1]
	v_mul_f32_e32 v28, v99, v114
	v_fmac_f32_e32 v28, v98, v115
	ds_read2_b64 v[98:101], v164 offset0:23 offset1:24
	v_sub_f32_e32 v27, v27, v28
	scratch_load_dwordx2 v[28:29], off, off offset:8
	v_fma_f32 v40, v108, v4, -v40
	v_mul_f32_e32 v5, v108, v5
	v_fmac_f32_e32 v5, v109, v4
	v_sub_f32_e32 v4, v26, v40
	s_waitcnt vmcnt(5)
	v_mul_f32_e32 v40, v97, v9
	v_sub_f32_e32 v5, v27, v5
	scratch_load_dwordx2 v[26:27], off, off offset:16
	v_fma_f32 v40, v96, v8, -v40
	v_mul_f32_e32 v9, v96, v9
	v_fmac_f32_e32 v9, v97, v8
	v_sub_f32_e32 v4, v4, v40
	s_waitcnt lgkmcnt(0)
	v_mul_f32_e32 v40, v99, v85
	v_mul_f32_e32 v41, v98, v85
	v_sub_f32_e32 v5, v5, v9
	scratch_load_dwordx2 v[8:9], off, off offset:24
	v_fma_f32 v40, v98, v84, -v40
	v_fmac_f32_e32 v41, v99, v84
	ds_read2_b64 v[84:87], v166 offset0:23 offset1:24
	v_sub_f32_e32 v4, v4, v40
	v_sub_f32_e32 v5, v5, v41
	scratch_load_dwordx2 v[40:41], off, off offset:32
	s_waitcnt vmcnt(7)
	v_mul_f32_e32 v44, v95, v21
	v_mul_f32_e32 v45, v94, v21
	v_fma_f32 v44, v94, v20, -v44
	v_fmac_f32_e32 v45, v95, v20
	scratch_load_dwordx2 v[20:21], off, off offset:40
	v_sub_f32_e32 v4, v4, v44
	s_waitcnt lgkmcnt(0)
	v_mul_f32_e32 v44, v85, v79
	v_sub_f32_e32 v5, v5, v45
	v_fma_f32 v48, v84, v78, -v44
	scratch_load_dwordx2 v[44:45], off, off offset:48
	v_sub_f32_e32 v4, v4, v48
	scratch_load_dwordx4 v[64:67], off, off offset:56
	scratch_load_dwordx2 v[48:49], off, off offset:56
	scratch_load_dwordx4 v[102:105], off, off offset:72
	scratch_load_dwordx4 v[112:115], off, off offset:88
	v_mul_f32_e32 v52, v84, v79
	v_mov_b32_e32 v144, s10
	v_fmac_f32_e32 v52, v85, v78
	ds_read2_b64 v[78:81], v144 offset0:23 offset1:24
	ds_read_b128 v[60:63], v174 offset:192
	v_sub_f32_e32 v5, v5, v52
	s_waitcnt vmcnt(12)
	v_mul_f32_e32 v52, v93, v17
	v_mul_f32_e32 v17, v92, v17
	v_fma_f32 v52, v92, v16, -v52
	v_fmac_f32_e32 v17, v93, v16
	s_waitcnt vmcnt(11) lgkmcnt(1)
	v_mul_f32_e32 v16, v79, v13
	v_mul_f32_e32 v13, v78, v13
	s_or_b32 s10, s7, 23
	v_sub_f32_e32 v5, v5, v17
	v_fmac_f32_e32 v13, v79, v12
	s_mul_i32 s11, s10, 0x208
	v_sub_f32_e32 v5, v5, v13
	v_mov_b32_e32 v13, s11
	v_fma_f32 v16, v78, v12, -v16
	v_mul_f32_e32 v12, v91, v107
	ds_read2_b64 v[92:95], v13 offset1:1
	v_mul_f32_e32 v13, v90, v107
	v_fma_f32 v12, v90, v106, -v12
	v_fmac_f32_e32 v13, v91, v106
	scratch_load_dwordx4 v[106:109], off, off offset:80
	v_sub_f32_e32 v4, v4, v52
	v_sub_f32_e32 v4, v4, v16
	;; [unrolled: 1-line block ×4, first 2 shown]
	s_waitcnt lgkmcnt(0)
	v_mul_f32_e32 v4, v93, v5
	v_mul_f32_e32 v5, v92, v5
	v_fma_f32 v4, v92, v12, -v4
	v_fmac_f32_e32 v5, v93, v12
	s_lshl_b32 s10, s10, 9
	ds_read_b128 v[90:93], v173 offset:192
	v_add_u32_e32 v12, s10, v1
	ds_write_b64 v12, v[4:5]
	s_waitcnt vmcnt(11)
	v_mul_f32_e32 v12, v61, v37
	v_fma_f32 v12, v60, v36, -v12
	v_sub_f32_e32 v12, v142, v12
	ds_read_b128 v[96:99], v175 offset:192
	v_mul_f32_e32 v13, v60, v37
	v_fmac_f32_e32 v13, v61, v36
	v_sub_f32_e32 v13, v143, v13
	s_waitcnt vmcnt(10)
	v_mul_f32_e32 v16, v75, v29
	v_fma_f32 v16, v74, v28, -v16
	v_sub_f32_e32 v12, v12, v16
	v_mul_f32_e32 v17, v74, v29
	v_fmac_f32_e32 v17, v75, v28
	v_sub_f32_e32 v13, v13, v17
	scratch_load_dwordx4 v[116:119], off, off offset:96
	scratch_load_dwordx4 v[120:123], off, off offset:104
	s_waitcnt vmcnt(11) lgkmcnt(2)
	v_mul_f32_e32 v16, v91, v27
	v_fma_f32 v16, v90, v26, -v16
	v_sub_f32_e32 v12, v12, v16
	v_mul_f32_e32 v17, v90, v27
	v_fmac_f32_e32 v17, v91, v26
	v_sub_f32_e32 v13, v13, v17
	v_mov_b32_e32 v37, v32
	s_waitcnt vmcnt(10)
	v_mul_f32_e32 v16, v73, v9
	v_mul_f32_e32 v9, v72, v9
	v_fma_f32 v16, v72, v8, -v16
	v_fmac_f32_e32 v9, v73, v8
	ds_read_b128 v[72:75], v176 offset:192
	v_sub_f32_e32 v8, v12, v16
	s_waitcnt vmcnt(9) lgkmcnt(1)
	v_mul_f32_e32 v12, v97, v41
	v_fma_f32 v12, v96, v40, -v12
	v_sub_f32_e32 v9, v13, v9
	v_mul_f32_e32 v13, v96, v41
	v_sub_f32_e32 v8, v8, v12
	s_waitcnt vmcnt(8)
	v_mul_f32_e32 v12, v23, v21
	v_fmac_f32_e32 v13, v97, v40
	v_fma_f32 v12, v22, v20, -v12
	v_mul_f32_e32 v17, v22, v21
	v_pk_add_f32 v[8:9], v[8:9], v[12:13] neg_lo:[0,1] neg_hi:[0,1]
	s_waitcnt vmcnt(7) lgkmcnt(0)
	v_mul_f32_e32 v12, v73, v45
	v_fmac_f32_e32 v17, v23, v20
	v_fma_f32 v16, v72, v44, -v12
	v_mov_b32_e32 v21, v44
	v_mov_b32_e32 v22, v33
	;; [unrolled: 1-line block ×3, first 2 shown]
	s_waitcnt vmcnt(5)
	v_mov_b32_e32 v44, v49
	v_pk_add_f32 v[8:9], v[8:9], v[16:17] neg_lo:[0,1] neg_hi:[0,1]
	v_mov_b32_e32 v16, v32
	v_mov_b32_e32 v17, v73
	;; [unrolled: 1-line block ×3, first 2 shown]
	v_pk_mul_f32 v[22:23], v[22:23], v[44:45]
	v_mov_b32_e32 v26, v67
	v_pk_fma_f32 v[28:29], v[32:33], v[48:49], v[22:23] neg_lo:[0,0,1] neg_hi:[0,0,1]
	v_pk_fma_f32 v[16:17], v[16:17], v[20:21], v[22:23]
	ds_read_b128 v[20:23], v177 offset:192
	v_mov_b32_e32 v27, v49
	v_mov_b32_e32 v29, v17
	;; [unrolled: 1-line block ×4, first 2 shown]
	s_waitcnt lgkmcnt(0)
	v_mov_b32_e32 v36, v21
	scratch_load_dwordx4 v[124:127], off, off offset:112
	v_pk_add_f32 v[8:9], v[8:9], v[28:29] neg_lo:[0,1] neg_hi:[0,1]
	v_mov_b32_e32 v16, v66
	s_waitcnt vmcnt(5)
	v_mov_b32_e32 v17, v102
	v_mov_b32_e32 v28, v20
	;; [unrolled: 1-line block ×3, first 2 shown]
	v_pk_mul_f32 v[26:27], v[36:37], v[26:27]
	v_mov_b32_e32 v66, v103
	v_pk_fma_f32 v[32:33], v[20:21], v[16:17], v[26:27] neg_lo:[0,0,1] neg_hi:[0,0,1]
	v_pk_fma_f32 v[12:13], v[28:29], v[12:13], v[26:27]
	v_mov_b32_e32 v26, v21
	v_mov_b32_e32 v27, v30
	v_pk_mul_f32 v[16:17], v[26:27], v[16:17]
	v_mov_b32_e32 v26, v31
	v_mov_b32_e32 v27, v20
	v_pk_fma_f32 v[20:21], v[26:27], v[66:67], v[16:17] op_sel:[0,0,1] op_sel_hi:[1,1,0] neg_lo:[1,0,0] neg_hi:[1,0,0]
	v_pk_fma_f32 v[16:17], v[26:27], v[66:67], v[16:17] op_sel:[0,0,1] op_sel_hi:[1,1,0]
	ds_read_b128 v[26:29], v178 offset:192
	ds_read_b128 v[66:69], v179 offset:192
	v_mov_b32_e32 v33, v13
	v_pk_add_f32 v[8:9], v[8:9], v[32:33] neg_lo:[0,1] neg_hi:[0,1]
	v_mov_b32_e32 v21, v17
	v_mov_b32_e32 v13, v104
	;; [unrolled: 1-line block ×3, first 2 shown]
	v_pk_add_f32 v[8:9], v[8:9], v[20:21] neg_lo:[0,1] neg_hi:[0,1]
	v_mov_b32_e32 v20, v31
	scratch_load_dwordx2 v[32:33], off, off offset:136
	s_waitcnt lgkmcnt(1)
	v_mov_b32_e32 v31, v27
	v_mov_b32_e32 v12, v102
	;; [unrolled: 1-line block ×3, first 2 shown]
	v_pk_mul_f32 v[30:31], v[30:31], v[104:105]
	s_waitcnt vmcnt(4)
	v_mov_b32_e32 v17, v108
	v_pk_fma_f32 v[36:37], v[20:21], v[12:13], v[30:31] neg_lo:[0,0,1] neg_hi:[0,0,1]
	v_pk_fma_f32 v[12:13], v[20:21], v[12:13], v[30:31]
	scratch_load_dwordx2 v[20:21], off, off offset:144
	v_mov_b32_e32 v108, v107
	v_pk_mov_b32 v[12:13], v[36:37], v[12:13] op_sel:[1,0]
	v_mov_b32_e32 v30, v27
	v_mov_b32_e32 v27, v71
	scratch_load_dwordx2 v[36:37], off, off offset:152
	v_mov_b32_e32 v16, v106
	v_mov_b32_e32 v31, v70
	v_pk_mul_f32 v[26:27], v[26:27], v[108:109]
	v_pk_add_f32 v[8:9], v[8:9], v[12:13] neg_lo:[0,1] neg_hi:[0,1]
	v_pk_fma_f32 v[40:41], v[30:31], v[16:17], v[26:27] neg_lo:[0,0,1] neg_hi:[0,0,1]
	v_pk_fma_f32 v[16:17], v[30:31], v[16:17], v[26:27]
	scratch_load_dwordx2 v[26:27], off, off offset:160
	v_mov_b32_e32 v13, v114
	v_mov_b32_e32 v114, v113
	;; [unrolled: 1-line block ×3, first 2 shown]
	s_waitcnt lgkmcnt(0)
	v_mov_b32_e32 v71, v67
	v_mov_b32_e32 v12, v112
	v_pk_mov_b32 v[16:17], v[40:41], v[16:17] op_sel:[1,0]
	v_mov_b32_e32 v31, v66
	v_pk_mul_f32 v[40:41], v[70:71], v[114:115]
	scratch_load_dwordx2 v[48:49], off, off offset:168
	v_pk_fma_f32 v[44:45], v[30:31], v[12:13], v[40:41] neg_lo:[0,0,1] neg_hi:[0,0,1]
	v_pk_fma_f32 v[12:13], v[30:31], v[12:13], v[40:41]
	ds_read_b128 v[102:105], v180 offset:192
	v_pk_mov_b32 v[12:13], v[44:45], v[12:13] op_sel:[1,0]
	scratch_load_dwordx2 v[44:45], off, off offset:176
	v_pk_add_f32 v[8:9], v[8:9], v[16:17] neg_lo:[0,1] neg_hi:[0,1]
	s_waitcnt vmcnt(8)
	v_mov_b32_e32 v17, v118
	v_mov_b32_e32 v118, v117
	;; [unrolled: 1-line block ×6, first 2 shown]
	v_pk_mul_f32 v[40:41], v[66:67], v[118:119]
	v_pk_add_f32 v[8:9], v[8:9], v[12:13] neg_lo:[0,1] neg_hi:[0,1]
	s_waitcnt vmcnt(7)
	v_mov_b32_e32 v13, v122
	v_mov_b32_e32 v122, v121
	v_pk_fma_f32 v[52:53], v[30:31], v[16:17], v[40:41] neg_lo:[0,0,1] neg_hi:[0,0,1]
	v_pk_fma_f32 v[16:17], v[30:31], v[16:17], v[40:41]
	v_mov_b32_e32 v30, v89
	s_waitcnt lgkmcnt(0)
	v_mov_b32_e32 v89, v103
	v_mov_b32_e32 v12, v120
	v_pk_mov_b32 v[16:17], v[52:53], v[16:17] op_sel:[1,0]
	v_mov_b32_e32 v31, v102
	v_pk_mul_f32 v[52:53], v[88:89], v[122:123]
	v_pk_add_f32 v[8:9], v[8:9], v[16:17] neg_lo:[0,1] neg_hi:[0,1]
	v_pk_fma_f32 v[56:57], v[30:31], v[12:13], v[52:53] neg_lo:[0,0,1] neg_hi:[0,0,1]
	v_pk_fma_f32 v[12:13], v[30:31], v[12:13], v[52:53]
	s_waitcnt vmcnt(6)
	v_mov_b32_e32 v40, v125
	v_pk_mov_b32 v[12:13], v[56:57], v[12:13] op_sel:[1,0]
	v_mov_b32_e32 v41, v127
	v_pk_add_f32 v[8:9], v[8:9], v[12:13] neg_lo:[0,1] neg_hi:[0,1]
	v_mov_b32_e32 v12, v103
	v_mov_b32_e32 v103, v111
	;; [unrolled: 1-line block ×5, first 2 shown]
	v_pk_mul_f32 v[30:31], v[102:103], v[40:41]
	ds_read_b128 v[106:109], v182 offset:192
	v_pk_fma_f32 v[40:41], v[12:13], v[16:17], v[30:31] neg_lo:[0,0,1] neg_hi:[0,0,1]
	v_pk_fma_f32 v[12:13], v[12:13], v[16:17], v[30:31]
	scratch_load_dwordx2 v[16:17], off, off
	v_pk_mov_b32 v[12:13], v[40:41], v[12:13] op_sel:[1,0]
	s_waitcnt lgkmcnt(0)
	v_mul_f32_e32 v30, v107, v83
	v_pk_add_f32 v[8:9], v[8:9], v[12:13] neg_lo:[0,1] neg_hi:[0,1]
	v_mul_f32_e32 v12, v111, v126
	v_fmac_f32_e32 v12, v110, v127
	ds_read_b128 v[110:113], v183 offset:192
	v_sub_f32_e32 v9, v9, v12
	scratch_load_dwordx2 v[12:13], off, off offset:8
	v_mul_f32_e32 v31, v106, v83
	v_fma_f32 v30, v106, v82, -v30
	v_fmac_f32_e32 v31, v107, v82
	v_sub_f32_e32 v30, v8, v30
	v_sub_f32_e32 v31, v9, v31
	scratch_load_dwordx2 v[8:9], off, off offset:16
	s_waitcnt vmcnt(8)
	v_mul_f32_e32 v40, v101, v33
	v_fma_f32 v40, v100, v32, -v40
	v_mul_f32_e32 v33, v100, v33
	v_fmac_f32_e32 v33, v101, v32
	v_sub_f32_e32 v30, v30, v40
	scratch_load_dwordx2 v[40:41], off, off offset:24
	s_waitcnt vmcnt(8) lgkmcnt(0)
	v_mul_f32_e32 v32, v111, v21
	v_mul_f32_e32 v21, v110, v21
	ds_read_b128 v[114:117], v184 offset:192
	v_sub_f32_e32 v31, v31, v33
	v_fmac_f32_e32 v21, v111, v20
	v_fma_f32 v32, v110, v20, -v32
	v_sub_f32_e32 v31, v31, v21
	scratch_load_dwordx2 v[20:21], off, off offset:32
	v_sub_f32_e32 v30, v30, v32
	s_waitcnt vmcnt(8)
	v_mul_f32_e32 v32, v87, v37
	v_mul_f32_e32 v33, v86, v37
	v_fma_f32 v32, v86, v36, -v32
	v_fmac_f32_e32 v33, v87, v36
	scratch_load_dwordx2 v[52:53], off, off offset:40
	v_sub_f32_e32 v30, v30, v32
	v_sub_f32_e32 v31, v31, v33
	s_waitcnt vmcnt(8) lgkmcnt(0)
	v_mul_f32_e32 v32, v115, v27
	v_mul_f32_e32 v33, v114, v27
	v_fma_f32 v32, v114, v26, -v32
	v_fmac_f32_e32 v33, v115, v26
	scratch_load_dwordx2 v[26:27], off, off offset:48
	scratch_load_dwordx2 v[66:67], off, off offset:56
	v_mov_b32_e32 v36, s5
	ds_read_b128 v[84:87], v36 offset:192
	scratch_load_dwordx4 v[70:73], off, off offset:64
	scratch_load_dwordx2 v[78:79], off, off offset:64
	v_sub_f32_e32 v30, v30, v32
	s_waitcnt vmcnt(11)
	v_mul_f32_e32 v32, v81, v49
	v_fma_f32 v32, v80, v48, -v32
	v_sub_f32_e32 v31, v31, v33
	v_mul_f32_e32 v33, v80, v49
	v_sub_f32_e32 v30, v30, v32
	s_waitcnt vmcnt(10) lgkmcnt(0)
	v_mul_f32_e32 v32, v85, v45
	v_fmac_f32_e32 v33, v81, v48
	v_fma_f32 v32, v84, v44, -v32
	s_or_b32 s5, s7, 24
	v_sub_f32_e32 v31, v31, v33
	v_mul_f32_e32 v33, v84, v45
	v_sub_f32_e32 v37, v30, v32
	v_mul_f32_e32 v30, v95, v5
	s_mul_i32 s11, s5, 0x208
	v_fmac_f32_e32 v33, v85, v44
	v_fma_f32 v45, v94, v4, -v30
	v_mov_b32_e32 v30, s11
	v_sub_f32_e32 v44, v31, v33
	ds_read_b128 v[82:85], v30
	scratch_load_dwordx4 v[30:33], off, off offset:80
	scratch_load_dwordx4 v[100:103], off, off offset:88
	;; [unrolled: 1-line block ×3, first 2 shown]
	v_mul_f32_e32 v48, v94, v5
	v_fmac_f32_e32 v48, v95, v4
	v_sub_f32_e32 v44, v44, v48
	v_sub_f32_e32 v37, v37, v45
	s_waitcnt lgkmcnt(0)
	v_mul_f32_e32 v45, v83, v44
	v_mul_f32_e32 v57, v82, v44
	v_fma_f32 v56, v82, v37, -v45
	v_fmac_f32_e32 v57, v83, v37
	ds_read2_b64 v[80:83], v167 offset0:25 offset1:26
	s_lshl_b32 s5, s5, 9
	v_add_u32_e32 v37, s5, v1
	ds_write_b64 v37, v[56:57]
	s_waitcnt vmcnt(12)
	v_mul_f32_e32 v37, v63, v17
	v_fma_f32 v37, v62, v16, -v37
	v_mul_f32_e32 v17, v62, v17
	ds_read2_b64 v[88:91], v168 offset0:25 offset1:26
	v_fmac_f32_e32 v17, v63, v16
	v_sub_f32_e32 v16, v130, v37
	ds_read2_b64 v[94:97], v169 offset0:25 offset1:26
	s_waitcnt vmcnt(11) lgkmcnt(3)
	v_mul_f32_e32 v37, v81, v13
	v_fma_f32 v37, v80, v12, -v37
	v_mul_f32_e32 v13, v80, v13
	v_fmac_f32_e32 v13, v81, v12
	v_sub_f32_e32 v12, v16, v37
	v_sub_f32_e32 v17, v131, v17
	s_waitcnt vmcnt(10)
	v_mul_f32_e32 v16, v93, v9
	v_fma_f32 v16, v92, v8, -v16
	v_mul_f32_e32 v9, v92, v9
	v_fmac_f32_e32 v9, v93, v8
	v_sub_f32_e32 v8, v12, v16
	v_sub_f32_e32 v13, v17, v13
	s_waitcnt vmcnt(9) lgkmcnt(1)
	v_mul_f32_e32 v12, v89, v41
	v_fma_f32 v12, v88, v40, -v12
	v_sub_f32_e32 v9, v13, v9
	v_mul_f32_e32 v13, v88, v41
	v_sub_f32_e32 v8, v8, v12
	v_fmac_f32_e32 v13, v89, v40
	ds_read2_b64 v[60:63], v170 offset0:25 offset1:26
	v_sub_f32_e32 v9, v9, v13
	s_waitcnt vmcnt(8)
	v_mul_f32_e32 v12, v99, v21
	v_fma_f32 v12, v98, v20, -v12
	v_mul_f32_e32 v13, v98, v21
	v_sub_f32_e32 v8, v8, v12
	v_fmac_f32_e32 v13, v99, v20
	v_sub_f32_e32 v9, v9, v13
	s_waitcnt vmcnt(7) lgkmcnt(1)
	v_mul_f32_e32 v12, v95, v53
	v_fma_f32 v12, v94, v52, -v12
	v_mul_f32_e32 v13, v94, v53
	v_sub_f32_e32 v8, v8, v12
	v_fmac_f32_e32 v13, v95, v52
	v_mov_b32_e32 v40, v23
	s_waitcnt lgkmcnt(0)
	v_mov_b32_e32 v41, v60
	s_waitcnt vmcnt(6)
	v_mul_f32_e32 v12, v75, v27
	v_fma_f32 v12, v74, v26, -v12
	v_pk_add_f32 v[8:9], v[8:9], v[12:13] neg_lo:[0,1] neg_hi:[0,1]
	s_waitcnt vmcnt(5)
	v_mul_f32_e32 v12, v61, v67
	v_fma_f32 v16, v60, v66, -v12
	v_mov_b32_e32 v21, v66
	s_waitcnt vmcnt(3)
	v_mov_b32_e32 v66, v79
	v_pk_mul_f32 v[40:41], v[40:41], v[66:67]
	v_mul_f32_e32 v17, v74, v27
	v_mov_b32_e32 v13, v78
	v_mov_b32_e32 v20, v78
	;; [unrolled: 1-line block ×3, first 2 shown]
	v_pk_fma_f32 v[44:45], v[22:23], v[78:79], v[40:41] neg_lo:[0,0,1] neg_hi:[0,0,1]
	ds_read2_b64 v[78:81], v171 offset0:25 offset1:26
	scratch_load_dwordx4 v[92:95], off, off offset:104
	scratch_load_dwordx2 v[52:53], off, off offset:176
	v_fmac_f32_e32 v17, v75, v26
	v_pk_add_f32 v[8:9], v[8:9], v[16:17] neg_lo:[0,1] neg_hi:[0,1]
	v_mov_b32_e32 v16, v22
	scratch_load_dwordx4 v[122:125], off, off offset:112
	scratch_load_dwordx4 v[146:149], off, off offset:120
	v_mov_b32_e32 v17, v61
	v_mov_b32_e32 v26, v73
	v_pk_fma_f32 v[16:17], v[16:17], v[20:21], v[40:41]
	s_waitcnt lgkmcnt(0)
	v_mov_b32_e32 v40, v79
	v_mov_b32_e32 v41, v22
	;; [unrolled: 1-line block ×5, first 2 shown]
	v_pk_mul_f32 v[22:23], v[40:41], v[26:27]
	v_mov_b32_e32 v45, v17
	v_mov_b32_e32 v16, v72
	s_waitcnt vmcnt(6)
	v_mov_b32_e32 v17, v30
	v_pk_fma_f32 v[12:13], v[20:21], v[12:13], v[22:23]
	v_mov_b32_e32 v20, v79
	v_mov_b32_e32 v21, v28
	;; [unrolled: 1-line block ×3, first 2 shown]
	v_pk_fma_f32 v[26:27], v[78:79], v[16:17], v[22:23] neg_lo:[0,0,1] neg_hi:[0,0,1]
	v_pk_mul_f32 v[16:17], v[20:21], v[16:17]
	v_mov_b32_e32 v20, v29
	v_mov_b32_e32 v21, v78
	v_pk_add_f32 v[8:9], v[8:9], v[44:45] neg_lo:[0,1] neg_hi:[0,1]
	v_mov_b32_e32 v27, v13
	v_pk_fma_f32 v[22:23], v[20:21], v[72:73], v[16:17] op_sel:[0,0,1] op_sel_hi:[1,1,0] neg_lo:[1,0,0] neg_hi:[1,0,0]
	v_pk_fma_f32 v[16:17], v[20:21], v[72:73], v[16:17] op_sel:[0,0,1] op_sel_hi:[1,1,0]
	v_pk_add_f32 v[8:9], v[8:9], v[26:27] neg_lo:[0,1] neg_hi:[0,1]
	v_mov_b32_e32 v23, v17
	v_pk_add_f32 v[8:9], v[8:9], v[22:23] neg_lo:[0,1] neg_hi:[0,1]
	ds_read2_b64 v[20:23], v172 offset0:25 offset1:26
	v_mov_b32_e32 v13, v32
	v_mov_b32_e32 v32, v31
	;; [unrolled: 1-line block ×4, first 2 shown]
	s_waitcnt lgkmcnt(0)
	v_mov_b32_e32 v29, v21
	v_mov_b32_e32 v27, v20
	v_pk_mul_f32 v[28:29], v[28:29], v[32:33]
	scratch_load_dwordx2 v[40:41], off, off offset:144
	v_pk_fma_f32 v[30:31], v[26:27], v[12:13], v[28:29] neg_lo:[0,0,1] neg_hi:[0,0,1]
	v_pk_fma_f32 v[12:13], v[26:27], v[12:13], v[28:29]
	s_waitcnt vmcnt(6)
	v_mov_b32_e32 v17, v102
	v_pk_mov_b32 v[12:13], v[30:31], v[12:13] op_sel:[1,0]
	v_mov_b32_e32 v102, v101
	v_pk_add_f32 v[8:9], v[8:9], v[12:13] neg_lo:[0,1] neg_hi:[0,1]
	scratch_load_dwordx2 v[12:13], off, off offset:152
	v_mov_b32_e32 v28, v21
	scratch_load_dwordx2 v[44:45], off, off offset:160
	v_mov_b32_e32 v21, v69
	v_mov_b32_e32 v16, v100
	;; [unrolled: 1-line block ×3, first 2 shown]
	v_pk_mul_f32 v[20:21], v[20:21], v[102:103]
	ds_read2_b64 v[100:103], v163 offset0:25 offset1:26
	v_pk_fma_f32 v[30:31], v[28:29], v[16:17], v[20:21] neg_lo:[0,0,1] neg_hi:[0,0,1]
	v_pk_fma_f32 v[16:17], v[28:29], v[16:17], v[20:21]
	scratch_load_dwordx2 v[20:21], off, off offset:168
	v_pk_mov_b32 v[16:17], v[30:31], v[16:17] op_sel:[1,0]
	ds_read2_b64 v[30:33], v165 offset0:25 offset1:26
	s_waitcnt vmcnt(8)
	v_mov_b32_e32 v27, v120
	v_mov_b32_e32 v120, v119
	;; [unrolled: 1-line block ×4, first 2 shown]
	s_waitcnt lgkmcnt(0)
	v_mov_b32_e32 v69, v31
	v_mov_b32_e32 v29, v30
	v_pk_mul_f32 v[48:49], v[68:69], v[120:121]
	v_pk_add_f32 v[8:9], v[8:9], v[16:17] neg_lo:[0,1] neg_hi:[0,1]
	v_pk_fma_f32 v[60:61], v[28:29], v[26:27], v[48:49] neg_lo:[0,0,1] neg_hi:[0,0,1]
	v_pk_fma_f32 v[26:27], v[28:29], v[26:27], v[48:49]
	v_mov_b32_e32 v28, v31
	v_mov_b32_e32 v31, v105
	v_pk_mov_b32 v[26:27], v[60:61], v[26:27] op_sel:[1,0]
	v_mov_b32_e32 v29, v104
	v_pk_add_f32 v[8:9], v[8:9], v[26:27] neg_lo:[0,1] neg_hi:[0,1]
	s_add_i32 s10, s4, s10
	v_mov_b32_e32 v142, s10
	s_add_i32 s10, s4, s5
	s_waitcnt vmcnt(7)
	v_mov_b32_e32 v17, v94
	v_mov_b32_e32 v94, v93
	;; [unrolled: 1-line block ×3, first 2 shown]
	v_pk_mul_f32 v[30:31], v[30:31], v[94:95]
	s_or_b32 s5, s7, 25
	s_waitcnt vmcnt(5)
	v_mov_b32_e32 v27, v124
	v_mov_b32_e32 v124, v123
	v_pk_fma_f32 v[48:49], v[28:29], v[16:17], v[30:31] neg_lo:[0,0,1] neg_hi:[0,0,1]
	v_pk_fma_f32 v[16:17], v[28:29], v[16:17], v[30:31]
	v_mov_b32_e32 v28, v105
	v_mov_b32_e32 v105, v101
	;; [unrolled: 1-line block ×3, first 2 shown]
	v_pk_mov_b32 v[16:17], v[48:49], v[16:17] op_sel:[1,0]
	v_mov_b32_e32 v29, v100
	v_pk_mul_f32 v[48:49], v[104:105], v[124:125]
	v_pk_add_f32 v[8:9], v[8:9], v[16:17] neg_lo:[0,1] neg_hi:[0,1]
	v_pk_fma_f32 v[60:61], v[28:29], v[26:27], v[48:49] neg_lo:[0,0,1] neg_hi:[0,0,1]
	v_pk_fma_f32 v[26:27], v[28:29], v[26:27], v[48:49]
	s_waitcnt vmcnt(4)
	v_mov_b32_e32 v30, v147
	v_pk_mov_b32 v[26:27], v[60:61], v[26:27] op_sel:[1,0]
	v_mov_b32_e32 v31, v149
	v_pk_add_f32 v[8:9], v[8:9], v[26:27] neg_lo:[0,1] neg_hi:[0,1]
	v_mov_b32_e32 v26, v101
	v_mov_b32_e32 v101, v109
	;; [unrolled: 1-line block ×5, first 2 shown]
	v_pk_mul_f32 v[28:29], v[100:101], v[30:31]
	scratch_load_dwordx2 v[48:49], off, off offset:8
	v_pk_fma_f32 v[30:31], v[26:27], v[16:17], v[28:29] neg_lo:[0,0,1] neg_hi:[0,0,1]
	v_pk_fma_f32 v[16:17], v[26:27], v[16:17], v[28:29]
	v_mul_f32_e32 v26, v109, v148
	v_pk_mov_b32 v[16:17], v[30:31], v[16:17] op_sel:[1,0]
	ds_read2_b64 v[28:31], v164 offset0:25 offset1:26
	v_pk_add_f32 v[8:9], v[8:9], v[16:17] neg_lo:[0,1] neg_hi:[0,1]
	scratch_load_dwordx2 v[16:17], off, off
	v_fmac_f32_e32 v26, v108, v149
	ds_read2_b64 v[106:109], v166 offset0:25 offset1:26
	v_sub_f32_e32 v9, v9, v26
	s_waitcnt lgkmcnt(1)
	v_mul_f32_e32 v26, v29, v19
	v_fma_f32 v26, v28, v18, -v26
	v_mul_f32_e32 v19, v28, v19
	v_fmac_f32_e32 v19, v29, v18
	v_sub_f32_e32 v18, v8, v26
	s_waitcnt vmcnt(5)
	v_mul_f32_e32 v8, v113, v41
	v_mul_f32_e32 v27, v112, v41
	v_sub_f32_e32 v19, v9, v19
	v_fma_f32 v26, v112, v40, -v8
	scratch_load_dwordx2 v[8:9], off, off offset:16
	v_fmac_f32_e32 v27, v113, v40
	ds_read2_b64 v[112:115], v144 offset0:25 offset1:26
	s_waitcnt vmcnt(5) lgkmcnt(1)
	v_mul_f32_e32 v28, v107, v13
	v_sub_f32_e32 v26, v18, v26
	v_sub_f32_e32 v27, v19, v27
	scratch_load_dwordx2 v[18:19], off, off offset:24
	v_fma_f32 v28, v106, v12, -v28
	v_mul_f32_e32 v13, v106, v13
	v_fmac_f32_e32 v13, v107, v12
	v_sub_f32_e32 v26, v26, v28
	s_waitcnt vmcnt(5)
	v_mul_f32_e32 v28, v117, v45
	v_sub_f32_e32 v27, v27, v13
	scratch_load_dwordx2 v[12:13], off, off offset:32
	v_fma_f32 v28, v116, v44, -v28
	v_mul_f32_e32 v29, v116, v45
	v_fmac_f32_e32 v29, v117, v44
	v_sub_f32_e32 v26, v26, v28
	scratch_load_dwordx2 v[40:41], off, off offset:40
	s_waitcnt vmcnt(6) lgkmcnt(0)
	v_mul_f32_e32 v28, v113, v21
	v_mul_f32_e32 v21, v112, v21
	v_sub_f32_e32 v27, v27, v29
	v_fmac_f32_e32 v21, v113, v20
	v_fma_f32 v28, v112, v20, -v28
	v_sub_f32_e32 v27, v27, v21
	scratch_load_dwordx2 v[20:21], off, off offset:48
	ds_read2_b64 v[104:107], v142 offset0:25 offset1:26
	scratch_load_dwordx2 v[44:45], off, off offset:56
	v_sub_f32_e32 v26, v26, v28
	v_mul_f32_e32 v28, v87, v53
	v_mul_f32_e32 v29, v86, v53
	v_fma_f32 v28, v86, v52, -v28
	v_fmac_f32_e32 v29, v87, v52
	scratch_load_dwordx2 v[52:53], off, off offset:64
	v_sub_f32_e32 v27, v27, v29
	s_waitcnt lgkmcnt(0)
	v_mul_f32_e32 v29, v104, v5
	scratch_load_dwordx4 v[72:75], off, off offset:72
	scratch_load_dwordx2 v[60:61], off, off offset:72
	v_fmac_f32_e32 v29, v105, v4
	s_mul_i32 s11, s5, 0x208
	v_sub_f32_e32 v27, v27, v29
	v_mov_b32_e32 v29, s11
	ds_read2_b64 v[86:89], v29 offset1:1
	ds_read_b128 v[66:69], v174 offset:208
	v_sub_f32_e32 v26, v26, v28
	v_mul_f32_e32 v28, v105, v5
	v_fma_f32 v28, v104, v4, -v28
	v_mul_f32_e32 v29, v84, v57
	v_sub_f32_e32 v26, v26, v28
	v_mul_f32_e32 v28, v85, v57
	v_fmac_f32_e32 v29, v85, v56
	v_fma_f32 v28, v84, v56, -v28
	v_sub_f32_e32 v27, v27, v29
	v_sub_f32_e32 v26, v26, v28
	s_waitcnt lgkmcnt(1)
	v_mul_f32_e32 v28, v87, v27
	v_mul_f32_e32 v131, v86, v27
	v_fma_f32 v130, v86, v26, -v28
	v_fmac_f32_e32 v131, v87, v26
	scratch_load_dwordx4 v[26:29], off, off offset:88
	scratch_load_dwordx4 v[110:113], off, off offset:96
	;; [unrolled: 1-line block ×3, first 2 shown]
	s_lshl_b32 s5, s5, 9
	v_add_u32_e32 v37, s5, v1
	ds_read_b128 v[84:87], v173 offset:208
	ds_write_b64 v37, v[130:131]
	ds_read_b128 v[92:95], v175 offset:208
	ds_read_b128 v[98:101], v176 offset:208
	scratch_load_dwordx4 v[120:123], off, off offset:128
	scratch_load_dwordx4 v[146:149], off, off offset:128
	s_waitcnt vmcnt(14) lgkmcnt(4)
	v_mul_f32_e32 v37, v67, v17
	v_fma_f32 v37, v66, v16, -v37
	v_mul_f32_e32 v17, v66, v17
	v_fmac_f32_e32 v17, v67, v16
	v_sub_f32_e32 v16, v132, v37
	v_mul_f32_e32 v37, v83, v49
	v_fma_f32 v37, v82, v48, -v37
	v_sub_f32_e32 v16, v16, v37
	v_mul_f32_e32 v49, v82, v49
	v_sub_f32_e32 v17, v133, v17
	v_fmac_f32_e32 v49, v83, v48
	v_sub_f32_e32 v17, v17, v49
	s_waitcnt vmcnt(13) lgkmcnt(3)
	v_mul_f32_e32 v37, v85, v9
	v_fma_f32 v37, v84, v8, -v37
	v_mul_f32_e32 v9, v84, v9
	v_fmac_f32_e32 v9, v85, v8
	v_sub_f32_e32 v8, v16, v37
	v_sub_f32_e32 v9, v17, v9
	s_waitcnt vmcnt(12)
	v_mul_f32_e32 v16, v91, v19
	v_fma_f32 v16, v90, v18, -v16
	v_mul_f32_e32 v17, v90, v19
	v_sub_f32_e32 v8, v8, v16
	v_fmac_f32_e32 v17, v91, v18
	v_sub_f32_e32 v9, v9, v17
	ds_read_b128 v[82:85], v177 offset:208
	s_waitcnt vmcnt(11) lgkmcnt(2)
	v_mul_f32_e32 v16, v93, v13
	v_mul_f32_e32 v13, v92, v13
	v_fma_f32 v16, v92, v12, -v16
	v_fmac_f32_e32 v13, v93, v12
	v_sub_f32_e32 v8, v8, v16
	s_waitcnt vmcnt(10)
	v_mul_f32_e32 v12, v97, v41
	v_fma_f32 v12, v96, v40, -v12
	v_sub_f32_e32 v9, v9, v13
	v_mul_f32_e32 v13, v96, v41
	v_sub_f32_e32 v8, v8, v12
	v_fmac_f32_e32 v13, v97, v40
	scratch_load_dwordx4 v[90:93], off, off offset:104
	s_waitcnt vmcnt(10) lgkmcnt(1)
	v_mul_f32_e32 v12, v99, v21
	v_fma_f32 v12, v98, v20, -v12
	v_sub_f32_e32 v9, v9, v13
	v_mul_f32_e32 v13, v98, v21
	v_sub_f32_e32 v8, v8, v12
	s_waitcnt vmcnt(9)
	v_mul_f32_e32 v12, v63, v45
	v_fmac_f32_e32 v13, v99, v20
	v_fma_f32 v12, v62, v44, -v12
	scratch_load_dwordx4 v[96:99], off, off offset:112
	v_pk_add_f32 v[8:9], v[8:9], v[12:13] neg_lo:[0,1] neg_hi:[0,1]
	s_waitcnt vmcnt(9) lgkmcnt(0)
	v_mul_f32_e32 v12, v83, v53
	v_fma_f32 v16, v82, v52, -v12
	v_mov_b32_e32 v19, v52
	v_mov_b32_e32 v40, v81
	;; [unrolled: 1-line block ×3, first 2 shown]
	s_waitcnt vmcnt(7)
	v_mov_b32_e32 v52, v61
	v_mul_f32_e32 v17, v62, v45
	v_pk_mul_f32 v[40:41], v[40:41], v[52:53]
	v_fmac_f32_e32 v17, v63, v44
	v_mov_b32_e32 v13, v60
	v_mov_b32_e32 v18, v60
	;; [unrolled: 1-line block ×3, first 2 shown]
	v_pk_fma_f32 v[44:45], v[80:81], v[60:61], v[40:41] neg_lo:[0,0,1] neg_hi:[0,0,1]
	ds_read_b128 v[60:63], v178 offset:208
	v_pk_add_f32 v[8:9], v[8:9], v[16:17] neg_lo:[0,1] neg_hi:[0,1]
	v_mov_b32_e32 v16, v80
	v_mov_b32_e32 v17, v83
	;; [unrolled: 1-line block ×3, first 2 shown]
	v_pk_fma_f32 v[16:17], v[16:17], v[18:19], v[40:41]
	s_waitcnt lgkmcnt(0)
	v_mov_b32_e32 v40, v61
	v_mov_b32_e32 v41, v80
	;; [unrolled: 1-line block ×5, first 2 shown]
	v_pk_mul_f32 v[20:21], v[40:41], v[20:21]
	v_mov_b32_e32 v45, v17
	v_mov_b32_e32 v16, v74
	s_waitcnt vmcnt(6)
	v_mov_b32_e32 v17, v26
	v_pk_fma_f32 v[12:13], v[18:19], v[12:13], v[20:21]
	v_mov_b32_e32 v18, v61
	v_mov_b32_e32 v19, v22
	;; [unrolled: 1-line block ×3, first 2 shown]
	v_pk_fma_f32 v[40:41], v[60:61], v[16:17], v[20:21] neg_lo:[0,0,1] neg_hi:[0,0,1]
	v_pk_mul_f32 v[16:17], v[18:19], v[16:17]
	v_mov_b32_e32 v18, v23
	v_mov_b32_e32 v19, v60
	v_pk_add_f32 v[8:9], v[8:9], v[44:45] neg_lo:[0,1] neg_hi:[0,1]
	v_mov_b32_e32 v41, v13
	v_pk_fma_f32 v[20:21], v[18:19], v[74:75], v[16:17] op_sel:[0,0,1] op_sel_hi:[1,1,0] neg_lo:[1,0,0] neg_hi:[1,0,0]
	v_pk_fma_f32 v[16:17], v[18:19], v[74:75], v[16:17] op_sel:[0,0,1] op_sel_hi:[1,1,0]
	v_pk_add_f32 v[8:9], v[8:9], v[40:41] neg_lo:[0,1] neg_hi:[0,1]
	v_mov_b32_e32 v21, v17
	v_pk_add_f32 v[8:9], v[8:9], v[20:21] neg_lo:[0,1] neg_hi:[0,1]
	ds_read_b128 v[18:21], v179 offset:208
	scratch_load_dwordx2 v[40:41], off, off offset:152
	v_mov_b32_e32 v12, v26
	v_mov_b32_e32 v13, v28
	;; [unrolled: 1-line block ×4, first 2 shown]
	s_waitcnt lgkmcnt(0)
	v_mov_b32_e32 v23, v19
	v_mov_b32_e32 v27, v18
	v_pk_mul_f32 v[22:23], v[22:23], v[28:29]
	s_waitcnt vmcnt(6)
	v_mov_b32_e32 v17, v112
	v_mov_b32_e32 v112, v111
	v_pk_fma_f32 v[28:29], v[26:27], v[12:13], v[22:23] neg_lo:[0,0,1] neg_hi:[0,0,1]
	v_pk_fma_f32 v[12:13], v[26:27], v[12:13], v[22:23]
	scratch_load_dwordx2 v[22:23], off, off offset:160
	v_mov_b32_e32 v26, v19
	v_mov_b32_e32 v19, v33
	;; [unrolled: 1-line block ×4, first 2 shown]
	v_pk_mul_f32 v[18:19], v[18:19], v[112:113]
	v_pk_mov_b32 v[12:13], v[28:29], v[12:13] op_sel:[1,0]
	scratch_load_dwordx2 v[44:45], off, off offset:168
	v_pk_fma_f32 v[28:29], v[26:27], v[16:17], v[18:19] neg_lo:[0,0,1] neg_hi:[0,0,1]
	v_pk_fma_f32 v[16:17], v[26:27], v[16:17], v[18:19]
	v_pk_add_f32 v[8:9], v[8:9], v[12:13] neg_lo:[0,1] neg_hi:[0,1]
	v_pk_mov_b32 v[16:17], v[28:29], v[16:17] op_sel:[1,0]
	ds_read_b128 v[80:83], v180 offset:208
	v_pk_add_f32 v[8:9], v[8:9], v[16:17] neg_lo:[0,1] neg_hi:[0,1]
	scratch_load_dwordx2 v[16:17], off, off offset:176
	ds_read_b128 v[110:113], v182 offset:208
	s_waitcnt vmcnt(5)
	v_mov_b32_e32 v13, v92
	v_mov_b32_e32 v92, v91
	;; [unrolled: 1-line block ×3, first 2 shown]
	s_waitcnt lgkmcnt(1)
	v_mov_b32_e32 v33, v81
	v_mov_b32_e32 v12, v90
	;; [unrolled: 1-line block ×3, first 2 shown]
	v_pk_mul_f32 v[28:29], v[32:33], v[92:93]
	s_waitcnt vmcnt(4)
	v_mov_b32_e32 v19, v98
	v_mov_b32_e32 v98, v97
	v_pk_fma_f32 v[32:33], v[26:27], v[12:13], v[28:29] neg_lo:[0,0,1] neg_hi:[0,0,1]
	v_pk_fma_f32 v[12:13], v[26:27], v[12:13], v[28:29]
	v_mov_b32_e32 v26, v81
	v_mov_b32_e32 v81, v103
	;; [unrolled: 1-line block ×3, first 2 shown]
	v_pk_mov_b32 v[12:13], v[32:33], v[12:13] op_sel:[1,0]
	v_mov_b32_e32 v27, v102
	v_pk_mul_f32 v[28:29], v[80:81], v[98:99]
	v_pk_add_f32 v[8:9], v[8:9], v[12:13] neg_lo:[0,1] neg_hi:[0,1]
	v_mov_b32_e32 v13, v118
	v_mov_b32_e32 v118, v117
	v_pk_fma_f32 v[32:33], v[26:27], v[18:19], v[28:29] neg_lo:[0,0,1] neg_hi:[0,0,1]
	v_pk_fma_f32 v[18:19], v[26:27], v[18:19], v[28:29]
	v_mov_b32_e32 v26, v103
	s_waitcnt lgkmcnt(0)
	v_mov_b32_e32 v103, v111
	v_mov_b32_e32 v12, v116
	v_pk_mov_b32 v[18:19], v[32:33], v[18:19] op_sel:[1,0]
	v_mov_b32_e32 v27, v110
	v_pk_mul_f32 v[32:33], v[102:103], v[118:119]
	v_pk_add_f32 v[8:9], v[8:9], v[18:19] neg_lo:[0,1] neg_hi:[0,1]
	v_pk_fma_f32 v[48:49], v[26:27], v[12:13], v[32:33] neg_lo:[0,0,1] neg_hi:[0,0,1]
	v_pk_fma_f32 v[12:13], v[26:27], v[12:13], v[32:33]
	v_mov_b32_e32 v28, v121
	v_pk_mov_b32 v[12:13], v[48:49], v[12:13] op_sel:[1,0]
	v_mov_b32_e32 v29, v123
	v_pk_add_f32 v[8:9], v[8:9], v[12:13] neg_lo:[0,1] neg_hi:[0,1]
	v_mov_b32_e32 v12, v111
	v_mov_b32_e32 v111, v31
	;; [unrolled: 1-line block ×5, first 2 shown]
	v_pk_mul_f32 v[26:27], v[110:111], v[28:29]
	ds_read_b128 v[118:121], v36 offset:208
	ds_read2_b64 v[102:105], v170 offset0:27 offset1:28
	v_pk_fma_f32 v[28:29], v[12:13], v[18:19], v[26:27] neg_lo:[0,0,1] neg_hi:[0,0,1]
	v_pk_fma_f32 v[12:13], v[12:13], v[18:19], v[26:27]
	scratch_load_dwordx2 v[18:19], off, off
	v_pk_mov_b32 v[12:13], v[28:29], v[12:13] op_sel:[1,0]
	ds_read_b128 v[26:29], v183 offset:208
	v_pk_add_f32 v[8:9], v[8:9], v[12:13] neg_lo:[0,1] neg_hi:[0,1]
	v_mul_f32_e32 v12, v31, v122
	v_fmac_f32_e32 v12, v30, v123
	v_sub_f32_e32 v9, v9, v12
	s_waitcnt lgkmcnt(0)
	v_mul_f32_e32 v12, v27, v77
	v_fma_f32 v30, v26, v76, -v12
	v_mul_f32_e32 v26, v26, v77
	v_fmac_f32_e32 v26, v27, v76
	v_sub_f32_e32 v27, v8, v30
	ds_read_b128 v[30:33], v184 offset:208
	scratch_load_dwordx2 v[12:13], off, off offset:8
	s_waitcnt vmcnt(5)
	v_mul_f32_e32 v8, v109, v41
	v_sub_f32_e32 v26, v9, v26
	v_fma_f32 v37, v108, v40, -v8
	scratch_load_dwordx2 v[8:9], off, off offset:16
	v_mul_f32_e32 v41, v108, v41
	v_fmac_f32_e32 v41, v109, v40
	v_sub_f32_e32 v37, v27, v37
	v_sub_f32_e32 v40, v26, v41
	s_waitcnt vmcnt(5) lgkmcnt(0)
	v_mul_f32_e32 v41, v31, v23
	scratch_load_dwordx2 v[26:27], off, off offset:24
	v_mul_f32_e32 v23, v30, v23
	v_fma_f32 v41, v30, v22, -v41
	v_fmac_f32_e32 v23, v31, v22
	v_sub_f32_e32 v30, v37, v41
	v_sub_f32_e32 v31, v40, v23
	scratch_load_dwordx2 v[22:23], off, off offset:32
	s_waitcnt vmcnt(6)
	v_mul_f32_e32 v37, v115, v45
	v_mul_f32_e32 v40, v114, v45
	v_fma_f32 v37, v114, v44, -v37
	v_fmac_f32_e32 v40, v115, v44
	v_sub_f32_e32 v37, v30, v37
	v_sub_f32_e32 v40, v31, v40
	scratch_load_dwordx2 v[30:31], off, off offset:40
	s_waitcnt vmcnt(6)
	v_mul_f32_e32 v41, v119, v17
	v_mul_f32_e32 v17, v118, v17
	v_fmac_f32_e32 v17, v119, v16
	v_fma_f32 v41, v118, v16, -v41
	v_sub_f32_e32 v45, v40, v17
	scratch_load_dwordx2 v[16:17], off, off offset:48
	v_sub_f32_e32 v44, v37, v41
	scratch_load_dwordx2 v[40:41], off, off offset:56
	v_mul_f32_e32 v37, v107, v5
	v_fma_f32 v48, v106, v4, -v37
	v_mov_b32_e32 v37, s10
	ds_read_b128 v[122:125], v37 offset:208
	v_mul_f32_e32 v49, v106, v5
	v_fmac_f32_e32 v49, v107, v4
	v_sub_f32_e32 v48, v44, v48
	v_sub_f32_e32 v49, v45, v49
	s_waitcnt lgkmcnt(0)
	v_mul_f32_e32 v44, v123, v57
	v_fma_f32 v52, v122, v56, -v44
	v_mul_f32_e32 v53, v122, v57
	scratch_load_dwordx2 v[44:45], off, off offset:64
	v_fmac_f32_e32 v53, v123, v56
	v_sub_f32_e32 v60, v48, v52
	v_sub_f32_e32 v61, v49, v53
	v_mul_f32_e32 v52, v89, v131
	scratch_load_dwordx2 v[48:49], off, off offset:72
	v_fma_f32 v66, v88, v130, -v52
	scratch_load_dwordx2 v[52:53], off, off offset:80
	scratch_load_dwordx4 v[78:81], off, off offset:80
	scratch_load_dwordx4 v[106:109], off, off offset:96
	s_add_i32 s10, s4, s5
	s_or_b32 s5, s7, 26
	s_mul_i32 s11, s5, 0x208
	v_mov_b32_e32 v67, s11
	ds_read_b128 v[116:119], v67
	v_mul_f32_e32 v67, v88, v131
	v_fmac_f32_e32 v67, v89, v130
	v_sub_f32_e32 v61, v61, v67
	ds_read2_b64 v[74:77], v167 offset0:27 offset1:28
	v_sub_f32_e32 v60, v60, v66
	s_waitcnt lgkmcnt(1)
	v_mul_f32_e32 v66, v117, v61
	v_mul_f32_e32 v133, v116, v61
	s_lshl_b32 s5, s5, 9
	v_fma_f32 v132, v116, v60, -v66
	v_fmac_f32_e32 v133, v117, v60
	v_add_u32_e32 v60, s5, v1
	ds_write_b64 v60, v[132:133]
	s_waitcnt vmcnt(12)
	v_mul_f32_e32 v60, v69, v19
	v_fma_f32 v60, v68, v18, -v60
	v_mul_f32_e32 v19, v68, v19
	ds_read2_b64 v[90:93], v168 offset0:27 offset1:28
	v_fmac_f32_e32 v19, v69, v18
	v_sub_f32_e32 v18, v134, v60
	v_sub_f32_e32 v19, v135, v19
	ds_read2_b64 v[96:99], v169 offset0:27 offset1:28
	scratch_load_dwordx4 v[114:117], off, off offset:112
	scratch_load_dwordx4 v[150:153], off, off offset:136
	s_waitcnt vmcnt(13) lgkmcnt(3)
	v_mul_f32_e32 v60, v75, v13
	v_fma_f32 v60, v74, v12, -v60
	v_mul_f32_e32 v13, v74, v13
	v_fmac_f32_e32 v13, v75, v12
	v_sub_f32_e32 v12, v18, v60
	s_waitcnt vmcnt(12)
	v_mul_f32_e32 v18, v87, v9
	v_mul_f32_e32 v9, v86, v9
	v_sub_f32_e32 v13, v19, v13
	v_fma_f32 v18, v86, v8, -v18
	v_fmac_f32_e32 v9, v87, v8
	v_sub_f32_e32 v8, v12, v18
	v_sub_f32_e32 v9, v13, v9
	s_waitcnt vmcnt(11) lgkmcnt(1)
	v_mul_f32_e32 v12, v91, v27
	v_mul_f32_e32 v13, v90, v27
	v_fma_f32 v12, v90, v26, -v12
	v_fmac_f32_e32 v13, v91, v26
	v_sub_f32_e32 v8, v8, v12
	v_sub_f32_e32 v9, v9, v13
	s_waitcnt vmcnt(10)
	v_mul_f32_e32 v12, v95, v23
	v_mul_f32_e32 v13, v94, v23
	v_fma_f32 v12, v94, v22, -v12
	v_fmac_f32_e32 v13, v95, v22
	v_sub_f32_e32 v8, v8, v12
	v_sub_f32_e32 v9, v9, v13
	s_waitcnt vmcnt(9) lgkmcnt(0)
	v_mul_f32_e32 v12, v97, v31
	v_mul_f32_e32 v13, v96, v31
	scratch_load_dwordx4 v[86:89], off, off offset:104
	v_fma_f32 v12, v96, v30, -v12
	v_fmac_f32_e32 v13, v97, v30
	v_sub_f32_e32 v8, v8, v12
	v_sub_f32_e32 v9, v9, v13
	s_waitcnt vmcnt(9)
	v_mul_f32_e32 v12, v101, v17
	v_mul_f32_e32 v13, v100, v17
	v_fma_f32 v12, v100, v16, -v12
	v_fmac_f32_e32 v13, v101, v16
	v_sub_f32_e32 v8, v8, v12
	v_sub_f32_e32 v9, v9, v13
	s_waitcnt vmcnt(8)
	v_mul_f32_e32 v12, v103, v41
	v_mul_f32_e32 v13, v102, v41
	v_fma_f32 v12, v102, v40, -v12
	v_fmac_f32_e32 v13, v103, v40
	scratch_load_dwordx4 v[100:103], off, off offset:120
	ds_read2_b64 v[94:97], v171 offset0:27 offset1:28
	v_sub_f32_e32 v8, v8, v12
	s_waitcnt vmcnt(8)
	v_mul_f32_e32 v12, v85, v45
	ds_read2_b64 v[66:69], v172 offset0:27 offset1:28
	v_fma_f32 v12, v84, v44, -v12
	v_mul_f32_e32 v17, v84, v45
	v_pk_add_f32 v[8:9], v[8:9], v[12:13] neg_lo:[0,1] neg_hi:[0,1]
	s_waitcnt vmcnt(7) lgkmcnt(1)
	v_mul_f32_e32 v12, v95, v49
	v_fmac_f32_e32 v17, v85, v44
	v_fma_f32 v16, v94, v48, -v12
	v_mov_b32_e32 v19, v48
	v_mov_b32_e32 v26, v63
	;; [unrolled: 1-line block ×3, first 2 shown]
	s_waitcnt vmcnt(6)
	v_mov_b32_e32 v48, v53
	v_pk_add_f32 v[8:9], v[8:9], v[16:17] neg_lo:[0,1] neg_hi:[0,1]
	v_mov_b32_e32 v16, v62
	v_mov_b32_e32 v17, v95
	;; [unrolled: 1-line block ×3, first 2 shown]
	v_pk_mul_f32 v[26:27], v[26:27], v[48:49]
	s_waitcnt vmcnt(5)
	v_mov_b32_e32 v22, v81
	v_mov_b32_e32 v23, v53
	v_pk_fma_f32 v[30:31], v[62:63], v[52:53], v[26:27] neg_lo:[0,0,1] neg_hi:[0,0,1]
	v_pk_fma_f32 v[16:17], v[16:17], v[18:19], v[26:27]
	s_waitcnt lgkmcnt(0)
	v_mov_b32_e32 v26, v67
	v_mov_b32_e32 v27, v62
	v_mov_b32_e32 v12, v80
	v_mov_b32_e32 v13, v52
	v_mov_b32_e32 v31, v17
	v_mov_b32_e32 v16, v80
	s_waitcnt vmcnt(4)
	v_mov_b32_e32 v17, v106
	v_mov_b32_e32 v18, v66
	;; [unrolled: 1-line block ×3, first 2 shown]
	v_pk_mul_f32 v[22:23], v[26:27], v[22:23]
	v_pk_add_f32 v[8:9], v[8:9], v[30:31] neg_lo:[0,1] neg_hi:[0,1]
	v_pk_fma_f32 v[26:27], v[66:67], v[16:17], v[22:23] neg_lo:[0,0,1] neg_hi:[0,0,1]
	v_pk_fma_f32 v[12:13], v[18:19], v[12:13], v[22:23]
	v_mov_b32_e32 v18, v67
	v_mov_b32_e32 v27, v13
	v_pk_add_f32 v[8:9], v[8:9], v[26:27] neg_lo:[0,1] neg_hi:[0,1]
	scratch_load_dwordx2 v[26:27], off, off offset:160
	v_mov_b32_e32 v19, v20
	v_mov_b32_e32 v80, v107
	v_pk_mul_f32 v[16:17], v[18:19], v[16:17]
	v_mov_b32_e32 v18, v21
	v_mov_b32_e32 v19, v66
	v_pk_fma_f32 v[22:23], v[18:19], v[80:81], v[16:17] op_sel:[0,0,1] op_sel_hi:[1,1,0] neg_lo:[1,0,0] neg_hi:[1,0,0]
	v_pk_fma_f32 v[16:17], v[18:19], v[80:81], v[16:17] op_sel:[0,0,1] op_sel_hi:[1,1,0]
	v_mov_b32_e32 v13, v108
	v_mov_b32_e32 v23, v17
	ds_read2_b64 v[16:19], v165 offset0:27 offset1:28
	v_mov_b32_e32 v108, v107
	v_mov_b32_e32 v30, v21
	scratch_load_dwordx2 v[44:45], off, off offset:168
	v_mov_b32_e32 v12, v106
	s_waitcnt lgkmcnt(0)
	v_mov_b32_e32 v21, v17
	v_pk_mul_f32 v[20:21], v[20:21], v[108:109]
	ds_read2_b64 v[108:111], v163 offset0:27 offset1:28
	v_mov_b32_e32 v31, v16
	v_pk_add_f32 v[8:9], v[8:9], v[22:23] neg_lo:[0,1] neg_hi:[0,1]
	v_pk_fma_f32 v[40:41], v[30:31], v[12:13], v[20:21] neg_lo:[0,0,1] neg_hi:[0,0,1]
	v_pk_fma_f32 v[12:13], v[30:31], v[12:13], v[20:21]
	v_mov_b32_e32 v20, v17
	v_mov_b32_e32 v17, v83
	v_pk_mov_b32 v[12:13], v[40:41], v[12:13] op_sel:[1,0]
	s_waitcnt vmcnt(3)
	v_mov_b32_e32 v23, v88
	v_mov_b32_e32 v88, v87
	;; [unrolled: 1-line block ×4, first 2 shown]
	v_pk_mul_f32 v[16:17], v[16:17], v[88:89]
	v_pk_add_f32 v[8:9], v[8:9], v[12:13] neg_lo:[0,1] neg_hi:[0,1]
	v_mov_b32_e32 v13, v116
	v_mov_b32_e32 v116, v115
	v_pk_fma_f32 v[40:41], v[20:21], v[22:23], v[16:17] neg_lo:[0,0,1] neg_hi:[0,0,1]
	v_pk_fma_f32 v[16:17], v[20:21], v[22:23], v[16:17]
	v_mov_b32_e32 v20, v83
	s_waitcnt lgkmcnt(0)
	v_mov_b32_e32 v83, v109
	v_mov_b32_e32 v12, v114
	v_pk_mov_b32 v[16:17], v[40:41], v[16:17] op_sel:[1,0]
	v_mov_b32_e32 v21, v108
	v_pk_mul_f32 v[22:23], v[82:83], v[116:117]
	v_pk_add_f32 v[8:9], v[8:9], v[16:17] neg_lo:[0,1] neg_hi:[0,1]
	s_waitcnt vmcnt(2)
	v_mov_b32_e32 v17, v102
	v_mov_b32_e32 v102, v101
	v_pk_fma_f32 v[40:41], v[20:21], v[12:13], v[22:23] neg_lo:[0,0,1] neg_hi:[0,0,1]
	v_pk_fma_f32 v[12:13], v[20:21], v[12:13], v[22:23]
	v_mov_b32_e32 v20, v109
	v_mov_b32_e32 v109, v113
	v_pk_mul_f32 v[22:23], v[108:109], v[102:103]
	ds_read2_b64 v[106:109], v164 offset0:27 offset1:28
	scratch_load_dwordx2 v[30:31], off, off offset:176
	v_mov_b32_e32 v16, v100
	v_pk_mov_b32 v[12:13], v[40:41], v[12:13] op_sel:[1,0]
	v_mov_b32_e32 v21, v112
	v_pk_add_f32 v[8:9], v[8:9], v[12:13] neg_lo:[0,1] neg_hi:[0,1]
	v_mov_b32_e32 v13, v148
	v_mov_b32_e32 v148, v147
	v_pk_fma_f32 v[40:41], v[20:21], v[16:17], v[22:23] neg_lo:[0,0,1] neg_hi:[0,0,1]
	v_pk_fma_f32 v[16:17], v[20:21], v[16:17], v[22:23]
	v_mov_b32_e32 v20, v113
	s_waitcnt lgkmcnt(0)
	v_mov_b32_e32 v113, v107
	v_mov_b32_e32 v12, v146
	v_pk_mov_b32 v[16:17], v[40:41], v[16:17] op_sel:[1,0]
	v_mov_b32_e32 v21, v106
	v_pk_mul_f32 v[40:41], v[112:113], v[148:149]
	v_pk_add_f32 v[8:9], v[8:9], v[16:17] neg_lo:[0,1] neg_hi:[0,1]
	v_pk_fma_f32 v[48:49], v[20:21], v[12:13], v[40:41] neg_lo:[0,0,1] neg_hi:[0,0,1]
	v_pk_fma_f32 v[12:13], v[20:21], v[12:13], v[40:41]
	v_mov_b32_e32 v22, v151
	v_pk_mov_b32 v[12:13], v[48:49], v[12:13] op_sel:[1,0]
	v_mov_b32_e32 v23, v153
	v_pk_add_f32 v[8:9], v[8:9], v[12:13] neg_lo:[0,1] neg_hi:[0,1]
	v_mov_b32_e32 v12, v107
	v_mov_b32_e32 v107, v29
	;; [unrolled: 1-line block ×5, first 2 shown]
	v_pk_mul_f32 v[20:21], v[106:107], v[22:23]
	scratch_load_dwordx2 v[40:41], off, off offset:8
	v_pk_fma_f32 v[22:23], v[12:13], v[16:17], v[20:21] neg_lo:[0,0,1] neg_hi:[0,0,1]
	v_pk_fma_f32 v[12:13], v[12:13], v[16:17], v[20:21]
	v_mul_f32_e32 v16, v29, v152
	v_pk_mov_b32 v[12:13], v[22:23], v[12:13] op_sel:[1,0]
	ds_read2_b64 v[20:23], v166 offset0:27 offset1:28
	v_pk_add_f32 v[8:9], v[8:9], v[12:13] neg_lo:[0,1] neg_hi:[0,1]
	scratch_load_dwordx2 v[12:13], off, off
	v_fmac_f32_e32 v16, v28, v153
	v_sub_f32_e32 v9, v9, v16
	s_waitcnt lgkmcnt(0)
	v_mul_f32_e32 v16, v21, v15
	v_fma_f32 v16, v20, v14, -v16
	v_mul_f32_e32 v15, v20, v15
	v_fmac_f32_e32 v15, v21, v14
	v_sub_f32_e32 v14, v8, v16
	s_waitcnt vmcnt(4)
	v_mul_f32_e32 v8, v33, v27
	v_sub_f32_e32 v15, v9, v15
	v_fma_f32 v16, v32, v26, -v8
	scratch_load_dwordx2 v[8:9], off, off offset:16
	scratch_load_dwordx2 v[20:21], off, off offset:24
	v_mul_f32_e32 v17, v32, v27
	v_fmac_f32_e32 v17, v33, v26
	scratch_load_dwordx2 v[26:27], off, off offset:32
	ds_read2_b64 v[84:87], v144 offset0:27 offset1:28
	v_sub_f32_e32 v14, v14, v16
	v_sub_f32_e32 v15, v15, v17
	scratch_load_dwordx2 v[48:49], off, off offset:48
	scratch_load_dwordx2 v[52:53], off, off offset:56
	s_waitcnt vmcnt(8) lgkmcnt(0)
	v_mul_f32_e32 v16, v85, v45
	v_mul_f32_e32 v17, v84, v45
	v_fma_f32 v16, v84, v44, -v16
	v_fmac_f32_e32 v17, v85, v44
	scratch_load_dwordx2 v[44:45], off, off offset:40
	ds_read2_b64 v[114:117], v142 offset0:27 offset1:28
	scratch_load_dwordx2 v[66:67], off, off offset:64
	v_sub_f32_e32 v14, v14, v16
	v_sub_f32_e32 v15, v15, v17
	v_mov_b32_e32 v143, s10
	s_or_b32 s10, s7, 27
	s_mul_i32 s11, s10, 0x208
	v_mov_b32_e32 v28, s11
	scratch_load_dwordx2 v[80:81], off, off offset:72
	scratch_load_dwordx2 v[106:107], off, off offset:80
	s_lshl_b32 s10, s10, 9
	s_add_i32 s5, s4, s5
	s_waitcnt vmcnt(11)
	v_mul_f32_e32 v16, v121, v31
	v_mul_f32_e32 v17, v120, v31
	v_fma_f32 v16, v120, v30, -v16
	v_fmac_f32_e32 v17, v121, v30
	ds_read2_b64 v[120:123], v143 offset0:27 offset1:28
	v_sub_f32_e32 v15, v15, v17
	s_waitcnt lgkmcnt(1)
	v_mul_f32_e32 v17, v114, v5
	v_sub_f32_e32 v14, v14, v16
	v_mul_f32_e32 v16, v115, v5
	v_fmac_f32_e32 v17, v115, v4
	v_fma_f32 v16, v114, v4, -v16
	v_sub_f32_e32 v15, v15, v17
	v_mul_f32_e32 v17, v124, v57
	v_sub_f32_e32 v14, v14, v16
	v_mul_f32_e32 v16, v125, v57
	v_fmac_f32_e32 v17, v125, v56
	v_fma_f32 v16, v124, v56, -v16
	v_sub_f32_e32 v15, v15, v17
	s_waitcnt lgkmcnt(0)
	v_mul_f32_e32 v17, v120, v131
	ds_read2_b64 v[124:127], v28 offset1:1
	v_sub_f32_e32 v14, v14, v16
	v_mul_f32_e32 v16, v121, v131
	v_fmac_f32_e32 v17, v121, v130
	v_fma_f32 v16, v120, v130, -v16
	v_sub_f32_e32 v15, v15, v17
	v_mul_f32_e32 v17, v118, v133
	scratch_load_dwordx4 v[60:63], off, off offset:88
	scratch_load_dwordx2 v[146:147], off, off offset:88
	ds_read_b128 v[30:33], v174 offset:224
	ds_read_b128 v[88:91], v175 offset:224
	v_sub_f32_e32 v14, v14, v16
	v_mul_f32_e32 v16, v119, v133
	v_fmac_f32_e32 v17, v119, v132
	v_fma_f32 v16, v118, v132, -v16
	v_sub_f32_e32 v15, v15, v17
	v_sub_f32_e32 v14, v14, v16
	s_waitcnt lgkmcnt(2)
	v_mul_f32_e32 v16, v125, v15
	v_mul_f32_e32 v135, v124, v15
	v_fma_f32 v134, v124, v14, -v16
	v_fmac_f32_e32 v135, v125, v14
	v_add_u32_e32 v14, s10, v1
	ds_write_b64 v14, v[134:135]
	s_waitcnt vmcnt(11) lgkmcnt(2)
	v_mul_f32_e32 v14, v31, v13
	v_mul_f32_e32 v13, v30, v13
	v_fma_f32 v14, v30, v12, -v14
	v_fmac_f32_e32 v13, v31, v12
	ds_read_b128 v[28:31], v173 offset:224
	v_sub_f32_e32 v12, v140, v14
	v_mul_f32_e32 v14, v77, v41
	v_fma_f32 v74, v76, v40, -v14
	v_mul_f32_e32 v41, v76, v41
	scratch_load_dwordx4 v[14:17], off, off offset:104
	v_sub_f32_e32 v13, v141, v13
	v_fmac_f32_e32 v41, v77, v40
	s_waitcnt vmcnt(11) lgkmcnt(0)
	v_mul_f32_e32 v40, v29, v9
	v_mul_f32_e32 v9, v28, v9
	v_sub_f32_e32 v12, v12, v74
	v_sub_f32_e32 v13, v13, v41
	v_fma_f32 v40, v28, v8, -v40
	v_fmac_f32_e32 v9, v29, v8
	v_sub_f32_e32 v8, v12, v40
	v_sub_f32_e32 v9, v13, v9
	s_waitcnt vmcnt(10)
	v_mul_f32_e32 v12, v93, v21
	v_mul_f32_e32 v13, v92, v21
	v_fma_f32 v12, v92, v20, -v12
	v_fmac_f32_e32 v13, v93, v20
	v_sub_f32_e32 v8, v8, v12
	v_sub_f32_e32 v9, v9, v13
	s_waitcnt vmcnt(9)
	v_mul_f32_e32 v12, v89, v27
	v_mul_f32_e32 v13, v88, v27
	v_fma_f32 v12, v88, v26, -v12
	v_fmac_f32_e32 v13, v89, v26
	scratch_load_dwordx4 v[26:29], off, off offset:112
	ds_read_b128 v[92:95], v176 offset:224
	v_sub_f32_e32 v8, v8, v12
	v_sub_f32_e32 v9, v9, v13
	s_waitcnt vmcnt(7)
	v_mul_f32_e32 v12, v99, v45
	v_mul_f32_e32 v13, v98, v45
	v_fma_f32 v12, v98, v44, -v12
	v_fmac_f32_e32 v13, v99, v44
	ds_read_b128 v[100:103], v177 offset:224
	ds_read_b128 v[82:85], v178 offset:224
	v_sub_f32_e32 v8, v8, v12
	v_sub_f32_e32 v9, v9, v13
	s_waitcnt lgkmcnt(2)
	v_mul_f32_e32 v12, v93, v49
	v_mul_f32_e32 v13, v92, v49
	v_fma_f32 v12, v92, v48, -v12
	v_fmac_f32_e32 v13, v93, v48
	v_sub_f32_e32 v8, v8, v12
	v_sub_f32_e32 v9, v9, v13
	v_mul_f32_e32 v12, v105, v53
	v_mul_f32_e32 v13, v104, v53
	scratch_load_dwordx4 v[74:77], off, off offset:120
	v_fma_f32 v12, v104, v52, -v12
	v_fmac_f32_e32 v13, v105, v52
	v_sub_f32_e32 v8, v8, v12
	v_sub_f32_e32 v9, v9, v13
	s_waitcnt vmcnt(7) lgkmcnt(1)
	v_mul_f32_e32 v12, v101, v67
	v_mul_f32_e32 v13, v100, v67
	v_fma_f32 v12, v100, v66, -v12
	v_fmac_f32_e32 v13, v101, v66
	scratch_load_dwordx4 v[98:101], off, off offset:128
	scratch_load_dwordx4 v[112:115], off, off offset:136
	;; [unrolled: 1-line block ×3, first 2 shown]
	v_sub_f32_e32 v8, v8, v12
	s_waitcnt vmcnt(9)
	v_mul_f32_e32 v12, v97, v81
	v_fma_f32 v12, v96, v80, -v12
	v_mul_f32_e32 v21, v96, v81
	v_pk_add_f32 v[8:9], v[8:9], v[12:13] neg_lo:[0,1] neg_hi:[0,1]
	s_waitcnt vmcnt(8) lgkmcnt(0)
	v_mul_f32_e32 v12, v83, v107
	v_fmac_f32_e32 v21, v97, v80
	v_fma_f32 v20, v82, v106, -v12
	v_pk_add_f32 v[8:9], v[8:9], v[20:21] neg_lo:[0,1] neg_hi:[0,1]
	v_mov_b32_e32 v21, v83
	v_mov_b32_e32 v49, v82
	ds_read_b128 v[80:83], v179 offset:224
	v_mov_b32_e32 v41, v106
	v_mov_b32_e32 v48, v69
	s_waitcnt vmcnt(6)
	v_mov_b32_e32 v106, v147
	v_mov_b32_e32 v20, v68
	;; [unrolled: 1-line block ×3, first 2 shown]
	v_pk_mul_f32 v[48:49], v[48:49], v[106:107]
	v_mov_b32_e32 v44, v63
	v_mov_b32_e32 v45, v147
	v_pk_fma_f32 v[52:53], v[68:69], v[146:147], v[48:49] neg_lo:[0,0,1] neg_hi:[0,0,1]
	v_pk_fma_f32 v[20:21], v[20:21], v[40:41], v[48:49]
	s_waitcnt lgkmcnt(0)
	v_mov_b32_e32 v48, v81
	v_mov_b32_e32 v49, v68
	;; [unrolled: 1-line block ×6, first 2 shown]
	s_waitcnt vmcnt(5)
	v_mov_b32_e32 v21, v14
	v_mov_b32_e32 v40, v80
	;; [unrolled: 1-line block ×3, first 2 shown]
	v_pk_mul_f32 v[44:45], v[48:49], v[44:45]
	v_mov_b32_e32 v62, v15
	v_pk_fma_f32 v[48:49], v[80:81], v[20:21], v[44:45] neg_lo:[0,0,1] neg_hi:[0,0,1]
	v_pk_fma_f32 v[12:13], v[40:41], v[12:13], v[44:45]
	v_mov_b32_e32 v40, v14
	v_mov_b32_e32 v49, v13
	;; [unrolled: 1-line block ×5, first 2 shown]
	v_pk_mul_f32 v[12:13], v[12:13], v[20:21]
	v_mov_b32_e32 v16, v15
	v_mov_b32_e32 v14, v19
	;; [unrolled: 1-line block ×3, first 2 shown]
	v_pk_add_f32 v[8:9], v[8:9], v[52:53] neg_lo:[0,1] neg_hi:[0,1]
	v_pk_fma_f32 v[20:21], v[14:15], v[62:63], v[12:13] op_sel:[0,0,1] op_sel_hi:[1,1,0] neg_lo:[1,0,0] neg_hi:[1,0,0]
	v_pk_fma_f32 v[12:13], v[14:15], v[62:63], v[12:13] op_sel:[0,0,1] op_sel_hi:[1,1,0]
	scratch_load_dwordx2 v[44:45], off, off offset:168
	v_pk_add_f32 v[8:9], v[8:9], v[48:49] neg_lo:[0,1] neg_hi:[0,1]
	v_mov_b32_e32 v21, v13
	v_pk_add_f32 v[8:9], v[8:9], v[20:21] neg_lo:[0,1] neg_hi:[0,1]
	s_waitcnt vmcnt(5)
	v_mov_b32_e32 v20, v26
	v_mov_b32_e32 v21, v28
	;; [unrolled: 1-line block ×3, first 2 shown]
	scratch_load_dwordx2 v[26:27], off, off offset:176
	ds_read_b128 v[12:15], v180 offset:224
	v_mov_b32_e32 v48, v19
	ds_read_b128 v[104:107], v182 offset:224
	scratch_load_dwordx2 v[80:81], off, off offset:64
	s_waitcnt lgkmcnt(1)
	v_mov_b32_e32 v19, v13
	v_mov_b32_e32 v49, v12
	v_pk_mul_f32 v[16:17], v[18:19], v[16:17]
	s_nop 0
	v_pk_fma_f32 v[18:19], v[48:49], v[40:41], v[16:17] neg_lo:[0,0,1] neg_hi:[0,0,1]
	v_pk_fma_f32 v[16:17], v[48:49], v[40:41], v[16:17]
	s_waitcnt vmcnt(3)
	v_mov_b32_e32 v40, v119
	v_pk_mov_b32 v[16:17], v[18:19], v[16:17] op_sel:[1,0]
	v_mov_b32_e32 v18, v13
	v_mov_b32_e32 v13, v111
	;; [unrolled: 1-line block ×3, first 2 shown]
	v_pk_mul_f32 v[12:13], v[12:13], v[28:29]
	v_pk_add_f32 v[8:9], v[8:9], v[16:17] neg_lo:[0,1] neg_hi:[0,1]
	v_mov_b32_e32 v17, v76
	v_mov_b32_e32 v76, v75
	v_pk_fma_f32 v[28:29], v[18:19], v[20:21], v[12:13] neg_lo:[0,0,1] neg_hi:[0,0,1]
	v_pk_fma_f32 v[12:13], v[18:19], v[20:21], v[12:13]
	v_mov_b32_e32 v18, v111
	s_waitcnt lgkmcnt(0)
	v_mov_b32_e32 v111, v105
	v_mov_b32_e32 v16, v74
	v_pk_mov_b32 v[12:13], v[28:29], v[12:13] op_sel:[1,0]
	v_mov_b32_e32 v19, v104
	v_pk_mul_f32 v[20:21], v[110:111], v[76:77]
	v_pk_add_f32 v[8:9], v[8:9], v[12:13] neg_lo:[0,1] neg_hi:[0,1]
	v_mov_b32_e32 v13, v100
	v_mov_b32_e32 v100, v99
	v_pk_fma_f32 v[28:29], v[18:19], v[16:17], v[20:21] neg_lo:[0,0,1] neg_hi:[0,0,1]
	v_pk_fma_f32 v[16:17], v[18:19], v[16:17], v[20:21]
	v_mov_b32_e32 v18, v105
	v_mov_b32_e32 v105, v109
	;; [unrolled: 1-line block ×4, first 2 shown]
	v_pk_mul_f32 v[20:21], v[104:105], v[100:101]
	v_pk_mov_b32 v[16:17], v[28:29], v[16:17] op_sel:[1,0]
	v_pk_fma_f32 v[28:29], v[18:19], v[12:13], v[20:21] neg_lo:[0,0,1] neg_hi:[0,0,1]
	v_pk_fma_f32 v[12:13], v[18:19], v[12:13], v[20:21]
	ds_read_b128 v[18:21], v183 offset:224
	v_pk_add_f32 v[8:9], v[8:9], v[16:17] neg_lo:[0,1] neg_hi:[0,1]
	v_mov_b32_e32 v17, v114
	v_mov_b32_e32 v114, v113
	v_pk_mov_b32 v[12:13], v[28:29], v[12:13] op_sel:[1,0]
	v_mov_b32_e32 v28, v109
	s_waitcnt lgkmcnt(0)
	v_mov_b32_e32 v109, v19
	v_mov_b32_e32 v16, v112
	;; [unrolled: 1-line block ×3, first 2 shown]
	v_pk_mul_f32 v[48:49], v[108:109], v[114:115]
	v_pk_add_f32 v[8:9], v[8:9], v[12:13] neg_lo:[0,1] neg_hi:[0,1]
	v_pk_fma_f32 v[52:53], v[28:29], v[16:17], v[48:49] neg_lo:[0,0,1] neg_hi:[0,0,1]
	v_pk_fma_f32 v[16:17], v[28:29], v[16:17], v[48:49]
	v_mov_b32_e32 v41, v121
	v_pk_mov_b32 v[16:17], v[52:53], v[16:17] op_sel:[1,0]
	v_mov_b32_e32 v12, v118
	v_pk_add_f32 v[8:9], v[8:9], v[16:17] neg_lo:[0,1] neg_hi:[0,1]
	v_mov_b32_e32 v16, v19
	v_mov_b32_e32 v19, v23
	v_mov_b32_e32 v13, v120
	v_mov_b32_e32 v17, v22
	v_pk_mul_f32 v[18:19], v[18:19], v[40:41]
	v_mul_f32_e32 v23, v23, v120
	v_pk_fma_f32 v[28:29], v[16:17], v[12:13], v[18:19] neg_lo:[0,0,1] neg_hi:[0,0,1]
	v_pk_fma_f32 v[12:13], v[16:17], v[12:13], v[18:19]
	ds_read_b128 v[16:19], v184 offset:224
	v_pk_mov_b32 v[12:13], v[28:29], v[12:13] op_sel:[1,0]
	v_fmac_f32_e32 v23, v22, v121
	v_pk_add_f32 v[8:9], v[8:9], v[12:13] neg_lo:[0,1] neg_hi:[0,1]
	scratch_load_dwordx2 v[12:13], off, off
	s_waitcnt lgkmcnt(0)
	v_mul_f32_e32 v22, v17, v11
	v_fma_f32 v22, v16, v10, -v22
	v_mul_f32_e32 v16, v16, v11
	v_fmac_f32_e32 v16, v17, v10
	scratch_load_dwordx2 v[10:11], off, off offset:8
	ds_read_b128 v[108:111], v36 offset:224
	ds_read_b128 v[112:115], v37 offset:224
	v_sub_f32_e32 v9, v9, v23
	v_sub_f32_e32 v17, v8, v22
	s_waitcnt vmcnt(4)
	v_mul_f32_e32 v8, v87, v45
	v_mul_f32_e32 v23, v86, v45
	v_sub_f32_e32 v16, v9, v16
	v_fma_f32 v22, v86, v44, -v8
	scratch_load_dwordx2 v[8:9], off, off offset:16
	v_fmac_f32_e32 v23, v87, v44
	v_sub_f32_e32 v23, v16, v23
	s_waitcnt vmcnt(4) lgkmcnt(1)
	v_mul_f32_e32 v16, v109, v27
	v_sub_f32_e32 v22, v17, v22
	v_fma_f32 v28, v108, v26, -v16
	v_mul_f32_e32 v27, v108, v27
	scratch_load_dwordx2 v[16:17], off, off offset:24
	v_fmac_f32_e32 v27, v109, v26
	v_sub_f32_e32 v26, v22, v28
	v_mul_f32_e32 v22, v117, v5
	v_sub_f32_e32 v27, v23, v27
	v_fma_f32 v28, v116, v4, -v22
	scratch_load_dwordx2 v[22:23], off, off offset:32
	scratch_load_dwordx2 v[44:45], off, off offset:40
	;; [unrolled: 1-line block ×6, first 2 shown]
	v_mul_f32_e32 v29, v116, v5
	v_mov_b32_e32 v40, s5
	v_fmac_f32_e32 v29, v117, v4
	ds_read_b128 v[118:121], v40 offset:224
	v_sub_f32_e32 v26, v26, v28
	v_sub_f32_e32 v27, v27, v29
	s_waitcnt lgkmcnt(1)
	v_mul_f32_e32 v28, v113, v57
	v_mul_f32_e32 v29, v112, v57
	v_fma_f32 v28, v112, v56, -v28
	v_fmac_f32_e32 v29, v113, v56
	v_sub_f32_e32 v26, v26, v28
	v_sub_f32_e32 v27, v27, v29
	v_mul_f32_e32 v28, v123, v131
	v_mul_f32_e32 v29, v122, v131
	s_add_i32 s5, s4, s10
	s_or_b32 s10, s7, 28
	v_fma_f32 v28, v122, v130, -v28
	v_fmac_f32_e32 v29, v123, v130
	s_mul_i32 s11, s10, 0x208
	v_sub_f32_e32 v26, v26, v28
	v_sub_f32_e32 v27, v27, v29
	s_waitcnt lgkmcnt(0)
	v_mul_f32_e32 v28, v119, v133
	v_mul_f32_e32 v29, v118, v133
	v_mov_b32_e32 v41, s11
	v_fma_f32 v28, v118, v132, -v28
	v_fmac_f32_e32 v29, v119, v132
	ds_read_b128 v[116:119], v41
	v_sub_f32_e32 v27, v27, v29
	v_mul_f32_e32 v29, v126, v135
	v_sub_f32_e32 v26, v26, v28
	v_mul_f32_e32 v28, v127, v135
	v_fmac_f32_e32 v29, v127, v134
	v_fma_f32 v28, v126, v134, -v28
	v_sub_f32_e32 v27, v27, v29
	v_sub_f32_e32 v26, v26, v28
	s_waitcnt lgkmcnt(0)
	v_mul_f32_e32 v28, v117, v27
	v_mul_f32_e32 v63, v116, v27
	s_lshl_b32 s10, s10, 9
	v_fma_f32 v62, v116, v26, -v28
	v_fmac_f32_e32 v63, v117, v26
	scratch_load_dwordx2 v[112:113], off, off offset:88
	v_add_u32_e32 v26, s10, v1
	ds_write_b64 v26, v[62:63]
	scratch_load_dwordx4 v[66:69], off, off offset:96
	scratch_load_dwordx2 v[116:117], off, off offset:96
	scratch_load_dwordx4 v[122:125], off, off offset:112
	scratch_load_dwordx4 v[146:149], off, off offset:136
	ds_read2_b64 v[74:77], v167 offset0:29 offset1:30
	ds_read2_b64 v[86:89], v169 offset0:29 offset1:30
	s_waitcnt vmcnt(14)
	v_mul_f32_e32 v26, v33, v13
	v_fma_f32 v26, v32, v12, -v26
	v_mul_f32_e32 v13, v32, v13
	v_fmac_f32_e32 v13, v33, v12
	v_sub_f32_e32 v12, v138, v26
	s_waitcnt vmcnt(13) lgkmcnt(1)
	v_mul_f32_e32 v26, v75, v11
	v_fma_f32 v26, v74, v10, -v26
	v_mul_f32_e32 v11, v74, v11
	v_fmac_f32_e32 v11, v75, v10
	v_sub_f32_e32 v10, v12, v26
	ds_read2_b64 v[26:29], v168 offset0:29 offset1:30
	v_sub_f32_e32 v13, v139, v13
	v_sub_f32_e32 v11, v13, v11
	s_waitcnt vmcnt(12)
	v_mul_f32_e32 v12, v31, v9
	v_mul_f32_e32 v9, v30, v9
	v_fma_f32 v12, v30, v8, -v12
	v_fmac_f32_e32 v9, v31, v8
	v_sub_f32_e32 v8, v10, v12
	v_sub_f32_e32 v9, v11, v9
	scratch_load_dwordx4 v[138:141], off, off offset:120
	s_waitcnt vmcnt(12) lgkmcnt(0)
	v_mul_f32_e32 v10, v27, v17
	v_mul_f32_e32 v11, v26, v17
	v_fma_f32 v10, v26, v16, -v10
	v_fmac_f32_e32 v11, v27, v16
	v_sub_f32_e32 v8, v8, v10
	v_sub_f32_e32 v9, v9, v11
	s_waitcnt vmcnt(11)
	v_mul_f32_e32 v10, v91, v23
	v_mul_f32_e32 v11, v90, v23
	v_fma_f32 v10, v90, v22, -v10
	v_fmac_f32_e32 v11, v91, v22
	v_sub_f32_e32 v8, v8, v10
	v_sub_f32_e32 v9, v9, v11
	s_waitcnt vmcnt(10)
	;; [unrolled: 7-line block ×3, first 2 shown]
	v_mul_f32_e32 v10, v95, v49
	v_mul_f32_e32 v11, v94, v49
	v_fma_f32 v10, v94, v48, -v10
	ds_read2_b64 v[90:93], v170 offset0:29 offset1:30
	v_fmac_f32_e32 v11, v95, v48
	scratch_load_dwordx4 v[94:97], off, off offset:128
	ds_read2_b64 v[98:101], v171 offset0:29 offset1:30
	v_sub_f32_e32 v8, v8, v10
	s_waitcnt vmcnt(9) lgkmcnt(1)
	v_mul_f32_e32 v10, v91, v53
	v_fma_f32 v10, v90, v52, -v10
	v_sub_f32_e32 v8, v8, v10
	v_mul_f32_e32 v10, v103, v81
	v_fma_f32 v10, v102, v80, -v10
	v_sub_f32_e32 v8, v8, v10
	s_waitcnt vmcnt(8) lgkmcnt(0)
	v_mul_f32_e32 v10, v99, v105
	v_fma_f32 v10, v98, v104, -v10
	v_sub_f32_e32 v8, v8, v10
	s_waitcnt vmcnt(7)
	v_mul_f32_e32 v10, v85, v109
	v_mul_f32_e32 v13, v84, v109
	v_fma_f32 v10, v84, v108, -v10
	v_fmac_f32_e32 v13, v85, v108
	scratch_load_dwordx4 v[84:87], off, off offset:144
	scratch_load_dwordx4 v[150:153], off, off offset:152
	v_sub_f32_e32 v9, v9, v11
	v_mul_f32_e32 v11, v90, v53
	v_fmac_f32_e32 v11, v91, v52
	ds_read2_b64 v[30:33], v172 offset0:29 offset1:30
	v_sub_f32_e32 v9, v9, v11
	v_mul_f32_e32 v11, v102, v81
	v_fmac_f32_e32 v11, v103, v80
	v_sub_f32_e32 v9, v9, v11
	v_mul_f32_e32 v11, v98, v105
	v_fmac_f32_e32 v11, v99, v104
	v_pk_add_f32 v[8:9], v[8:9], v[10:11] neg_lo:[0,1] neg_hi:[0,1]
	s_waitcnt vmcnt(8) lgkmcnt(0)
	v_mul_f32_e32 v10, v31, v113
	v_fma_f32 v12, v30, v112, -v10
	v_pk_add_f32 v[8:9], v[8:9], v[12:13] neg_lo:[0,1] neg_hi:[0,1]
	v_mov_b32_e32 v13, v112
	v_mov_b32_e32 v26, v83
	;; [unrolled: 1-line block ×3, first 2 shown]
	s_waitcnt vmcnt(6)
	v_mov_b32_e32 v112, v117
	v_mov_b32_e32 v10, v82
	;; [unrolled: 1-line block ×4, first 2 shown]
	v_pk_mul_f32 v[26:27], v[26:27], v[112:113]
	v_mov_b32_e32 v22, v69
	v_pk_fma_f32 v[30:31], v[82:83], v[116:117], v[26:27] neg_lo:[0,0,1] neg_hi:[0,0,1]
	v_pk_fma_f32 v[26:27], v[10:11], v[12:13], v[26:27]
	ds_read2_b64 v[10:13], v165 offset0:29 offset1:30
	v_mov_b32_e32 v23, v117
	v_mov_b32_e32 v31, v27
	;; [unrolled: 1-line block ×4, first 2 shown]
	s_waitcnt lgkmcnt(0)
	v_mov_b32_e32 v44, v11
	v_mov_b32_e32 v17, v116
	v_pk_add_f32 v[8:9], v[8:9], v[30:31] neg_lo:[0,1] neg_hi:[0,1]
	v_mov_b32_e32 v26, v68
	s_waitcnt vmcnt(5)
	v_mov_b32_e32 v27, v122
	v_mov_b32_e32 v30, v10
	v_mov_b32_e32 v31, v83
	v_pk_mul_f32 v[22:23], v[44:45], v[22:23]
	v_mov_b32_e32 v68, v123
	v_pk_fma_f32 v[44:45], v[10:11], v[26:27], v[22:23] neg_lo:[0,0,1] neg_hi:[0,0,1]
	v_pk_fma_f32 v[16:17], v[30:31], v[16:17], v[22:23]
	ds_read2_b64 v[102:105], v164 offset0:29 offset1:30
	v_mov_b32_e32 v45, v17
	v_pk_add_f32 v[16:17], v[8:9], v[44:45] neg_lo:[0,1] neg_hi:[0,1]
	v_mov_b32_e32 v8, v11
	v_mov_b32_e32 v9, v14
	v_pk_mul_f32 v[8:9], v[8:9], v[26:27]
	v_mov_b32_e32 v26, v15
	v_mov_b32_e32 v27, v10
	v_pk_fma_f32 v[30:31], v[26:27], v[68:69], v[8:9] op_sel:[0,0,1] op_sel_hi:[1,1,0] neg_lo:[1,0,0] neg_hi:[1,0,0]
	v_pk_fma_f32 v[8:9], v[26:27], v[68:69], v[8:9] op_sel:[0,0,1] op_sel_hi:[1,1,0]
	scratch_load_dwordx2 v[26:27], off, off offset:176
	v_mov_b32_e32 v31, v9
	ds_read2_b64 v[8:11], v163 offset0:29 offset1:30
	v_mov_b32_e32 v23, v124
	v_mov_b32_e32 v124, v123
	;; [unrolled: 1-line block ×4, first 2 shown]
	s_waitcnt lgkmcnt(0)
	v_mov_b32_e32 v15, v9
	v_mov_b32_e32 v45, v8
	v_pk_mul_f32 v[14:15], v[14:15], v[124:125]
	v_pk_add_f32 v[16:17], v[16:17], v[30:31] neg_lo:[0,1] neg_hi:[0,1]
	s_waitcnt vmcnt(4)
	v_mov_b32_e32 v31, v140
	v_mov_b32_e32 v140, v139
	v_pk_fma_f32 v[48:49], v[44:45], v[22:23], v[14:15] neg_lo:[0,0,1] neg_hi:[0,0,1]
	v_pk_fma_f32 v[14:15], v[44:45], v[22:23], v[14:15]
	v_mov_b32_e32 v22, v9
	v_mov_b32_e32 v9, v107
	;; [unrolled: 1-line block ×3, first 2 shown]
	v_pk_mov_b32 v[14:15], v[48:49], v[14:15] op_sel:[1,0]
	v_mov_b32_e32 v23, v106
	v_pk_mul_f32 v[8:9], v[8:9], v[140:141]
	v_pk_add_f32 v[14:15], v[16:17], v[14:15] neg_lo:[0,1] neg_hi:[0,1]
	s_waitcnt vmcnt(3)
	v_mov_b32_e32 v17, v96
	v_mov_b32_e32 v96, v95
	v_pk_fma_f32 v[44:45], v[22:23], v[30:31], v[8:9] neg_lo:[0,0,1] neg_hi:[0,0,1]
	v_pk_fma_f32 v[8:9], v[22:23], v[30:31], v[8:9]
	v_mov_b32_e32 v22, v107
	v_mov_b32_e32 v107, v103
	;; [unrolled: 1-line block ×4, first 2 shown]
	v_pk_mul_f32 v[30:31], v[106:107], v[96:97]
	v_pk_mov_b32 v[8:9], v[44:45], v[8:9] op_sel:[1,0]
	v_pk_fma_f32 v[44:45], v[22:23], v[16:17], v[30:31] neg_lo:[0,0,1] neg_hi:[0,0,1]
	v_pk_fma_f32 v[16:17], v[22:23], v[16:17], v[30:31]
	v_pk_add_f32 v[8:9], v[14:15], v[8:9] neg_lo:[0,1] neg_hi:[0,1]
	v_pk_mov_b32 v[16:17], v[44:45], v[16:17] op_sel:[1,0]
	v_mov_b32_e32 v15, v148
	v_mov_b32_e32 v148, v147
	v_pk_add_f32 v[8:9], v[8:9], v[16:17] neg_lo:[0,1] neg_hi:[0,1]
	v_mov_b32_e32 v16, v103
	v_mov_b32_e32 v103, v21
	;; [unrolled: 1-line block ×4, first 2 shown]
	v_pk_mul_f32 v[30:31], v[102:103], v[148:149]
	s_waitcnt vmcnt(2)
	v_mov_b32_e32 v23, v86
	v_pk_fma_f32 v[44:45], v[16:17], v[14:15], v[30:31] neg_lo:[0,0,1] neg_hi:[0,0,1]
	v_pk_fma_f32 v[14:15], v[16:17], v[14:15], v[30:31]
	v_mov_b32_e32 v86, v85
	v_pk_mov_b32 v[30:31], v[44:45], v[14:15] op_sel:[1,0]
	ds_read2_b64 v[14:17], v166 offset0:29 offset1:30
	v_mov_b32_e32 v44, v21
	v_mov_b32_e32 v22, v84
	v_pk_add_f32 v[8:9], v[8:9], v[30:31] neg_lo:[0,1] neg_hi:[0,1]
	s_waitcnt vmcnt(1)
	v_mov_b32_e32 v48, v151
	s_waitcnt lgkmcnt(0)
	v_mov_b32_e32 v21, v15
	v_mov_b32_e32 v45, v14
	v_pk_mul_f32 v[20:21], v[20:21], v[86:87]
	v_mov_b32_e32 v49, v153
	v_pk_fma_f32 v[52:53], v[44:45], v[22:23], v[20:21] neg_lo:[0,0,1] neg_hi:[0,0,1]
	v_pk_fma_f32 v[20:21], v[44:45], v[22:23], v[20:21]
	v_mov_b32_e32 v30, v150
	v_pk_mov_b32 v[20:21], v[52:53], v[20:21] op_sel:[1,0]
	v_mov_b32_e32 v31, v152
	v_pk_add_f32 v[8:9], v[8:9], v[20:21] neg_lo:[0,1] neg_hi:[0,1]
	v_mov_b32_e32 v20, v15
	v_mov_b32_e32 v15, v19
	;; [unrolled: 1-line block ×3, first 2 shown]
	v_pk_mul_f32 v[14:15], v[14:15], v[48:49]
	ds_read2_b64 v[106:109], v144 offset0:29 offset1:30
	ds_read_b128 v[96:99], v174 offset:240
	v_pk_fma_f32 v[22:23], v[20:21], v[30:31], v[14:15] neg_lo:[0,0,1] neg_hi:[0,0,1]
	v_pk_fma_f32 v[14:15], v[20:21], v[30:31], v[14:15]
	v_mul_f32_e32 v19, v19, v152
	v_pk_mov_b32 v[14:15], v[22:23], v[14:15] op_sel:[1,0]
	v_fmac_f32_e32 v19, v18, v153
	v_pk_add_f32 v[8:9], v[8:9], v[14:15] neg_lo:[0,1] neg_hi:[0,1]
	scratch_load_dwordx2 v[14:15], off, off
	v_sub_f32_e32 v18, v9, v19
	s_waitcnt lgkmcnt(1)
	v_mul_f32_e32 v9, v107, v25
	v_fma_f32 v9, v106, v24, -v9
	v_mul_f32_e32 v19, v106, v25
	v_sub_f32_e32 v20, v8, v9
	scratch_load_dwordx2 v[8:9], off, off offset:8
	v_fmac_f32_e32 v19, v107, v24
	v_sub_f32_e32 v21, v18, v19
	s_waitcnt vmcnt(2)
	v_mul_f32_e32 v18, v111, v27
	v_fma_f32 v22, v110, v26, -v18
	scratch_load_dwordx2 v[18:19], off, off offset:16
	scratch_load_dwordx2 v[24:25], off, off offset:24
	;; [unrolled: 1-line block ×3, first 2 shown]
	v_mul_f32_e32 v23, v110, v27
	v_fmac_f32_e32 v23, v111, v26
	scratch_load_dwordx2 v[26:27], off, off offset:32
	scratch_load_dwordx2 v[30:31], off, off offset:40
	;; [unrolled: 1-line block ×3, first 2 shown]
	ds_read2_b64 v[122:125], v142 offset0:29 offset1:30
	ds_read2_b64 v[110:113], v143 offset0:29 offset1:30
	v_sub_f32_e32 v20, v20, v22
	v_sub_f32_e32 v21, v21, v23
	v_mov_b32_e32 v102, s5
	s_waitcnt lgkmcnt(1)
	v_mul_f32_e32 v22, v123, v5
	v_mul_f32_e32 v23, v122, v5
	v_fma_f32 v22, v122, v4, -v22
	v_fmac_f32_e32 v23, v123, v4
	v_sub_f32_e32 v20, v20, v22
	v_sub_f32_e32 v21, v21, v23
	v_mul_f32_e32 v22, v115, v57
	v_mul_f32_e32 v23, v114, v57
	v_fma_f32 v22, v114, v56, -v22
	v_fmac_f32_e32 v23, v115, v56
	ds_read2_b64 v[114:117], v102 offset0:29 offset1:30
	v_sub_f32_e32 v21, v21, v23
	s_waitcnt lgkmcnt(1)
	v_mul_f32_e32 v23, v110, v131
	v_fmac_f32_e32 v23, v111, v130
	v_sub_f32_e32 v21, v21, v23
	v_mul_f32_e32 v23, v120, v133
	v_fmac_f32_e32 v23, v121, v132
	v_sub_f32_e32 v20, v20, v22
	v_mul_f32_e32 v22, v111, v131
	v_sub_f32_e32 v21, v21, v23
	s_waitcnt lgkmcnt(0)
	v_mul_f32_e32 v23, v114, v135
	s_add_i32 s5, s4, s10
	s_or_b32 s10, s7, 29
	v_fma_f32 v22, v110, v130, -v22
	scratch_load_dwordx2 v[48:49], off, off offset:56
	v_fmac_f32_e32 v23, v115, v134
	s_mul_i32 s11, s10, 0x208
	v_sub_f32_e32 v20, v20, v22
	v_mul_f32_e32 v22, v121, v133
	v_sub_f32_e32 v21, v21, v23
	v_mov_b32_e32 v23, s11
	v_fma_f32 v22, v120, v132, -v22
	scratch_load_dwordx2 v[52:53], off, off offset:64
	ds_read2_b64 v[120:123], v23 offset1:1
	v_sub_f32_e32 v20, v20, v22
	v_mul_f32_e32 v22, v115, v135
	v_fma_f32 v22, v114, v134, -v22
	scratch_load_dwordx2 v[74:75], off, off offset:72
	v_mul_f32_e32 v23, v118, v63
	v_sub_f32_e32 v20, v20, v22
	v_mul_f32_e32 v22, v119, v63
	v_fmac_f32_e32 v23, v119, v62
	v_fma_f32 v22, v118, v62, -v22
	v_sub_f32_e32 v21, v21, v23
	v_sub_f32_e32 v20, v20, v22
	s_waitcnt lgkmcnt(0)
	v_mul_f32_e32 v22, v121, v21
	v_mul_f32_e32 v69, v120, v21
	s_lshl_b32 s10, s10, 9
	v_fma_f32 v68, v120, v20, -v22
	v_fmac_f32_e32 v69, v121, v20
	scratch_load_dwordx2 v[110:111], off, off offset:88
	v_add_u32_e32 v20, s10, v1
	ds_write_b64 v20, v[68:69]
	scratch_load_dwordx2 v[114:115], off, off offset:96
	s_add_i32 s4, s4, s10
	s_waitcnt vmcnt(12)
	v_mul_f32_e32 v20, v97, v15
	v_mul_f32_e32 v15, v96, v15
	v_fma_f32 v20, v96, v14, -v20
	v_fmac_f32_e32 v15, v97, v14
	v_sub_f32_e32 v41, v136, v20
	v_sub_f32_e32 v80, v137, v15
	scratch_load_dwordx4 v[20:23], off, off offset:104
	scratch_load_dwordx2 v[14:15], off, off offset:104
	scratch_load_dwordx4 v[118:121], off, off offset:120
	scratch_load_dwordx4 v[136:139], off, off offset:128
	;; [unrolled: 1-line block ×4, first 2 shown]
	ds_read_b128 v[94:97], v173 offset:240
	ds_read_b128 v[84:87], v176 offset:240
	s_waitcnt vmcnt(17)
	v_mul_f32_e32 v81, v77, v9
	v_mul_f32_e32 v9, v76, v9
	scratch_load_dwordx4 v[154:157], off, off offset:152
	scratch_load_dwordx4 v[158:161], off, off offset:160
	v_fma_f32 v81, v76, v8, -v81
	v_fmac_f32_e32 v9, v77, v8
	v_sub_f32_e32 v8, v41, v81
	v_sub_f32_e32 v9, v80, v9
	ds_read_b128 v[80:83], v175 offset:240
	s_waitcnt vmcnt(18) lgkmcnt(2)
	v_mul_f32_e32 v41, v95, v19
	v_mul_f32_e32 v19, v94, v19
	v_fmac_f32_e32 v19, v95, v18
	v_fma_f32 v41, v94, v18, -v41
	v_sub_f32_e32 v9, v9, v19
	s_waitcnt vmcnt(17)
	v_mul_f32_e32 v18, v29, v25
	v_mul_f32_e32 v19, v28, v25
	v_sub_f32_e32 v8, v8, v41
	v_fma_f32 v18, v28, v24, -v18
	v_fmac_f32_e32 v19, v29, v24
	v_sub_f32_e32 v8, v8, v18
	v_sub_f32_e32 v9, v9, v19
	s_waitcnt vmcnt(15) lgkmcnt(0)
	v_mul_f32_e32 v18, v81, v27
	v_mul_f32_e32 v19, v80, v27
	v_fma_f32 v18, v80, v26, -v18
	v_fmac_f32_e32 v19, v81, v26
	v_sub_f32_e32 v8, v8, v18
	v_sub_f32_e32 v9, v9, v19
	s_waitcnt vmcnt(14)
	v_mul_f32_e32 v18, v89, v31
	v_mul_f32_e32 v19, v88, v31
	v_fma_f32 v18, v88, v30, -v18
	v_fmac_f32_e32 v19, v89, v30
	v_sub_f32_e32 v8, v8, v18
	v_sub_f32_e32 v9, v9, v19
	s_waitcnt vmcnt(13)
	v_mul_f32_e32 v18, v85, v45
	v_mul_f32_e32 v19, v84, v45
	v_fma_f32 v18, v84, v44, -v18
	v_fmac_f32_e32 v19, v85, v44
	scratch_load_dwordx2 v[44:45], off, off offset:176
	ds_read_b128 v[88:91], v177 offset:240
	v_sub_f32_e32 v8, v8, v18
	v_sub_f32_e32 v9, v9, v19
	s_waitcnt vmcnt(13)
	v_mul_f32_e32 v18, v93, v49
	v_mul_f32_e32 v19, v92, v49
	v_fma_f32 v18, v92, v48, -v18
	v_fmac_f32_e32 v19, v93, v48
	ds_read_b128 v[92:95], v178 offset:240
	v_sub_f32_e32 v8, v8, v18
	v_sub_f32_e32 v9, v9, v19
	s_waitcnt vmcnt(12) lgkmcnt(1)
	v_mul_f32_e32 v18, v89, v53
	v_mul_f32_e32 v19, v88, v53
	v_fma_f32 v18, v88, v52, -v18
	v_fmac_f32_e32 v19, v89, v52
	v_sub_f32_e32 v8, v8, v18
	v_sub_f32_e32 v9, v9, v19
	s_waitcnt vmcnt(11)
	v_mul_f32_e32 v18, v101, v75
	v_mul_f32_e32 v19, v100, v75
	v_fma_f32 v18, v100, v74, -v18
	v_fmac_f32_e32 v19, v101, v74
	ds_read_b128 v[74:77], v179 offset:240
	v_sub_f32_e32 v8, v8, v18
	s_waitcnt lgkmcnt(1)
	v_mul_f32_e32 v18, v93, v107
	v_fma_f32 v18, v92, v106, -v18
	v_sub_f32_e32 v9, v9, v19
	v_mul_f32_e32 v19, v92, v107
	v_sub_f32_e32 v8, v8, v18
	s_waitcnt vmcnt(10)
	v_mul_f32_e32 v18, v33, v111
	v_fmac_f32_e32 v19, v93, v106
	v_fma_f32 v18, v32, v110, -v18
	v_mul_f32_e32 v25, v32, v111
	v_pk_add_f32 v[8:9], v[8:9], v[18:19] neg_lo:[0,1] neg_hi:[0,1]
	s_waitcnt vmcnt(9) lgkmcnt(0)
	v_mul_f32_e32 v18, v75, v115
	v_fmac_f32_e32 v25, v33, v110
	v_fma_f32 v24, v74, v114, -v18
	v_mov_b32_e32 v27, v114
	v_mov_b32_e32 v28, v13
	;; [unrolled: 1-line block ×3, first 2 shown]
	s_waitcnt vmcnt(7)
	v_mov_b32_e32 v114, v15
	v_pk_add_f32 v[8:9], v[8:9], v[24:25] neg_lo:[0,1] neg_hi:[0,1]
	v_mov_b32_e32 v24, v12
	v_mov_b32_e32 v25, v75
	;; [unrolled: 1-line block ×3, first 2 shown]
	v_pk_mul_f32 v[28:29], v[28:29], v[114:115]
	v_mov_b32_e32 v19, v14
	v_mov_b32_e32 v31, v15
	v_pk_fma_f32 v[14:15], v[12:13], v[14:15], v[28:29] neg_lo:[0,0,1] neg_hi:[0,0,1]
	v_pk_fma_f32 v[24:25], v[24:25], v[26:27], v[28:29]
	ds_read_b128 v[26:29], v180 offset:240
	v_mov_b32_e32 v30, v23
	v_mov_b32_e32 v15, v25
	;; [unrolled: 1-line block ×4, first 2 shown]
	s_waitcnt lgkmcnt(0)
	v_mov_b32_e32 v32, v27
	v_pk_add_f32 v[8:9], v[8:9], v[14:15] neg_lo:[0,1] neg_hi:[0,1]
	v_mov_b32_e32 v14, v22
	s_waitcnt vmcnt(6)
	v_mov_b32_e32 v15, v118
	v_mov_b32_e32 v24, v26
	;; [unrolled: 1-line block ×3, first 2 shown]
	v_pk_mul_f32 v[12:13], v[32:33], v[30:31]
	v_mov_b32_e32 v22, v119
	v_pk_fma_f32 v[30:31], v[26:27], v[14:15], v[12:13] neg_lo:[0,0,1] neg_hi:[0,0,1]
	v_pk_fma_f32 v[12:13], v[24:25], v[18:19], v[12:13]
	v_mov_b32_e32 v18, v27
	v_mov_b32_e32 v31, v13
	v_pk_add_f32 v[8:9], v[8:9], v[30:31] neg_lo:[0,1] neg_hi:[0,1]
	v_mov_b32_e32 v19, v10
	ds_read_b128 v[30:33], v182 offset:240
	v_pk_mul_f32 v[14:15], v[18:19], v[14:15]
	v_mov_b32_e32 v18, v11
	v_mov_b32_e32 v19, v26
	v_pk_fma_f32 v[24:25], v[18:19], v[22:23], v[14:15] op_sel:[0,0,1] op_sel_hi:[1,1,0] neg_lo:[1,0,0] neg_hi:[1,0,0]
	v_pk_fma_f32 v[14:15], v[18:19], v[22:23], v[14:15] op_sel:[0,0,1] op_sel_hi:[1,1,0]
	v_mov_b32_e32 v13, v120
	v_mov_b32_e32 v25, v15
	v_pk_add_f32 v[8:9], v[8:9], v[24:25] neg_lo:[0,1] neg_hi:[0,1]
	ds_read_b128 v[24:27], v183 offset:240
	v_mov_b32_e32 v120, v119
	s_waitcnt lgkmcnt(1)
	v_mov_b32_e32 v11, v31
	v_mov_b32_e32 v12, v118
	;; [unrolled: 1-line block ×3, first 2 shown]
	v_pk_mul_f32 v[10:11], v[10:11], v[120:121]
	s_waitcnt vmcnt(5)
	v_mov_b32_e32 v15, v138
	v_mov_b32_e32 v138, v137
	v_pk_fma_f32 v[22:23], v[18:19], v[12:13], v[10:11] neg_lo:[0,0,1] neg_hi:[0,0,1]
	v_pk_fma_f32 v[10:11], v[18:19], v[12:13], v[10:11]
	v_mov_b32_e32 v12, v31
	v_mov_b32_e32 v31, v105
	v_mov_b32_e32 v14, v136
	v_pk_mov_b32 v[10:11], v[22:23], v[10:11] op_sel:[1,0]
	v_mov_b32_e32 v13, v104
	v_pk_mul_f32 v[18:19], v[30:31], v[138:139]
	v_pk_add_f32 v[8:9], v[8:9], v[10:11] neg_lo:[0,1] neg_hi:[0,1]
	s_waitcnt vmcnt(4)
	v_mov_b32_e32 v11, v148
	v_mov_b32_e32 v148, v147
	v_pk_fma_f32 v[22:23], v[12:13], v[14:15], v[18:19] neg_lo:[0,0,1] neg_hi:[0,0,1]
	v_pk_fma_f32 v[12:13], v[12:13], v[14:15], v[18:19]
	v_mov_b32_e32 v14, v105
	s_waitcnt lgkmcnt(0)
	v_mov_b32_e32 v105, v25
	v_mov_b32_e32 v10, v146
	v_pk_mov_b32 v[12:13], v[22:23], v[12:13] op_sel:[1,0]
	v_mov_b32_e32 v15, v24
	v_pk_mul_f32 v[18:19], v[104:105], v[148:149]
	v_pk_add_f32 v[8:9], v[8:9], v[12:13] neg_lo:[0,1] neg_hi:[0,1]
	s_waitcnt vmcnt(3)
	v_mov_b32_e32 v13, v152
	v_mov_b32_e32 v152, v151
	v_pk_fma_f32 v[22:23], v[14:15], v[10:11], v[18:19] neg_lo:[0,0,1] neg_hi:[0,0,1]
	v_pk_fma_f32 v[10:11], v[14:15], v[10:11], v[18:19]
	v_mov_b32_e32 v14, v25
	v_mov_b32_e32 v25, v17
	;; [unrolled: 1-line block ×4, first 2 shown]
	v_pk_mul_f32 v[18:19], v[24:25], v[152:153]
	v_pk_mov_b32 v[10:11], v[22:23], v[10:11] op_sel:[1,0]
	v_pk_fma_f32 v[22:23], v[14:15], v[12:13], v[18:19] neg_lo:[0,0,1] neg_hi:[0,0,1]
	v_pk_fma_f32 v[12:13], v[14:15], v[12:13], v[18:19]
	v_pk_add_f32 v[8:9], v[8:9], v[10:11] neg_lo:[0,1] neg_hi:[0,1]
	v_pk_mov_b32 v[12:13], v[22:23], v[12:13] op_sel:[1,0]
	ds_read_b128 v[22:25], v184 offset:240
	s_waitcnt vmcnt(2)
	v_mov_b32_e32 v11, v156
	v_mov_b32_e32 v156, v155
	;; [unrolled: 1-line block ×4, first 2 shown]
	s_waitcnt lgkmcnt(0)
	v_mov_b32_e32 v17, v23
	v_mov_b32_e32 v15, v22
	v_pk_mul_f32 v[16:17], v[16:17], v[156:157]
	v_pk_add_f32 v[8:9], v[8:9], v[12:13] neg_lo:[0,1] neg_hi:[0,1]
	v_pk_fma_f32 v[30:31], v[14:15], v[10:11], v[16:17] neg_lo:[0,0,1] neg_hi:[0,0,1]
	v_pk_fma_f32 v[10:11], v[14:15], v[10:11], v[16:17]
	s_waitcnt vmcnt(1)
	v_mov_b32_e32 v18, v159
	v_pk_mov_b32 v[10:11], v[30:31], v[10:11] op_sel:[1,0]
	v_mov_b32_e32 v19, v161
	v_pk_add_f32 v[8:9], v[8:9], v[10:11] neg_lo:[0,1] neg_hi:[0,1]
	v_mov_b32_e32 v10, v23
	v_mov_b32_e32 v23, v109
	;; [unrolled: 1-line block ×5, first 2 shown]
	v_pk_mul_f32 v[14:15], v[22:23], v[18:19]
	v_mul_f32_e32 v23, v116, v135
	v_pk_fma_f32 v[16:17], v[10:11], v[12:13], v[14:15] neg_lo:[0,0,1] neg_hi:[0,0,1]
	v_pk_fma_f32 v[10:11], v[10:11], v[12:13], v[14:15]
	v_fmac_f32_e32 v23, v117, v134
	v_pk_mov_b32 v[10:11], v[16:17], v[10:11] op_sel:[1,0]
	ds_read_b128 v[16:19], v36 offset:240
	v_pk_add_f32 v[8:9], v[8:9], v[10:11] neg_lo:[0,1] neg_hi:[0,1]
	v_mul_f32_e32 v10, v109, v160
	v_fmac_f32_e32 v10, v108, v161
	v_sub_f32_e32 v9, v9, v10
	s_waitcnt vmcnt(0) lgkmcnt(0)
	v_mul_f32_e32 v10, v17, v45
	v_mul_f32_e32 v11, v16, v45
	v_fma_f32 v10, v16, v44, -v10
	v_fmac_f32_e32 v11, v17, v44
	ds_read_b128 v[14:17], v37 offset:240
	v_sub_f32_e32 v8, v8, v10
	v_sub_f32_e32 v9, v9, v11
	v_mul_f32_e32 v10, v125, v5
	v_mul_f32_e32 v11, v124, v5
	v_fma_f32 v10, v124, v4, -v10
	v_fmac_f32_e32 v11, v125, v4
	v_sub_f32_e32 v8, v8, v10
	v_sub_f32_e32 v9, v9, v11
	s_waitcnt lgkmcnt(0)
	v_mul_f32_e32 v10, v15, v57
	v_mul_f32_e32 v11, v14, v57
	v_fma_f32 v10, v14, v56, -v10
	v_fmac_f32_e32 v11, v15, v56
	ds_read_b128 v[12:15], v40 offset:240
	v_sub_f32_e32 v8, v8, v10
	v_mul_f32_e32 v10, v113, v131
	v_fma_f32 v10, v112, v130, -v10
	v_sub_f32_e32 v9, v9, v11
	v_mul_f32_e32 v11, v112, v131
	v_sub_f32_e32 v8, v8, v10
	s_waitcnt lgkmcnt(0)
	v_mul_f32_e32 v10, v13, v133
	v_fmac_f32_e32 v11, v113, v130
	v_fma_f32 v10, v12, v132, -v10
	v_sub_f32_e32 v9, v9, v11
	v_mul_f32_e32 v11, v12, v133
	v_sub_f32_e32 v8, v8, v10
	v_mul_f32_e32 v10, v117, v135
	v_fmac_f32_e32 v11, v13, v132
	v_fma_f32 v22, v116, v134, -v10
	v_mov_b32_e32 v10, s5
	v_sub_f32_e32 v9, v9, v11
	ds_read_b128 v[10:13], v10 offset:240
	v_sub_f32_e32 v8, v8, v22
	s_or_b32 s5, s7, 30
	s_mul_i32 s10, s5, 0x208
	v_sub_f32_e32 v9, v9, v23
	s_waitcnt lgkmcnt(0)
	v_mul_f32_e32 v22, v11, v63
	v_fma_f32 v22, v10, v62, -v22
	v_mul_f32_e32 v10, v10, v63
	v_sub_f32_e32 v22, v8, v22
	v_mul_f32_e32 v8, v123, v69
	v_fmac_f32_e32 v10, v11, v62
	v_fma_f32 v30, v122, v68, -v8
	v_mov_b32_e32 v8, s10
	v_sub_f32_e32 v23, v9, v10
	ds_read_b128 v[8:11], v8
	v_mul_f32_e32 v31, v122, v69
	v_fmac_f32_e32 v31, v123, v68
	v_sub_f32_e32 v23, v23, v31
	v_sub_f32_e32 v30, v22, v30
	s_waitcnt lgkmcnt(0)
	v_mul_f32_e32 v22, v9, v23
	v_mul_f32_e32 v23, v8, v23
	v_fma_f32 v22, v8, v30, -v22
	v_fmac_f32_e32 v23, v9, v30
	ds_read_b64 v[30:31], v167 offset:248
	v_lshl_add_u32 v8, s5, 9, v1
	ds_write_b64 v8, v[22:23]
	v_mul_f32_e32 v8, v99, v55
	v_fma_f32 v8, v98, v54, -v8
	v_mul_f32_e32 v9, v98, v55
	s_waitcnt lgkmcnt(1)
	v_mul_f32_e32 v36, v31, v59
	v_fmac_f32_e32 v9, v99, v54
	v_sub_f32_e32 v8, v128, v8
	v_fma_f32 v36, v30, v58, -v36
	v_mul_f32_e32 v30, v30, v59
	v_sub_f32_e32 v9, v129, v9
	v_fmac_f32_e32 v30, v31, v58
	v_sub_f32_e32 v31, v8, v36
	v_mul_f32_e32 v8, v97, v47
	v_sub_f32_e32 v30, v9, v30
	v_fma_f32 v36, v96, v46, -v8
	ds_read_b64 v[8:9], v168 offset:248
	v_mul_f32_e32 v37, v96, v47
	v_sub_f32_e32 v31, v31, v36
	v_fmac_f32_e32 v37, v97, v46
	v_sub_f32_e32 v30, v30, v37
	s_waitcnt lgkmcnt(0)
	v_mul_f32_e32 v36, v9, v51
	v_fma_f32 v36, v8, v50, -v36
	v_mul_f32_e32 v8, v8, v51
	v_fmac_f32_e32 v8, v9, v50
	v_sub_f32_e32 v30, v30, v8
	v_mul_f32_e32 v8, v83, v39
	v_sub_f32_e32 v31, v31, v36
	v_fma_f32 v36, v82, v38, -v8
	ds_read_b64 v[8:9], v169 offset:248
	scratch_load_dwordx4 v[44:47], off, off offset:128
	v_mul_f32_e32 v37, v82, v39
	v_sub_f32_e32 v31, v31, v36
	v_fmac_f32_e32 v37, v83, v38
	s_waitcnt lgkmcnt(0)
	v_mul_f32_e32 v36, v9, v43
	v_fma_f32 v36, v8, v42, -v36
	v_mul_f32_e32 v8, v8, v43
	v_sub_f32_e32 v30, v30, v37
	v_fmac_f32_e32 v8, v9, v42
	v_sub_f32_e32 v30, v30, v8
	v_mul_f32_e32 v8, v87, v35
	v_sub_f32_e32 v31, v31, v36
	v_fma_f32 v36, v86, v34, -v8
	ds_read_b64 v[8:9], v170 offset:248
	v_mul_f32_e32 v35, v86, v35
	v_fmac_f32_e32 v35, v87, v34
	v_sub_f32_e32 v30, v30, v35
	v_sub_f32_e32 v31, v31, v36
	s_waitcnt lgkmcnt(0)
	v_mul_f32_e32 v34, v9, v65
	v_fma_f32 v34, v8, v64, -v34
	v_mul_f32_e32 v8, v8, v65
	v_fmac_f32_e32 v8, v9, v64
	v_sub_f32_e32 v30, v30, v8
	scratch_load_dwordx4 v[38:41], off, off offset:136
	v_mul_f32_e32 v8, v91, v71
	v_sub_f32_e32 v31, v31, v34
	v_fma_f32 v34, v90, v70, -v8
	ds_read_b64 v[8:9], v171 offset:248
	v_mul_f32_e32 v35, v90, v71
	v_fmac_f32_e32 v35, v91, v70
	v_sub_f32_e32 v31, v31, v34
	v_sub_f32_e32 v30, v30, v35
	s_waitcnt lgkmcnt(0)
	v_mul_f32_e32 v34, v9, v73
	v_fma_f32 v42, v8, v72, -v34
	scratch_load_dwordx4 v[34:37], off, off offset:144
	v_mul_f32_e32 v8, v8, v73
	v_fmac_f32_e32 v8, v9, v72
	scratch_load_dwordx4 v[48:51], off, off offset:152
	v_sub_f32_e32 v9, v31, v42
	v_sub_f32_e32 v42, v30, v8
	ds_read_b64 v[30:31], v172 offset:248
	v_mul_f32_e32 v8, v95, v79
	v_mul_f32_e32 v43, v94, v79
	v_fma_f32 v8, v94, v78, -v8
	v_fmac_f32_e32 v43, v95, v78
	v_sub_f32_e32 v8, v9, v8
	v_sub_f32_e32 v9, v42, v43
	s_waitcnt lgkmcnt(0)
	v_mul_f32_e32 v42, v31, v61
	v_mul_f32_e32 v53, v30, v61
	v_fma_f32 v42, v30, v60, -v42
	v_fmac_f32_e32 v53, v31, v60
	scratch_load_dwordx4 v[58:61], off, off offset:160
	v_mul_f32_e32 v30, v77, v67
	v_sub_f32_e32 v8, v8, v42
	v_fma_f32 v52, v76, v66, -v30
	v_pk_add_f32 v[8:9], v[8:9], v[52:53] neg_lo:[0,1] neg_hi:[0,1]
	scratch_load_dwordx4 v[52:55], off, off offset:168
	ds_read_b64 v[30:31], v165 offset:248
	v_mul_f32_e32 v43, v76, v67
	v_fmac_f32_e32 v43, v77, v66
	v_mov_b32_e32 v67, v20
	v_mov_b32_e32 v70, v29
	s_waitcnt lgkmcnt(0)
	v_mul_f32_e32 v42, v31, v21
	v_fma_f32 v42, v30, v20, -v42
	v_mov_b32_e32 v71, v30
	v_mov_b32_e32 v20, v3
	v_pk_add_f32 v[8:9], v[8:9], v[42:43] neg_lo:[0,1] neg_hi:[0,1]
	v_mov_b32_e32 v42, v6
	v_mov_b32_e32 v43, v2
	;; [unrolled: 1-line block ×5, first 2 shown]
	v_pk_mul_f32 v[20:21], v[70:71], v[20:21]
	v_mov_b32_e32 v2, v7
	v_pk_fma_f32 v[30:31], v[28:29], v[42:43], v[20:21] op_sel:[0,1,0] op_sel_hi:[1,0,1] neg_lo:[0,0,1] neg_hi:[0,0,1]
	v_pk_fma_f32 v[20:21], v[64:65], v[66:67], v[20:21]
	ds_read_b64 v[64:65], v163 offset:248
	v_mov_b32_e32 v31, v21
	v_mov_b32_e32 v67, v28
	v_pk_add_f32 v[8:9], v[8:9], v[30:31] neg_lo:[0,1] neg_hi:[0,1]
	v_mov_b32_e32 v20, v6
	s_waitcnt lgkmcnt(0)
	v_mov_b32_e32 v66, v65
	s_waitcnt vmcnt(5)
	v_mov_b32_e32 v21, v44
	v_mov_b32_e32 v30, v64
	;; [unrolled: 1-line block ×3, first 2 shown]
	v_pk_mul_f32 v[2:3], v[66:67], v[2:3]
	v_mov_b32_e32 v6, v45
	v_pk_fma_f32 v[28:29], v[64:65], v[20:21], v[2:3] neg_lo:[0,0,1] neg_hi:[0,0,1]
	v_pk_fma_f32 v[2:3], v[30:31], v[42:43], v[2:3]
	s_nop 0
	v_mov_b32_e32 v29, v3
	v_pk_add_f32 v[2:3], v[8:9], v[28:29] neg_lo:[0,1] neg_hi:[0,1]
	v_mov_b32_e32 v28, v65
	v_mov_b32_e32 v29, v32
	v_pk_mul_f32 v[20:21], v[28:29], v[20:21]
	v_mov_b32_e32 v28, v33
	v_mov_b32_e32 v29, v64
	v_pk_fma_f32 v[30:31], v[28:29], v[6:7], v[20:21] op_sel:[0,0,1] op_sel_hi:[1,1,0] neg_lo:[1,0,0] neg_hi:[1,0,0]
	v_pk_fma_f32 v[6:7], v[28:29], v[6:7], v[20:21] op_sel:[0,0,1] op_sel_hi:[1,1,0]
	v_mov_b32_e32 v9, v46
	v_mov_b32_e32 v31, v7
	ds_read_b64 v[6:7], v164 offset:248
	v_mov_b32_e32 v46, v45
	v_mov_b32_e32 v8, v44
	v_pk_add_f32 v[2:3], v[2:3], v[30:31] neg_lo:[0,1] neg_hi:[0,1]
	s_waitcnt vmcnt(4)
	v_mov_b32_e32 v21, v40
	s_waitcnt lgkmcnt(0)
	v_mov_b32_e32 v33, v7
	v_mov_b32_e32 v29, v6
	v_pk_mul_f32 v[30:31], v[32:33], v[46:47]
	v_mov_b32_e32 v40, v39
	v_pk_fma_f32 v[32:33], v[28:29], v[8:9], v[30:31] neg_lo:[0,0,1] neg_hi:[0,0,1]
	v_pk_fma_f32 v[8:9], v[28:29], v[8:9], v[30:31]
	v_mov_b32_e32 v28, v7
	v_mov_b32_e32 v7, v27
	;; [unrolled: 1-line block ×4, first 2 shown]
	v_pk_mul_f32 v[6:7], v[6:7], v[40:41]
	v_pk_mov_b32 v[8:9], v[32:33], v[8:9] op_sel:[1,0]
	v_pk_fma_f32 v[30:31], v[28:29], v[20:21], v[6:7] neg_lo:[0,0,1] neg_hi:[0,0,1]
	v_pk_fma_f32 v[6:7], v[28:29], v[20:21], v[6:7]
	ds_read_b64 v[20:21], v166 offset:248
	v_pk_add_f32 v[2:3], v[2:3], v[8:9] neg_lo:[0,1] neg_hi:[0,1]
	s_waitcnt vmcnt(3)
	v_mov_b32_e32 v9, v36
	v_mov_b32_e32 v36, v35
	;; [unrolled: 1-line block ×3, first 2 shown]
	s_waitcnt lgkmcnt(0)
	v_mov_b32_e32 v27, v21
	v_mov_b32_e32 v8, v34
	v_pk_mov_b32 v[6:7], v[30:31], v[6:7] op_sel:[1,0]
	v_mov_b32_e32 v29, v20
	v_pk_mul_f32 v[26:27], v[26:27], v[36:37]
	v_pk_add_f32 v[2:3], v[2:3], v[6:7] neg_lo:[0,1] neg_hi:[0,1]
	s_waitcnt vmcnt(2)
	v_mov_b32_e32 v7, v50
	v_mov_b32_e32 v50, v49
	v_pk_fma_f32 v[30:31], v[28:29], v[8:9], v[26:27] neg_lo:[0,0,1] neg_hi:[0,0,1]
	v_pk_fma_f32 v[8:9], v[28:29], v[8:9], v[26:27]
	v_mov_b32_e32 v26, v21
	v_mov_b32_e32 v21, v25
	v_mov_b32_e32 v6, v48
	v_mov_b32_e32 v27, v24
	v_pk_mul_f32 v[20:21], v[20:21], v[50:51]
	v_pk_mov_b32 v[8:9], v[30:31], v[8:9] op_sel:[1,0]
	v_pk_fma_f32 v[28:29], v[26:27], v[6:7], v[20:21] neg_lo:[0,0,1] neg_hi:[0,0,1]
	v_pk_fma_f32 v[6:7], v[26:27], v[6:7], v[20:21]
	ds_read_b64 v[20:21], v144 offset:248
	v_pk_add_f32 v[2:3], v[2:3], v[8:9] neg_lo:[0,1] neg_hi:[0,1]
	s_waitcnt vmcnt(1)
	v_mov_b32_e32 v9, v60
	v_mov_b32_e32 v60, v59
	;; [unrolled: 1-line block ×3, first 2 shown]
	s_waitcnt lgkmcnt(0)
	v_mov_b32_e32 v25, v21
	v_mov_b32_e32 v8, v58
	;; [unrolled: 1-line block ×3, first 2 shown]
	v_pk_mul_f32 v[24:25], v[24:25], v[60:61]
	v_pk_mov_b32 v[6:7], v[28:29], v[6:7] op_sel:[1,0]
	v_pk_fma_f32 v[30:31], v[26:27], v[8:9], v[24:25] neg_lo:[0,0,1] neg_hi:[0,0,1]
	v_pk_fma_f32 v[8:9], v[26:27], v[8:9], v[24:25]
	v_pk_add_f32 v[6:7], v[2:3], v[6:7] neg_lo:[0,1] neg_hi:[0,1]
	v_pk_mov_b32 v[8:9], v[30:31], v[8:9] op_sel:[1,0]
	ds_read_b64 v[26:27], v142 offset:248
	s_waitcnt vmcnt(0)
	v_mov_b32_e32 v28, v53
	v_mov_b32_e32 v29, v55
	v_pk_add_f32 v[6:7], v[6:7], v[8:9] neg_lo:[0,1] neg_hi:[0,1]
	v_mov_b32_e32 v8, v21
	v_mov_b32_e32 v21, v19
	v_mov_b32_e32 v2, v52
	v_mov_b32_e32 v3, v54
	v_mov_b32_e32 v9, v18
	v_pk_mul_f32 v[20:21], v[20:21], v[28:29]
	s_nop 0
	v_pk_fma_f32 v[24:25], v[8:9], v[2:3], v[20:21] neg_lo:[0,0,1] neg_hi:[0,0,1]
	v_pk_fma_f32 v[2:3], v[8:9], v[2:3], v[20:21]
	v_mov_b32_e32 v8, v55
	v_pk_mov_b32 v[2:3], v[24:25], v[2:3] op_sel:[1,0]
	v_mov_b32_e32 v9, v5
	v_pk_add_f32 v[2:3], v[6:7], v[2:3] neg_lo:[0,1] neg_hi:[0,1]
	v_mov_b32_e32 v6, v18
	s_waitcnt lgkmcnt(0)
	v_mov_b32_e32 v7, v26
	v_pk_mul_f32 v[6:7], v[6:7], v[8:9]
	v_mov_b32_e32 v8, v19
	v_mov_b32_e32 v9, v27
	;; [unrolled: 1-line block ×3, first 2 shown]
	v_mul_f32_e32 v5, v27, v5
	v_pk_fma_f32 v[6:7], v[8:9], v[54:55], v[6:7]
	v_fma_f32 v4, v26, v4, -v5
	v_sub_f32_e32 v4, v2, v4
	v_sub_f32_e32 v2, v3, v6
	;; [unrolled: 1-line block ×3, first 2 shown]
	v_mul_f32_e32 v2, v17, v57
	v_fma_f32 v6, v16, v56, -v2
	ds_read_b64 v[2:3], v143 offset:248
	v_mul_f32_e32 v7, v16, v57
	v_sub_f32_e32 v4, v4, v6
	v_fmac_f32_e32 v7, v17, v56
	v_sub_f32_e32 v5, v5, v7
	s_waitcnt lgkmcnt(0)
	v_mul_f32_e32 v6, v3, v131
	v_fma_f32 v6, v2, v130, -v6
	v_mul_f32_e32 v2, v2, v131
	v_fmac_f32_e32 v2, v3, v130
	v_sub_f32_e32 v5, v5, v2
	v_mul_f32_e32 v2, v15, v133
	v_sub_f32_e32 v4, v4, v6
	v_fma_f32 v6, v14, v132, -v2
	ds_read_b64 v[2:3], v102 offset:248
	v_mul_f32_e32 v7, v14, v133
	v_sub_f32_e32 v4, v4, v6
	v_fmac_f32_e32 v7, v15, v132
	v_sub_f32_e32 v5, v5, v7
	s_waitcnt lgkmcnt(0)
	v_mul_f32_e32 v6, v3, v135
	v_fma_f32 v6, v2, v134, -v6
	v_mul_f32_e32 v2, v2, v135
	v_fmac_f32_e32 v2, v3, v134
	v_sub_f32_e32 v5, v5, v2
	v_mul_f32_e32 v2, v13, v63
	v_sub_f32_e32 v4, v4, v6
	v_fma_f32 v6, v12, v62, -v2
	v_mov_b32_e32 v2, s4
	ds_read_b64 v[2:3], v2 offset:248
	v_mul_f32_e32 v7, v12, v63
	v_sub_f32_e32 v4, v4, v6
	v_fmac_f32_e32 v7, v13, v62
	v_sub_f32_e32 v5, v5, v7
	s_waitcnt lgkmcnt(0)
	v_mul_f32_e32 v6, v3, v69
	v_fma_f32 v6, v2, v68, -v6
	v_mul_f32_e32 v2, v2, v69
	v_fmac_f32_e32 v2, v3, v68
	s_or_b32 s4, s7, 31
	v_sub_f32_e32 v5, v5, v2
	v_mul_f32_e32 v2, v11, v23
	s_mul_i32 s5, s4, 0x208
	v_sub_f32_e32 v4, v4, v6
	v_fma_f32 v6, v10, v22, -v2
	v_mov_b32_e32 v2, s5
	ds_read_b64 v[2:3], v2
	v_mul_f32_e32 v7, v10, v23
	v_fmac_f32_e32 v7, v11, v22
	v_sub_f32_e32 v4, v4, v6
	v_sub_f32_e32 v6, v5, v7
	s_waitcnt lgkmcnt(0)
	v_pk_mul_f32 v[6:7], v[2:3], v[6:7] op_sel:[1,0] op_sel_hi:[0,0]
	v_pk_fma_f32 v[8:9], v[2:3], v[4:5], v[6:7] neg_lo:[0,0,1] neg_hi:[0,0,1]
	v_pk_fma_f32 v[2:3], v[2:3], v[4:5], v[6:7] op_sel_hi:[1,0,1]
	s_add_i32 s5, s7, 63
	v_lshl_add_u32 v2, s4, 9, v1
	s_add_i32 s4, s7, 32
	v_mov_b32_e32 v9, v3
	s_cmp_lt_i32 s5, s28
	ds_write_b64 v2, v[8:9]
	s_cbranch_scc0 .LBB175_74
; %bb.72:                               ;   in Loop: Header=BB175_66 Depth=1
	s_mov_b32 s7, s4
	s_branch .LBB175_66
.LBB175_73:                             ;   in Loop: Header=BB175_66 Depth=1
                                        ; implicit-def: $vgpr144_vgpr145
                                        ; implicit-def: $vgpr142_vgpr143
                                        ; implicit-def: $vgpr130_vgpr131
                                        ; implicit-def: $vgpr132_vgpr133
                                        ; implicit-def: $vgpr134_vgpr135
                                        ; implicit-def: $vgpr140_vgpr141
                                        ; implicit-def: $vgpr138_vgpr139
                                        ; implicit-def: $vgpr136_vgpr137
                                        ; implicit-def: $vgpr128_vgpr129
                                        ; implicit-def: $vgpr3
                                        ; implicit-def: $vgpr6
	s_cbranch_execnz .LBB175_70
	s_branch .LBB175_71
.LBB175_74:
	s_cmp_lt_i32 s4, s28
	s_cbranch_scc0 .LBB175_91
; %bb.75:
	s_add_i32 s5, s4, 3
	s_cmp_ge_i32 s5, s28
	s_cbranch_scc1 .LBB175_83
; %bb.76:
	v_mov_b32_e32 v2, 0x8000
	s_lshl_b32 s5, s4, 3
	v_lshl_or_b32 v10, v0, 3, v2
.LBB175_77:                             ; =>This Loop Header: Depth=1
                                        ;     Child Loop BB175_79 Depth 2
	s_lshl_b32 s6, s4, 9
	v_add_u32_e32 v11, s6, v1
	ds_read2st64_b64 v[6:9], v11 offset1:1
	ds_read2st64_b64 v[2:5], v11 offset0:2 offset1:3
	s_cmp_eq_u32 s4, 0
	s_waitcnt lgkmcnt(1)
	scratch_store_dwordx4 off, v[6:9], off
	s_waitcnt lgkmcnt(0)
	scratch_store_dwordx4 off, v[2:5], off offset:16
	s_cbranch_scc1 .LBB175_81
; %bb.78:                               ;   in Loop: Header=BB175_77 Depth=1
	v_mov_b32_e32 v12, v10
	s_mov_b32 s7, s5
	s_mov_b32 s10, s4
.LBB175_79:                             ;   Parent Loop BB175_77 Depth=1
                                        ; =>  This Inner Loop Header: Depth=2
	v_mov_b32_e32 v13, s7
	ds_read_b64 v[22:23], v12
	ds_read2_b64 v[14:17], v13 offset1:1
	ds_read2_b64 v[18:21], v13 offset0:2 offset1:3
	s_add_i32 s10, s10, -1
	s_addk_i32 s7, 0x200
	v_add_u32_e32 v12, 0x200, v12
	s_waitcnt lgkmcnt(1)
	v_pk_mul_f32 v[24:25], v[14:15], v[22:23] op_sel:[0,1]
	v_pk_mul_f32 v[26:27], v[16:17], v[22:23] op_sel:[0,1]
	s_waitcnt lgkmcnt(0)
	v_pk_mul_f32 v[28:29], v[18:19], v[22:23] op_sel:[0,1]
	v_pk_mul_f32 v[30:31], v[20:21], v[22:23] op_sel:[0,1]
	v_pk_fma_f32 v[32:33], v[14:15], v[22:23], v[24:25] op_sel:[0,0,1] op_sel_hi:[1,1,0] neg_lo:[0,0,1] neg_hi:[0,0,1]
	v_pk_fma_f32 v[14:15], v[14:15], v[22:23], v[24:25] op_sel:[0,0,1] op_sel_hi:[1,0,0]
	v_pk_fma_f32 v[24:25], v[16:17], v[22:23], v[26:27] op_sel:[0,0,1] op_sel_hi:[1,1,0] neg_lo:[0,0,1] neg_hi:[0,0,1]
	v_pk_fma_f32 v[16:17], v[16:17], v[22:23], v[26:27] op_sel:[0,0,1] op_sel_hi:[1,0,0]
	;; [unrolled: 2-line block ×4, first 2 shown]
	v_mov_b32_e32 v33, v15
	v_mov_b32_e32 v25, v17
	;; [unrolled: 1-line block ×4, first 2 shown]
	s_cmp_lg_u32 s10, 0
	v_pk_add_f32 v[6:7], v[6:7], v[32:33] neg_lo:[0,1] neg_hi:[0,1]
	v_pk_add_f32 v[8:9], v[8:9], v[24:25] neg_lo:[0,1] neg_hi:[0,1]
	;; [unrolled: 1-line block ×4, first 2 shown]
	s_cbranch_scc1 .LBB175_79
; %bb.80:                               ;   in Loop: Header=BB175_77 Depth=1
	scratch_store_dwordx4 off, v[6:9], off
	scratch_store_dwordx4 off, v[2:5], off offset:16
.LBB175_81:                             ;   in Loop: Header=BB175_77 Depth=1
	s_lshl_b32 s7, s4, 3
	s_add_i32 s10, s7, s6
	v_mov_b32_e32 v28, s10
	ds_read2_b64 v[12:15], v28 offset1:1
	ds_read2_b64 v[16:19], v28 offset0:2 offset1:3
	v_mov_b32_e32 v20, v7
	s_addk_i32 s6, 0x200
	s_add_i32 s5, s5, 32
	s_waitcnt lgkmcnt(1)
	v_pk_mul_f32 v[20:21], v[12:13], v[20:21] op_sel:[1,0] op_sel_hi:[0,0]
	v_pk_fma_f32 v[24:25], v[12:13], v[6:7], v[20:21] op_sel_hi:[1,0,1] neg_lo:[0,0,1] neg_hi:[0,0,1]
	v_pk_fma_f32 v[6:7], v[12:13], v[6:7], v[20:21] op_sel_hi:[1,0,1]
	ds_read2_b64 v[20:23], v28 offset0:65 offset1:66
	v_mul_f32_e32 v6, v15, v7
	v_mul_f32_e32 v12, v14, v7
	v_fma_f32 v6, v14, v24, -v6
	v_fmac_f32_e32 v12, v15, v24
	v_sub_f32_e32 v6, v8, v6
	v_sub_f32_e32 v8, v9, v12
	ds_read2_b64 v[12:15], v28 offset0:130 offset1:131
	s_waitcnt lgkmcnt(1)
	v_pk_mul_f32 v[8:9], v[20:21], v[8:9] op_sel:[1,0] op_sel_hi:[0,0]
	v_pk_fma_f32 v[26:27], v[20:21], v[6:7], v[8:9] op_sel_hi:[1,0,1] neg_lo:[0,0,1] neg_hi:[0,0,1]
	v_pk_fma_f32 v[8:9], v[20:21], v[6:7], v[8:9] op_sel_hi:[1,0,1]
	v_mov_b32_e32 v6, v24
	v_mov_b32_e32 v8, v26
	;; [unrolled: 1-line block ×3, first 2 shown]
	scratch_store_dwordx4 off, v[6:9], off
	v_mov_b32_e32 v25, v7
	s_nop 0
	v_add_u32_e32 v6, s6, v1
	ds_write_b64 v6, v[26:27]
	v_mul_f32_e32 v6, v17, v7
	v_mul_f32_e32 v8, v16, v7
	v_fma_f32 v6, v16, v24, -v6
	v_fmac_f32_e32 v8, v17, v24
	v_sub_f32_e32 v2, v2, v6
	v_sub_f32_e32 v3, v3, v8
	v_mul_f32_e32 v6, v23, v9
	v_mul_f32_e32 v8, v22, v9
	v_fma_f32 v6, v22, v26, -v6
	v_fmac_f32_e32 v8, v23, v26
	v_sub_f32_e32 v6, v2, v6
	v_sub_f32_e32 v2, v3, v8
	s_waitcnt lgkmcnt(1)
	v_pk_mul_f32 v[16:17], v[12:13], v[2:3] op_sel:[1,0] op_sel_hi:[0,0]
	s_add_i32 s6, s7, s6
	v_pk_fma_f32 v[2:3], v[12:13], v[6:7], v[16:17] op_sel_hi:[1,0,1] neg_lo:[0,0,1] neg_hi:[0,0,1]
	v_pk_fma_f32 v[12:13], v[12:13], v[6:7], v[16:17] op_sel_hi:[1,0,1]
	v_mov_b32_e32 v6, s6
	v_mov_b32_e32 v3, v13
	ds_write2st64_b64 v11, v[24:25], v[2:3] offset1:2
	v_mul_f32_e32 v3, v19, v7
	v_mul_f32_e32 v8, v18, v7
	ds_read_b64 v[6:7], v6 offset:24
	v_fma_f32 v3, v18, v24, -v3
	v_fmac_f32_e32 v8, v19, v24
	v_sub_f32_e32 v3, v4, v3
	v_sub_f32_e32 v8, v5, v8
	ds_read_b64 v[4:5], v28 offset:1560
	s_waitcnt lgkmcnt(1)
	v_mul_f32_e32 v12, v7, v9
	v_fma_f32 v12, v6, v26, -v12
	v_mul_f32_e32 v6, v6, v9
	v_fmac_f32_e32 v6, v7, v26
	v_sub_f32_e32 v7, v8, v6
	v_mul_f32_e32 v8, v14, v13
	v_mul_f32_e32 v6, v15, v13
	v_fmac_f32_e32 v8, v15, v2
	v_sub_f32_e32 v3, v3, v12
	v_fma_f32 v6, v14, v2, -v6
	v_sub_f32_e32 v8, v7, v8
	v_sub_f32_e32 v6, v3, v6
	s_waitcnt lgkmcnt(0)
	v_pk_mul_f32 v[8:9], v[4:5], v[8:9] op_sel:[1,0] op_sel_hi:[0,0]
	v_pk_fma_f32 v[14:15], v[4:5], v[6:7], v[8:9] neg_lo:[0,0,1] neg_hi:[0,0,1]
	v_pk_fma_f32 v[4:5], v[4:5], v[6:7], v[8:9] op_sel_hi:[1,0,1]
	s_add_i32 s6, s4, 4
	s_add_i32 s4, s4, 7
	v_mov_b32_e32 v15, v5
	v_mov_b32_e32 v3, v13
	;; [unrolled: 1-line block ×3, first 2 shown]
	s_cmp_lt_i32 s4, s28
	scratch_store_dwordx4 off, v[2:5], off offset:16
	ds_write_b64 v11, v[14:15] offset:1536
	s_cbranch_scc0 .LBB175_84
; %bb.82:                               ;   in Loop: Header=BB175_77 Depth=1
	s_mov_b32 s4, s6
	s_branch .LBB175_77
.LBB175_83:
	s_mov_b32 s6, s4
.LBB175_84:
	s_cmp_ge_i32 s6, s28
	s_cbranch_scc1 .LBB175_91
; %bb.85:
	v_mov_b32_e32 v2, 0x8000
	s_lshl_b32 s4, s6, 3
	v_lshl_or_b32 v5, v0, 3, v2
	s_branch .LBB175_88
.LBB175_86:                             ;   in Loop: Header=BB175_88 Depth=1
	scratch_store_dwordx2 off, v[2:3], off
.LBB175_87:                             ;   in Loop: Header=BB175_88 Depth=1
	s_lshl_b32 s7, s6, 3
	s_add_i32 s5, s7, s5
	v_mov_b32_e32 v4, v3
	v_mov_b32_e32 v3, s5
	ds_read_b64 v[8:9], v3
	s_add_i32 s6, s6, 1
	s_add_i32 s4, s4, 8
	s_cmp_ge_i32 s6, s28
	s_waitcnt lgkmcnt(0)
	v_pk_mul_f32 v[10:11], v[8:9], v[4:5] op_sel:[1,0] op_sel_hi:[0,0]
	v_pk_fma_f32 v[12:13], v[8:9], v[2:3], v[10:11] op_sel_hi:[1,0,1] neg_lo:[0,0,1] neg_hi:[0,0,1]
	v_pk_fma_f32 v[2:3], v[8:9], v[2:3], v[10:11] op_sel_hi:[1,0,1]
	s_nop 0
	v_mov_b32_e32 v13, v3
	scratch_store_dwordx2 off, v[12:13], off
	ds_write_b64 v6, v[12:13]
	s_cbranch_scc1 .LBB175_91
.LBB175_88:                             ; =>This Loop Header: Depth=1
                                        ;     Child Loop BB175_90 Depth 2
	s_lshl_b32 s5, s6, 9
	v_add_u32_e32 v6, s5, v1
	ds_read_b64 v[2:3], v6
	s_cmp_eq_u32 s6, 0
	s_waitcnt lgkmcnt(0)
	scratch_store_dwordx2 off, v[2:3], off
	s_cbranch_scc1 .LBB175_87
; %bb.89:                               ;   in Loop: Header=BB175_88 Depth=1
	v_mov_b32_e32 v4, v5
	s_mov_b32 s7, s4
	s_mov_b32 s10, s6
.LBB175_90:                             ;   Parent Loop BB175_88 Depth=1
                                        ; =>  This Inner Loop Header: Depth=2
	v_mov_b32_e32 v7, s7
	ds_read_b64 v[8:9], v4
	ds_read_b64 v[10:11], v7
	s_add_i32 s10, s10, -1
	s_addk_i32 s7, 0x200
	v_add_u32_e32 v4, 0x200, v4
	s_cmp_lg_u32 s10, 0
	s_waitcnt lgkmcnt(0)
	v_pk_mul_f32 v[12:13], v[10:11], v[8:9] op_sel:[1,1] op_sel_hi:[0,1]
	v_pk_fma_f32 v[14:15], v[10:11], v[8:9], v[12:13] neg_lo:[0,0,1] neg_hi:[0,0,1]
	v_pk_fma_f32 v[8:9], v[10:11], v[8:9], v[12:13] op_sel_hi:[1,0,1]
	s_nop 0
	v_mov_b32_e32 v15, v9
	v_pk_add_f32 v[2:3], v[2:3], v[14:15] neg_lo:[0,1] neg_hi:[0,1]
	s_cbranch_scc1 .LBB175_90
	s_branch .LBB175_86
.LBB175_91:
	s_waitcnt lgkmcnt(0)
	; wave barrier
	s_and_saveexec_b64 s[4:5], s[0:1]
	s_cbranch_execz .LBB175_95
; %bb.92:
	s_andn2_b64 vcc, exec, s[8:9]
	s_cbranch_vccnz .LBB175_95
; %bb.93:
	v_mad_i64_i32 v[2:3], s[0:1], s29, v0, 0
	v_mov_b32_e32 v1, 0x8000
	v_lshl_add_u64 v[2:3], v[2:3], 3, s[2:3]
	v_lshl_or_b32 v0, v0, 3, v1
.LBB175_94:                             ; =>This Inner Loop Header: Depth=1
	ds_read_b64 v[4:5], v0
	s_add_i32 s28, s28, -1
	v_add_u32_e32 v0, 0x200, v0
	s_cmp_lg_u32 s28, 0
	s_waitcnt lgkmcnt(0)
	flat_store_dwordx2 v[2:3], v[4:5]
	v_lshl_add_u64 v[2:3], v[2:3], 0, 8
	s_cbranch_scc1 .LBB175_94
.LBB175_95:
	s_endpgm
	.section	.rodata,"a",@progbits
	.p2align	6, 0x0
	.amdhsa_kernel _ZL38rocblas_trsm_small_left_device_sharedBILi64ELi32ELb1E19rocblas_complex_numIfES1_PKPKS1_PKPS1_Ev13rocblas_fill_18rocblas_operation_17rocblas_diagonal_iiT3_T4_lilT5_lili
		.amdhsa_group_segment_fixed_size 65536
		.amdhsa_private_segment_fixed_size 192
		.amdhsa_kernarg_size 360
		.amdhsa_user_sgpr_count 2
		.amdhsa_user_sgpr_dispatch_ptr 0
		.amdhsa_user_sgpr_queue_ptr 0
		.amdhsa_user_sgpr_kernarg_segment_ptr 1
		.amdhsa_user_sgpr_dispatch_id 0
		.amdhsa_user_sgpr_kernarg_preload_length 0
		.amdhsa_user_sgpr_kernarg_preload_offset 0
		.amdhsa_user_sgpr_private_segment_size 0
		.amdhsa_uses_dynamic_stack 0
		.amdhsa_enable_private_segment 1
		.amdhsa_system_sgpr_workgroup_id_x 1
		.amdhsa_system_sgpr_workgroup_id_y 0
		.amdhsa_system_sgpr_workgroup_id_z 1
		.amdhsa_system_sgpr_workgroup_info 0
		.amdhsa_system_vgpr_workitem_id 0
		.amdhsa_next_free_vgpr 257
		.amdhsa_next_free_sgpr 96
		.amdhsa_accum_offset 224
		.amdhsa_reserve_vcc 1
		.amdhsa_float_round_mode_32 0
		.amdhsa_float_round_mode_16_64 0
		.amdhsa_float_denorm_mode_32 3
		.amdhsa_float_denorm_mode_16_64 3
		.amdhsa_dx10_clamp 1
		.amdhsa_ieee_mode 1
		.amdhsa_fp16_overflow 0
		.amdhsa_tg_split 0
		.amdhsa_exception_fp_ieee_invalid_op 0
		.amdhsa_exception_fp_denorm_src 0
		.amdhsa_exception_fp_ieee_div_zero 0
		.amdhsa_exception_fp_ieee_overflow 0
		.amdhsa_exception_fp_ieee_underflow 0
		.amdhsa_exception_fp_ieee_inexact 0
		.amdhsa_exception_int_div_zero 0
	.end_amdhsa_kernel
	.section	.text._ZL38rocblas_trsm_small_left_device_sharedBILi64ELi32ELb1E19rocblas_complex_numIfES1_PKPKS1_PKPS1_Ev13rocblas_fill_18rocblas_operation_17rocblas_diagonal_iiT3_T4_lilT5_lili,"axG",@progbits,_ZL38rocblas_trsm_small_left_device_sharedBILi64ELi32ELb1E19rocblas_complex_numIfES1_PKPKS1_PKPS1_Ev13rocblas_fill_18rocblas_operation_17rocblas_diagonal_iiT3_T4_lilT5_lili,comdat
.Lfunc_end175:
	.size	_ZL38rocblas_trsm_small_left_device_sharedBILi64ELi32ELb1E19rocblas_complex_numIfES1_PKPKS1_PKPS1_Ev13rocblas_fill_18rocblas_operation_17rocblas_diagonal_iiT3_T4_lilT5_lili, .Lfunc_end175-_ZL38rocblas_trsm_small_left_device_sharedBILi64ELi32ELb1E19rocblas_complex_numIfES1_PKPKS1_PKPS1_Ev13rocblas_fill_18rocblas_operation_17rocblas_diagonal_iiT3_T4_lilT5_lili
                                        ; -- End function
	.set _ZL38rocblas_trsm_small_left_device_sharedBILi64ELi32ELb1E19rocblas_complex_numIfES1_PKPKS1_PKPS1_Ev13rocblas_fill_18rocblas_operation_17rocblas_diagonal_iiT3_T4_lilT5_lili.num_vgpr, 222
	.set _ZL38rocblas_trsm_small_left_device_sharedBILi64ELi32ELb1E19rocblas_complex_numIfES1_PKPKS1_PKPS1_Ev13rocblas_fill_18rocblas_operation_17rocblas_diagonal_iiT3_T4_lilT5_lili.num_agpr, 0
	.set _ZL38rocblas_trsm_small_left_device_sharedBILi64ELi32ELb1E19rocblas_complex_numIfES1_PKPKS1_PKPS1_Ev13rocblas_fill_18rocblas_operation_17rocblas_diagonal_iiT3_T4_lilT5_lili.numbered_sgpr, 35
	.set _ZL38rocblas_trsm_small_left_device_sharedBILi64ELi32ELb1E19rocblas_complex_numIfES1_PKPKS1_PKPS1_Ev13rocblas_fill_18rocblas_operation_17rocblas_diagonal_iiT3_T4_lilT5_lili.num_named_barrier, 0
	.set _ZL38rocblas_trsm_small_left_device_sharedBILi64ELi32ELb1E19rocblas_complex_numIfES1_PKPKS1_PKPS1_Ev13rocblas_fill_18rocblas_operation_17rocblas_diagonal_iiT3_T4_lilT5_lili.private_seg_size, 192
	.set _ZL38rocblas_trsm_small_left_device_sharedBILi64ELi32ELb1E19rocblas_complex_numIfES1_PKPKS1_PKPS1_Ev13rocblas_fill_18rocblas_operation_17rocblas_diagonal_iiT3_T4_lilT5_lili.uses_vcc, 1
	.set _ZL38rocblas_trsm_small_left_device_sharedBILi64ELi32ELb1E19rocblas_complex_numIfES1_PKPKS1_PKPS1_Ev13rocblas_fill_18rocblas_operation_17rocblas_diagonal_iiT3_T4_lilT5_lili.uses_flat_scratch, 0
	.set _ZL38rocblas_trsm_small_left_device_sharedBILi64ELi32ELb1E19rocblas_complex_numIfES1_PKPKS1_PKPS1_Ev13rocblas_fill_18rocblas_operation_17rocblas_diagonal_iiT3_T4_lilT5_lili.has_dyn_sized_stack, 0
	.set _ZL38rocblas_trsm_small_left_device_sharedBILi64ELi32ELb1E19rocblas_complex_numIfES1_PKPKS1_PKPS1_Ev13rocblas_fill_18rocblas_operation_17rocblas_diagonal_iiT3_T4_lilT5_lili.has_recursion, 0
	.set _ZL38rocblas_trsm_small_left_device_sharedBILi64ELi32ELb1E19rocblas_complex_numIfES1_PKPKS1_PKPS1_Ev13rocblas_fill_18rocblas_operation_17rocblas_diagonal_iiT3_T4_lilT5_lili.has_indirect_call, 0
	.section	.AMDGPU.csdata,"",@progbits
; Kernel info:
; codeLenInByte = 69420
; TotalNumSgprs: 41
; NumVgprs: 222
; NumAgprs: 0
; TotalNumVgprs: 222
; ScratchSize: 192
; MemoryBound: 0
; FloatMode: 240
; IeeeMode: 1
; LDSByteSize: 65536 bytes/workgroup (compile time only)
; SGPRBlocks: 12
; VGPRBlocks: 32
; NumSGPRsForWavesPerEU: 102
; NumVGPRsForWavesPerEU: 257
; AccumOffset: 224
; Occupancy: 1
; WaveLimiterHint : 1
; COMPUTE_PGM_RSRC2:SCRATCH_EN: 1
; COMPUTE_PGM_RSRC2:USER_SGPR: 2
; COMPUTE_PGM_RSRC2:TRAP_HANDLER: 0
; COMPUTE_PGM_RSRC2:TGID_X_EN: 1
; COMPUTE_PGM_RSRC2:TGID_Y_EN: 0
; COMPUTE_PGM_RSRC2:TGID_Z_EN: 1
; COMPUTE_PGM_RSRC2:TIDIG_COMP_CNT: 0
; COMPUTE_PGM_RSRC3_GFX90A:ACCUM_OFFSET: 55
; COMPUTE_PGM_RSRC3_GFX90A:TG_SPLIT: 0
	.section	.text._ZL30rocblas_trsm_small_left_deviceILi64ELi32ELb1E19rocblas_complex_numIfES1_PKPKS1_PKPS1_Ev13rocblas_fill_18rocblas_operation_17rocblas_diagonal_iiT3_T4_lilT5_lili,"axG",@progbits,_ZL30rocblas_trsm_small_left_deviceILi64ELi32ELb1E19rocblas_complex_numIfES1_PKPKS1_PKPS1_Ev13rocblas_fill_18rocblas_operation_17rocblas_diagonal_iiT3_T4_lilT5_lili,comdat
	.globl	_ZL30rocblas_trsm_small_left_deviceILi64ELi32ELb1E19rocblas_complex_numIfES1_PKPKS1_PKPS1_Ev13rocblas_fill_18rocblas_operation_17rocblas_diagonal_iiT3_T4_lilT5_lili ; -- Begin function _ZL30rocblas_trsm_small_left_deviceILi64ELi32ELb1E19rocblas_complex_numIfES1_PKPKS1_PKPS1_Ev13rocblas_fill_18rocblas_operation_17rocblas_diagonal_iiT3_T4_lilT5_lili
	.p2align	8
	.type	_ZL30rocblas_trsm_small_left_deviceILi64ELi32ELb1E19rocblas_complex_numIfES1_PKPKS1_PKPS1_Ev13rocblas_fill_18rocblas_operation_17rocblas_diagonal_iiT3_T4_lilT5_lili,@function
_ZL30rocblas_trsm_small_left_deviceILi64ELi32ELb1E19rocblas_complex_numIfES1_PKPKS1_PKPS1_Ev13rocblas_fill_18rocblas_operation_17rocblas_diagonal_iiT3_T4_lilT5_lili: ; @_ZL30rocblas_trsm_small_left_deviceILi64ELi32ELb1E19rocblas_complex_numIfES1_PKPKS1_PKPS1_Ev13rocblas_fill_18rocblas_operation_17rocblas_diagonal_iiT3_T4_lilT5_lili
; %bb.0:
	s_load_dwordx4 s[8:11], s[0:1], 0x40
	s_load_dwordx4 s[4:7], s[0:1], 0x4
	s_load_dwordx2 s[12:13], s[0:1], 0x14
	s_mov_b32 s14, s3
	s_mov_b32 s15, 0
	s_lshl_b64 s[18:19], s[14:15], 3
	s_waitcnt lgkmcnt(0)
	s_add_u32 s8, s8, s18
	s_addc_u32 s9, s9, s19
	s_load_dword s3, s[0:1], 0x68
	s_min_i32 s30, s6, 64
	s_load_dwordx2 s[8:9], s[8:9], 0x0
	v_cmp_gt_i32_e32 vcc, s30, v0
	s_and_saveexec_b64 s[14:15], vcc
	s_cbranch_execz .LBB176_15
; %bb.1:
	s_load_dword s24, s[0:1], 0x30
	s_load_dwordx4 s[20:23], s[0:1], 0x20
	v_lshlrev_b32_e32 v2, 3, v0
	v_mov_b32_e32 v3, 0
	v_mov_b32_e32 v1, v2
	s_waitcnt lgkmcnt(0)
	s_ashr_i32 s25, s24, 31
	s_cmpk_lg_i32 s4, 0x71
	s_cselect_b64 s[16:17], -1, 0
	s_add_u32 s18, s20, s18
	s_addc_u32 s19, s21, s19
	s_load_dwordx2 s[18:19], s[18:19], 0x0
	s_lshl_b64 s[20:21], s[22:23], 3
	s_mov_b32 s6, s30
	s_waitcnt lgkmcnt(0)
	s_add_u32 s20, s18, s20
	s_addc_u32 s21, s19, s21
	s_lshl_b64 s[18:19], s[24:25], 3
	v_lshl_add_u64 v[4:5], s[20:21], 0, v[2:3]
	s_branch .LBB176_3
.LBB176_2:                              ;   in Loop: Header=BB176_3 Depth=1
	flat_load_dword v6, v[4:5]
	s_add_i32 s6, s6, -1
	v_lshl_add_u64 v[4:5], v[4:5], 0, s[18:19]
	s_cmp_eq_u32 s6, 0
	s_waitcnt vmcnt(0) lgkmcnt(0)
	ds_write_b64 v1, v[6:7]
	v_add_u32_e32 v1, 0x200, v1
	s_cbranch_scc1 .LBB176_7
.LBB176_3:                              ; =>This Inner Loop Header: Depth=1
	s_mov_b64 s[20:21], -1
	s_and_b64 vcc, exec, s[16:17]
                                        ; implicit-def: $vgpr7
	s_cbranch_vccz .LBB176_5
; %bb.4:                                ;   in Loop: Header=BB176_3 Depth=1
	flat_load_dword v7, v[4:5] offset:4
	s_mov_b64 s[20:21], 0
.LBB176_5:                              ;   in Loop: Header=BB176_3 Depth=1
	s_andn2_b64 vcc, exec, s[20:21]
	s_cbranch_vccnz .LBB176_2
; %bb.6:                                ;   in Loop: Header=BB176_3 Depth=1
	flat_load_dword v3, v[4:5] offset:4
	s_waitcnt vmcnt(0) lgkmcnt(0)
	v_xor_b32_e32 v7, 0x80000000, v3
	s_branch .LBB176_2
.LBB176_7:
	s_cmpk_lg_i32 s5, 0x84
	v_lshlrev_b32_e32 v1, 9, v0
	s_mov_b64 s[16:17], -1
	s_cbranch_scc0 .LBB176_13
; %bb.8:
	v_add_u32_e32 v3, v2, v1
	ds_read_b64 v[4:5], v3
                                        ; implicit-def: $vgpr6_vgpr7
	s_waitcnt lgkmcnt(0)
	v_cmp_ngt_f32_e64 s[16:17], |v4|, |v5|
	s_and_saveexec_b64 s[18:19], s[16:17]
	s_xor_b64 s[16:17], exec, s[18:19]
	s_cbranch_execz .LBB176_10
; %bb.9:
	v_div_scale_f32 v6, s[18:19], v5, v5, v4
	v_rcp_f32_e32 v7, v6
	v_div_scale_f32 v8, vcc, v4, v5, v4
	v_fma_f32 v9, -v6, v7, 1.0
	v_fmac_f32_e32 v7, v9, v7
	v_mul_f32_e32 v9, v8, v7
	v_fma_f32 v10, -v6, v9, v8
	v_fmac_f32_e32 v9, v10, v7
	v_fma_f32 v6, -v6, v9, v8
	v_div_fmas_f32 v6, v6, v7, v9
	v_div_fixup_f32 v6, v6, v5, v4
	v_fmac_f32_e32 v5, v4, v6
	v_div_scale_f32 v4, s[18:19], v5, v5, 1.0
	v_rcp_f32_e32 v7, v4
	s_mov_b32 s18, 0
	s_mov_b32 s19, -1.0
	v_fma_f32 v8, -v4, v7, 1.0
	v_fmac_f32_e32 v7, v8, v7
	v_div_scale_f32 v8, vcc, 1.0, v5, 1.0
	v_mul_f32_e32 v9, v8, v7
	v_fma_f32 v10, -v4, v9, v8
	v_fmac_f32_e32 v9, v10, v7
	v_fma_f32 v4, -v4, v9, v8
	v_div_fmas_f32 v4, v4, v7, v9
	v_mul_f32_e32 v7, 0, v6
	v_div_fixup_f32 v4, v4, v5, 1.0
	v_pk_add_f32 v[6:7], v[6:7], s[18:19]
	s_nop 0
	v_pk_mul_f32 v[6:7], v[6:7], v[4:5] op_sel_hi:[1,0]
                                        ; implicit-def: $vgpr4_vgpr5
.LBB176_10:
	s_andn2_saveexec_b64 s[16:17], s[16:17]
	s_cbranch_execz .LBB176_12
; %bb.11:
	v_div_scale_f32 v6, s[18:19], v4, v4, v5
	v_rcp_f32_e32 v7, v6
	v_div_scale_f32 v8, vcc, v5, v4, v5
	v_fma_f32 v9, -v6, v7, 1.0
	v_fmac_f32_e32 v7, v9, v7
	v_mul_f32_e32 v9, v8, v7
	v_fma_f32 v10, -v6, v9, v8
	v_fmac_f32_e32 v9, v10, v7
	v_fma_f32 v6, -v6, v9, v8
	v_div_fmas_f32 v6, v6, v7, v9
	v_div_fixup_f32 v7, v6, v4, v5
	v_fmac_f32_e32 v4, v5, v7
	v_div_scale_f32 v5, s[18:19], v4, v4, 1.0
	v_rcp_f32_e32 v6, v5
	s_nop 0
	v_fma_f32 v8, -v5, v6, 1.0
	v_fmac_f32_e32 v6, v8, v6
	v_div_scale_f32 v8, vcc, 1.0, v4, 1.0
	v_mul_f32_e32 v9, v8, v6
	v_fma_f32 v10, -v5, v9, v8
	v_fmac_f32_e32 v9, v10, v6
	v_fma_f32 v5, -v5, v9, v8
	v_div_fmas_f32 v5, v5, v6, v9
	v_div_fixup_f32 v4, v5, v4, 1.0
	v_mul_f32_e32 v5, 0, v7
	v_add_f32_e32 v6, 1.0, v5
	v_sub_f32_e32 v7, 0, v7
	v_pk_mul_f32 v[6:7], v[6:7], v[4:5] op_sel_hi:[1,0]
.LBB176_12:
	s_or_b64 exec, exec, s[16:17]
	s_mov_b64 s[16:17], 0
	ds_write_b64 v3, v[6:7]
.LBB176_13:
	s_and_b64 vcc, exec, s[16:17]
	s_cbranch_vccz .LBB176_15
; %bb.14:
	v_add_u32_e32 v1, v2, v1
	v_mov_b32_e32 v2, 1.0
	v_mov_b32_e32 v3, 0
	ds_write_b64 v1, v[2:3]
.LBB176_15:
	s_or_b64 exec, exec, s[14:15]
	s_lshl_b32 s5, s2, 6
	s_waitcnt lgkmcnt(0)
	s_add_i32 s3, s3, -1
	s_sub_i32 s6, s7, s5
	s_cmp_ge_u32 s2, s3
	s_cselect_b32 s2, s6, 64
	v_cmp_gt_i32_e32 vcc, s2, v0
	; wave barrier
	s_and_saveexec_b64 s[2:3], vcc
	s_cbranch_execz .LBB176_83
; %bb.16:
	s_load_dword s6, s[0:1], 0x50
	s_lshl_b64 s[2:3], s[10:11], 3
	s_add_u32 s0, s8, s2
	v_add_u32_e32 v0, s5, v0
	s_addc_u32 s1, s9, s3
	s_waitcnt lgkmcnt(0)
	v_mad_i64_i32 v[2:3], s[6:7], s6, v0, 0
	v_lshl_add_u64 v[0:1], v[2:3], 3, s[0:1]
	s_cmpk_eq_i32 s4, 0x6f
	s_mov_b64 s[0:1], -1
	s_cbranch_scc1 .LBB176_50
; %bb.17:
	s_add_i32 s31, s30, -1
	s_add_u32 s0, s8, s2
	s_addc_u32 s1, s9, s3
	s_lshl_b32 s33, s30, 3
	s_mov_b32 s15, 0
	s_mov_b32 s4, s12
	;; [unrolled: 1-line block ×7, first 2 shown]
	v_lshl_add_u64 v[4:5], v[2:3], 3, s[0:1]
	s_add_i32 s33, s33, -8
	s_mov_b32 s16, s15
	s_mov_b32 s18, s31
	s_branch .LBB176_19
.LBB176_18:                             ;   in Loop: Header=BB176_19 Depth=1
	s_cmp_lt_i32 s18, 0
	s_cselect_b64 s[0:1], -1, 0
	s_add_i32 s16, s16, 1
	s_cmp_eq_u32 s16, 3
	s_cselect_b64 s[20:21], -1, 0
	s_or_b64 s[0:1], s[0:1], s[20:21]
	s_andn2_b64 vcc, exec, s[0:1]
	s_cbranch_vccz .LBB176_49
.LBB176_19:                             ; =>This Loop Header: Depth=1
                                        ;     Child Loop BB176_22 Depth 2
                                        ;       Child Loop BB176_24 Depth 3
                                        ;       Child Loop BB176_28 Depth 3
	;; [unrolled: 1-line block ×3, first 2 shown]
                                        ;         Child Loop BB176_34 Depth 4
                                        ;         Child Loop BB176_40 Depth 4
                                        ;       Child Loop BB176_43 Depth 3
                                        ;         Child Loop BB176_45 Depth 4
	s_mov_b32 s17, s15
	s_lshl_b64 s[0:1], s[16:17], 2
	s_getpc_b64 s[20:21]
	s_add_u32 s20, s20, __const._ZL30rocblas_trsm_small_left_deviceILi64ELi32ELb1E19rocblas_complex_numIfES1_PKPKS1_PKPS1_Ev13rocblas_fill_18rocblas_operation_17rocblas_diagonal_iiT3_T4_lilT5_lili.step_sizes@rel32@lo+4
	s_addc_u32 s21, s21, __const._ZL30rocblas_trsm_small_left_deviceILi64ELi32ELb1E19rocblas_complex_numIfES1_PKPKS1_PKPS1_Ev13rocblas_fill_18rocblas_operation_17rocblas_diagonal_iiT3_T4_lilT5_lili.step_sizes@rel32@hi+12
	s_add_u32 s0, s20, s0
	s_addc_u32 s1, s21, s1
	s_load_dword s17, s[0:1], 0x0
	s_waitcnt lgkmcnt(0)
	s_add_i32 s34, s17, -1
	s_cmp_lt_i32 s18, s34
	s_cbranch_scc1 .LBB176_18
; %bb.20:                               ;   in Loop: Header=BB176_19 Depth=1
	s_max_i32 s35, s17, 1
	s_cmp_lg_u32 s16, 2
	s_cselect_b64 s[20:21], -1, 0
	s_and_b32 s36, s35, 0x7ffffffe
	s_cmp_lg_u32 s35, s36
	s_cselect_b64 s[22:23], -1, 0
	s_lshl_b32 s0, s18, 9
	s_add_i32 s37, s33, s0
	s_lshl_b32 s0, s17, 9
	v_cndmask_b32_e64 v6, 0, 1, s[20:21]
	s_sub_i32 s38, 0, s0
	s_mul_i32 s39, s18, 0x208
	s_mul_i32 s40, s17, 0xfffffdf8
	v_cmp_ne_u32_e64 s[0:1], 1, v6
	s_branch .LBB176_22
.LBB176_21:                             ;   in Loop: Header=BB176_22 Depth=2
	s_sub_i32 s18, s18, s17
	s_add_i32 s37, s37, s38
	s_add_i32 s39, s39, s40
	s_cmp_lt_i32 s18, s34
	s_cbranch_scc1 .LBB176_18
.LBB176_22:                             ;   Parent Loop BB176_19 Depth=1
                                        ; =>  This Loop Header: Depth=2
                                        ;       Child Loop BB176_24 Depth 3
                                        ;       Child Loop BB176_28 Depth 3
	;; [unrolled: 1-line block ×3, first 2 shown]
                                        ;         Child Loop BB176_34 Depth 4
                                        ;         Child Loop BB176_40 Depth 4
                                        ;       Child Loop BB176_43 Depth 3
                                        ;         Child Loop BB176_45 Depth 4
	s_and_b64 vcc, exec, s[0:1]
	s_cbranch_vccnz .LBB176_26
; %bb.23:                               ;   in Loop: Header=BB176_22 Depth=2
	s_mov_b32 s19, 0
	s_mov_b32 s26, s18
	;; [unrolled: 1-line block ×5, first 2 shown]
.LBB176_24:                             ;   Parent Loop BB176_19 Depth=1
                                        ;     Parent Loop BB176_22 Depth=2
                                        ; =>    This Inner Loop Header: Depth=3
	s_sub_i32 s24, s18, s28
	s_sub_i32 s42, s26, s27
	s_ashr_i32 s25, s24, 31
	s_ashr_i32 s43, s42, 31
	v_lshl_add_u64 v[6:7], s[24:25], 3, v[0:1]
	v_lshl_add_u64 v[8:9], s[42:43], 3, v[0:1]
	flat_load_dwordx2 v[12:13], v[6:7]
	flat_load_dwordx2 v[10:11], v[8:9]
	s_add_i32 s28, s28, 2
	s_add_i32 s27, s27, 2
	s_add_i32 s29, s29, -2
	s_mov_b32 s14, s36
	s_mov_b64 s[24:25], s[22:23]
	s_waitcnt vmcnt(0) lgkmcnt(0)
	v_mov_b32_e32 v6, v12
	v_mov_b32_e32 v7, v10
	v_mov_b32_e32 v10, v13
	v_pk_mul_f32 v[8:9], v[10:11], s[6:7]
	v_pk_mul_f32 v[10:11], v[10:11], s[4:5]
	v_pk_fma_f32 v[12:13], v[6:7], s[4:5], v[8:9] neg_lo:[0,0,1] neg_hi:[0,0,1]
	v_pk_fma_f32 v[8:9], v[6:7], s[6:7], v[10:11]
	v_mov_b32_e32 v6, v12
	v_mov_b32_e32 v7, v8
	;; [unrolled: 1-line block ×3, first 2 shown]
	scratch_store_dwordx4 off, v[6:9], s19
	s_add_i32 s19, s19, 16
	s_cmp_lg_u32 s29, 0
	s_cbranch_scc1 .LBB176_24
; %bb.25:                               ;   in Loop: Header=BB176_22 Depth=2
	s_ashr_i32 s19, s18, 31
	s_and_b64 vcc, exec, s[24:25]
	s_cbranch_vccnz .LBB176_27
	s_branch .LBB176_29
.LBB176_26:                             ;   in Loop: Header=BB176_22 Depth=2
	s_mov_b32 s14, 0
	s_ashr_i32 s19, s18, 31
	s_cbranch_execz .LBB176_29
.LBB176_27:                             ;   in Loop: Header=BB176_22 Depth=2
	s_lshl_b64 s[26:27], s[18:19], 3
	s_sub_i32 s24, s35, s14
	s_lshl_b64 s[28:29], s[14:15], 3
	s_sub_u32 s26, s26, s28
	s_subb_u32 s27, s27, s29
	v_lshl_add_u64 v[6:7], v[4:5], 0, s[26:27]
	s_lshl_b32 s14, s14, 3
.LBB176_28:                             ;   Parent Loop BB176_19 Depth=1
                                        ;     Parent Loop BB176_22 Depth=2
                                        ; =>    This Inner Loop Header: Depth=3
	flat_load_dwordx2 v[8:9], v[6:7]
	s_add_i32 s24, s24, -1
	v_lshl_add_u64 v[6:7], v[6:7], 0, -8
	s_waitcnt vmcnt(0) lgkmcnt(0)
	v_pk_mul_f32 v[10:11], v[8:9], s[10:11] op_sel:[1,0]
	s_nop 0
	v_pk_fma_f32 v[12:13], v[8:9], s[12:13], v[10:11] neg_lo:[0,0,1] neg_hi:[0,0,1]
	v_pk_fma_f32 v[8:9], v[8:9], s[12:13], v[10:11] op_sel_hi:[0,1,1]
	v_mov_b32_e32 v13, v9
	scratch_store_dwordx2 off, v[12:13], s14
	s_add_i32 s14, s14, 8
	s_cmp_eq_u32 s24, 0
	s_cbranch_scc0 .LBB176_28
.LBB176_29:                             ;   in Loop: Header=BB176_22 Depth=2
	s_cmp_le_i32 s31, s18
	s_cbranch_scc1 .LBB176_41
; %bb.30:                               ;   in Loop: Header=BB176_22 Depth=2
	s_mov_b32 s14, s18
	s_mov_b32 s41, s18
	;; [unrolled: 1-line block ×4, first 2 shown]
	s_branch .LBB176_32
.LBB176_31:                             ;   in Loop: Header=BB176_32 Depth=3
	s_add_i32 s24, s24, -1
	s_add_i32 s42, s42, -8
	s_cmp_le_i32 s24, s18
	s_cbranch_scc1 .LBB176_41
.LBB176_32:                             ;   Parent Loop BB176_19 Depth=1
                                        ;     Parent Loop BB176_22 Depth=2
                                        ; =>    This Loop Header: Depth=3
                                        ;         Child Loop BB176_34 Depth 4
                                        ;         Child Loop BB176_40 Depth 4
	s_ashr_i32 s25, s24, 31
	v_lshl_add_u64 v[6:7], s[24:25], 3, v[0:1]
	flat_load_dwordx2 v[6:7], v[6:7]
	s_and_b64 vcc, exec, s[20:21]
	s_cbranch_vccz .LBB176_36
; %bb.33:                               ;   in Loop: Header=BB176_32 Depth=3
	s_lshl_b32 s25, s24, 3
	s_waitcnt vmcnt(0) lgkmcnt(0)
	v_mov_b32_e32 v10, v6
	v_mov_b32_e32 v11, v6
	;; [unrolled: 1-line block ×3, first 2 shown]
	s_mov_b32 s26, 0
	v_mov_b32_e32 v12, v7
	v_mov_b32_e32 v13, v7
	s_mov_b32 s27, 1
	s_mov_b32 s28, 0
	;; [unrolled: 1-line block ×3, first 2 shown]
.LBB176_34:                             ;   Parent Loop BB176_19 Depth=1
                                        ;     Parent Loop BB176_22 Depth=2
                                        ;       Parent Loop BB176_32 Depth=3
                                        ; =>      This Inner Loop Header: Depth=4
	scratch_load_dwordx4 v[14:17], off, s26
	s_sub_i32 s43, s14, s28
	s_sub_i32 s44, s41, s27
	s_lshl_b32 s44, s44, 9
	s_lshl_b32 s43, s43, 9
	s_add_i32 s43, s25, s43
	s_add_i32 s44, s25, s44
	v_mov_b32_e32 v9, s43
	v_mov_b32_e32 v18, s44
	ds_read_b64 v[22:23], v9
	ds_read_b64 v[18:19], v18
	s_add_i32 s28, s28, 2
	s_add_i32 s27, s27, 2
	s_add_i32 s29, s29, -2
	s_waitcnt lgkmcnt(1)
	v_mov_b32_e32 v20, v22
	s_waitcnt lgkmcnt(0)
	v_mov_b32_e32 v21, v18
	v_mov_b32_e32 v18, v23
	v_pk_mul_f32 v[22:23], v[18:19], v[12:13]
	v_pk_mul_f32 v[18:19], v[18:19], v[10:11]
	v_pk_fma_f32 v[22:23], v[20:21], v[10:11], v[22:23] neg_lo:[0,0,1] neg_hi:[0,0,1]
	v_pk_fma_f32 v[18:19], v[20:21], v[12:13], v[18:19]
	s_waitcnt vmcnt(0)
	v_mov_b32_e32 v20, v14
	v_mov_b32_e32 v21, v16
	;; [unrolled: 1-line block ×3, first 2 shown]
	v_pk_add_f32 v[20:21], v[20:21], v[22:23] neg_lo:[0,1] neg_hi:[0,1]
	v_pk_add_f32 v[16:17], v[16:17], v[18:19] neg_lo:[0,1] neg_hi:[0,1]
	v_mov_b32_e32 v14, v20
	v_mov_b32_e32 v15, v16
	;; [unrolled: 1-line block ×3, first 2 shown]
	scratch_store_dwordx4 off, v[14:17], s26
	s_add_i32 s26, s26, 16
	s_cmp_lg_u32 s29, 0
	s_cbranch_scc1 .LBB176_34
; %bb.35:                               ;   in Loop: Header=BB176_32 Depth=3
	s_mov_b64 s[26:27], s[22:23]
	s_mov_b32 s28, s36
	s_branch .LBB176_38
.LBB176_36:                             ;   in Loop: Header=BB176_32 Depth=3
	s_waitcnt vmcnt(0) lgkmcnt(0)
	v_mov_b32_e32 v8, v7
	s_mov_b64 s[26:27], 0
	s_mov_b32 s28, s36
	s_cbranch_execz .LBB176_38
; %bb.37:                               ;   in Loop: Header=BB176_32 Depth=3
	s_mov_b64 s[26:27], -1
	s_mov_b32 s28, 0
.LBB176_38:                             ;   in Loop: Header=BB176_32 Depth=3
	s_andn2_b64 vcc, exec, s[26:27]
	s_cbranch_vccnz .LBB176_31
; %bb.39:                               ;   in Loop: Header=BB176_32 Depth=3
	s_lshl_b32 s26, s28, 9
	v_mov_b32_e32 v9, v7
	v_mov_b32_e32 v7, v6
	s_sub_i32 s25, s35, s28
	s_sub_i32 s26, s42, s26
	s_lshl_b32 s27, s28, 3
.LBB176_40:                             ;   Parent Loop BB176_19 Depth=1
                                        ;     Parent Loop BB176_22 Depth=2
                                        ;       Parent Loop BB176_32 Depth=3
                                        ; =>      This Inner Loop Header: Depth=4
	scratch_load_dwordx2 v[10:11], off, s27
	v_mov_b32_e32 v12, s26
	ds_read_b64 v[12:13], v12
	s_add_i32 s25, s25, -1
	s_addk_i32 s26, 0xfe00
	s_waitcnt lgkmcnt(0)
	v_pk_mul_f32 v[14:15], v[12:13], v[8:9] op_sel:[1,0] op_sel_hi:[0,1]
	v_pk_fma_f32 v[16:17], v[12:13], v[6:7], v[14:15] neg_lo:[0,0,1] neg_hi:[0,0,1]
	v_pk_fma_f32 v[12:13], v[12:13], v[6:7], v[14:15]
	s_nop 0
	v_mov_b32_e32 v17, v13
	s_waitcnt vmcnt(0)
	v_pk_add_f32 v[10:11], v[10:11], v[16:17] neg_lo:[0,1] neg_hi:[0,1]
	scratch_store_dwordx2 off, v[10:11], s27
	s_add_i32 s27, s27, 8
	s_cmp_eq_u32 s25, 0
	s_cbranch_scc0 .LBB176_40
	s_branch .LBB176_31
.LBB176_41:                             ;   in Loop: Header=BB176_22 Depth=2
	s_mov_b32 s14, 0
	s_mov_b32 s41, s39
	s_branch .LBB176_43
.LBB176_42:                             ;   in Loop: Header=BB176_43 Depth=3
	s_mulk_i32 s26, 0x208
	v_mov_b32_e32 v7, s26
	ds_read_b64 v[10:11], v7
	s_lshl_b32 s26, s14, 3
	s_add_i32 s14, s14, 1
	s_addk_i32 s41, 0xfe00
	v_lshl_add_u64 v[12:13], s[24:25], 3, v[0:1]
	s_waitcnt lgkmcnt(0)
	v_pk_mul_f32 v[8:9], v[10:11], v[8:9] op_sel:[1,0] op_sel_hi:[0,0]
	v_pk_fma_f32 v[14:15], v[10:11], v[6:7], v[8:9] neg_lo:[0,0,1] neg_hi:[0,0,1]
	v_pk_fma_f32 v[6:7], v[10:11], v[6:7], v[8:9] op_sel_hi:[1,0,1]
	s_cmp_eq_u32 s14, s35
	v_mov_b32_e32 v15, v7
	scratch_store_dwordx2 off, v[14:15], s26
	flat_store_dwordx2 v[12:13], v[14:15]
	s_cbranch_scc1 .LBB176_21
.LBB176_43:                             ;   Parent Loop BB176_19 Depth=1
                                        ;     Parent Loop BB176_22 Depth=2
                                        ; =>    This Loop Header: Depth=3
                                        ;         Child Loop BB176_45 Depth 4
	s_cmp_lg_u32 s14, 0
	s_cbranch_scc0 .LBB176_47
; %bb.44:                               ;   in Loop: Header=BB176_43 Depth=3
	s_lshl_b32 s24, s14, 3
	scratch_load_dwordx2 v[6:7], off, s24
	s_mov_b32 s25, 0
	s_mov_b32 s26, s41
	;; [unrolled: 1-line block ×3, first 2 shown]
.LBB176_45:                             ;   Parent Loop BB176_19 Depth=1
                                        ;     Parent Loop BB176_22 Depth=2
                                        ;       Parent Loop BB176_43 Depth=3
                                        ; =>      This Inner Loop Header: Depth=4
	scratch_load_dwordx2 v[8:9], off, s25
	v_mov_b32_e32 v10, s26
	ds_read_b64 v[10:11], v10
	s_add_i32 s27, s27, -1
	s_add_i32 s26, s26, -8
	s_add_i32 s25, s25, 8
	s_cmp_eq_u32 s27, 0
	s_waitcnt vmcnt(0) lgkmcnt(0)
	v_pk_mul_f32 v[12:13], v[10:11], v[8:9] op_sel:[1,1] op_sel_hi:[0,1]
	v_pk_fma_f32 v[14:15], v[10:11], v[8:9], v[12:13] neg_lo:[0,0,1] neg_hi:[0,0,1]
	v_pk_fma_f32 v[8:9], v[10:11], v[8:9], v[12:13] op_sel_hi:[1,0,1]
	s_nop 0
	v_mov_b32_e32 v15, v9
	v_pk_add_f32 v[6:7], v[6:7], v[14:15] neg_lo:[0,1] neg_hi:[0,1]
	scratch_store_dwordx2 off, v[6:7], s24
	s_cbranch_scc0 .LBB176_45
; %bb.46:                               ;   in Loop: Header=BB176_43 Depth=3
	s_sub_i32 s26, s18, s14
	s_ashr_i32 s27, s26, 31
	v_mov_b32_e32 v8, v7
	s_mov_b64 s[24:25], s[26:27]
	s_branch .LBB176_42
.LBB176_47:                             ;   in Loop: Header=BB176_43 Depth=3
                                        ; implicit-def: $vgpr6
                                        ; implicit-def: $vgpr8
                                        ; implicit-def: $sgpr26
                                        ; implicit-def: $sgpr24_sgpr25
	s_cbranch_execz .LBB176_42
; %bb.48:                               ;   in Loop: Header=BB176_43 Depth=3
	scratch_load_dwordx2 v[6:7], off, off
	s_mov_b64 s[24:25], s[18:19]
	s_mov_b32 s26, s18
	s_waitcnt vmcnt(0)
	v_mov_b32_e32 v8, v7
	s_branch .LBB176_42
.LBB176_49:
	s_mov_b64 s[0:1], 0
.LBB176_50:
	s_and_b64 vcc, exec, s[0:1]
	s_cbranch_vccz .LBB176_83
; %bb.51:
	s_add_u32 s0, s8, s2
	s_addc_u32 s1, s9, s3
	s_mov_b32 s3, 0
	s_mov_b32 s4, s12
	;; [unrolled: 1-line block ×7, first 2 shown]
	v_lshl_add_u64 v[2:3], v[2:3], 3, s[0:1]
	s_mov_b32 s22, s3
	s_mov_b32 s8, s3
	s_branch .LBB176_53
.LBB176_52:                             ;   in Loop: Header=BB176_53 Depth=1
	s_cmp_ge_i32 s22, s30
	s_cselect_b64 s[0:1], -1, 0
	s_add_i32 s8, s8, 1
	s_cmp_eq_u32 s8, 3
	s_cselect_b64 s[14:15], -1, 0
	s_or_b64 s[0:1], s[0:1], s[14:15]
	s_and_b64 vcc, exec, s[0:1]
	s_cbranch_vccnz .LBB176_83
.LBB176_53:                             ; =>This Loop Header: Depth=1
                                        ;     Child Loop BB176_56 Depth 2
                                        ;       Child Loop BB176_58 Depth 3
                                        ;       Child Loop BB176_62 Depth 3
	;; [unrolled: 1-line block ×3, first 2 shown]
                                        ;         Child Loop BB176_68 Depth 4
                                        ;         Child Loop BB176_74 Depth 4
                                        ;       Child Loop BB176_77 Depth 3
                                        ;         Child Loop BB176_79 Depth 4
	s_mov_b32 s9, s3
	s_lshl_b64 s[0:1], s[8:9], 2
	s_getpc_b64 s[14:15]
	s_add_u32 s14, s14, __const._ZL30rocblas_trsm_small_left_deviceILi64ELi32ELb1E19rocblas_complex_numIfES1_PKPKS1_PKPS1_Ev13rocblas_fill_18rocblas_operation_17rocblas_diagonal_iiT3_T4_lilT5_lili.step_sizes@rel32@lo+4
	s_addc_u32 s15, s15, __const._ZL30rocblas_trsm_small_left_deviceILi64ELi32ELb1E19rocblas_complex_numIfES1_PKPKS1_PKPS1_Ev13rocblas_fill_18rocblas_operation_17rocblas_diagonal_iiT3_T4_lilT5_lili.step_sizes@rel32@hi+12
	s_add_u32 s0, s14, s0
	s_addc_u32 s1, s15, s1
	s_load_dword s9, s[0:1], 0x0
	s_waitcnt lgkmcnt(0)
	s_add_i32 s23, s9, -1
	s_add_i32 s0, s23, s22
	s_cmp_ge_i32 s0, s30
	s_cbranch_scc1 .LBB176_52
; %bb.54:                               ;   in Loop: Header=BB176_53 Depth=1
	s_max_i32 s24, s9, 1
	s_cmp_lg_u32 s8, 2
	s_cselect_b64 s[14:15], -1, 0
	s_and_b32 s25, s24, 0x7ffffffe
	s_cmp_lg_u32 s24, s25
	v_cndmask_b32_e64 v4, 0, 1, s[14:15]
	s_cselect_b64 s[16:17], -1, 0
	s_ashr_i32 s26, s22, 31
	s_ashr_i32 s27, s9, 31
	s_lshl_b32 s28, s22, 3
	s_lshl_b32 s29, s9, 3
	s_mul_i32 s31, s22, 0x208
	s_mul_i32 s33, s9, 0x208
	v_cmp_ne_u32_e64 s[0:1], 1, v4
	s_branch .LBB176_56
.LBB176_55:                             ;   in Loop: Header=BB176_56 Depth=2
	s_add_u32 s22, s22, s9
	s_addc_u32 s26, s26, s27
	s_add_i32 s2, s23, s22
	s_add_i32 s28, s28, s29
	;; [unrolled: 1-line block ×3, first 2 shown]
	s_cmp_ge_i32 s2, s30
	s_cbranch_scc1 .LBB176_52
.LBB176_56:                             ;   Parent Loop BB176_53 Depth=1
                                        ; =>  This Loop Header: Depth=2
                                        ;       Child Loop BB176_58 Depth 3
                                        ;       Child Loop BB176_62 Depth 3
	;; [unrolled: 1-line block ×3, first 2 shown]
                                        ;         Child Loop BB176_68 Depth 4
                                        ;         Child Loop BB176_74 Depth 4
                                        ;       Child Loop BB176_77 Depth 3
                                        ;         Child Loop BB176_79 Depth 4
	s_and_b64 vcc, exec, s[0:1]
	s_cbranch_vccnz .LBB176_60
; %bb.57:                               ;   in Loop: Header=BB176_56 Depth=2
	s_mov_b32 s2, 0
	s_mov_b32 s20, s22
	;; [unrolled: 1-line block ×6, first 2 shown]
.LBB176_58:                             ;   Parent Loop BB176_53 Depth=1
                                        ;     Parent Loop BB176_56 Depth=2
                                        ; =>    This Inner Loop Header: Depth=3
	s_add_i32 s18, s35, s20
	s_add_i32 s38, s34, s21
	s_ashr_i32 s19, s18, 31
	s_ashr_i32 s39, s38, 31
	v_lshl_add_u64 v[4:5], s[18:19], 3, v[0:1]
	v_lshl_add_u64 v[6:7], s[38:39], 3, v[0:1]
	flat_load_dwordx2 v[10:11], v[4:5]
	flat_load_dwordx2 v[8:9], v[6:7]
	s_add_i32 s35, s35, 2
	s_add_i32 s34, s34, 2
	s_add_i32 s36, s36, -2
	s_mov_b32 s37, s25
	s_mov_b64 s[18:19], s[16:17]
	s_waitcnt vmcnt(0) lgkmcnt(0)
	v_mov_b32_e32 v4, v10
	v_mov_b32_e32 v5, v8
	;; [unrolled: 1-line block ×3, first 2 shown]
	v_pk_mul_f32 v[6:7], v[8:9], s[6:7]
	v_pk_mul_f32 v[8:9], v[8:9], s[4:5]
	v_pk_fma_f32 v[10:11], v[4:5], s[4:5], v[6:7] neg_lo:[0,0,1] neg_hi:[0,0,1]
	v_pk_fma_f32 v[6:7], v[4:5], s[6:7], v[8:9]
	v_mov_b32_e32 v4, v10
	v_mov_b32_e32 v5, v6
	;; [unrolled: 1-line block ×3, first 2 shown]
	scratch_store_dwordx4 off, v[4:7], s2
	s_add_i32 s2, s2, 16
	s_cmp_lg_u32 s36, 0
	s_cbranch_scc1 .LBB176_58
; %bb.59:                               ;   in Loop: Header=BB176_56 Depth=2
	s_and_b64 vcc, exec, s[18:19]
	s_cbranch_vccnz .LBB176_61
	s_branch .LBB176_63
.LBB176_60:                             ;   in Loop: Header=BB176_56 Depth=2
	s_mov_b32 s37, 0
	s_cbranch_execz .LBB176_63
.LBB176_61:                             ;   in Loop: Header=BB176_56 Depth=2
	s_sub_i32 s2, s24, s37
	s_add_u32 s18, s22, s37
	s_addc_u32 s19, s26, 0
	v_lshl_add_u64 v[4:5], s[18:19], 3, v[2:3]
	s_lshl_b32 s18, s37, 3
.LBB176_62:                             ;   Parent Loop BB176_53 Depth=1
                                        ;     Parent Loop BB176_56 Depth=2
                                        ; =>    This Inner Loop Header: Depth=3
	flat_load_dwordx2 v[6:7], v[4:5]
	s_add_i32 s2, s2, -1
	v_lshl_add_u64 v[4:5], v[4:5], 0, 8
	s_waitcnt vmcnt(0) lgkmcnt(0)
	v_pk_mul_f32 v[8:9], v[6:7], s[10:11] op_sel:[1,0]
	s_nop 0
	v_pk_fma_f32 v[10:11], v[6:7], s[12:13], v[8:9] neg_lo:[0,0,1] neg_hi:[0,0,1]
	v_pk_fma_f32 v[6:7], v[6:7], s[12:13], v[8:9] op_sel_hi:[0,1,1]
	v_mov_b32_e32 v11, v7
	scratch_store_dwordx2 off, v[10:11], s18
	s_add_i32 s18, s18, 8
	s_cmp_eq_u32 s2, 0
	s_cbranch_scc0 .LBB176_62
.LBB176_63:                             ;   in Loop: Header=BB176_56 Depth=2
	s_cmp_lt_i32 s22, 1
	s_cbranch_scc1 .LBB176_75
; %bb.64:                               ;   in Loop: Header=BB176_56 Depth=2
	s_mov_b32 s2, 0
	s_mov_b32 s34, s28
	s_branch .LBB176_66
.LBB176_65:                             ;   in Loop: Header=BB176_66 Depth=3
	s_add_i32 s2, s2, 1
	s_addk_i32 s34, 0x200
	s_cmp_eq_u32 s2, s22
	s_cbranch_scc1 .LBB176_75
.LBB176_66:                             ;   Parent Loop BB176_53 Depth=1
                                        ;     Parent Loop BB176_56 Depth=2
                                        ; =>    This Loop Header: Depth=3
                                        ;         Child Loop BB176_68 Depth 4
                                        ;         Child Loop BB176_74 Depth 4
	v_lshl_add_u64 v[4:5], s[2:3], 3, v[0:1]
	flat_load_dwordx2 v[4:5], v[4:5]
	s_and_b64 vcc, exec, s[14:15]
	s_cbranch_vccz .LBB176_70
; %bb.67:                               ;   in Loop: Header=BB176_66 Depth=3
	s_waitcnt vmcnt(0) lgkmcnt(0)
	v_mov_b32_e32 v8, v4
	v_mov_b32_e32 v9, v4
	;; [unrolled: 1-line block ×3, first 2 shown]
	s_mov_b32 s18, 0
	v_mov_b32_e32 v10, v5
	v_mov_b32_e32 v11, v5
	s_mov_b32 s19, s25
	s_mov_b32 s20, s34
.LBB176_68:                             ;   Parent Loop BB176_53 Depth=1
                                        ;     Parent Loop BB176_56 Depth=2
                                        ;       Parent Loop BB176_66 Depth=3
                                        ; =>      This Inner Loop Header: Depth=4
	scratch_load_dwordx4 v[12:15], off, s18
	v_mov_b32_e32 v7, s20
	ds_read2_b64 v[16:19], v7 offset1:1
	s_add_i32 s20, s20, 16
	s_add_i32 s19, s19, -2
	s_waitcnt lgkmcnt(0)
	v_mov_b32_e32 v21, v18
	v_mov_b32_e32 v18, v17
	;; [unrolled: 1-line block ×3, first 2 shown]
	v_pk_mul_f32 v[16:17], v[18:19], v[10:11]
	v_pk_mul_f32 v[18:19], v[18:19], v[8:9]
	v_pk_fma_f32 v[16:17], v[20:21], v[8:9], v[16:17] neg_lo:[0,0,1] neg_hi:[0,0,1]
	v_pk_fma_f32 v[18:19], v[20:21], v[10:11], v[18:19]
	s_waitcnt vmcnt(0)
	v_mov_b32_e32 v20, v12
	v_mov_b32_e32 v21, v14
	;; [unrolled: 1-line block ×3, first 2 shown]
	v_pk_add_f32 v[16:17], v[20:21], v[16:17] neg_lo:[0,1] neg_hi:[0,1]
	v_pk_add_f32 v[14:15], v[14:15], v[18:19] neg_lo:[0,1] neg_hi:[0,1]
	v_mov_b32_e32 v12, v16
	v_mov_b32_e32 v13, v14
	;; [unrolled: 1-line block ×3, first 2 shown]
	scratch_store_dwordx4 off, v[12:15], s18
	s_add_i32 s18, s18, 16
	s_cmp_lg_u32 s19, 0
	s_cbranch_scc1 .LBB176_68
; %bb.69:                               ;   in Loop: Header=BB176_66 Depth=3
	s_mov_b64 s[18:19], s[16:17]
	s_mov_b32 s20, s25
	s_branch .LBB176_72
.LBB176_70:                             ;   in Loop: Header=BB176_66 Depth=3
	s_waitcnt vmcnt(0) lgkmcnt(0)
	v_mov_b32_e32 v6, v5
	s_mov_b64 s[18:19], 0
	s_mov_b32 s20, s25
	s_cbranch_execz .LBB176_72
; %bb.71:                               ;   in Loop: Header=BB176_66 Depth=3
	s_mov_b64 s[18:19], -1
	s_mov_b32 s20, 0
.LBB176_72:                             ;   in Loop: Header=BB176_66 Depth=3
	s_andn2_b64 vcc, exec, s[18:19]
	s_cbranch_vccnz .LBB176_65
; %bb.73:                               ;   in Loop: Header=BB176_66 Depth=3
	v_mov_b32_e32 v7, v5
	v_mov_b32_e32 v5, v4
	s_sub_i32 s18, s24, s20
	s_lshl_b32 s19, s20, 3
.LBB176_74:                             ;   Parent Loop BB176_53 Depth=1
                                        ;     Parent Loop BB176_56 Depth=2
                                        ;       Parent Loop BB176_66 Depth=3
                                        ; =>      This Inner Loop Header: Depth=4
	scratch_load_dwordx2 v[8:9], off, s19
	s_add_i32 s21, s34, s19
	v_mov_b32_e32 v10, s21
	ds_read_b64 v[10:11], v10
	s_mov_b32 s20, s19
	s_add_i32 s18, s18, -1
	s_add_i32 s19, s19, 8
	s_cmp_eq_u32 s18, 0
	s_waitcnt lgkmcnt(0)
	v_pk_mul_f32 v[12:13], v[10:11], v[6:7] op_sel:[1,0] op_sel_hi:[0,1]
	v_pk_fma_f32 v[14:15], v[10:11], v[4:5], v[12:13] neg_lo:[0,0,1] neg_hi:[0,0,1]
	v_pk_fma_f32 v[10:11], v[10:11], v[4:5], v[12:13]
	s_nop 0
	v_mov_b32_e32 v15, v11
	s_waitcnt vmcnt(0)
	v_pk_add_f32 v[8:9], v[8:9], v[14:15] neg_lo:[0,1] neg_hi:[0,1]
	scratch_store_dwordx2 off, v[8:9], s20
	s_cbranch_scc0 .LBB176_74
	s_branch .LBB176_65
.LBB176_75:                             ;   in Loop: Header=BB176_56 Depth=2
	s_mov_b32 s2, 0
	s_mov_b32 s20, s31
	s_branch .LBB176_77
.LBB176_76:                             ;   in Loop: Header=BB176_77 Depth=3
	s_add_i32 s18, s2, s22
	s_mul_i32 s19, s18, 0x208
	v_mov_b32_e32 v5, s19
	ds_read_b64 v[8:9], v5
	s_lshl_b32 s21, s2, 3
	s_ashr_i32 s19, s18, 31
	s_add_i32 s2, s2, 1
	s_add_i32 s20, s20, 8
	s_waitcnt lgkmcnt(0)
	v_pk_mul_f32 v[6:7], v[8:9], v[6:7] op_sel:[1,0] op_sel_hi:[0,0]
	v_pk_fma_f32 v[10:11], v[8:9], v[4:5], v[6:7] neg_lo:[0,0,1] neg_hi:[0,0,1]
	v_pk_fma_f32 v[4:5], v[8:9], v[4:5], v[6:7] op_sel_hi:[1,0,1]
	s_cmp_eq_u32 s2, s24
	v_mov_b32_e32 v11, v5
	v_lshl_add_u64 v[4:5], s[18:19], 3, v[0:1]
	scratch_store_dwordx2 off, v[10:11], s21
	flat_store_dwordx2 v[4:5], v[10:11]
	s_cbranch_scc1 .LBB176_55
.LBB176_77:                             ;   Parent Loop BB176_53 Depth=1
                                        ;     Parent Loop BB176_56 Depth=2
                                        ; =>    This Loop Header: Depth=3
                                        ;         Child Loop BB176_79 Depth 4
	s_cmp_lg_u32 s2, 0
	s_cbranch_scc0 .LBB176_81
; %bb.78:                               ;   in Loop: Header=BB176_77 Depth=3
	s_lshl_b32 s18, s2, 3
	scratch_load_dwordx2 v[4:5], off, s18
	s_mov_b32 s19, 0
	s_mov_b32 s21, s20
	;; [unrolled: 1-line block ×3, first 2 shown]
.LBB176_79:                             ;   Parent Loop BB176_53 Depth=1
                                        ;     Parent Loop BB176_56 Depth=2
                                        ;       Parent Loop BB176_77 Depth=3
                                        ; =>      This Inner Loop Header: Depth=4
	scratch_load_dwordx2 v[6:7], off, s19
	v_mov_b32_e32 v8, s21
	ds_read_b64 v[8:9], v8
	s_add_i32 s34, s34, -1
	s_addk_i32 s21, 0x200
	s_add_i32 s19, s19, 8
	s_cmp_eq_u32 s34, 0
	s_waitcnt vmcnt(0) lgkmcnt(0)
	v_pk_mul_f32 v[10:11], v[8:9], v[6:7] op_sel:[1,1] op_sel_hi:[0,1]
	v_pk_fma_f32 v[12:13], v[8:9], v[6:7], v[10:11] neg_lo:[0,0,1] neg_hi:[0,0,1]
	v_pk_fma_f32 v[6:7], v[8:9], v[6:7], v[10:11] op_sel_hi:[1,0,1]
	s_nop 0
	v_mov_b32_e32 v13, v7
	v_pk_add_f32 v[4:5], v[4:5], v[12:13] neg_lo:[0,1] neg_hi:[0,1]
	scratch_store_dwordx2 off, v[4:5], s18
	s_cbranch_scc0 .LBB176_79
; %bb.80:                               ;   in Loop: Header=BB176_77 Depth=3
	v_mov_b32_e32 v6, v5
	s_branch .LBB176_76
.LBB176_81:                             ;   in Loop: Header=BB176_77 Depth=3
                                        ; implicit-def: $vgpr4
                                        ; implicit-def: $vgpr6
	s_cbranch_execz .LBB176_76
; %bb.82:                               ;   in Loop: Header=BB176_77 Depth=3
	scratch_load_dwordx2 v[4:5], off, off
	s_waitcnt vmcnt(0)
	v_mov_b32_e32 v6, v5
	s_branch .LBB176_76
.LBB176_83:
	s_endpgm
	.section	.rodata,"a",@progbits
	.p2align	6, 0x0
	.amdhsa_kernel _ZL30rocblas_trsm_small_left_deviceILi64ELi32ELb1E19rocblas_complex_numIfES1_PKPKS1_PKPS1_Ev13rocblas_fill_18rocblas_operation_17rocblas_diagonal_iiT3_T4_lilT5_lili
		.amdhsa_group_segment_fixed_size 32768
		.amdhsa_private_segment_fixed_size 272
		.amdhsa_kernarg_size 360
		.amdhsa_user_sgpr_count 2
		.amdhsa_user_sgpr_dispatch_ptr 0
		.amdhsa_user_sgpr_queue_ptr 0
		.amdhsa_user_sgpr_kernarg_segment_ptr 1
		.amdhsa_user_sgpr_dispatch_id 0
		.amdhsa_user_sgpr_kernarg_preload_length 0
		.amdhsa_user_sgpr_kernarg_preload_offset 0
		.amdhsa_user_sgpr_private_segment_size 0
		.amdhsa_uses_dynamic_stack 0
		.amdhsa_enable_private_segment 1
		.amdhsa_system_sgpr_workgroup_id_x 1
		.amdhsa_system_sgpr_workgroup_id_y 0
		.amdhsa_system_sgpr_workgroup_id_z 1
		.amdhsa_system_sgpr_workgroup_info 0
		.amdhsa_system_vgpr_workitem_id 0
		.amdhsa_next_free_vgpr 169
		.amdhsa_next_free_sgpr 96
		.amdhsa_accum_offset 24
		.amdhsa_reserve_vcc 1
		.amdhsa_float_round_mode_32 0
		.amdhsa_float_round_mode_16_64 0
		.amdhsa_float_denorm_mode_32 3
		.amdhsa_float_denorm_mode_16_64 3
		.amdhsa_dx10_clamp 1
		.amdhsa_ieee_mode 1
		.amdhsa_fp16_overflow 0
		.amdhsa_tg_split 0
		.amdhsa_exception_fp_ieee_invalid_op 0
		.amdhsa_exception_fp_denorm_src 0
		.amdhsa_exception_fp_ieee_div_zero 0
		.amdhsa_exception_fp_ieee_overflow 0
		.amdhsa_exception_fp_ieee_underflow 0
		.amdhsa_exception_fp_ieee_inexact 0
		.amdhsa_exception_int_div_zero 0
	.end_amdhsa_kernel
	.section	.text._ZL30rocblas_trsm_small_left_deviceILi64ELi32ELb1E19rocblas_complex_numIfES1_PKPKS1_PKPS1_Ev13rocblas_fill_18rocblas_operation_17rocblas_diagonal_iiT3_T4_lilT5_lili,"axG",@progbits,_ZL30rocblas_trsm_small_left_deviceILi64ELi32ELb1E19rocblas_complex_numIfES1_PKPKS1_PKPS1_Ev13rocblas_fill_18rocblas_operation_17rocblas_diagonal_iiT3_T4_lilT5_lili,comdat
.Lfunc_end176:
	.size	_ZL30rocblas_trsm_small_left_deviceILi64ELi32ELb1E19rocblas_complex_numIfES1_PKPKS1_PKPS1_Ev13rocblas_fill_18rocblas_operation_17rocblas_diagonal_iiT3_T4_lilT5_lili, .Lfunc_end176-_ZL30rocblas_trsm_small_left_deviceILi64ELi32ELb1E19rocblas_complex_numIfES1_PKPKS1_PKPS1_Ev13rocblas_fill_18rocblas_operation_17rocblas_diagonal_iiT3_T4_lilT5_lili
                                        ; -- End function
	.set _ZL30rocblas_trsm_small_left_deviceILi64ELi32ELb1E19rocblas_complex_numIfES1_PKPKS1_PKPS1_Ev13rocblas_fill_18rocblas_operation_17rocblas_diagonal_iiT3_T4_lilT5_lili.num_vgpr, 24
	.set _ZL30rocblas_trsm_small_left_deviceILi64ELi32ELb1E19rocblas_complex_numIfES1_PKPKS1_PKPS1_Ev13rocblas_fill_18rocblas_operation_17rocblas_diagonal_iiT3_T4_lilT5_lili.num_agpr, 0
	.set _ZL30rocblas_trsm_small_left_deviceILi64ELi32ELb1E19rocblas_complex_numIfES1_PKPKS1_PKPS1_Ev13rocblas_fill_18rocblas_operation_17rocblas_diagonal_iiT3_T4_lilT5_lili.numbered_sgpr, 45
	.set _ZL30rocblas_trsm_small_left_deviceILi64ELi32ELb1E19rocblas_complex_numIfES1_PKPKS1_PKPS1_Ev13rocblas_fill_18rocblas_operation_17rocblas_diagonal_iiT3_T4_lilT5_lili.num_named_barrier, 0
	.set _ZL30rocblas_trsm_small_left_deviceILi64ELi32ELb1E19rocblas_complex_numIfES1_PKPKS1_PKPS1_Ev13rocblas_fill_18rocblas_operation_17rocblas_diagonal_iiT3_T4_lilT5_lili.private_seg_size, 272
	.set _ZL30rocblas_trsm_small_left_deviceILi64ELi32ELb1E19rocblas_complex_numIfES1_PKPKS1_PKPS1_Ev13rocblas_fill_18rocblas_operation_17rocblas_diagonal_iiT3_T4_lilT5_lili.uses_vcc, 1
	.set _ZL30rocblas_trsm_small_left_deviceILi64ELi32ELb1E19rocblas_complex_numIfES1_PKPKS1_PKPS1_Ev13rocblas_fill_18rocblas_operation_17rocblas_diagonal_iiT3_T4_lilT5_lili.uses_flat_scratch, 0
	.set _ZL30rocblas_trsm_small_left_deviceILi64ELi32ELb1E19rocblas_complex_numIfES1_PKPKS1_PKPS1_Ev13rocblas_fill_18rocblas_operation_17rocblas_diagonal_iiT3_T4_lilT5_lili.has_dyn_sized_stack, 0
	.set _ZL30rocblas_trsm_small_left_deviceILi64ELi32ELb1E19rocblas_complex_numIfES1_PKPKS1_PKPS1_Ev13rocblas_fill_18rocblas_operation_17rocblas_diagonal_iiT3_T4_lilT5_lili.has_recursion, 0
	.set _ZL30rocblas_trsm_small_left_deviceILi64ELi32ELb1E19rocblas_complex_numIfES1_PKPKS1_PKPS1_Ev13rocblas_fill_18rocblas_operation_17rocblas_diagonal_iiT3_T4_lilT5_lili.has_indirect_call, 0
	.section	.AMDGPU.csdata,"",@progbits
; Kernel info:
; codeLenInByte = 3408
; TotalNumSgprs: 51
; NumVgprs: 24
; NumAgprs: 0
; TotalNumVgprs: 24
; ScratchSize: 272
; MemoryBound: 0
; FloatMode: 240
; IeeeMode: 1
; LDSByteSize: 32768 bytes/workgroup (compile time only)
; SGPRBlocks: 12
; VGPRBlocks: 21
; NumSGPRsForWavesPerEU: 102
; NumVGPRsForWavesPerEU: 169
; AccumOffset: 24
; Occupancy: 2
; WaveLimiterHint : 1
; COMPUTE_PGM_RSRC2:SCRATCH_EN: 1
; COMPUTE_PGM_RSRC2:USER_SGPR: 2
; COMPUTE_PGM_RSRC2:TRAP_HANDLER: 0
; COMPUTE_PGM_RSRC2:TGID_X_EN: 1
; COMPUTE_PGM_RSRC2:TGID_Y_EN: 0
; COMPUTE_PGM_RSRC2:TGID_Z_EN: 1
; COMPUTE_PGM_RSRC2:TIDIG_COMP_CNT: 0
; COMPUTE_PGM_RSRC3_GFX90A:ACCUM_OFFSET: 5
; COMPUTE_PGM_RSRC3_GFX90A:TG_SPLIT: 0
	.section	.text._ZL31rocblas_trsm_small_right_deviceI19rocblas_complex_numIfES1_PKPKS1_PKPS1_Li64EEv13rocblas_fill_18rocblas_operation_17rocblas_diagonal_iiT0_T1_lilT2_lili,"axG",@progbits,_ZL31rocblas_trsm_small_right_deviceI19rocblas_complex_numIfES1_PKPKS1_PKPS1_Li64EEv13rocblas_fill_18rocblas_operation_17rocblas_diagonal_iiT0_T1_lilT2_lili,comdat
	.globl	_ZL31rocblas_trsm_small_right_deviceI19rocblas_complex_numIfES1_PKPKS1_PKPS1_Li64EEv13rocblas_fill_18rocblas_operation_17rocblas_diagonal_iiT0_T1_lilT2_lili ; -- Begin function _ZL31rocblas_trsm_small_right_deviceI19rocblas_complex_numIfES1_PKPKS1_PKPS1_Li64EEv13rocblas_fill_18rocblas_operation_17rocblas_diagonal_iiT0_T1_lilT2_lili
	.p2align	8
	.type	_ZL31rocblas_trsm_small_right_deviceI19rocblas_complex_numIfES1_PKPKS1_PKPS1_Li64EEv13rocblas_fill_18rocblas_operation_17rocblas_diagonal_iiT0_T1_lilT2_lili,@function
_ZL31rocblas_trsm_small_right_deviceI19rocblas_complex_numIfES1_PKPKS1_PKPS1_Li64EEv13rocblas_fill_18rocblas_operation_17rocblas_diagonal_iiT0_T1_lilT2_lili: ; @_ZL31rocblas_trsm_small_right_deviceI19rocblas_complex_numIfES1_PKPKS1_PKPS1_Li64EEv13rocblas_fill_18rocblas_operation_17rocblas_diagonal_iiT0_T1_lilT2_lili
; %bb.0:
	s_load_dwordx4 s[12:15], s[0:1], 0x40
	s_load_dwordx8 s[4:11], s[0:1], 0x0
	s_mov_b32 s16, s3
	s_mov_b32 s17, 0
	s_lshl_b64 s[20:21], s[16:17], 3
	s_waitcnt lgkmcnt(0)
	s_add_u32 s12, s12, s20
	s_addc_u32 s13, s13, s21
	s_load_dwordx2 s[12:13], s[12:13], 0x0
	s_min_i32 s28, s8, 64
	v_cmp_gt_i32_e32 vcc, s28, v0
	s_and_saveexec_b64 s[16:17], vcc
	s_cbranch_execz .LBB177_9
; %bb.1:
	s_load_dword s22, s[0:1], 0x30
	s_load_dwordx4 s[24:27], s[0:1], 0x20
	v_lshlrev_b32_e32 v2, 3, v0
	v_mov_b32_e32 v3, 0
	v_mov_b32_e32 v1, v2
	s_waitcnt lgkmcnt(0)
	s_ashr_i32 s23, s22, 31
	s_cmpk_lg_i32 s5, 0x71
	s_cselect_b64 s[18:19], -1, 0
	s_add_u32 s20, s24, s20
	s_addc_u32 s21, s25, s21
	s_load_dwordx2 s[20:21], s[20:21], 0x0
	s_lshl_b64 s[24:25], s[26:27], 3
	s_mov_b32 s3, s28
	s_waitcnt lgkmcnt(0)
	s_add_u32 s24, s20, s24
	s_addc_u32 s25, s21, s25
	s_lshl_b64 s[20:21], s[22:23], 3
	v_lshl_add_u64 v[4:5], s[24:25], 0, v[2:3]
	s_branch .LBB177_3
.LBB177_2:                              ;   in Loop: Header=BB177_3 Depth=1
	flat_load_dword v6, v[4:5]
	s_add_i32 s3, s3, -1
	v_lshl_add_u64 v[4:5], v[4:5], 0, s[20:21]
	s_cmp_eq_u32 s3, 0
	s_waitcnt vmcnt(0) lgkmcnt(0)
	ds_write_b64 v1, v[6:7]
	v_add_u32_e32 v1, 0x200, v1
	s_cbranch_scc1 .LBB177_7
.LBB177_3:                              ; =>This Inner Loop Header: Depth=1
	s_mov_b64 s[22:23], -1
	s_and_b64 vcc, exec, s[18:19]
                                        ; implicit-def: $vgpr7
	s_cbranch_vccz .LBB177_5
; %bb.4:                                ;   in Loop: Header=BB177_3 Depth=1
	flat_load_dword v7, v[4:5] offset:4
	s_mov_b64 s[22:23], 0
.LBB177_5:                              ;   in Loop: Header=BB177_3 Depth=1
	s_andn2_b64 vcc, exec, s[22:23]
	s_cbranch_vccnz .LBB177_2
; %bb.6:                                ;   in Loop: Header=BB177_3 Depth=1
	flat_load_dword v3, v[4:5] offset:4
	s_waitcnt vmcnt(0) lgkmcnt(0)
	v_xor_b32_e32 v7, 0x80000000, v3
	s_branch .LBB177_2
.LBB177_7:
	s_cmpk_eq_i32 s6, 0x84
	s_cbranch_scc0 .LBB177_9
; %bb.8:
	v_lshl_or_b32 v1, v0, 9, v2
	v_mov_b32_e32 v2, 1.0
	v_mov_b32_e32 v3, 0
	ds_write_b64 v1, v[2:3]
.LBB177_9:
	s_or_b64 exec, exec, s[16:17]
	s_load_dword s3, s[0:1], 0x68
	s_load_dword s6, s[0:1], 0x50
	s_lshl_b64 s[18:19], s[14:15], 3
	s_waitcnt lgkmcnt(0)
	s_add_u32 s0, s12, s18
	s_addc_u32 s1, s13, s19
	s_lshl_b32 s11, s2, 6
	s_add_i32 s3, s3, -1
	s_sub_i32 s7, s7, s11
	s_cmp_ge_u32 s2, s3
	s_cselect_b32 s7, s7, 64
	s_ashr_i32 s3, s2, 31
	s_lshl_b64 s[20:21], s[2:3], 9
	s_add_u32 s2, s0, s20
	s_addc_u32 s3, s1, s21
	v_cmp_gt_i32_e64 s[0:1], s7, v0
	s_and_saveexec_b64 s[14:15], s[0:1]
	s_cbranch_execz .LBB177_18
; %bb.10:
	s_cmp_lt_i32 s8, 1
	s_cbranch_scc1 .LBB177_18
; %bb.11:
	s_cmp_eq_u32 s8, 1
	s_cselect_b64 s[22:23], -1, 0
	s_cmp_lg_u32 s6, 1
	s_cselect_b64 s[24:25], -1, 0
	s_or_b64 s[22:23], s[22:23], s[24:25]
	s_mov_b32 s16, s9
	s_mov_b32 s17, s10
	v_mov_b32_e32 v3, 0
	s_and_b64 vcc, exec, s[22:23]
	s_cbranch_vccnz .LBB177_15
; %bb.12:
	v_lshlrev_b32_e32 v2, 3, v0
	v_mov_b32_e32 v1, 0x8000
	s_and_b32 s29, s8, 0x7ffffffe
	s_mov_b32 s27, 0
	v_lshl_add_u64 v[2:3], s[2:3], 0, v[2:3]
	v_lshl_or_b32 v1, v0, 3, v1
	s_mov_b32 s22, s16
	s_mov_b32 s23, s9
	;; [unrolled: 1-line block ×6, first 2 shown]
.LBB177_13:                             ; =>This Inner Loop Header: Depth=1
	v_lshl_add_u64 v[4:5], s[26:27], 3, v[2:3]
	s_mov_b32 s25, s27
	v_lshl_add_u64 v[6:7], s[24:25], 3, v[2:3]
	flat_load_dwordx2 v[12:13], v[4:5]
	flat_load_dwordx2 v[8:9], v[6:7]
	v_lshl_add_u32 v10, s26, 9, v1
	v_lshl_add_u32 v11, s24, 9, v1
	s_add_i32 s26, s26, 2
	s_add_i32 s7, s7, -2
	s_add_i32 s24, s24, 2
	s_cmp_lg_u32 s7, 0
	s_waitcnt vmcnt(0) lgkmcnt(0)
	v_mov_b32_e32 v4, v12
	v_mov_b32_e32 v5, v8
	;; [unrolled: 1-line block ×3, first 2 shown]
	v_pk_mul_f32 v[6:7], s[10:11], v[8:9]
	v_pk_mul_f32 v[8:9], s[22:23], v[8:9]
	v_pk_fma_f32 v[6:7], s[22:23], v[4:5], v[6:7] neg_lo:[0,0,1] neg_hi:[0,0,1]
	v_pk_fma_f32 v[4:5], s[10:11], v[4:5], v[8:9]
	ds_write_b32 v10, v6
	ds_write_b32 v11, v7
	ds_write_b32 v10, v4 offset:4
	ds_write_b32 v11, v5 offset:4
	s_cbranch_scc1 .LBB177_13
; %bb.14:
	s_cmp_lg_u32 s8, s29
	s_cselect_b64 s[22:23], -1, 0
	s_and_b64 vcc, exec, s[22:23]
	s_cbranch_vccnz .LBB177_16
	s_branch .LBB177_18
.LBB177_15:
	s_mov_b32 s29, 0
	s_cbranch_execz .LBB177_18
.LBB177_16:
	s_mul_hi_i32 s23, s6, s29
	s_mul_i32 s22, s6, s29
	s_ashr_i32 s7, s6, 31
	s_mov_b32 s11, s9
	s_sub_i32 s9, s8, s29
	s_lshl_b64 s[22:23], s[22:23], 3
	s_add_u32 s20, s22, s20
	s_addc_u32 s21, s23, s21
	s_add_u32 s18, s20, s18
	s_addc_u32 s19, s21, s19
	v_lshlrev_b32_e32 v4, 3, v0
	s_add_u32 s12, s12, s18
	v_mov_b32_e32 v5, 0
	s_addc_u32 s13, s13, s19
	v_lshl_or_b32 v1, s29, 9, v4
	v_lshl_add_u64 v[2:3], s[12:13], 0, v[4:5]
	s_lshl_b64 s[12:13], s[6:7], 3
	v_add_u32_e32 v1, 0x8000, v1
.LBB177_17:                             ; =>This Inner Loop Header: Depth=1
	flat_load_dwordx2 v[4:5], v[2:3]
	s_add_i32 s9, s9, -1
	v_lshl_add_u64 v[2:3], v[2:3], 0, s[12:13]
	s_cmp_lg_u32 s9, 0
	s_waitcnt vmcnt(0) lgkmcnt(0)
	v_pk_mul_f32 v[6:7], s[10:11], v[4:5] op_sel:[0,1]
	s_nop 0
	v_pk_fma_f32 v[8:9], s[16:17], v[4:5], v[6:7] neg_lo:[0,0,1] neg_hi:[0,0,1]
	v_pk_fma_f32 v[4:5], s[16:17], v[4:5], v[6:7] op_sel_hi:[1,0,1]
	s_nop 0
	v_mov_b32_e32 v9, v5
	ds_write_b64 v1, v[8:9]
	v_add_u32_e32 v1, 0x200, v1
	s_cbranch_scc1 .LBB177_17
.LBB177_18:
	s_or_b64 exec, exec, s[14:15]
	s_cmpk_eq_i32 s5, 0x6f
	s_cselect_b64 s[12:13], -1, 0
	s_cmpk_lg_i32 s4, 0x79
	s_cselect_b64 s[10:11], -1, 0
	s_cmpk_eq_i32 s4, 0x79
	s_cselect_b64 s[14:15], -1, 0
	s_and_b64 s[14:15], s[14:15], s[12:13]
	s_andn2_b64 vcc, exec, s[14:15]
	s_mov_b64 s[14:15], -1
	s_waitcnt lgkmcnt(0)
	; wave barrier
	s_cbranch_vccz .LBB177_119
; %bb.19:
	s_cmpk_lg_i32 s4, 0x7a
	s_cselect_b64 s[4:5], -1, 0
	s_xor_b64 s[12:13], s[12:13], -1
	s_add_i32 s7, s28, -1
	s_or_b64 s[12:13], s[4:5], s[12:13]
	v_mov_b32_e32 v1, 0x8000
	s_cmp_gt_i32 s8, 3
	v_lshl_or_b32 v1, v0, 3, v1
	s_cselect_b64 s[4:5], -1, 0
	s_and_b64 vcc, exec, s[12:13]
	s_cbranch_vccz .LBB177_86
; %bb.20:
	s_andn2_b64 vcc, exec, s[10:11]
	s_mov_b64 s[10:11], -1
	s_cbranch_vccnz .LBB177_53
; %bb.21:
	s_andn2_b64 vcc, exec, s[4:5]
	s_mov_b32 s13, 0
	s_cbranch_vccnz .LBB177_43
; %bb.22:
	v_mov_b32_e32 v2, 0x8000
	v_lshl_or_b32 v14, v0, 3, v2
	s_mov_b32 s9, 0
	s_mov_b32 s12, 0
.LBB177_23:                             ; =>This Loop Header: Depth=1
                                        ;     Child Loop BB177_24 Depth 2
	s_lshl_b32 s10, s12, 9
	v_add_u32_e32 v18, s10, v1
	s_or_b32 s16, s12, 1
	s_or_b32 s13, s12, 2
	;; [unrolled: 1-line block ×3, first 2 shown]
	v_lshl_add_u32 v17, s16, 9, v1
	v_lshl_add_u32 v16, s13, 9, v1
	v_add_u32_e32 v15, s11, v1
	ds_read_b64 v[2:3], v18
	ds_read_b64 v[12:13], v17
	;; [unrolled: 1-line block ×4, first 2 shown]
	s_cmp_eq_u32 s12, 0
	v_mov_b32_e32 v4, v14
	s_mov_b32 s11, s9
	s_mov_b32 s14, s12
	s_cbranch_scc1 .LBB177_25
.LBB177_24:                             ;   Parent Loop BB177_23 Depth=1
                                        ; =>  This Inner Loop Header: Depth=2
	v_mov_b32_e32 v5, s11
	ds_read_b64 v[10:11], v4
	ds_read_b128 v[20:23], v5
	ds_read_b128 v[24:27], v5 offset:16
	s_add_i32 s14, s14, -1
	s_addk_i32 s11, 0x200
	v_add_u32_e32 v4, 0x200, v4
	s_waitcnt lgkmcnt(1)
	v_mul_f32_e32 v5, v21, v11
	v_mul_f32_e32 v19, v20, v11
	;; [unrolled: 1-line block ×4, first 2 shown]
	s_waitcnt lgkmcnt(0)
	v_pk_mul_f32 v[28:29], v[24:25], v[10:11] op_sel:[0,1]
	v_pk_mul_f32 v[30:31], v[26:27], v[10:11] op_sel:[0,1]
	v_fma_f32 v5, v20, v10, -v5
	v_fmac_f32_e32 v19, v21, v10
	v_fma_f32 v32, v22, v10, -v32
	v_fmac_f32_e32 v33, v22, v11
	v_pk_fma_f32 v[20:21], v[24:25], v[10:11], v[28:29] op_sel:[0,0,1] op_sel_hi:[1,1,0] neg_lo:[0,0,1] neg_hi:[0,0,1]
	v_pk_fma_f32 v[22:23], v[24:25], v[10:11], v[28:29] op_sel:[0,0,1] op_sel_hi:[1,0,0]
	v_pk_fma_f32 v[24:25], v[26:27], v[10:11], v[30:31] op_sel:[0,0,1] op_sel_hi:[1,1,0] neg_lo:[0,0,1] neg_hi:[0,0,1]
	v_pk_fma_f32 v[10:11], v[26:27], v[10:11], v[30:31] op_sel:[0,0,1] op_sel_hi:[1,0,0]
	v_mov_b32_e32 v21, v23
	v_mov_b32_e32 v25, v11
	s_cmp_eq_u32 s14, 0
	v_sub_f32_e32 v2, v2, v5
	v_sub_f32_e32 v3, v3, v19
	;; [unrolled: 1-line block ×4, first 2 shown]
	v_pk_add_f32 v[8:9], v[8:9], v[20:21] neg_lo:[0,1] neg_hi:[0,1]
	v_pk_add_f32 v[6:7], v[6:7], v[24:25] neg_lo:[0,1] neg_hi:[0,1]
	s_cbranch_scc0 .LBB177_24
.LBB177_25:                             ;   in Loop: Header=BB177_23 Depth=1
	s_lshl_b32 s14, s12, 3
	s_add_i32 s15, s14, s10
	v_mov_b32_e32 v4, s15
	ds_read_b64 v[4:5], v4
	s_mov_b64 s[10:11], -1
                                        ; implicit-def: $vgpr11
	s_waitcnt lgkmcnt(0)
	v_cmp_ngt_f32_e64 s[18:19], |v4|, |v5|
	s_and_b64 vcc, exec, s[18:19]
	s_cbranch_vccz .LBB177_27
; %bb.26:                               ;   in Loop: Header=BB177_23 Depth=1
	v_div_scale_f32 v10, s[10:11], v5, v5, v4
	v_rcp_f32_e32 v11, v10
	v_div_scale_f32 v19, vcc, v4, v5, v4
	v_fma_f32 v20, -v10, v11, 1.0
	v_fmac_f32_e32 v11, v20, v11
	v_mul_f32_e32 v20, v19, v11
	v_fma_f32 v21, -v10, v20, v19
	v_fmac_f32_e32 v20, v21, v11
	v_fma_f32 v10, -v10, v20, v19
	v_div_fmas_f32 v10, v10, v11, v20
	v_div_fixup_f32 v11, v10, v5, v4
	v_fma_f32 v10, v4, v11, v5
	v_div_scale_f32 v19, s[10:11], v10, v10, 1.0
	v_rcp_f32_e32 v20, v19
	s_mov_b64 s[10:11], 0
	v_fma_f32 v21, -v19, v20, 1.0
	v_fmac_f32_e32 v20, v21, v20
	v_div_scale_f32 v21, vcc, 1.0, v10, 1.0
	v_mul_f32_e32 v22, v21, v20
	v_fma_f32 v23, -v19, v22, v21
	v_fmac_f32_e32 v22, v23, v20
	v_fma_f32 v19, -v19, v22, v21
	v_div_fmas_f32 v19, v19, v20, v22
	v_div_fixup_f32 v19, v19, v10, 1.0
	v_fma_f32 v10, v2, v11, v3
	v_fma_f32 v11, v3, v11, -v2
	v_mul_f32_e32 v10, v10, v19
	v_mul_f32_e32 v11, v11, v19
.LBB177_27:                             ;   in Loop: Header=BB177_23 Depth=1
	s_andn2_b64 vcc, exec, s[10:11]
	s_cbranch_vccnz .LBB177_29
; %bb.28:                               ;   in Loop: Header=BB177_23 Depth=1
	v_div_scale_f32 v10, s[10:11], v4, v4, v5
	v_rcp_f32_e32 v11, v10
	v_div_scale_f32 v19, vcc, v5, v4, v5
	v_fma_f32 v20, -v10, v11, 1.0
	v_fmac_f32_e32 v11, v20, v11
	v_mul_f32_e32 v20, v19, v11
	v_fma_f32 v21, -v10, v20, v19
	v_fmac_f32_e32 v20, v21, v11
	v_fma_f32 v10, -v10, v20, v19
	v_div_fmas_f32 v10, v10, v11, v20
	v_div_fixup_f32 v11, v10, v4, v5
	v_fmac_f32_e32 v4, v5, v11
	v_div_scale_f32 v5, s[10:11], v4, v4, 1.0
	v_rcp_f32_e32 v10, v5
	s_nop 0
	v_fma_f32 v19, -v5, v10, 1.0
	v_fmac_f32_e32 v10, v19, v10
	v_div_scale_f32 v19, vcc, 1.0, v4, 1.0
	v_mul_f32_e32 v20, v19, v10
	v_fma_f32 v21, -v5, v20, v19
	v_fmac_f32_e32 v20, v21, v10
	v_fma_f32 v5, -v5, v20, v19
	v_div_fmas_f32 v5, v5, v10, v20
	v_div_fixup_f32 v4, v5, v4, 1.0
	v_fma_f32 v5, v3, v11, v2
	v_fma_f32 v2, -v2, v11, v3
	v_mul_f32_e32 v10, v5, v4
	v_mul_f32_e32 v11, v2, v4
.LBB177_29:                             ;   in Loop: Header=BB177_23 Depth=1
	v_mov_b32_e32 v2, s15
	ds_read2_b64 v[2:5], v2 offset0:1 offset1:65
	ds_write_b64 v18, v[10:11]
	s_mov_b64 s[10:11], -1
	s_waitcnt lgkmcnt(1)
	v_mul_f32_e32 v18, v11, v3
	v_mul_f32_e32 v3, v10, v3
	v_fma_f32 v18, v10, v2, -v18
	v_fmac_f32_e32 v3, v11, v2
	v_cmp_ngt_f32_e64 s[18:19], |v4|, |v5|
	v_sub_f32_e32 v2, v12, v18
	v_sub_f32_e32 v3, v13, v3
	s_and_b64 vcc, exec, s[18:19]
                                        ; implicit-def: $vgpr13
	s_cbranch_vccz .LBB177_31
; %bb.30:                               ;   in Loop: Header=BB177_23 Depth=1
	v_div_scale_f32 v12, s[10:11], v5, v5, v4
	v_rcp_f32_e32 v13, v12
	v_div_scale_f32 v18, vcc, v4, v5, v4
	v_fma_f32 v19, -v12, v13, 1.0
	v_fmac_f32_e32 v13, v19, v13
	v_mul_f32_e32 v19, v18, v13
	v_fma_f32 v20, -v12, v19, v18
	v_fmac_f32_e32 v19, v20, v13
	v_fma_f32 v12, -v12, v19, v18
	v_div_fmas_f32 v12, v12, v13, v19
	v_div_fixup_f32 v13, v12, v5, v4
	v_fma_f32 v12, v4, v13, v5
	v_div_scale_f32 v18, s[10:11], v12, v12, 1.0
	v_rcp_f32_e32 v19, v18
	s_mov_b64 s[10:11], 0
	v_fma_f32 v20, -v18, v19, 1.0
	v_fmac_f32_e32 v19, v20, v19
	v_div_scale_f32 v20, vcc, 1.0, v12, 1.0
	v_mul_f32_e32 v21, v20, v19
	v_fma_f32 v22, -v18, v21, v20
	v_fmac_f32_e32 v21, v22, v19
	v_fma_f32 v18, -v18, v21, v20
	v_div_fmas_f32 v18, v18, v19, v21
	v_div_fixup_f32 v18, v18, v12, 1.0
	v_fma_f32 v12, v13, v2, v3
	v_fma_f32 v13, v13, v3, -v2
	v_mul_f32_e32 v12, v12, v18
	v_mul_f32_e32 v13, v13, v18
.LBB177_31:                             ;   in Loop: Header=BB177_23 Depth=1
	s_andn2_b64 vcc, exec, s[10:11]
	s_cbranch_vccnz .LBB177_33
; %bb.32:                               ;   in Loop: Header=BB177_23 Depth=1
	v_div_scale_f32 v12, s[10:11], v4, v4, v5
	v_rcp_f32_e32 v13, v12
	v_div_scale_f32 v18, vcc, v5, v4, v5
	v_fma_f32 v19, -v12, v13, 1.0
	v_fmac_f32_e32 v13, v19, v13
	v_mul_f32_e32 v19, v18, v13
	v_fma_f32 v20, -v12, v19, v18
	v_fmac_f32_e32 v19, v20, v13
	v_fma_f32 v12, -v12, v19, v18
	v_div_fmas_f32 v12, v12, v13, v19
	v_div_fixup_f32 v13, v12, v4, v5
	v_fmac_f32_e32 v4, v5, v13
	v_div_scale_f32 v5, s[10:11], v4, v4, 1.0
	v_rcp_f32_e32 v12, v5
	s_nop 0
	v_fma_f32 v18, -v5, v12, 1.0
	v_fmac_f32_e32 v12, v18, v12
	v_div_scale_f32 v18, vcc, 1.0, v4, 1.0
	v_mul_f32_e32 v19, v18, v12
	v_fma_f32 v20, -v5, v19, v18
	v_fmac_f32_e32 v19, v20, v12
	v_fma_f32 v5, -v5, v19, v18
	v_div_fmas_f32 v5, v5, v12, v19
	v_div_fixup_f32 v4, v5, v4, 1.0
	v_fma_f32 v5, v13, v3, v2
	v_fma_f32 v2, -v13, v2, v3
	v_mul_f32_e32 v12, v5, v4
	v_mul_f32_e32 v13, v2, v4
.LBB177_33:                             ;   in Loop: Header=BB177_23 Depth=1
	v_mov_b32_e32 v2, s15
	s_add_i32 s17, s15, 0x208
	ds_read2_b64 v[2:5], v2 offset0:2 offset1:130
	s_lshl_b32 s10, s16, 3
	s_sub_i32 s16, s17, s10
	s_add_i32 s16, s16, s14
	ds_write_b64 v17, v[12:13]
	v_mov_b32_e32 v17, s16
	v_mov_b32_e32 v18, v11
	ds_read_b64 v[22:23], v17 offset:16
	s_waitcnt lgkmcnt(2)
	v_pk_mul_f32 v[18:19], v[18:19], v[2:3] op_sel_hi:[0,1]
	v_pk_fma_f32 v[20:21], v[10:11], v[2:3], v[18:19] op_sel:[0,0,1] op_sel_hi:[1,1,0] neg_lo:[0,0,1] neg_hi:[0,0,1]
	v_pk_fma_f32 v[2:3], v[10:11], v[2:3], v[18:19] op_sel:[0,0,1] op_sel_hi:[0,1,0]
	v_mov_b32_e32 v21, v3
	v_pk_add_f32 v[2:3], v[8:9], v[20:21] neg_lo:[0,1] neg_hi:[0,1]
	v_mov_b32_e32 v8, v13
	s_waitcnt lgkmcnt(0)
	v_pk_mul_f32 v[8:9], v[8:9], v[22:23] op_sel_hi:[0,1]
	v_pk_fma_f32 v[18:19], v[12:13], v[22:23], v[8:9] op_sel:[0,0,1] op_sel_hi:[1,1,0] neg_lo:[0,0,1] neg_hi:[0,0,1]
	v_pk_fma_f32 v[8:9], v[12:13], v[22:23], v[8:9] op_sel:[0,0,1] op_sel_hi:[0,1,0]
	v_mov_b32_e32 v19, v9
	v_cmp_ngt_f32_e64 s[18:19], |v4|, |v5|
	v_pk_add_f32 v[2:3], v[2:3], v[18:19] neg_lo:[0,1] neg_hi:[0,1]
	s_mov_b64 s[10:11], -1
	s_and_b64 vcc, exec, s[18:19]
                                        ; implicit-def: $vgpr8_vgpr9
	s_cbranch_vccz .LBB177_35
; %bb.34:                               ;   in Loop: Header=BB177_23 Depth=1
	v_div_scale_f32 v8, s[10:11], v5, v5, v4
	v_rcp_f32_e32 v9, v8
	v_div_scale_f32 v17, vcc, v4, v5, v4
	v_fma_f32 v18, -v8, v9, 1.0
	v_fmac_f32_e32 v9, v18, v9
	v_mul_f32_e32 v18, v17, v9
	v_fma_f32 v19, -v8, v18, v17
	v_fmac_f32_e32 v18, v19, v9
	v_fma_f32 v8, -v8, v18, v17
	v_div_fmas_f32 v8, v8, v9, v18
	v_div_fixup_f32 v8, v8, v5, v4
	v_fma_f32 v9, v4, v8, v5
	v_div_scale_f32 v17, s[10:11], v9, v9, 1.0
	v_rcp_f32_e32 v20, v17
	v_pk_fma_f32 v[18:19], v[8:9], v[2:3], v[2:3] op_sel:[0,0,1] op_sel_hi:[1,1,0]
	s_mov_b64 s[10:11], 0
	v_fma_f32 v19, -v17, v20, 1.0
	v_fmac_f32_e32 v20, v19, v20
	v_div_scale_f32 v19, vcc, 1.0, v9, 1.0
	v_mul_f32_e32 v21, v19, v20
	v_fma_f32 v22, -v17, v21, v19
	v_fmac_f32_e32 v21, v22, v20
	v_fma_f32 v17, -v17, v21, v19
	v_div_fmas_f32 v17, v17, v20, v21
	v_div_fixup_f32 v19, v17, v9, 1.0
	v_fma_f32 v9, v8, v3, -v2
	v_mov_b32_e32 v8, v19
	v_pk_mul_f32 v[8:9], v[18:19], v[8:9]
.LBB177_35:                             ;   in Loop: Header=BB177_23 Depth=1
	s_andn2_b64 vcc, exec, s[10:11]
	s_cbranch_vccnz .LBB177_37
; %bb.36:                               ;   in Loop: Header=BB177_23 Depth=1
	v_div_scale_f32 v8, s[10:11], v4, v4, v5
	v_rcp_f32_e32 v9, v8
	v_div_scale_f32 v17, vcc, v5, v4, v5
	v_fma_f32 v18, -v8, v9, 1.0
	v_fmac_f32_e32 v9, v18, v9
	v_mul_f32_e32 v18, v17, v9
	v_fma_f32 v19, -v8, v18, v17
	v_fmac_f32_e32 v18, v19, v9
	v_fma_f32 v8, -v8, v18, v17
	v_div_fmas_f32 v8, v8, v9, v18
	v_div_fixup_f32 v8, v8, v4, v5
	v_fma_f32 v4, v5, v8, v4
	v_div_scale_f32 v5, s[10:11], v4, v4, 1.0
	v_rcp_f32_e32 v9, v5
	s_nop 0
	v_fma_f32 v17, -v5, v9, 1.0
	v_fmac_f32_e32 v9, v17, v9
	v_div_scale_f32 v17, vcc, 1.0, v4, 1.0
	v_mul_f32_e32 v18, v17, v9
	v_fma_f32 v19, -v5, v18, v17
	v_fmac_f32_e32 v18, v19, v9
	v_fma_f32 v5, -v5, v18, v17
	v_div_fmas_f32 v5, v5, v9, v18
	v_pk_fma_f32 v[18:19], v[8:9], v[2:3], v[2:3] op_sel:[0,1,0] op_sel_hi:[1,0,1]
	v_pk_fma_f32 v[2:3], v[8:9], v[2:3], v[2:3] op_sel:[0,1,0] op_sel_hi:[0,0,1] neg_lo:[1,0,0] neg_hi:[1,0,0]
	v_div_fixup_f32 v4, v5, v4, 1.0
	v_mov_b32_e32 v19, v3
	v_pk_mul_f32 v[8:9], v[18:19], v[4:5] op_sel_hi:[1,0]
.LBB177_37:                             ;   in Loop: Header=BB177_23 Depth=1
	v_mov_b32_e32 v2, s15
	ds_read2_b64 v[2:5], v2 offset0:3 offset1:195
	v_mov_b32_e32 v18, v11
	v_mov_b32_e32 v19, v11
	;; [unrolled: 1-line block ×3, first 2 shown]
	ds_write_b64 v16, v[8:9]
	s_waitcnt lgkmcnt(1)
	v_pk_mul_f32 v[16:17], v[18:19], v[2:3]
	s_lshl_b32 s10, s13, 3
	v_pk_fma_f32 v[18:19], v[10:11], v[2:3], v[16:17] op_sel:[0,0,1] op_sel_hi:[1,1,0] neg_lo:[0,0,1] neg_hi:[0,0,1]
	v_pk_fma_f32 v[2:3], v[10:11], v[2:3], v[16:17] op_sel:[0,0,1] op_sel_hi:[1,1,0]
	s_sub_i32 s10, s17, s10
	v_mov_b32_e32 v2, s16
	s_add_i32 s10, s10, s14
	ds_read_b64 v[10:11], v2 offset:24
	v_mov_b32_e32 v19, v3
	v_pk_add_f32 v[2:3], v[6:7], v[18:19] neg_lo:[0,1] neg_hi:[0,1]
	v_mov_b32_e32 v6, s10
	ds_read_b64 v[6:7], v6 offset:544
	v_mov_b32_e32 v20, v13
	v_mov_b32_e32 v21, v13
	;; [unrolled: 1-line block ×3, first 2 shown]
	s_waitcnt lgkmcnt(1)
	v_pk_mul_f32 v[16:17], v[20:21], v[10:11]
	v_cmp_ngt_f32_e64 s[14:15], |v4|, |v5|
	v_pk_fma_f32 v[18:19], v[12:13], v[10:11], v[16:17] op_sel:[0,0,1] op_sel_hi:[1,1,0] neg_lo:[0,0,1] neg_hi:[0,0,1]
	v_pk_fma_f32 v[10:11], v[12:13], v[10:11], v[16:17] op_sel:[0,0,1] op_sel_hi:[1,1,0]
	s_mov_b64 s[10:11], -1
	v_mov_b32_e32 v19, v11
	s_waitcnt lgkmcnt(0)
	v_pk_mul_f32 v[10:11], v[8:9], v[6:7] op_sel:[1,1] op_sel_hi:[1,0]
	v_pk_add_f32 v[2:3], v[2:3], v[18:19] neg_lo:[0,1] neg_hi:[0,1]
	v_pk_fma_f32 v[12:13], v[8:9], v[6:7], v[10:11] neg_lo:[0,0,1] neg_hi:[0,0,1]
	v_pk_fma_f32 v[6:7], v[8:9], v[6:7], v[10:11] op_sel_hi:[0,1,1]
	v_mov_b32_e32 v13, v7
	v_pk_add_f32 v[2:3], v[2:3], v[12:13] neg_lo:[0,1] neg_hi:[0,1]
	s_and_b64 vcc, exec, s[14:15]
                                        ; implicit-def: $vgpr6_vgpr7
	s_cbranch_vccz .LBB177_39
; %bb.38:                               ;   in Loop: Header=BB177_23 Depth=1
	v_div_scale_f32 v6, s[10:11], v5, v5, v4
	v_rcp_f32_e32 v7, v6
	v_div_scale_f32 v8, vcc, v4, v5, v4
	v_fma_f32 v9, -v6, v7, 1.0
	v_fmac_f32_e32 v7, v9, v7
	v_mul_f32_e32 v9, v8, v7
	v_fma_f32 v10, -v6, v9, v8
	v_fmac_f32_e32 v9, v10, v7
	v_fma_f32 v6, -v6, v9, v8
	v_div_fmas_f32 v6, v6, v7, v9
	v_div_fixup_f32 v6, v6, v5, v4
	v_fma_f32 v7, v4, v6, v5
	v_div_scale_f32 v10, s[10:11], v7, v7, 1.0
	v_rcp_f32_e32 v11, v10
	v_pk_fma_f32 v[8:9], v[6:7], v[2:3], v[2:3] op_sel:[0,0,1] op_sel_hi:[1,1,0]
	s_mov_b64 s[10:11], 0
	v_fma_f32 v9, -v10, v11, 1.0
	v_fmac_f32_e32 v11, v9, v11
	v_div_scale_f32 v9, vcc, 1.0, v7, 1.0
	v_mul_f32_e32 v12, v9, v11
	v_fma_f32 v13, -v10, v12, v9
	v_fmac_f32_e32 v12, v13, v11
	v_fma_f32 v9, -v10, v12, v9
	v_div_fmas_f32 v9, v9, v11, v12
	v_div_fixup_f32 v9, v9, v7, 1.0
	v_fma_f32 v7, v6, v3, -v2
	v_mov_b32_e32 v6, v9
	v_pk_mul_f32 v[6:7], v[8:9], v[6:7]
.LBB177_39:                             ;   in Loop: Header=BB177_23 Depth=1
	s_andn2_b64 vcc, exec, s[10:11]
	s_cbranch_vccnz .LBB177_41
; %bb.40:                               ;   in Loop: Header=BB177_23 Depth=1
	v_div_scale_f32 v6, s[10:11], v4, v4, v5
	v_rcp_f32_e32 v7, v6
	v_div_scale_f32 v8, vcc, v5, v4, v5
	v_fma_f32 v9, -v6, v7, 1.0
	v_fmac_f32_e32 v7, v9, v7
	v_mul_f32_e32 v9, v8, v7
	v_fma_f32 v10, -v6, v9, v8
	v_fmac_f32_e32 v9, v10, v7
	v_fma_f32 v6, -v6, v9, v8
	v_div_fmas_f32 v6, v6, v7, v9
	v_div_fixup_f32 v6, v6, v4, v5
	v_fma_f32 v4, v5, v6, v4
	v_div_scale_f32 v5, s[10:11], v4, v4, 1.0
	v_rcp_f32_e32 v7, v5
	s_nop 0
	v_fma_f32 v8, -v5, v7, 1.0
	v_fmac_f32_e32 v7, v8, v7
	v_div_scale_f32 v8, vcc, 1.0, v4, 1.0
	v_mul_f32_e32 v9, v8, v7
	v_fma_f32 v10, -v5, v9, v8
	v_fmac_f32_e32 v9, v10, v7
	v_fma_f32 v5, -v5, v9, v8
	v_div_fmas_f32 v5, v5, v7, v9
	v_pk_fma_f32 v[8:9], v[6:7], v[2:3], v[2:3] op_sel:[0,1,0] op_sel_hi:[1,0,1]
	v_pk_fma_f32 v[2:3], v[6:7], v[2:3], v[2:3] op_sel:[0,1,0] op_sel_hi:[0,0,1] neg_lo:[1,0,0] neg_hi:[1,0,0]
	v_div_fixup_f32 v4, v5, v4, 1.0
	v_mov_b32_e32 v9, v3
	v_pk_mul_f32 v[6:7], v[8:9], v[4:5] op_sel_hi:[1,0]
.LBB177_41:                             ;   in Loop: Header=BB177_23 Depth=1
	s_add_i32 s13, s12, 4
	s_add_i32 s10, s12, 7
	s_add_i32 s9, s9, 32
	s_cmp_ge_i32 s10, s28
	ds_write_b64 v15, v[6:7]
	s_cbranch_scc1 .LBB177_43
; %bb.42:                               ;   in Loop: Header=BB177_23 Depth=1
	s_mov_b32 s12, s13
	s_branch .LBB177_23
.LBB177_43:
	s_cmp_ge_i32 s13, s28
	s_cbranch_scc1 .LBB177_52
; %bb.44:
	v_mov_b32_e32 v2, 0x8000
	s_lshl_b32 s9, s13, 3
	v_lshl_or_b32 v8, v0, 3, v2
	s_branch .LBB177_46
.LBB177_45:                             ;   in Loop: Header=BB177_46 Depth=1
	s_add_i32 s13, s13, 1
	s_add_i32 s9, s9, 8
	s_cmp_ge_i32 s13, s28
	ds_write_b64 v9, v[6:7]
	s_cbranch_scc1 .LBB177_52
.LBB177_46:                             ; =>This Loop Header: Depth=1
                                        ;     Child Loop BB177_47 Depth 2
	s_lshl_b32 s10, s13, 9
	v_add_u32_e32 v9, s10, v1
	ds_read_b64 v[2:3], v9
	s_cmp_eq_u32 s13, 0
	v_mov_b32_e32 v4, v8
	s_mov_b32 s11, s9
	s_mov_b32 s12, s13
	s_cbranch_scc1 .LBB177_48
.LBB177_47:                             ;   Parent Loop BB177_46 Depth=1
                                        ; =>  This Inner Loop Header: Depth=2
	v_mov_b32_e32 v5, s11
	ds_read_b64 v[6:7], v4
	ds_read_b64 v[10:11], v5
	s_add_i32 s12, s12, -1
	s_addk_i32 s11, 0x200
	v_add_u32_e32 v4, 0x200, v4
	s_cmp_eq_u32 s12, 0
	s_waitcnt lgkmcnt(0)
	v_pk_mul_f32 v[12:13], v[10:11], v[6:7] op_sel:[1,1] op_sel_hi:[0,1]
	v_pk_fma_f32 v[14:15], v[10:11], v[6:7], v[12:13] op_sel_hi:[1,0,1]
	v_pk_fma_f32 v[6:7], v[10:11], v[6:7], v[12:13] op_sel_hi:[1,0,1] neg_lo:[0,0,1] neg_hi:[0,0,1]
	s_nop 0
	v_mov_b32_e32 v7, v15
	v_pk_add_f32 v[2:3], v[2:3], v[6:7] neg_lo:[0,1] neg_hi:[0,1]
	s_cbranch_scc0 .LBB177_47
.LBB177_48:                             ;   in Loop: Header=BB177_46 Depth=1
	s_lshl_b32 s11, s13, 3
	s_add_i32 s10, s11, s10
	v_mov_b32_e32 v4, s10
	ds_read_b64 v[4:5], v4
	s_mov_b64 s[10:11], -1
                                        ; implicit-def: $vgpr6_vgpr7
	s_waitcnt lgkmcnt(0)
	v_cmp_ngt_f32_e64 s[14:15], |v4|, |v5|
	s_and_b64 vcc, exec, s[14:15]
	s_cbranch_vccz .LBB177_50
; %bb.49:                               ;   in Loop: Header=BB177_46 Depth=1
	v_div_scale_f32 v6, s[10:11], v5, v5, v4
	v_rcp_f32_e32 v7, v6
	v_div_scale_f32 v10, vcc, v4, v5, v4
	v_fma_f32 v11, -v6, v7, 1.0
	v_fmac_f32_e32 v7, v11, v7
	v_mul_f32_e32 v11, v10, v7
	v_fma_f32 v12, -v6, v11, v10
	v_fmac_f32_e32 v11, v12, v7
	v_fma_f32 v6, -v6, v11, v10
	v_div_fmas_f32 v6, v6, v7, v11
	v_div_fixup_f32 v6, v6, v5, v4
	v_fma_f32 v7, v4, v6, v5
	v_div_scale_f32 v10, s[10:11], v7, v7, 1.0
	v_rcp_f32_e32 v11, v10
	s_mov_b64 s[10:11], 0
	v_fma_f32 v12, -v10, v11, 1.0
	v_fmac_f32_e32 v11, v12, v11
	v_div_scale_f32 v12, vcc, 1.0, v7, 1.0
	v_mul_f32_e32 v13, v12, v11
	v_fma_f32 v14, -v10, v13, v12
	v_fmac_f32_e32 v13, v14, v11
	v_fma_f32 v10, -v10, v13, v12
	v_div_fmas_f32 v10, v10, v11, v13
	v_div_fixup_f32 v10, v10, v7, 1.0
	v_pk_fma_f32 v[12:13], v[2:3], v[6:7], v[2:3] op_sel:[0,0,1] op_sel_hi:[1,0,0] neg_lo:[0,0,1] neg_hi:[0,0,1]
	v_pk_fma_f32 v[6:7], v[2:3], v[6:7], v[2:3] op_sel:[0,0,1] op_sel_hi:[1,0,0]
	s_nop 0
	v_mov_b32_e32 v7, v13
	v_pk_mul_f32 v[6:7], v[6:7], v[10:11] op_sel_hi:[1,0]
.LBB177_50:                             ;   in Loop: Header=BB177_46 Depth=1
	s_andn2_b64 vcc, exec, s[10:11]
	s_cbranch_vccnz .LBB177_45
; %bb.51:                               ;   in Loop: Header=BB177_46 Depth=1
	v_div_scale_f32 v6, s[10:11], v4, v4, v5
	v_rcp_f32_e32 v7, v6
	v_div_scale_f32 v10, vcc, v5, v4, v5
	v_fma_f32 v11, -v6, v7, 1.0
	v_fmac_f32_e32 v7, v11, v7
	v_mul_f32_e32 v11, v10, v7
	v_fma_f32 v12, -v6, v11, v10
	v_fmac_f32_e32 v11, v12, v7
	v_fma_f32 v6, -v6, v11, v10
	v_div_fmas_f32 v6, v6, v7, v11
	v_div_fixup_f32 v6, v6, v4, v5
	v_fmac_f32_e32 v4, v5, v6
	v_div_scale_f32 v5, s[10:11], v4, v4, 1.0
	v_rcp_f32_e32 v7, v5
	s_nop 0
	v_fma_f32 v10, -v5, v7, 1.0
	v_fmac_f32_e32 v7, v10, v7
	v_div_scale_f32 v10, vcc, 1.0, v4, 1.0
	v_mul_f32_e32 v11, v10, v7
	v_fma_f32 v12, -v5, v11, v10
	v_fmac_f32_e32 v11, v12, v7
	v_fma_f32 v5, -v5, v11, v10
	v_div_fmas_f32 v5, v5, v7, v11
	v_pk_fma_f32 v[10:11], v[2:3], v[6:7], v[2:3] op_sel:[1,0,0] op_sel_hi:[0,0,1] neg_lo:[1,0,0] neg_hi:[1,0,0]
	v_pk_fma_f32 v[2:3], v[2:3], v[6:7], v[2:3] op_sel:[1,0,0] op_sel_hi:[0,0,1]
	v_div_fixup_f32 v4, v5, v4, 1.0
	v_mov_b32_e32 v3, v11
	v_pk_mul_f32 v[6:7], v[2:3], v[4:5] op_sel_hi:[1,0]
	s_branch .LBB177_45
.LBB177_52:
	s_mov_b64 s[10:11], 0
.LBB177_53:
	s_and_b64 vcc, exec, s[10:11]
	s_cbranch_vccz .LBB177_85
; %bb.54:
	s_andn2_b64 vcc, exec, s[4:5]
	s_mov_b32 s13, s7
	s_cbranch_vccnz .LBB177_76
; %bb.55:
	v_lshlrev_b32_e32 v2, 3, v0
	v_lshl_or_b32 v2, s28, 9, v2
	s_mul_i32 s9, s28, 0x208
	v_add_u32_e32 v14, 0x7e00, v2
	s_mov_b32 s12, s7
.LBB177_56:                             ; =>This Loop Header: Depth=1
                                        ;     Child Loop BB177_57 Depth 2
	s_add_i32 s13, s12, -3
	v_lshl_add_u32 v18, s12, 9, v1
	s_add_i32 s17, s12, -1
	s_add_i32 s18, s12, -2
	s_lshl_b32 s14, s13, 9
	v_lshl_add_u32 v17, s17, 9, v1
	v_lshl_add_u32 v16, s18, 9, v1
	v_add_u32_e32 v15, s14, v1
	ds_read_b64 v[10:11], v18
	ds_read_b64 v[8:9], v17
	;; [unrolled: 1-line block ×4, first 2 shown]
	s_cmp_le_i32 s7, s12
	v_mov_b32_e32 v6, v14
	s_mov_b32 s10, s9
	s_mov_b32 s11, s7
	s_cbranch_scc1 .LBB177_58
.LBB177_57:                             ;   Parent Loop BB177_56 Depth=1
                                        ; =>  This Inner Loop Header: Depth=2
	s_add_i32 s15, s10, 0xfffffdf0
	s_add_i32 s16, s10, 0xfffffde0
	v_mov_b32_e32 v7, s15
	ds_read_b64 v[12:13], v6
	v_mov_b32_e32 v19, s16
	ds_read2_b64 v[20:23], v7 offset1:1
	ds_read2_b64 v[24:27], v19 offset1:1
	s_add_i32 s11, s11, -1
	s_addk_i32 s10, 0xfe00
	v_add_u32_e32 v6, 0xfffffe00, v6
	s_waitcnt lgkmcnt(1)
	v_mul_f32_e32 v7, v23, v13
	v_mul_f32_e32 v19, v22, v13
	v_mul_f32_e32 v32, v21, v13
	v_mul_f32_e32 v33, v21, v12
	s_waitcnt lgkmcnt(0)
	v_pk_mul_f32 v[28:29], v[26:27], v[12:13] op_sel:[0,1]
	v_pk_mul_f32 v[30:31], v[24:25], v[12:13] op_sel:[0,1]
	v_fma_f32 v7, v22, v12, -v7
	v_fmac_f32_e32 v19, v23, v12
	v_fma_f32 v32, v20, v12, -v32
	v_fmac_f32_e32 v33, v20, v13
	v_pk_fma_f32 v[20:21], v[26:27], v[12:13], v[28:29] op_sel:[0,0,1] op_sel_hi:[1,1,0] neg_lo:[0,0,1] neg_hi:[0,0,1]
	v_pk_fma_f32 v[22:23], v[26:27], v[12:13], v[28:29] op_sel:[0,0,1] op_sel_hi:[1,0,0]
	v_pk_fma_f32 v[26:27], v[24:25], v[12:13], v[30:31] op_sel:[0,0,1] op_sel_hi:[1,1,0] neg_lo:[0,0,1] neg_hi:[0,0,1]
	v_pk_fma_f32 v[12:13], v[24:25], v[12:13], v[30:31] op_sel:[0,0,1] op_sel_hi:[1,0,0]
	v_mov_b32_e32 v21, v23
	v_mov_b32_e32 v27, v13
	s_cmp_le_i32 s11, s12
	v_sub_f32_e32 v10, v10, v7
	v_sub_f32_e32 v11, v11, v19
	;; [unrolled: 1-line block ×4, first 2 shown]
	v_pk_add_f32 v[4:5], v[4:5], v[20:21] neg_lo:[0,1] neg_hi:[0,1]
	v_pk_add_f32 v[2:3], v[2:3], v[26:27] neg_lo:[0,1] neg_hi:[0,1]
	s_cbranch_scc0 .LBB177_57
.LBB177_58:                             ;   in Loop: Header=BB177_56 Depth=1
	s_lshl_b32 s16, s12, 3
	s_lshl_b32 s10, s12, 9
	s_add_i32 s15, s16, s10
	v_mov_b32_e32 v6, s15
	ds_read_b64 v[12:13], v6
	s_mov_b64 s[10:11], -1
                                        ; implicit-def: $vgpr7
	s_waitcnt lgkmcnt(0)
	v_cmp_ngt_f32_e64 s[20:21], |v12|, |v13|
	s_and_b64 vcc, exec, s[20:21]
	s_cbranch_vccz .LBB177_60
; %bb.59:                               ;   in Loop: Header=BB177_56 Depth=1
	v_div_scale_f32 v6, s[10:11], v13, v13, v12
	v_rcp_f32_e32 v7, v6
	v_div_scale_f32 v19, vcc, v12, v13, v12
	v_fma_f32 v20, -v6, v7, 1.0
	v_fmac_f32_e32 v7, v20, v7
	v_mul_f32_e32 v20, v19, v7
	v_fma_f32 v21, -v6, v20, v19
	v_fmac_f32_e32 v20, v21, v7
	v_fma_f32 v6, -v6, v20, v19
	v_div_fmas_f32 v6, v6, v7, v20
	v_div_fixup_f32 v7, v6, v13, v12
	v_fma_f32 v6, v12, v7, v13
	v_div_scale_f32 v19, s[10:11], v6, v6, 1.0
	v_rcp_f32_e32 v20, v19
	s_mov_b64 s[10:11], 0
	v_fma_f32 v21, -v19, v20, 1.0
	v_fmac_f32_e32 v20, v21, v20
	v_div_scale_f32 v21, vcc, 1.0, v6, 1.0
	v_mul_f32_e32 v22, v21, v20
	v_fma_f32 v23, -v19, v22, v21
	v_fmac_f32_e32 v22, v23, v20
	v_fma_f32 v19, -v19, v22, v21
	v_div_fmas_f32 v19, v19, v20, v22
	v_div_fixup_f32 v19, v19, v6, 1.0
	v_fma_f32 v6, v10, v7, v11
	v_fma_f32 v7, v11, v7, -v10
	v_mul_f32_e32 v6, v6, v19
	v_mul_f32_e32 v7, v7, v19
.LBB177_60:                             ;   in Loop: Header=BB177_56 Depth=1
	s_andn2_b64 vcc, exec, s[10:11]
	s_cbranch_vccnz .LBB177_62
; %bb.61:                               ;   in Loop: Header=BB177_56 Depth=1
	v_div_scale_f32 v6, s[10:11], v12, v12, v13
	v_rcp_f32_e32 v7, v6
	v_div_scale_f32 v19, vcc, v13, v12, v13
	v_fma_f32 v20, -v6, v7, 1.0
	v_fmac_f32_e32 v7, v20, v7
	v_mul_f32_e32 v20, v19, v7
	v_fma_f32 v21, -v6, v20, v19
	v_fmac_f32_e32 v20, v21, v7
	v_fma_f32 v6, -v6, v20, v19
	v_div_fmas_f32 v6, v6, v7, v20
	v_div_fixup_f32 v7, v6, v12, v13
	v_fmac_f32_e32 v12, v13, v7
	v_div_scale_f32 v6, s[10:11], v12, v12, 1.0
	v_rcp_f32_e32 v13, v6
	s_nop 0
	v_fma_f32 v19, -v6, v13, 1.0
	v_fmac_f32_e32 v13, v19, v13
	v_div_scale_f32 v19, vcc, 1.0, v12, 1.0
	v_mul_f32_e32 v20, v19, v13
	v_fma_f32 v21, -v6, v20, v19
	v_fmac_f32_e32 v20, v21, v13
	v_fma_f32 v6, -v6, v20, v19
	v_div_fmas_f32 v6, v6, v13, v20
	v_div_fixup_f32 v12, v6, v12, 1.0
	v_fma_f32 v6, v11, v7, v10
	v_fma_f32 v7, -v10, v7, v11
	v_mul_f32_e32 v6, v6, v12
	v_mul_f32_e32 v7, v7, v12
.LBB177_62:                             ;   in Loop: Header=BB177_56 Depth=1
	s_lshl_b32 s10, s17, 9
	s_add_i32 s19, s16, s10
	s_add_i32 s10, s15, -8
	v_mov_b32_e32 v10, s10
	s_add_i32 s19, s19, -8
	ds_read_b64 v[12:13], v10
	v_mov_b32_e32 v10, s19
	ds_read_b64 v[10:11], v10
	ds_write_b64 v18, v[6:7]
	s_mov_b64 s[10:11], -1
	s_waitcnt lgkmcnt(2)
	v_mul_f32_e32 v18, v7, v13
	v_mul_f32_e32 v13, v6, v13
	v_fma_f32 v18, v6, v12, -v18
	v_fmac_f32_e32 v13, v7, v12
	s_waitcnt lgkmcnt(1)
	v_cmp_ngt_f32_e64 s[20:21], |v10|, |v11|
	v_sub_f32_e32 v12, v8, v18
	v_sub_f32_e32 v13, v9, v13
	s_and_b64 vcc, exec, s[20:21]
                                        ; implicit-def: $vgpr9
	s_cbranch_vccz .LBB177_64
; %bb.63:                               ;   in Loop: Header=BB177_56 Depth=1
	v_div_scale_f32 v8, s[10:11], v11, v11, v10
	v_rcp_f32_e32 v9, v8
	v_div_scale_f32 v18, vcc, v10, v11, v10
	v_fma_f32 v19, -v8, v9, 1.0
	v_fmac_f32_e32 v9, v19, v9
	v_mul_f32_e32 v19, v18, v9
	v_fma_f32 v20, -v8, v19, v18
	v_fmac_f32_e32 v19, v20, v9
	v_fma_f32 v8, -v8, v19, v18
	v_div_fmas_f32 v8, v8, v9, v19
	v_div_fixup_f32 v9, v8, v11, v10
	v_fma_f32 v8, v10, v9, v11
	v_div_scale_f32 v18, s[10:11], v8, v8, 1.0
	v_rcp_f32_e32 v19, v18
	s_mov_b64 s[10:11], 0
	v_fma_f32 v20, -v18, v19, 1.0
	v_fmac_f32_e32 v19, v20, v19
	v_div_scale_f32 v20, vcc, 1.0, v8, 1.0
	v_mul_f32_e32 v21, v20, v19
	v_fma_f32 v22, -v18, v21, v20
	v_fmac_f32_e32 v21, v22, v19
	v_fma_f32 v18, -v18, v21, v20
	v_div_fmas_f32 v18, v18, v19, v21
	v_div_fixup_f32 v18, v18, v8, 1.0
	v_fma_f32 v8, v9, v12, v13
	v_fma_f32 v9, v9, v13, -v12
	v_mul_f32_e32 v8, v8, v18
	v_mul_f32_e32 v9, v9, v18
.LBB177_64:                             ;   in Loop: Header=BB177_56 Depth=1
	s_andn2_b64 vcc, exec, s[10:11]
	s_cbranch_vccnz .LBB177_66
; %bb.65:                               ;   in Loop: Header=BB177_56 Depth=1
	v_div_scale_f32 v8, s[10:11], v10, v10, v11
	v_rcp_f32_e32 v9, v8
	v_div_scale_f32 v18, vcc, v11, v10, v11
	v_fma_f32 v19, -v8, v9, 1.0
	v_fmac_f32_e32 v9, v19, v9
	v_mul_f32_e32 v19, v18, v9
	v_fma_f32 v20, -v8, v19, v18
	v_fmac_f32_e32 v19, v20, v9
	v_fma_f32 v8, -v8, v19, v18
	v_div_fmas_f32 v8, v8, v9, v19
	v_div_fixup_f32 v9, v8, v10, v11
	v_fmac_f32_e32 v10, v11, v9
	v_div_scale_f32 v8, s[10:11], v10, v10, 1.0
	v_rcp_f32_e32 v11, v8
	s_nop 0
	v_fma_f32 v18, -v8, v11, 1.0
	v_fmac_f32_e32 v11, v18, v11
	v_div_scale_f32 v18, vcc, 1.0, v10, 1.0
	v_mul_f32_e32 v19, v18, v11
	v_fma_f32 v20, -v8, v19, v18
	v_fmac_f32_e32 v19, v20, v11
	v_fma_f32 v8, -v8, v19, v18
	v_div_fmas_f32 v8, v8, v11, v19
	v_div_fixup_f32 v10, v8, v10, 1.0
	v_fma_f32 v8, v9, v13, v12
	v_fma_f32 v9, -v9, v12, v13
	v_mul_f32_e32 v8, v8, v10
	v_mul_f32_e32 v9, v9, v10
.LBB177_66:                             ;   in Loop: Header=BB177_56 Depth=1
	s_add_i32 s11, s15, -16
	s_lshl_b32 s17, s17, 3
	v_mov_b32_e32 v10, s11
	s_lshl_b32 s10, s18, 9
	s_sub_i32 s17, s19, s17
	s_lshl_b32 s18, s18, 3
	ds_read_b64 v[12:13], v10
	s_add_i32 s10, s16, s10
	s_add_i32 s19, s17, s18
	v_mov_b32_e32 v10, s19
	s_add_i32 s19, s10, -16
	ds_write_b64 v17, v[8:9]
	v_mov_b32_e32 v11, s19
	v_mov_b32_e32 v18, v7
	ds_read_b64 v[20:21], v10
	ds_read_b64 v[10:11], v11
	s_waitcnt lgkmcnt(3)
	v_pk_mul_f32 v[18:19], v[18:19], v[12:13] op_sel_hi:[0,1]
	v_pk_fma_f32 v[22:23], v[6:7], v[12:13], v[18:19] op_sel:[0,0,1] op_sel_hi:[1,1,0] neg_lo:[0,0,1] neg_hi:[0,0,1]
	v_pk_fma_f32 v[12:13], v[6:7], v[12:13], v[18:19] op_sel:[0,0,1] op_sel_hi:[0,1,0]
	v_mov_b32_e32 v12, v9
	v_mov_b32_e32 v23, v13
	s_waitcnt lgkmcnt(1)
	v_pk_mul_f32 v[12:13], v[12:13], v[20:21] op_sel_hi:[0,1]
	v_pk_fma_f32 v[18:19], v[8:9], v[20:21], v[12:13] op_sel:[0,0,1] op_sel_hi:[1,1,0] neg_lo:[0,0,1] neg_hi:[0,0,1]
	v_pk_fma_f32 v[12:13], v[8:9], v[20:21], v[12:13] op_sel:[0,0,1] op_sel_hi:[0,1,0]
	v_pk_add_f32 v[4:5], v[4:5], v[22:23] neg_lo:[0,1] neg_hi:[0,1]
	v_mov_b32_e32 v19, v13
	s_waitcnt lgkmcnt(0)
	v_cmp_ngt_f32_e64 s[20:21], |v10|, |v11|
	v_pk_add_f32 v[4:5], v[4:5], v[18:19] neg_lo:[0,1] neg_hi:[0,1]
	s_mov_b64 s[10:11], -1
	s_and_b64 vcc, exec, s[20:21]
                                        ; implicit-def: $vgpr12_vgpr13
	s_cbranch_vccz .LBB177_68
; %bb.67:                               ;   in Loop: Header=BB177_56 Depth=1
	v_div_scale_f32 v12, s[10:11], v11, v11, v10
	v_rcp_f32_e32 v13, v12
	v_div_scale_f32 v17, vcc, v10, v11, v10
	v_fma_f32 v18, -v12, v13, 1.0
	v_fmac_f32_e32 v13, v18, v13
	v_mul_f32_e32 v18, v17, v13
	v_fma_f32 v19, -v12, v18, v17
	v_fmac_f32_e32 v18, v19, v13
	v_fma_f32 v12, -v12, v18, v17
	v_div_fmas_f32 v12, v12, v13, v18
	v_div_fixup_f32 v12, v12, v11, v10
	v_fma_f32 v13, v10, v12, v11
	v_div_scale_f32 v17, s[10:11], v13, v13, 1.0
	v_rcp_f32_e32 v20, v17
	v_pk_fma_f32 v[18:19], v[12:13], v[4:5], v[4:5] op_sel:[0,0,1] op_sel_hi:[1,1,0]
	s_mov_b64 s[10:11], 0
	v_fma_f32 v19, -v17, v20, 1.0
	v_fmac_f32_e32 v20, v19, v20
	v_div_scale_f32 v19, vcc, 1.0, v13, 1.0
	v_mul_f32_e32 v21, v19, v20
	v_fma_f32 v22, -v17, v21, v19
	v_fmac_f32_e32 v21, v22, v20
	v_fma_f32 v17, -v17, v21, v19
	v_div_fmas_f32 v17, v17, v20, v21
	v_div_fixup_f32 v19, v17, v13, 1.0
	v_fma_f32 v13, v12, v5, -v4
	v_mov_b32_e32 v12, v19
	v_pk_mul_f32 v[12:13], v[18:19], v[12:13]
.LBB177_68:                             ;   in Loop: Header=BB177_56 Depth=1
	s_andn2_b64 vcc, exec, s[10:11]
	s_cbranch_vccnz .LBB177_70
; %bb.69:                               ;   in Loop: Header=BB177_56 Depth=1
	v_div_scale_f32 v12, s[10:11], v10, v10, v11
	v_rcp_f32_e32 v13, v12
	v_div_scale_f32 v17, vcc, v11, v10, v11
	v_fma_f32 v18, -v12, v13, 1.0
	v_fmac_f32_e32 v13, v18, v13
	v_mul_f32_e32 v18, v17, v13
	v_fma_f32 v19, -v12, v18, v17
	v_fmac_f32_e32 v18, v19, v13
	v_fma_f32 v12, -v12, v18, v17
	v_div_fmas_f32 v12, v12, v13, v18
	v_div_fixup_f32 v12, v12, v10, v11
	v_fmac_f32_e32 v10, v11, v12
	v_div_scale_f32 v11, s[10:11], v10, v10, 1.0
	v_rcp_f32_e32 v13, v11
	s_nop 0
	v_fma_f32 v17, -v11, v13, 1.0
	v_fmac_f32_e32 v13, v17, v13
	v_div_scale_f32 v17, vcc, 1.0, v10, 1.0
	v_mul_f32_e32 v18, v17, v13
	v_fma_f32 v19, -v11, v18, v17
	v_fmac_f32_e32 v18, v19, v13
	v_fma_f32 v11, -v11, v18, v17
	v_div_fmas_f32 v11, v11, v13, v18
	v_pk_fma_f32 v[18:19], v[12:13], v[4:5], v[4:5] op_sel:[0,1,0] op_sel_hi:[1,0,1]
	v_pk_fma_f32 v[4:5], v[12:13], v[4:5], v[4:5] op_sel:[0,1,0] op_sel_hi:[0,0,1] neg_lo:[1,0,0] neg_hi:[1,0,0]
	v_div_fixup_f32 v10, v11, v10, 1.0
	v_mov_b32_e32 v19, v5
	v_pk_mul_f32 v[12:13], v[18:19], v[10:11] op_sel_hi:[1,0]
.LBB177_70:                             ;   in Loop: Header=BB177_56 Depth=1
	s_sub_i32 s10, s15, 24
	v_mov_b32_e32 v4, s10
	ds_write_b64 v16, v[12:13]
	ds_read_b64 v[16:17], v4
	s_add_i32 s16, s16, s14
	s_lshl_b32 s11, s13, 3
	s_sub_i32 s14, s19, s18
	s_add_i32 s13, s17, s11
	s_add_i32 s11, s14, s11
	v_mov_b32_e32 v4, s13
	v_mov_b32_e32 v5, s11
	s_sub_i32 s10, s16, 24
	v_mov_b32_e32 v10, v7
	v_mov_b32_e32 v11, v7
	;; [unrolled: 1-line block ×3, first 2 shown]
	ds_read_b64 v[20:21], v4
	ds_read_b64 v[22:23], v5
	;; [unrolled: 1-line block ×3, first 2 shown]
	v_mov_b32_e32 v7, v6
	s_waitcnt lgkmcnt(3)
	v_pk_mul_f32 v[10:11], v[10:11], v[16:17]
	v_mov_b32_e32 v18, v9
	v_mov_b32_e32 v19, v9
	v_pk_fma_f32 v[24:25], v[6:7], v[16:17], v[10:11] op_sel:[0,0,1] op_sel_hi:[1,1,0] neg_lo:[0,0,1] neg_hi:[0,0,1]
	v_pk_fma_f32 v[6:7], v[6:7], v[16:17], v[10:11] op_sel:[0,0,1] op_sel_hi:[1,1,0]
	v_mov_b32_e32 v9, v8
	v_mov_b32_e32 v25, v7
	s_waitcnt lgkmcnt(2)
	v_pk_mul_f32 v[6:7], v[18:19], v[20:21]
	v_pk_add_f32 v[2:3], v[2:3], v[24:25] neg_lo:[0,1] neg_hi:[0,1]
	v_pk_fma_f32 v[10:11], v[8:9], v[20:21], v[6:7] op_sel:[0,0,1] op_sel_hi:[1,1,0] neg_lo:[0,0,1] neg_hi:[0,0,1]
	v_pk_fma_f32 v[6:7], v[8:9], v[20:21], v[6:7] op_sel:[0,0,1] op_sel_hi:[1,1,0]
	s_waitcnt lgkmcnt(0)
	v_cmp_ngt_f32_e64 s[14:15], |v4|, |v5|
	v_mov_b32_e32 v11, v7
	v_pk_mul_f32 v[6:7], v[12:13], v[22:23] op_sel:[1,1] op_sel_hi:[1,0]
	v_pk_add_f32 v[2:3], v[2:3], v[10:11] neg_lo:[0,1] neg_hi:[0,1]
	v_pk_fma_f32 v[8:9], v[12:13], v[22:23], v[6:7] neg_lo:[0,0,1] neg_hi:[0,0,1]
	v_pk_fma_f32 v[6:7], v[12:13], v[22:23], v[6:7] op_sel_hi:[0,1,1]
	v_mov_b32_e32 v9, v7
	v_pk_add_f32 v[2:3], v[2:3], v[8:9] neg_lo:[0,1] neg_hi:[0,1]
	s_mov_b64 s[10:11], -1
	s_and_b64 vcc, exec, s[14:15]
                                        ; implicit-def: $vgpr6_vgpr7
	s_cbranch_vccz .LBB177_72
; %bb.71:                               ;   in Loop: Header=BB177_56 Depth=1
	v_div_scale_f32 v6, s[10:11], v5, v5, v4
	v_rcp_f32_e32 v7, v6
	v_div_scale_f32 v8, vcc, v4, v5, v4
	v_fma_f32 v9, -v6, v7, 1.0
	v_fmac_f32_e32 v7, v9, v7
	v_mul_f32_e32 v9, v8, v7
	v_fma_f32 v10, -v6, v9, v8
	v_fmac_f32_e32 v9, v10, v7
	v_fma_f32 v6, -v6, v9, v8
	v_div_fmas_f32 v6, v6, v7, v9
	v_div_fixup_f32 v6, v6, v5, v4
	v_fma_f32 v7, v4, v6, v5
	v_div_scale_f32 v10, s[10:11], v7, v7, 1.0
	v_rcp_f32_e32 v11, v10
	v_pk_fma_f32 v[8:9], v[6:7], v[2:3], v[2:3] op_sel:[0,0,1] op_sel_hi:[1,1,0]
	s_mov_b64 s[10:11], 0
	v_fma_f32 v9, -v10, v11, 1.0
	v_fmac_f32_e32 v11, v9, v11
	v_div_scale_f32 v9, vcc, 1.0, v7, 1.0
	v_mul_f32_e32 v12, v9, v11
	v_fma_f32 v13, -v10, v12, v9
	v_fmac_f32_e32 v12, v13, v11
	v_fma_f32 v9, -v10, v12, v9
	v_div_fmas_f32 v9, v9, v11, v12
	v_div_fixup_f32 v9, v9, v7, 1.0
	v_fma_f32 v7, v6, v3, -v2
	v_mov_b32_e32 v6, v9
	v_pk_mul_f32 v[6:7], v[8:9], v[6:7]
.LBB177_72:                             ;   in Loop: Header=BB177_56 Depth=1
	s_andn2_b64 vcc, exec, s[10:11]
	s_cbranch_vccnz .LBB177_74
; %bb.73:                               ;   in Loop: Header=BB177_56 Depth=1
	v_div_scale_f32 v6, s[10:11], v4, v4, v5
	v_rcp_f32_e32 v7, v6
	v_div_scale_f32 v8, vcc, v5, v4, v5
	v_fma_f32 v9, -v6, v7, 1.0
	v_fmac_f32_e32 v7, v9, v7
	v_mul_f32_e32 v9, v8, v7
	v_fma_f32 v10, -v6, v9, v8
	v_fmac_f32_e32 v9, v10, v7
	v_fma_f32 v6, -v6, v9, v8
	v_div_fmas_f32 v6, v6, v7, v9
	v_div_fixup_f32 v6, v6, v4, v5
	v_fmac_f32_e32 v4, v5, v6
	v_div_scale_f32 v5, s[10:11], v4, v4, 1.0
	v_rcp_f32_e32 v7, v5
	s_nop 0
	v_fma_f32 v8, -v5, v7, 1.0
	v_fmac_f32_e32 v7, v8, v7
	v_div_scale_f32 v8, vcc, 1.0, v4, 1.0
	v_mul_f32_e32 v9, v8, v7
	v_fma_f32 v10, -v5, v9, v8
	v_fmac_f32_e32 v9, v10, v7
	v_fma_f32 v5, -v5, v9, v8
	v_div_fmas_f32 v5, v5, v7, v9
	v_pk_fma_f32 v[8:9], v[6:7], v[2:3], v[2:3] op_sel:[0,1,0] op_sel_hi:[1,0,1]
	v_pk_fma_f32 v[2:3], v[6:7], v[2:3], v[2:3] op_sel:[0,1,0] op_sel_hi:[0,0,1] neg_lo:[1,0,0] neg_hi:[1,0,0]
	v_div_fixup_f32 v4, v5, v4, 1.0
	v_mov_b32_e32 v9, v3
	v_pk_mul_f32 v[6:7], v[8:9], v[4:5] op_sel_hi:[1,0]
.LBB177_74:                             ;   in Loop: Header=BB177_56 Depth=1
	s_add_i32 s13, s12, -4
	s_sub_i32 s9, s9, 32
	s_cmp_lt_i32 s12, 7
	ds_write_b64 v15, v[6:7]
	s_cbranch_scc1 .LBB177_76
; %bb.75:                               ;   in Loop: Header=BB177_56 Depth=1
	s_mov_b32 s12, s13
	s_branch .LBB177_56
.LBB177_76:
	s_cmp_lt_i32 s13, 0
	s_cbranch_scc1 .LBB177_85
; %bb.77:
	s_lshl_b32 s10, s28, 9
	s_lshl_b32 s9, s13, 3
	s_add_i32 s9, s10, s9
	v_lshl_or_b32 v2, v0, 3, s10
	s_addk_i32 s9, 0xfe00
	v_add_u32_e32 v8, 0x7e00, v2
	s_branch .LBB177_79
.LBB177_78:                             ;   in Loop: Header=BB177_79 Depth=1
	v_sub_co_u32_e64 v2, s[10:11], s13, 1
	s_nop 0
	v_readfirstlane_b32 s13, v2
	s_add_i32 s9, s9, -8
	s_and_b64 vcc, exec, s[10:11]
	ds_write_b64 v9, v[6:7]
	s_cbranch_vccnz .LBB177_85
.LBB177_79:                             ; =>This Loop Header: Depth=1
                                        ;     Child Loop BB177_80 Depth 2
	s_lshl_b32 s10, s13, 9
	v_add_u32_e32 v9, s10, v1
	ds_read_b64 v[2:3], v9
	s_cmp_le_i32 s7, s13
	v_mov_b32_e32 v4, v8
	s_mov_b32 s11, s9
	s_mov_b32 s12, s7
	s_cbranch_scc1 .LBB177_81
.LBB177_80:                             ;   Parent Loop BB177_79 Depth=1
                                        ; =>  This Inner Loop Header: Depth=2
	v_mov_b32_e32 v5, s11
	ds_read_b64 v[6:7], v4
	ds_read_b64 v[10:11], v5
	s_add_i32 s12, s12, -1
	s_addk_i32 s11, 0xfe00
	v_add_u32_e32 v4, 0xfffffe00, v4
	s_cmp_le_u32 s12, s13
	s_waitcnt lgkmcnt(0)
	v_pk_mul_f32 v[12:13], v[10:11], v[6:7] op_sel:[1,1] op_sel_hi:[0,1]
	v_pk_fma_f32 v[14:15], v[10:11], v[6:7], v[12:13] op_sel_hi:[1,0,1]
	v_pk_fma_f32 v[6:7], v[10:11], v[6:7], v[12:13] op_sel_hi:[1,0,1] neg_lo:[0,0,1] neg_hi:[0,0,1]
	s_nop 0
	v_mov_b32_e32 v7, v15
	v_pk_add_f32 v[2:3], v[2:3], v[6:7] neg_lo:[0,1] neg_hi:[0,1]
	s_cbranch_scc0 .LBB177_80
.LBB177_81:                             ;   in Loop: Header=BB177_79 Depth=1
	s_lshl_b32 s11, s13, 3
	s_add_i32 s10, s11, s10
	v_mov_b32_e32 v4, s10
	ds_read_b64 v[4:5], v4
	s_mov_b64 s[10:11], -1
                                        ; implicit-def: $vgpr6_vgpr7
	s_waitcnt lgkmcnt(0)
	v_cmp_ngt_f32_e64 s[14:15], |v4|, |v5|
	s_and_b64 vcc, exec, s[14:15]
	s_cbranch_vccz .LBB177_83
; %bb.82:                               ;   in Loop: Header=BB177_79 Depth=1
	v_div_scale_f32 v6, s[10:11], v5, v5, v4
	v_rcp_f32_e32 v7, v6
	v_div_scale_f32 v10, vcc, v4, v5, v4
	v_fma_f32 v11, -v6, v7, 1.0
	v_fmac_f32_e32 v7, v11, v7
	v_mul_f32_e32 v11, v10, v7
	v_fma_f32 v12, -v6, v11, v10
	v_fmac_f32_e32 v11, v12, v7
	v_fma_f32 v6, -v6, v11, v10
	v_div_fmas_f32 v6, v6, v7, v11
	v_div_fixup_f32 v6, v6, v5, v4
	v_fma_f32 v7, v4, v6, v5
	v_div_scale_f32 v10, s[10:11], v7, v7, 1.0
	v_rcp_f32_e32 v11, v10
	s_mov_b64 s[10:11], 0
	v_fma_f32 v12, -v10, v11, 1.0
	v_fmac_f32_e32 v11, v12, v11
	v_div_scale_f32 v12, vcc, 1.0, v7, 1.0
	v_mul_f32_e32 v13, v12, v11
	v_fma_f32 v14, -v10, v13, v12
	v_fmac_f32_e32 v13, v14, v11
	v_fma_f32 v10, -v10, v13, v12
	v_div_fmas_f32 v10, v10, v11, v13
	v_div_fixup_f32 v10, v10, v7, 1.0
	v_pk_fma_f32 v[12:13], v[2:3], v[6:7], v[2:3] op_sel:[0,0,1] op_sel_hi:[1,0,0] neg_lo:[0,0,1] neg_hi:[0,0,1]
	v_pk_fma_f32 v[6:7], v[2:3], v[6:7], v[2:3] op_sel:[0,0,1] op_sel_hi:[1,0,0]
	s_nop 0
	v_mov_b32_e32 v7, v13
	v_pk_mul_f32 v[6:7], v[6:7], v[10:11] op_sel_hi:[1,0]
.LBB177_83:                             ;   in Loop: Header=BB177_79 Depth=1
	s_andn2_b64 vcc, exec, s[10:11]
	s_cbranch_vccnz .LBB177_78
; %bb.84:                               ;   in Loop: Header=BB177_79 Depth=1
	v_div_scale_f32 v6, s[10:11], v4, v4, v5
	v_rcp_f32_e32 v7, v6
	v_div_scale_f32 v10, vcc, v5, v4, v5
	v_fma_f32 v11, -v6, v7, 1.0
	v_fmac_f32_e32 v7, v11, v7
	v_mul_f32_e32 v11, v10, v7
	v_fma_f32 v12, -v6, v11, v10
	v_fmac_f32_e32 v11, v12, v7
	v_fma_f32 v6, -v6, v11, v10
	v_div_fmas_f32 v6, v6, v7, v11
	v_div_fixup_f32 v6, v6, v4, v5
	v_fmac_f32_e32 v4, v5, v6
	v_div_scale_f32 v5, s[10:11], v4, v4, 1.0
	v_rcp_f32_e32 v7, v5
	s_nop 0
	v_fma_f32 v10, -v5, v7, 1.0
	v_fmac_f32_e32 v7, v10, v7
	v_div_scale_f32 v10, vcc, 1.0, v4, 1.0
	v_mul_f32_e32 v11, v10, v7
	v_fma_f32 v12, -v5, v11, v10
	v_fmac_f32_e32 v11, v12, v7
	v_fma_f32 v5, -v5, v11, v10
	v_div_fmas_f32 v5, v5, v7, v11
	v_pk_fma_f32 v[10:11], v[2:3], v[6:7], v[2:3] op_sel:[1,0,0] op_sel_hi:[0,0,1] neg_lo:[1,0,0] neg_hi:[1,0,0]
	v_pk_fma_f32 v[2:3], v[2:3], v[6:7], v[2:3] op_sel:[1,0,0] op_sel_hi:[0,0,1]
	v_div_fixup_f32 v4, v5, v4, 1.0
	v_mov_b32_e32 v3, v11
	v_pk_mul_f32 v[6:7], v[2:3], v[4:5] op_sel_hi:[1,0]
	s_branch .LBB177_78
.LBB177_85:
	s_mov_b64 s[14:15], 0
.LBB177_86:
	s_andn2_b64 vcc, exec, s[14:15]
	s_cbranch_vccnz .LBB177_118
; %bb.87:
	s_andn2_b64 vcc, exec, s[4:5]
	s_mov_b32 s11, s7
	s_cbranch_vccnz .LBB177_109
; %bb.88:
	v_lshlrev_b32_e32 v2, 3, v0
	v_lshl_or_b32 v2, s28, 9, v2
	s_mul_i32 s4, s28, 0x208
	v_add_u32_e32 v14, 0x7e00, v2
	s_add_i32 s9, s4, 0xfffff7f8
	s_mov_b32 s10, s7
.LBB177_89:                             ; =>This Loop Header: Depth=1
                                        ;     Child Loop BB177_90 Depth 2
	v_lshl_add_u32 v18, s10, 9, v1
	s_add_i32 s14, s10, -1
	s_add_i32 s13, s10, -2
	;; [unrolled: 1-line block ×3, first 2 shown]
	v_lshl_add_u32 v17, s14, 9, v1
	v_lshl_add_u32 v16, s13, 9, v1
	;; [unrolled: 1-line block ×3, first 2 shown]
	ds_read_b64 v[2:3], v18
	ds_read_b64 v[12:13], v17
	;; [unrolled: 1-line block ×4, first 2 shown]
	s_cmp_le_i32 s7, s10
	s_mov_b32 s4, s9
	v_mov_b32_e32 v4, v14
	s_mov_b32 s5, s7
	s_cbranch_scc1 .LBB177_91
.LBB177_90:                             ;   Parent Loop BB177_89 Depth=1
                                        ; =>  This Inner Loop Header: Depth=2
	v_mov_b32_e32 v5, s4
	ds_read_b64 v[10:11], v4
	ds_read2st64_b64 v[20:23], v5 offset0:2 offset1:3
	ds_read2st64_b64 v[24:27], v5 offset1:1
	s_add_i32 s5, s5, -1
	s_add_i32 s4, s4, -8
	v_add_u32_e32 v4, 0xfffffe00, v4
	s_waitcnt lgkmcnt(1)
	v_mul_f32_e32 v5, v23, v11
	v_mul_f32_e32 v19, v22, v11
	;; [unrolled: 1-line block ×4, first 2 shown]
	s_waitcnt lgkmcnt(0)
	v_pk_mul_f32 v[28:29], v[26:27], v[10:11] op_sel:[0,1]
	v_pk_mul_f32 v[30:31], v[24:25], v[10:11] op_sel:[0,1]
	v_fma_f32 v5, v22, v10, -v5
	v_fmac_f32_e32 v19, v23, v10
	v_fma_f32 v32, v20, v10, -v32
	v_fmac_f32_e32 v33, v20, v11
	v_pk_fma_f32 v[20:21], v[26:27], v[10:11], v[28:29] op_sel:[0,0,1] op_sel_hi:[1,1,0] neg_lo:[0,0,1] neg_hi:[0,0,1]
	v_pk_fma_f32 v[22:23], v[26:27], v[10:11], v[28:29] op_sel:[0,0,1] op_sel_hi:[1,0,0]
	v_pk_fma_f32 v[26:27], v[24:25], v[10:11], v[30:31] op_sel:[0,0,1] op_sel_hi:[1,1,0] neg_lo:[0,0,1] neg_hi:[0,0,1]
	v_pk_fma_f32 v[10:11], v[24:25], v[10:11], v[30:31] op_sel:[0,0,1] op_sel_hi:[1,0,0]
	v_mov_b32_e32 v21, v23
	v_mov_b32_e32 v27, v11
	s_cmp_le_i32 s5, s10
	v_sub_f32_e32 v2, v2, v5
	v_sub_f32_e32 v3, v3, v19
	;; [unrolled: 1-line block ×4, first 2 shown]
	v_pk_add_f32 v[8:9], v[8:9], v[20:21] neg_lo:[0,1] neg_hi:[0,1]
	v_pk_add_f32 v[6:7], v[6:7], v[26:27] neg_lo:[0,1] neg_hi:[0,1]
	s_cbranch_scc0 .LBB177_90
.LBB177_91:                             ;   in Loop: Header=BB177_89 Depth=1
	s_mul_i32 s4, s10, 0x208
	v_mov_b32_e32 v4, s4
	ds_read_b64 v[4:5], v4
	s_lshl_b32 s16, s14, 6
	s_lshl_b32 s15, s13, 6
	;; [unrolled: 1-line block ×3, first 2 shown]
	s_mov_b64 s[4:5], -1
	s_waitcnt lgkmcnt(0)
	v_cmp_ngt_f32_e64 s[18:19], |v4|, |v5|
	s_and_b64 vcc, exec, s[18:19]
                                        ; implicit-def: $vgpr11
	s_cbranch_vccz .LBB177_93
; %bb.92:                               ;   in Loop: Header=BB177_89 Depth=1
	v_div_scale_f32 v10, s[4:5], v5, v5, v4
	v_rcp_f32_e32 v11, v10
	v_div_scale_f32 v19, vcc, v4, v5, v4
	v_fma_f32 v20, -v10, v11, 1.0
	v_fmac_f32_e32 v11, v20, v11
	v_mul_f32_e32 v20, v19, v11
	v_fma_f32 v21, -v10, v20, v19
	v_fmac_f32_e32 v20, v21, v11
	v_fma_f32 v10, -v10, v20, v19
	v_div_fmas_f32 v10, v10, v11, v20
	v_div_fixup_f32 v11, v10, v5, v4
	v_fma_f32 v10, v4, v11, v5
	v_div_scale_f32 v19, s[4:5], v10, v10, 1.0
	v_rcp_f32_e32 v20, v19
	s_mov_b64 s[4:5], 0
	v_fma_f32 v21, -v19, v20, 1.0
	v_fmac_f32_e32 v20, v21, v20
	v_div_scale_f32 v21, vcc, 1.0, v10, 1.0
	v_mul_f32_e32 v22, v21, v20
	v_fma_f32 v23, -v19, v22, v21
	v_fmac_f32_e32 v22, v23, v20
	v_fma_f32 v19, -v19, v22, v21
	v_div_fmas_f32 v19, v19, v20, v22
	v_div_fixup_f32 v19, v19, v10, 1.0
	v_fma_f32 v10, v2, v11, v3
	v_fma_f32 v11, v3, v11, -v2
	v_mul_f32_e32 v10, v10, v19
	v_mul_f32_e32 v11, v11, v19
.LBB177_93:                             ;   in Loop: Header=BB177_89 Depth=1
	s_andn2_b64 vcc, exec, s[4:5]
	s_cbranch_vccnz .LBB177_95
; %bb.94:                               ;   in Loop: Header=BB177_89 Depth=1
	v_div_scale_f32 v10, s[4:5], v4, v4, v5
	v_rcp_f32_e32 v11, v10
	v_div_scale_f32 v19, vcc, v5, v4, v5
	v_fma_f32 v20, -v10, v11, 1.0
	v_fmac_f32_e32 v11, v20, v11
	v_mul_f32_e32 v20, v19, v11
	v_fma_f32 v21, -v10, v20, v19
	v_fmac_f32_e32 v20, v21, v11
	v_fma_f32 v10, -v10, v20, v19
	v_div_fmas_f32 v10, v10, v11, v20
	v_div_fixup_f32 v11, v10, v4, v5
	v_fmac_f32_e32 v4, v5, v11
	v_div_scale_f32 v5, s[4:5], v4, v4, 1.0
	v_rcp_f32_e32 v10, v5
	s_nop 0
	v_fma_f32 v19, -v5, v10, 1.0
	v_fmac_f32_e32 v10, v19, v10
	v_div_scale_f32 v19, vcc, 1.0, v4, 1.0
	v_mul_f32_e32 v20, v19, v10
	v_fma_f32 v21, -v5, v20, v19
	v_fmac_f32_e32 v20, v21, v10
	v_fma_f32 v5, -v5, v20, v19
	v_div_fmas_f32 v5, v5, v10, v20
	v_div_fixup_f32 v4, v5, v4, 1.0
	v_fma_f32 v5, v3, v11, v2
	v_fma_f32 v2, -v2, v11, v3
	v_mul_f32_e32 v10, v5, v4
	v_mul_f32_e32 v11, v2, v4
.LBB177_95:                             ;   in Loop: Header=BB177_89 Depth=1
	s_lshl_b32 s4, s16, 3
	s_lshl_b32 s5, s14, 3
	s_add_i32 s4, s4, s5
	v_mov_b32_e32 v2, s4
	ds_read2_b64 v[2:5], v2 offset1:1
	ds_write_b64 v18, v[10:11]
	s_mov_b64 s[4:5], -1
	s_waitcnt lgkmcnt(1)
	v_mul_f32_e32 v18, v11, v5
	v_mul_f32_e32 v5, v10, v5
	v_fma_f32 v18, v10, v4, -v18
	v_fmac_f32_e32 v5, v11, v4
	v_cmp_ngt_f32_e64 s[16:17], |v2|, |v3|
	v_sub_f32_e32 v4, v12, v18
	v_sub_f32_e32 v5, v13, v5
	s_and_b64 vcc, exec, s[16:17]
                                        ; implicit-def: $vgpr13
	s_cbranch_vccz .LBB177_97
; %bb.96:                               ;   in Loop: Header=BB177_89 Depth=1
	v_div_scale_f32 v12, s[4:5], v3, v3, v2
	v_rcp_f32_e32 v13, v12
	v_div_scale_f32 v18, vcc, v2, v3, v2
	v_fma_f32 v19, -v12, v13, 1.0
	v_fmac_f32_e32 v13, v19, v13
	v_mul_f32_e32 v19, v18, v13
	v_fma_f32 v20, -v12, v19, v18
	v_fmac_f32_e32 v19, v20, v13
	v_fma_f32 v12, -v12, v19, v18
	v_div_fmas_f32 v12, v12, v13, v19
	v_div_fixup_f32 v13, v12, v3, v2
	v_fma_f32 v12, v2, v13, v3
	v_div_scale_f32 v18, s[4:5], v12, v12, 1.0
	v_rcp_f32_e32 v19, v18
	s_mov_b64 s[4:5], 0
	v_fma_f32 v20, -v18, v19, 1.0
	v_fmac_f32_e32 v19, v20, v19
	v_div_scale_f32 v20, vcc, 1.0, v12, 1.0
	v_mul_f32_e32 v21, v20, v19
	v_fma_f32 v22, -v18, v21, v20
	v_fmac_f32_e32 v21, v22, v19
	v_fma_f32 v18, -v18, v21, v20
	v_div_fmas_f32 v18, v18, v19, v21
	v_div_fixup_f32 v18, v18, v12, 1.0
	v_fma_f32 v12, v13, v4, v5
	v_fma_f32 v13, v13, v5, -v4
	v_mul_f32_e32 v12, v12, v18
	v_mul_f32_e32 v13, v13, v18
.LBB177_97:                             ;   in Loop: Header=BB177_89 Depth=1
	s_andn2_b64 vcc, exec, s[4:5]
	s_cbranch_vccnz .LBB177_99
; %bb.98:                               ;   in Loop: Header=BB177_89 Depth=1
	v_div_scale_f32 v12, s[4:5], v2, v2, v3
	v_rcp_f32_e32 v13, v12
	v_div_scale_f32 v18, vcc, v3, v2, v3
	v_fma_f32 v19, -v12, v13, 1.0
	v_fmac_f32_e32 v13, v19, v13
	v_mul_f32_e32 v19, v18, v13
	v_fma_f32 v20, -v12, v19, v18
	v_fmac_f32_e32 v19, v20, v13
	v_fma_f32 v12, -v12, v19, v18
	v_div_fmas_f32 v12, v12, v13, v19
	v_div_fixup_f32 v13, v12, v2, v3
	v_fmac_f32_e32 v2, v3, v13
	v_div_scale_f32 v3, s[4:5], v2, v2, 1.0
	v_rcp_f32_e32 v12, v3
	s_nop 0
	v_fma_f32 v18, -v3, v12, 1.0
	v_fmac_f32_e32 v12, v18, v12
	v_div_scale_f32 v18, vcc, 1.0, v2, 1.0
	v_mul_f32_e32 v19, v18, v12
	v_fma_f32 v20, -v3, v19, v18
	v_fmac_f32_e32 v19, v20, v12
	v_fma_f32 v3, -v3, v19, v18
	v_div_fmas_f32 v3, v3, v12, v19
	v_div_fixup_f32 v2, v3, v2, 1.0
	v_fma_f32 v3, v13, v5, v4
	v_mul_f32_e32 v12, v3, v2
	v_fma_f32 v3, -v13, v4, v5
	v_mul_f32_e32 v13, v3, v2
.LBB177_99:                             ;   in Loop: Header=BB177_89 Depth=1
	s_lshl_b32 s4, s15, 3
	s_lshl_b32 s14, s10, 3
	s_add_i32 s5, s4, s14
	v_mov_b32_e32 v2, s5
	ds_read_b64 v[18:19], v2
	s_lshl_b32 s5, s13, 3
	s_add_i32 s4, s4, s5
	v_mov_b32_e32 v2, s4
	ds_read2_b64 v[2:5], v2 offset1:1
	v_mov_b32_e32 v20, v11
	s_waitcnt lgkmcnt(1)
	v_pk_mul_f32 v[20:21], v[20:21], v[18:19] op_sel_hi:[0,1]
	v_pk_fma_f32 v[22:23], v[10:11], v[18:19], v[20:21] op_sel:[0,0,1] op_sel_hi:[1,1,0] neg_lo:[0,0,1] neg_hi:[0,0,1]
	v_pk_fma_f32 v[18:19], v[10:11], v[18:19], v[20:21] op_sel:[0,0,1] op_sel_hi:[0,1,0]
	v_mov_b32_e32 v18, v13
	v_mov_b32_e32 v23, v19
	s_waitcnt lgkmcnt(0)
	v_pk_mul_f32 v[18:19], v[18:19], v[4:5] op_sel_hi:[0,1]
	v_pk_fma_f32 v[20:21], v[12:13], v[4:5], v[18:19] op_sel:[0,0,1] op_sel_hi:[1,1,0] neg_lo:[0,0,1] neg_hi:[0,0,1]
	v_pk_fma_f32 v[4:5], v[12:13], v[4:5], v[18:19] op_sel:[0,0,1] op_sel_hi:[0,1,0]
	v_pk_add_f32 v[8:9], v[8:9], v[22:23] neg_lo:[0,1] neg_hi:[0,1]
	v_mov_b32_e32 v21, v5
	v_cmp_ngt_f32_e64 s[16:17], |v2|, |v3|
	v_pk_add_f32 v[4:5], v[8:9], v[20:21] neg_lo:[0,1] neg_hi:[0,1]
	s_mov_b64 s[4:5], -1
	s_and_b64 vcc, exec, s[16:17]
	ds_write_b64 v17, v[12:13]
                                        ; implicit-def: $vgpr8_vgpr9
	s_cbranch_vccz .LBB177_101
; %bb.100:                              ;   in Loop: Header=BB177_89 Depth=1
	v_div_scale_f32 v8, s[4:5], v3, v3, v2
	v_rcp_f32_e32 v9, v8
	v_div_scale_f32 v17, vcc, v2, v3, v2
	v_fma_f32 v18, -v8, v9, 1.0
	v_fmac_f32_e32 v9, v18, v9
	v_mul_f32_e32 v18, v17, v9
	v_fma_f32 v19, -v8, v18, v17
	v_fmac_f32_e32 v18, v19, v9
	v_fma_f32 v8, -v8, v18, v17
	v_div_fmas_f32 v8, v8, v9, v18
	v_div_fixup_f32 v8, v8, v3, v2
	v_fma_f32 v9, v2, v8, v3
	v_div_scale_f32 v17, s[4:5], v9, v9, 1.0
	v_rcp_f32_e32 v20, v17
	v_pk_fma_f32 v[18:19], v[8:9], v[4:5], v[4:5] op_sel:[0,0,1] op_sel_hi:[1,1,0]
	s_mov_b64 s[4:5], 0
	v_fma_f32 v19, -v17, v20, 1.0
	v_fmac_f32_e32 v20, v19, v20
	v_div_scale_f32 v19, vcc, 1.0, v9, 1.0
	v_mul_f32_e32 v21, v19, v20
	v_fma_f32 v22, -v17, v21, v19
	v_fmac_f32_e32 v21, v22, v20
	v_fma_f32 v17, -v17, v21, v19
	v_div_fmas_f32 v17, v17, v20, v21
	v_div_fixup_f32 v19, v17, v9, 1.0
	v_fma_f32 v9, v8, v5, -v4
	v_mov_b32_e32 v8, v19
	v_pk_mul_f32 v[8:9], v[18:19], v[8:9]
.LBB177_101:                            ;   in Loop: Header=BB177_89 Depth=1
	s_andn2_b64 vcc, exec, s[4:5]
	s_cbranch_vccnz .LBB177_103
; %bb.102:                              ;   in Loop: Header=BB177_89 Depth=1
	v_div_scale_f32 v8, s[4:5], v2, v2, v3
	v_rcp_f32_e32 v9, v8
	v_div_scale_f32 v17, vcc, v3, v2, v3
	v_fma_f32 v18, -v8, v9, 1.0
	v_fmac_f32_e32 v9, v18, v9
	v_mul_f32_e32 v18, v17, v9
	v_fma_f32 v19, -v8, v18, v17
	v_fmac_f32_e32 v18, v19, v9
	v_fma_f32 v8, -v8, v18, v17
	v_div_fmas_f32 v8, v8, v9, v18
	v_div_fixup_f32 v8, v8, v2, v3
	v_fmac_f32_e32 v2, v3, v8
	v_div_scale_f32 v3, s[4:5], v2, v2, 1.0
	v_rcp_f32_e32 v9, v3
	s_nop 0
	v_fma_f32 v17, -v3, v9, 1.0
	v_fmac_f32_e32 v9, v17, v9
	v_div_scale_f32 v17, vcc, 1.0, v2, 1.0
	v_mul_f32_e32 v18, v17, v9
	v_fma_f32 v19, -v3, v18, v17
	v_fmac_f32_e32 v18, v19, v9
	v_fma_f32 v3, -v3, v18, v17
	v_div_fmas_f32 v3, v3, v9, v18
	v_pk_fma_f32 v[18:19], v[8:9], v[4:5], v[4:5] op_sel:[0,1,0] op_sel_hi:[1,0,1]
	v_pk_fma_f32 v[4:5], v[8:9], v[4:5], v[4:5] op_sel:[0,1,0] op_sel_hi:[0,0,1] neg_lo:[1,0,0] neg_hi:[1,0,0]
	v_div_fixup_f32 v2, v3, v2, 1.0
	v_mov_b32_e32 v19, v5
	v_pk_mul_f32 v[8:9], v[18:19], v[2:3] op_sel_hi:[1,0]
.LBB177_103:                            ;   in Loop: Header=BB177_89 Depth=1
	s_lshl_b32 s4, s12, 3
	s_add_i32 s5, s4, s14
	s_add_i32 s5, s5, -8
	v_mov_b32_e32 v2, s5
	ds_write_b64 v16, v[8:9]
	ds_read2_b64 v[16:19], v2 offset1:1
	s_lshl_b32 s5, s11, 3
	s_add_i32 s4, s4, s5
	v_mov_b32_e32 v2, s4
	v_mov_b32_e32 v20, v11
	;; [unrolled: 1-line block ×3, first 2 shown]
	ds_read2_b64 v[2:5], v2 offset1:1
	v_mov_b32_e32 v11, v10
	s_waitcnt lgkmcnt(1)
	v_pk_mul_f32 v[20:21], v[20:21], v[18:19]
	v_mov_b32_e32 v22, v13
	v_mov_b32_e32 v23, v13
	v_pk_fma_f32 v[24:25], v[10:11], v[18:19], v[20:21] op_sel:[0,0,1] op_sel_hi:[1,1,0] neg_lo:[0,0,1] neg_hi:[0,0,1]
	v_pk_fma_f32 v[10:11], v[10:11], v[18:19], v[20:21] op_sel:[0,0,1] op_sel_hi:[1,1,0]
	v_mov_b32_e32 v13, v12
	v_mov_b32_e32 v25, v11
	v_pk_mul_f32 v[10:11], v[22:23], v[16:17]
	v_pk_add_f32 v[6:7], v[6:7], v[24:25] neg_lo:[0,1] neg_hi:[0,1]
	v_pk_fma_f32 v[18:19], v[12:13], v[16:17], v[10:11] op_sel:[0,0,1] op_sel_hi:[1,1,0] neg_lo:[0,0,1] neg_hi:[0,0,1]
	v_pk_fma_f32 v[10:11], v[12:13], v[16:17], v[10:11] op_sel:[0,0,1] op_sel_hi:[1,1,0]
	s_waitcnt lgkmcnt(0)
	v_cmp_ngt_f32_e64 s[12:13], |v2|, |v3|
	v_mov_b32_e32 v19, v11
	v_pk_mul_f32 v[10:11], v[8:9], v[4:5] op_sel:[1,1] op_sel_hi:[1,0]
	v_pk_add_f32 v[6:7], v[6:7], v[18:19] neg_lo:[0,1] neg_hi:[0,1]
	v_pk_fma_f32 v[12:13], v[8:9], v[4:5], v[10:11] neg_lo:[0,0,1] neg_hi:[0,0,1]
	v_pk_fma_f32 v[4:5], v[8:9], v[4:5], v[10:11] op_sel_hi:[0,1,1]
	v_mov_b32_e32 v13, v5
	v_pk_add_f32 v[4:5], v[6:7], v[12:13] neg_lo:[0,1] neg_hi:[0,1]
	s_mov_b64 s[4:5], -1
	s_and_b64 vcc, exec, s[12:13]
                                        ; implicit-def: $vgpr6_vgpr7
	s_cbranch_vccz .LBB177_105
; %bb.104:                              ;   in Loop: Header=BB177_89 Depth=1
	v_div_scale_f32 v6, s[4:5], v3, v3, v2
	v_rcp_f32_e32 v7, v6
	v_div_scale_f32 v8, vcc, v2, v3, v2
	v_fma_f32 v9, -v6, v7, 1.0
	v_fmac_f32_e32 v7, v9, v7
	v_mul_f32_e32 v9, v8, v7
	v_fma_f32 v10, -v6, v9, v8
	v_fmac_f32_e32 v9, v10, v7
	v_fma_f32 v6, -v6, v9, v8
	v_div_fmas_f32 v6, v6, v7, v9
	v_div_fixup_f32 v6, v6, v3, v2
	v_fma_f32 v7, v2, v6, v3
	v_div_scale_f32 v10, s[4:5], v7, v7, 1.0
	v_rcp_f32_e32 v11, v10
	v_pk_fma_f32 v[8:9], v[6:7], v[4:5], v[4:5] op_sel:[0,0,1] op_sel_hi:[1,1,0]
	s_mov_b64 s[4:5], 0
	v_fma_f32 v9, -v10, v11, 1.0
	v_fmac_f32_e32 v11, v9, v11
	v_div_scale_f32 v9, vcc, 1.0, v7, 1.0
	v_mul_f32_e32 v12, v9, v11
	v_fma_f32 v13, -v10, v12, v9
	v_fmac_f32_e32 v12, v13, v11
	v_fma_f32 v9, -v10, v12, v9
	v_div_fmas_f32 v9, v9, v11, v12
	v_div_fixup_f32 v9, v9, v7, 1.0
	v_fma_f32 v7, v6, v5, -v4
	v_mov_b32_e32 v6, v9
	v_pk_mul_f32 v[6:7], v[8:9], v[6:7]
.LBB177_105:                            ;   in Loop: Header=BB177_89 Depth=1
	s_andn2_b64 vcc, exec, s[4:5]
	s_cbranch_vccnz .LBB177_107
; %bb.106:                              ;   in Loop: Header=BB177_89 Depth=1
	v_div_scale_f32 v6, s[4:5], v2, v2, v3
	v_rcp_f32_e32 v7, v6
	v_div_scale_f32 v8, vcc, v3, v2, v3
	v_fma_f32 v9, -v6, v7, 1.0
	v_fmac_f32_e32 v7, v9, v7
	v_mul_f32_e32 v9, v8, v7
	v_fma_f32 v10, -v6, v9, v8
	v_fmac_f32_e32 v9, v10, v7
	v_fma_f32 v6, -v6, v9, v8
	v_div_fmas_f32 v6, v6, v7, v9
	v_div_fixup_f32 v6, v6, v2, v3
	v_fmac_f32_e32 v2, v3, v6
	v_div_scale_f32 v3, s[4:5], v2, v2, 1.0
	v_rcp_f32_e32 v7, v3
	s_nop 0
	v_fma_f32 v8, -v3, v7, 1.0
	v_fmac_f32_e32 v7, v8, v7
	v_div_scale_f32 v8, vcc, 1.0, v2, 1.0
	v_mul_f32_e32 v9, v8, v7
	v_fma_f32 v10, -v3, v9, v8
	v_fmac_f32_e32 v9, v10, v7
	v_fma_f32 v3, -v3, v9, v8
	v_div_fmas_f32 v3, v3, v7, v9
	v_pk_fma_f32 v[8:9], v[6:7], v[4:5], v[4:5] op_sel:[0,1,0] op_sel_hi:[1,0,1]
	v_pk_fma_f32 v[4:5], v[6:7], v[4:5], v[4:5] op_sel:[0,1,0] op_sel_hi:[0,0,1] neg_lo:[1,0,0] neg_hi:[1,0,0]
	v_div_fixup_f32 v2, v3, v2, 1.0
	v_mov_b32_e32 v9, v5
	v_pk_mul_f32 v[6:7], v[8:9], v[2:3] op_sel_hi:[1,0]
.LBB177_107:                            ;   in Loop: Header=BB177_89 Depth=1
	s_add_i32 s11, s10, -4
	s_addk_i32 s9, 0xf800
	s_cmp_lt_i32 s10, 7
	ds_write_b64 v15, v[6:7]
	s_cbranch_scc1 .LBB177_109
; %bb.108:                              ;   in Loop: Header=BB177_89 Depth=1
	s_mov_b32 s10, s11
	s_branch .LBB177_89
.LBB177_109:
	s_cmp_lt_i32 s11, 0
	s_cbranch_scc1 .LBB177_118
; %bb.110:
	v_lshlrev_b32_e32 v2, 3, v0
	s_lshl_b32 s4, s11, 9
	s_lshl_b32 s5, s28, 3
	v_lshl_or_b32 v2, s28, 9, v2
	s_add_i32 s4, s4, s5
	v_add_u32_e32 v8, 0x7e00, v2
	s_add_i32 s9, s4, -8
	s_branch .LBB177_112
.LBB177_111:                            ;   in Loop: Header=BB177_112 Depth=1
	v_sub_co_u32_e64 v2, s[4:5], s11, 1
	s_nop 0
	v_readfirstlane_b32 s11, v2
	s_addk_i32 s9, 0xfe00
	s_and_b64 vcc, exec, s[4:5]
	ds_write_b64 v9, v[6:7]
	s_cbranch_vccnz .LBB177_118
.LBB177_112:                            ; =>This Loop Header: Depth=1
                                        ;     Child Loop BB177_113 Depth 2
	v_lshl_add_u32 v9, s11, 9, v1
	ds_read_b64 v[2:3], v9
	s_cmp_le_i32 s7, s11
	s_mov_b32 s4, s9
	v_mov_b32_e32 v4, v8
	s_mov_b32 s5, s7
	s_cbranch_scc1 .LBB177_114
.LBB177_113:                            ;   Parent Loop BB177_112 Depth=1
                                        ; =>  This Inner Loop Header: Depth=2
	v_mov_b32_e32 v5, s4
	ds_read_b64 v[6:7], v4
	ds_read_b64 v[10:11], v5
	s_add_i32 s5, s5, -1
	s_add_i32 s4, s4, -8
	v_add_u32_e32 v4, 0xfffffe00, v4
	s_cmp_le_u32 s5, s11
	s_waitcnt lgkmcnt(0)
	v_pk_mul_f32 v[12:13], v[10:11], v[6:7] op_sel:[1,1] op_sel_hi:[0,1]
	v_pk_fma_f32 v[14:15], v[10:11], v[6:7], v[12:13] op_sel_hi:[1,0,1]
	v_pk_fma_f32 v[6:7], v[10:11], v[6:7], v[12:13] op_sel_hi:[1,0,1] neg_lo:[0,0,1] neg_hi:[0,0,1]
	s_nop 0
	v_mov_b32_e32 v7, v15
	v_pk_add_f32 v[2:3], v[2:3], v[6:7] neg_lo:[0,1] neg_hi:[0,1]
	s_cbranch_scc0 .LBB177_113
.LBB177_114:                            ;   in Loop: Header=BB177_112 Depth=1
	s_mul_i32 s4, s11, 0x208
	v_mov_b32_e32 v4, s4
	ds_read_b64 v[4:5], v4
	s_mov_b64 s[4:5], -1
                                        ; implicit-def: $vgpr6_vgpr7
	s_waitcnt lgkmcnt(0)
	v_cmp_ngt_f32_e64 s[12:13], |v4|, |v5|
	s_and_b64 vcc, exec, s[12:13]
	s_cbranch_vccz .LBB177_116
; %bb.115:                              ;   in Loop: Header=BB177_112 Depth=1
	v_div_scale_f32 v6, s[4:5], v5, v5, v4
	v_rcp_f32_e32 v7, v6
	v_div_scale_f32 v10, vcc, v4, v5, v4
	v_fma_f32 v11, -v6, v7, 1.0
	v_fmac_f32_e32 v7, v11, v7
	v_mul_f32_e32 v11, v10, v7
	v_fma_f32 v12, -v6, v11, v10
	v_fmac_f32_e32 v11, v12, v7
	v_fma_f32 v6, -v6, v11, v10
	v_div_fmas_f32 v6, v6, v7, v11
	v_div_fixup_f32 v6, v6, v5, v4
	v_fma_f32 v7, v4, v6, v5
	v_div_scale_f32 v10, s[4:5], v7, v7, 1.0
	v_rcp_f32_e32 v11, v10
	s_mov_b64 s[4:5], 0
	v_fma_f32 v12, -v10, v11, 1.0
	v_fmac_f32_e32 v11, v12, v11
	v_div_scale_f32 v12, vcc, 1.0, v7, 1.0
	v_mul_f32_e32 v13, v12, v11
	v_fma_f32 v14, -v10, v13, v12
	v_fmac_f32_e32 v13, v14, v11
	v_fma_f32 v10, -v10, v13, v12
	v_div_fmas_f32 v10, v10, v11, v13
	v_div_fixup_f32 v10, v10, v7, 1.0
	v_pk_fma_f32 v[12:13], v[2:3], v[6:7], v[2:3] op_sel:[0,0,1] op_sel_hi:[1,0,0] neg_lo:[0,0,1] neg_hi:[0,0,1]
	v_pk_fma_f32 v[6:7], v[2:3], v[6:7], v[2:3] op_sel:[0,0,1] op_sel_hi:[1,0,0]
	s_nop 0
	v_mov_b32_e32 v7, v13
	v_pk_mul_f32 v[6:7], v[6:7], v[10:11] op_sel_hi:[1,0]
.LBB177_116:                            ;   in Loop: Header=BB177_112 Depth=1
	s_andn2_b64 vcc, exec, s[4:5]
	s_cbranch_vccnz .LBB177_111
; %bb.117:                              ;   in Loop: Header=BB177_112 Depth=1
	v_div_scale_f32 v6, s[4:5], v4, v4, v5
	v_rcp_f32_e32 v7, v6
	v_div_scale_f32 v10, vcc, v5, v4, v5
	v_fma_f32 v11, -v6, v7, 1.0
	v_fmac_f32_e32 v7, v11, v7
	v_mul_f32_e32 v11, v10, v7
	v_fma_f32 v12, -v6, v11, v10
	v_fmac_f32_e32 v11, v12, v7
	v_fma_f32 v6, -v6, v11, v10
	v_div_fmas_f32 v6, v6, v7, v11
	v_div_fixup_f32 v6, v6, v4, v5
	v_fmac_f32_e32 v4, v5, v6
	v_div_scale_f32 v5, s[4:5], v4, v4, 1.0
	v_rcp_f32_e32 v7, v5
	s_nop 0
	v_fma_f32 v10, -v5, v7, 1.0
	v_fmac_f32_e32 v7, v10, v7
	v_div_scale_f32 v10, vcc, 1.0, v4, 1.0
	v_mul_f32_e32 v11, v10, v7
	v_fma_f32 v12, -v5, v11, v10
	v_fmac_f32_e32 v11, v12, v7
	v_fma_f32 v5, -v5, v11, v10
	v_div_fmas_f32 v5, v5, v7, v11
	v_pk_fma_f32 v[10:11], v[2:3], v[6:7], v[2:3] op_sel:[1,0,0] op_sel_hi:[0,0,1] neg_lo:[1,0,0] neg_hi:[1,0,0]
	v_pk_fma_f32 v[2:3], v[2:3], v[6:7], v[2:3] op_sel:[1,0,0] op_sel_hi:[0,0,1]
	v_div_fixup_f32 v4, v5, v4, 1.0
	v_mov_b32_e32 v3, v11
	v_pk_mul_f32 v[6:7], v[2:3], v[4:5] op_sel_hi:[1,0]
	s_branch .LBB177_111
.LBB177_118:
	s_mov_b64 s[14:15], 0
.LBB177_119:
	s_andn2_b64 vcc, exec, s[14:15]
	s_cbranch_vccnz .LBB177_151
; %bb.120:
	v_mov_b32_e32 v1, 0x8000
	v_lshl_or_b32 v1, v0, 3, v1
	s_cmp_lt_i32 s8, 4
	s_mov_b32 s10, 0
	s_cbranch_scc1 .LBB177_142
; %bb.121:
	s_mov_b32 s7, 0
	s_mov_b32 s9, 0
.LBB177_122:                            ; =>This Loop Header: Depth=1
                                        ;     Child Loop BB177_123 Depth 2
	s_or_b32 s4, s9, 3
	v_lshl_add_u32 v17, s9, 9, v1
	s_or_b32 s5, s9, 1
	s_or_b32 s11, s9, 2
	v_lshl_add_u32 v16, s5, 9, v1
	v_lshl_add_u32 v15, s11, 9, v1
	;; [unrolled: 1-line block ×3, first 2 shown]
	ds_read_b64 v[2:3], v17
	ds_read_b64 v[12:13], v16
	;; [unrolled: 1-line block ×4, first 2 shown]
	s_cmp_eq_u32 s9, 0
	s_mov_b32 s10, s7
	v_mov_b32_e32 v4, v1
	s_mov_b32 s12, s9
	s_cbranch_scc1 .LBB177_124
.LBB177_123:                            ;   Parent Loop BB177_122 Depth=1
                                        ; =>  This Inner Loop Header: Depth=2
	v_mov_b32_e32 v5, s10
	ds_read_b64 v[10:11], v4
	ds_read2st64_b64 v[18:21], v5 offset1:1
	ds_read2st64_b64 v[22:25], v5 offset0:2 offset1:3
	s_add_i32 s12, s12, -1
	s_add_i32 s10, s10, 8
	v_add_u32_e32 v4, 0x200, v4
	s_waitcnt lgkmcnt(1)
	v_mul_f32_e32 v5, v19, v11
	v_mul_f32_e32 v30, v18, v11
	;; [unrolled: 1-line block ×4, first 2 shown]
	s_waitcnt lgkmcnt(0)
	v_pk_mul_f32 v[26:27], v[22:23], v[10:11] op_sel:[0,1]
	v_pk_mul_f32 v[28:29], v[24:25], v[10:11] op_sel:[0,1]
	v_fma_f32 v5, v18, v10, -v5
	v_fmac_f32_e32 v30, v19, v10
	v_fma_f32 v31, v20, v10, -v31
	v_fmac_f32_e32 v32, v20, v11
	v_pk_fma_f32 v[18:19], v[22:23], v[10:11], v[26:27] op_sel:[0,0,1] op_sel_hi:[1,1,0] neg_lo:[0,0,1] neg_hi:[0,0,1]
	v_pk_fma_f32 v[20:21], v[22:23], v[10:11], v[26:27] op_sel:[0,0,1] op_sel_hi:[1,0,0]
	v_pk_fma_f32 v[22:23], v[24:25], v[10:11], v[28:29] op_sel:[0,0,1] op_sel_hi:[1,1,0] neg_lo:[0,0,1] neg_hi:[0,0,1]
	v_pk_fma_f32 v[10:11], v[24:25], v[10:11], v[28:29] op_sel:[0,0,1] op_sel_hi:[1,0,0]
	v_mov_b32_e32 v19, v21
	v_mov_b32_e32 v23, v11
	s_cmp_eq_u32 s12, 0
	v_sub_f32_e32 v2, v2, v5
	v_sub_f32_e32 v3, v3, v30
	;; [unrolled: 1-line block ×4, first 2 shown]
	v_pk_add_f32 v[8:9], v[8:9], v[18:19] neg_lo:[0,1] neg_hi:[0,1]
	v_pk_add_f32 v[6:7], v[6:7], v[22:23] neg_lo:[0,1] neg_hi:[0,1]
	s_cbranch_scc0 .LBB177_123
.LBB177_124:                            ;   in Loop: Header=BB177_122 Depth=1
	s_lshl_b32 s10, s4, 6
	s_mul_i32 s4, s9, 0x208
	v_mov_b32_e32 v4, s4
	ds_read_b64 v[4:5], v4
	s_lshl_b32 s12, s5, 6
	s_lshl_b32 s13, s11, 6
	s_mov_b64 s[4:5], -1
                                        ; implicit-def: $vgpr11
	s_waitcnt lgkmcnt(0)
	v_cmp_ngt_f32_e64 s[14:15], |v4|, |v5|
	s_and_b64 vcc, exec, s[14:15]
	s_cbranch_vccz .LBB177_126
; %bb.125:                              ;   in Loop: Header=BB177_122 Depth=1
	v_div_scale_f32 v10, s[4:5], v5, v5, v4
	v_rcp_f32_e32 v11, v10
	v_div_scale_f32 v18, vcc, v4, v5, v4
	v_fma_f32 v19, -v10, v11, 1.0
	v_fmac_f32_e32 v11, v19, v11
	v_mul_f32_e32 v19, v18, v11
	v_fma_f32 v20, -v10, v19, v18
	v_fmac_f32_e32 v19, v20, v11
	v_fma_f32 v10, -v10, v19, v18
	v_div_fmas_f32 v10, v10, v11, v19
	v_div_fixup_f32 v11, v10, v5, v4
	v_fma_f32 v10, v4, v11, v5
	v_div_scale_f32 v18, s[4:5], v10, v10, 1.0
	v_rcp_f32_e32 v19, v18
	s_mov_b64 s[4:5], 0
	v_fma_f32 v20, -v18, v19, 1.0
	v_fmac_f32_e32 v19, v20, v19
	v_div_scale_f32 v20, vcc, 1.0, v10, 1.0
	v_mul_f32_e32 v21, v20, v19
	v_fma_f32 v22, -v18, v21, v20
	v_fmac_f32_e32 v21, v22, v19
	v_fma_f32 v18, -v18, v21, v20
	v_div_fmas_f32 v18, v18, v19, v21
	v_div_fixup_f32 v18, v18, v10, 1.0
	v_fma_f32 v10, v2, v11, v3
	v_fma_f32 v11, v3, v11, -v2
	v_mul_f32_e32 v10, v10, v18
	v_mul_f32_e32 v11, v11, v18
.LBB177_126:                            ;   in Loop: Header=BB177_122 Depth=1
	s_andn2_b64 vcc, exec, s[4:5]
	s_cbranch_vccnz .LBB177_128
; %bb.127:                              ;   in Loop: Header=BB177_122 Depth=1
	v_div_scale_f32 v10, s[4:5], v4, v4, v5
	v_rcp_f32_e32 v11, v10
	v_div_scale_f32 v18, vcc, v5, v4, v5
	v_fma_f32 v19, -v10, v11, 1.0
	v_fmac_f32_e32 v11, v19, v11
	v_mul_f32_e32 v19, v18, v11
	v_fma_f32 v20, -v10, v19, v18
	v_fmac_f32_e32 v19, v20, v11
	v_fma_f32 v10, -v10, v19, v18
	v_div_fmas_f32 v10, v10, v11, v19
	v_div_fixup_f32 v11, v10, v4, v5
	v_fmac_f32_e32 v4, v5, v11
	v_div_scale_f32 v5, s[4:5], v4, v4, 1.0
	v_rcp_f32_e32 v10, v5
	s_nop 0
	v_fma_f32 v18, -v5, v10, 1.0
	v_fmac_f32_e32 v10, v18, v10
	v_div_scale_f32 v18, vcc, 1.0, v4, 1.0
	v_mul_f32_e32 v19, v18, v10
	v_fma_f32 v20, -v5, v19, v18
	v_fmac_f32_e32 v19, v20, v10
	v_fma_f32 v5, -v5, v19, v18
	v_div_fmas_f32 v5, v5, v10, v19
	v_div_fixup_f32 v4, v5, v4, 1.0
	v_fma_f32 v5, v3, v11, v2
	v_fma_f32 v2, -v2, v11, v3
	v_mul_f32_e32 v10, v5, v4
	v_mul_f32_e32 v11, v2, v4
.LBB177_128:                            ;   in Loop: Header=BB177_122 Depth=1
	s_lshl_b32 s4, s12, 3
	s_lshl_b32 s12, s9, 3
	s_add_i32 s4, s4, s12
	v_mov_b32_e32 v2, s4
	ds_read_b128 v[2:5], v2
	ds_write_b64 v17, v[10:11]
	s_mov_b64 s[4:5], -1
	s_waitcnt lgkmcnt(1)
	v_mul_f32_e32 v17, v11, v3
	v_mul_f32_e32 v3, v10, v3
	v_fma_f32 v17, v10, v2, -v17
	v_fmac_f32_e32 v3, v11, v2
	v_cmp_ngt_f32_e64 s[14:15], |v4|, |v5|
	v_sub_f32_e32 v2, v12, v17
	v_sub_f32_e32 v3, v13, v3
	s_and_b64 vcc, exec, s[14:15]
                                        ; implicit-def: $vgpr13
	s_cbranch_vccz .LBB177_130
; %bb.129:                              ;   in Loop: Header=BB177_122 Depth=1
	v_div_scale_f32 v12, s[4:5], v5, v5, v4
	v_rcp_f32_e32 v13, v12
	v_div_scale_f32 v17, vcc, v4, v5, v4
	v_fma_f32 v18, -v12, v13, 1.0
	v_fmac_f32_e32 v13, v18, v13
	v_mul_f32_e32 v18, v17, v13
	v_fma_f32 v19, -v12, v18, v17
	v_fmac_f32_e32 v18, v19, v13
	v_fma_f32 v12, -v12, v18, v17
	v_div_fmas_f32 v12, v12, v13, v18
	v_div_fixup_f32 v13, v12, v5, v4
	v_fma_f32 v12, v4, v13, v5
	v_div_scale_f32 v17, s[4:5], v12, v12, 1.0
	v_rcp_f32_e32 v18, v17
	s_mov_b64 s[4:5], 0
	v_fma_f32 v19, -v17, v18, 1.0
	v_fmac_f32_e32 v18, v19, v18
	v_div_scale_f32 v19, vcc, 1.0, v12, 1.0
	v_mul_f32_e32 v20, v19, v18
	v_fma_f32 v21, -v17, v20, v19
	v_fmac_f32_e32 v20, v21, v18
	v_fma_f32 v17, -v17, v20, v19
	v_div_fmas_f32 v17, v17, v18, v20
	v_div_fixup_f32 v17, v17, v12, 1.0
	v_fma_f32 v12, v13, v2, v3
	v_fma_f32 v13, v13, v3, -v2
	v_mul_f32_e32 v12, v12, v17
	v_mul_f32_e32 v13, v13, v17
.LBB177_130:                            ;   in Loop: Header=BB177_122 Depth=1
	s_andn2_b64 vcc, exec, s[4:5]
	s_cbranch_vccnz .LBB177_132
; %bb.131:                              ;   in Loop: Header=BB177_122 Depth=1
	v_div_scale_f32 v12, s[4:5], v4, v4, v5
	v_rcp_f32_e32 v13, v12
	v_div_scale_f32 v17, vcc, v5, v4, v5
	v_fma_f32 v18, -v12, v13, 1.0
	v_fmac_f32_e32 v13, v18, v13
	v_mul_f32_e32 v18, v17, v13
	v_fma_f32 v19, -v12, v18, v17
	v_fmac_f32_e32 v18, v19, v13
	v_fma_f32 v12, -v12, v18, v17
	v_div_fmas_f32 v12, v12, v13, v18
	v_div_fixup_f32 v13, v12, v4, v5
	v_fmac_f32_e32 v4, v5, v13
	v_div_scale_f32 v5, s[4:5], v4, v4, 1.0
	v_rcp_f32_e32 v12, v5
	s_nop 0
	v_fma_f32 v17, -v5, v12, 1.0
	v_fmac_f32_e32 v12, v17, v12
	v_div_scale_f32 v17, vcc, 1.0, v4, 1.0
	v_mul_f32_e32 v18, v17, v12
	v_fma_f32 v19, -v5, v18, v17
	v_fmac_f32_e32 v18, v19, v12
	v_fma_f32 v5, -v5, v18, v17
	v_div_fmas_f32 v5, v5, v12, v18
	v_div_fixup_f32 v4, v5, v4, 1.0
	v_fma_f32 v5, v13, v3, v2
	v_fma_f32 v2, -v13, v2, v3
	v_mul_f32_e32 v12, v5, v4
	v_mul_f32_e32 v13, v2, v4
.LBB177_132:                            ;   in Loop: Header=BB177_122 Depth=1
	s_lshl_b32 s4, s13, 3
	s_add_i32 s5, s4, s12
	v_mov_b32_e32 v2, s5
	ds_write_b64 v16, v[12:13]
	ds_read_b128 v[16:19], v2
	s_lshl_b32 s5, s11, 3
	v_mov_b32_e32 v4, v11
	s_add_i32 s4, s4, s5
	v_mov_b32_e32 v2, s4
	s_waitcnt lgkmcnt(0)
	v_pk_mul_f32 v[4:5], v[4:5], v[16:17] op_sel_hi:[0,1]
	ds_read_b64 v[2:3], v2
	v_pk_fma_f32 v[20:21], v[10:11], v[16:17], v[4:5] op_sel:[0,0,1] op_sel_hi:[1,1,0] neg_lo:[0,0,1] neg_hi:[0,0,1]
	v_pk_fma_f32 v[4:5], v[10:11], v[16:17], v[4:5] op_sel:[0,0,1] op_sel_hi:[0,1,0]
	v_mov_b32_e32 v21, v5
	v_pk_add_f32 v[4:5], v[8:9], v[20:21] neg_lo:[0,1] neg_hi:[0,1]
	v_mov_b32_e32 v8, v13
	v_pk_mul_f32 v[8:9], v[8:9], v[18:19] op_sel_hi:[0,1]
	v_pk_fma_f32 v[16:17], v[12:13], v[18:19], v[8:9] op_sel:[0,0,1] op_sel_hi:[1,1,0] neg_lo:[0,0,1] neg_hi:[0,0,1]
	v_pk_fma_f32 v[8:9], v[12:13], v[18:19], v[8:9] op_sel:[0,0,1] op_sel_hi:[0,1,0]
	v_mov_b32_e32 v17, v9
	s_waitcnt lgkmcnt(0)
	v_cmp_ngt_f32_e64 s[14:15], |v2|, |v3|
	v_pk_add_f32 v[4:5], v[4:5], v[16:17] neg_lo:[0,1] neg_hi:[0,1]
	s_mov_b64 s[4:5], -1
	s_and_b64 vcc, exec, s[14:15]
                                        ; implicit-def: $vgpr8_vgpr9
	s_cbranch_vccz .LBB177_134
; %bb.133:                              ;   in Loop: Header=BB177_122 Depth=1
	v_div_scale_f32 v8, s[4:5], v3, v3, v2
	v_rcp_f32_e32 v9, v8
	v_div_scale_f32 v16, vcc, v2, v3, v2
	v_fma_f32 v17, -v8, v9, 1.0
	v_fmac_f32_e32 v9, v17, v9
	v_mul_f32_e32 v17, v16, v9
	v_fma_f32 v18, -v8, v17, v16
	v_fmac_f32_e32 v17, v18, v9
	v_fma_f32 v8, -v8, v17, v16
	v_div_fmas_f32 v8, v8, v9, v17
	v_div_fixup_f32 v8, v8, v3, v2
	v_fma_f32 v9, v2, v8, v3
	v_div_scale_f32 v18, s[4:5], v9, v9, 1.0
	v_rcp_f32_e32 v19, v18
	v_pk_fma_f32 v[16:17], v[8:9], v[4:5], v[4:5] op_sel:[0,0,1] op_sel_hi:[1,1,0]
	s_mov_b64 s[4:5], 0
	v_fma_f32 v17, -v18, v19, 1.0
	v_fmac_f32_e32 v19, v17, v19
	v_div_scale_f32 v17, vcc, 1.0, v9, 1.0
	v_mul_f32_e32 v20, v17, v19
	v_fma_f32 v21, -v18, v20, v17
	v_fmac_f32_e32 v20, v21, v19
	v_fma_f32 v17, -v18, v20, v17
	v_div_fmas_f32 v17, v17, v19, v20
	v_div_fixup_f32 v17, v17, v9, 1.0
	v_fma_f32 v9, v8, v5, -v4
	v_mov_b32_e32 v8, v17
	v_pk_mul_f32 v[8:9], v[16:17], v[8:9]
.LBB177_134:                            ;   in Loop: Header=BB177_122 Depth=1
	s_andn2_b64 vcc, exec, s[4:5]
	s_cbranch_vccnz .LBB177_136
; %bb.135:                              ;   in Loop: Header=BB177_122 Depth=1
	v_div_scale_f32 v8, s[4:5], v2, v2, v3
	v_rcp_f32_e32 v9, v8
	v_div_scale_f32 v16, vcc, v3, v2, v3
	v_fma_f32 v17, -v8, v9, 1.0
	v_fmac_f32_e32 v9, v17, v9
	v_mul_f32_e32 v17, v16, v9
	v_fma_f32 v18, -v8, v17, v16
	v_fmac_f32_e32 v17, v18, v9
	v_fma_f32 v8, -v8, v17, v16
	v_div_fmas_f32 v8, v8, v9, v17
	v_div_fixup_f32 v8, v8, v2, v3
	v_fmac_f32_e32 v2, v3, v8
	v_div_scale_f32 v3, s[4:5], v2, v2, 1.0
	v_rcp_f32_e32 v9, v3
	s_nop 0
	v_fma_f32 v16, -v3, v9, 1.0
	v_fmac_f32_e32 v9, v16, v9
	v_div_scale_f32 v16, vcc, 1.0, v2, 1.0
	v_mul_f32_e32 v17, v16, v9
	v_fma_f32 v18, -v3, v17, v16
	v_fmac_f32_e32 v17, v18, v9
	v_fma_f32 v3, -v3, v17, v16
	v_div_fmas_f32 v3, v3, v9, v17
	v_pk_fma_f32 v[16:17], v[8:9], v[4:5], v[4:5] op_sel:[0,1,0] op_sel_hi:[1,0,1]
	v_pk_fma_f32 v[4:5], v[8:9], v[4:5], v[4:5] op_sel:[0,1,0] op_sel_hi:[0,0,1] neg_lo:[1,0,0] neg_hi:[1,0,0]
	v_div_fixup_f32 v2, v3, v2, 1.0
	v_mov_b32_e32 v17, v5
	v_pk_mul_f32 v[8:9], v[16:17], v[2:3] op_sel_hi:[1,0]
.LBB177_136:                            ;   in Loop: Header=BB177_122 Depth=1
	s_lshl_b32 s4, s10, 3
	s_add_i32 s4, s4, s12
	v_mov_b32_e32 v2, s4
	ds_read_b128 v[16:19], v2
	v_mov_b32_e32 v20, v11
	v_mov_b32_e32 v21, v11
	ds_read_b128 v[2:5], v2 offset:16
	v_mov_b32_e32 v11, v10
	s_waitcnt lgkmcnt(1)
	v_pk_mul_f32 v[20:21], v[20:21], v[16:17]
	v_mov_b32_e32 v22, v13
	v_mov_b32_e32 v23, v13
	v_pk_fma_f32 v[24:25], v[10:11], v[16:17], v[20:21] op_sel:[0,0,1] op_sel_hi:[1,1,0] neg_lo:[0,0,1] neg_hi:[0,0,1]
	v_pk_fma_f32 v[10:11], v[10:11], v[16:17], v[20:21] op_sel:[0,0,1] op_sel_hi:[1,1,0]
	v_mov_b32_e32 v13, v12
	v_mov_b32_e32 v25, v11
	v_pk_mul_f32 v[10:11], v[22:23], v[18:19]
	v_pk_add_f32 v[6:7], v[6:7], v[24:25] neg_lo:[0,1] neg_hi:[0,1]
	v_pk_fma_f32 v[16:17], v[12:13], v[18:19], v[10:11] op_sel:[0,0,1] op_sel_hi:[1,1,0] neg_lo:[0,0,1] neg_hi:[0,0,1]
	v_pk_fma_f32 v[10:11], v[12:13], v[18:19], v[10:11] op_sel:[0,0,1] op_sel_hi:[1,1,0]
	s_waitcnt lgkmcnt(0)
	v_cmp_ngt_f32_e64 s[10:11], |v4|, |v5|
	v_mov_b32_e32 v17, v11
	v_pk_mul_f32 v[10:11], v[8:9], v[2:3] op_sel:[1,1] op_sel_hi:[1,0]
	v_pk_add_f32 v[6:7], v[6:7], v[16:17] neg_lo:[0,1] neg_hi:[0,1]
	v_pk_fma_f32 v[12:13], v[8:9], v[2:3], v[10:11] neg_lo:[0,0,1] neg_hi:[0,0,1]
	v_pk_fma_f32 v[2:3], v[8:9], v[2:3], v[10:11] op_sel_hi:[0,1,1]
	v_mov_b32_e32 v13, v3
	v_pk_add_f32 v[2:3], v[6:7], v[12:13] neg_lo:[0,1] neg_hi:[0,1]
	s_mov_b64 s[4:5], -1
	s_and_b64 vcc, exec, s[10:11]
	ds_write_b64 v15, v[8:9]
                                        ; implicit-def: $vgpr6_vgpr7
	s_cbranch_vccz .LBB177_138
; %bb.137:                              ;   in Loop: Header=BB177_122 Depth=1
	v_div_scale_f32 v6, s[4:5], v5, v5, v4
	v_rcp_f32_e32 v7, v6
	v_div_scale_f32 v8, vcc, v4, v5, v4
	v_fma_f32 v9, -v6, v7, 1.0
	v_fmac_f32_e32 v7, v9, v7
	v_mul_f32_e32 v9, v8, v7
	v_fma_f32 v10, -v6, v9, v8
	v_fmac_f32_e32 v9, v10, v7
	v_fma_f32 v6, -v6, v9, v8
	v_div_fmas_f32 v6, v6, v7, v9
	v_div_fixup_f32 v6, v6, v5, v4
	v_fma_f32 v7, v4, v6, v5
	v_div_scale_f32 v10, s[4:5], v7, v7, 1.0
	v_rcp_f32_e32 v11, v10
	v_pk_fma_f32 v[8:9], v[6:7], v[2:3], v[2:3] op_sel:[0,0,1] op_sel_hi:[1,1,0]
	s_mov_b64 s[4:5], 0
	v_fma_f32 v9, -v10, v11, 1.0
	v_fmac_f32_e32 v11, v9, v11
	v_div_scale_f32 v9, vcc, 1.0, v7, 1.0
	v_mul_f32_e32 v12, v9, v11
	v_fma_f32 v13, -v10, v12, v9
	v_fmac_f32_e32 v12, v13, v11
	v_fma_f32 v9, -v10, v12, v9
	v_div_fmas_f32 v9, v9, v11, v12
	v_div_fixup_f32 v9, v9, v7, 1.0
	v_fma_f32 v7, v6, v3, -v2
	v_mov_b32_e32 v6, v9
	v_pk_mul_f32 v[6:7], v[8:9], v[6:7]
.LBB177_138:                            ;   in Loop: Header=BB177_122 Depth=1
	s_andn2_b64 vcc, exec, s[4:5]
	s_cbranch_vccnz .LBB177_140
; %bb.139:                              ;   in Loop: Header=BB177_122 Depth=1
	v_div_scale_f32 v6, s[4:5], v4, v4, v5
	v_rcp_f32_e32 v7, v6
	v_div_scale_f32 v8, vcc, v5, v4, v5
	v_fma_f32 v9, -v6, v7, 1.0
	v_fmac_f32_e32 v7, v9, v7
	v_mul_f32_e32 v9, v8, v7
	v_fma_f32 v10, -v6, v9, v8
	v_fmac_f32_e32 v9, v10, v7
	v_fma_f32 v6, -v6, v9, v8
	v_div_fmas_f32 v6, v6, v7, v9
	v_div_fixup_f32 v6, v6, v4, v5
	v_fmac_f32_e32 v4, v5, v6
	v_div_scale_f32 v5, s[4:5], v4, v4, 1.0
	v_rcp_f32_e32 v7, v5
	s_nop 0
	v_fma_f32 v8, -v5, v7, 1.0
	v_fmac_f32_e32 v7, v8, v7
	v_div_scale_f32 v8, vcc, 1.0, v4, 1.0
	v_mul_f32_e32 v9, v8, v7
	v_fma_f32 v10, -v5, v9, v8
	v_fmac_f32_e32 v9, v10, v7
	v_fma_f32 v5, -v5, v9, v8
	v_div_fmas_f32 v5, v5, v7, v9
	v_pk_fma_f32 v[8:9], v[6:7], v[2:3], v[2:3] op_sel:[0,1,0] op_sel_hi:[1,0,1]
	v_pk_fma_f32 v[2:3], v[6:7], v[2:3], v[2:3] op_sel:[0,1,0] op_sel_hi:[0,0,1] neg_lo:[1,0,0] neg_hi:[1,0,0]
	v_div_fixup_f32 v4, v5, v4, 1.0
	v_mov_b32_e32 v9, v3
	v_pk_mul_f32 v[6:7], v[8:9], v[4:5] op_sel_hi:[1,0]
.LBB177_140:                            ;   in Loop: Header=BB177_122 Depth=1
	s_add_i32 s10, s9, 4
	s_add_i32 s4, s9, 7
	s_addk_i32 s7, 0x800
	s_cmp_ge_i32 s4, s28
	ds_write_b64 v14, v[6:7]
	s_cbranch_scc1 .LBB177_142
; %bb.141:                              ;   in Loop: Header=BB177_122 Depth=1
	s_mov_b32 s9, s10
	s_branch .LBB177_122
.LBB177_142:
	s_cmp_ge_i32 s10, s28
	s_cbranch_scc1 .LBB177_151
; %bb.143:
	v_mov_b32_e32 v2, 0x8000
	v_lshl_or_b32 v8, v0, 3, v2
	s_lshl_b32 s7, s10, 9
	s_branch .LBB177_145
.LBB177_144:                            ;   in Loop: Header=BB177_145 Depth=1
	s_add_i32 s10, s10, 1
	s_addk_i32 s7, 0x200
	s_cmp_ge_i32 s10, s28
	ds_write_b64 v9, v[6:7]
	s_cbranch_scc1 .LBB177_151
.LBB177_145:                            ; =>This Loop Header: Depth=1
                                        ;     Child Loop BB177_146 Depth 2
	v_lshl_add_u32 v9, s10, 9, v1
	ds_read_b64 v[2:3], v9
	s_cmp_eq_u32 s10, 0
	s_mov_b32 s4, s7
	v_mov_b32_e32 v4, v8
	s_mov_b32 s5, s10
	s_cbranch_scc1 .LBB177_147
.LBB177_146:                            ;   Parent Loop BB177_145 Depth=1
                                        ; =>  This Inner Loop Header: Depth=2
	v_mov_b32_e32 v5, s4
	ds_read_b64 v[6:7], v4
	ds_read_b64 v[10:11], v5
	s_add_i32 s5, s5, -1
	s_add_i32 s4, s4, 8
	v_add_u32_e32 v4, 0x200, v4
	s_cmp_eq_u32 s5, 0
	s_waitcnt lgkmcnt(0)
	v_pk_mul_f32 v[12:13], v[10:11], v[6:7] op_sel:[1,1] op_sel_hi:[0,1]
	v_pk_fma_f32 v[14:15], v[10:11], v[6:7], v[12:13] op_sel_hi:[1,0,1]
	v_pk_fma_f32 v[6:7], v[10:11], v[6:7], v[12:13] op_sel_hi:[1,0,1] neg_lo:[0,0,1] neg_hi:[0,0,1]
	s_nop 0
	v_mov_b32_e32 v7, v15
	v_pk_add_f32 v[2:3], v[2:3], v[6:7] neg_lo:[0,1] neg_hi:[0,1]
	s_cbranch_scc0 .LBB177_146
.LBB177_147:                            ;   in Loop: Header=BB177_145 Depth=1
	s_mul_i32 s4, s10, 0x208
	v_mov_b32_e32 v4, s4
	ds_read_b64 v[4:5], v4
	s_mov_b64 s[4:5], -1
                                        ; implicit-def: $vgpr6_vgpr7
	s_waitcnt lgkmcnt(0)
	v_cmp_ngt_f32_e64 s[12:13], |v4|, |v5|
	s_and_b64 vcc, exec, s[12:13]
	s_cbranch_vccz .LBB177_149
; %bb.148:                              ;   in Loop: Header=BB177_145 Depth=1
	v_div_scale_f32 v6, s[4:5], v5, v5, v4
	v_rcp_f32_e32 v7, v6
	v_div_scale_f32 v10, vcc, v4, v5, v4
	v_fma_f32 v11, -v6, v7, 1.0
	v_fmac_f32_e32 v7, v11, v7
	v_mul_f32_e32 v11, v10, v7
	v_fma_f32 v12, -v6, v11, v10
	v_fmac_f32_e32 v11, v12, v7
	v_fma_f32 v6, -v6, v11, v10
	v_div_fmas_f32 v6, v6, v7, v11
	v_div_fixup_f32 v6, v6, v5, v4
	v_fma_f32 v7, v4, v6, v5
	v_div_scale_f32 v10, s[4:5], v7, v7, 1.0
	v_rcp_f32_e32 v11, v10
	s_mov_b64 s[4:5], 0
	v_fma_f32 v12, -v10, v11, 1.0
	v_fmac_f32_e32 v11, v12, v11
	v_div_scale_f32 v12, vcc, 1.0, v7, 1.0
	v_mul_f32_e32 v13, v12, v11
	v_fma_f32 v14, -v10, v13, v12
	v_fmac_f32_e32 v13, v14, v11
	v_fma_f32 v10, -v10, v13, v12
	v_div_fmas_f32 v10, v10, v11, v13
	v_div_fixup_f32 v10, v10, v7, 1.0
	v_pk_fma_f32 v[12:13], v[2:3], v[6:7], v[2:3] op_sel:[0,0,1] op_sel_hi:[1,0,0] neg_lo:[0,0,1] neg_hi:[0,0,1]
	v_pk_fma_f32 v[6:7], v[2:3], v[6:7], v[2:3] op_sel:[0,0,1] op_sel_hi:[1,0,0]
	s_nop 0
	v_mov_b32_e32 v7, v13
	v_pk_mul_f32 v[6:7], v[6:7], v[10:11] op_sel_hi:[1,0]
.LBB177_149:                            ;   in Loop: Header=BB177_145 Depth=1
	s_andn2_b64 vcc, exec, s[4:5]
	s_cbranch_vccnz .LBB177_144
; %bb.150:                              ;   in Loop: Header=BB177_145 Depth=1
	v_div_scale_f32 v6, s[4:5], v4, v4, v5
	v_rcp_f32_e32 v7, v6
	v_div_scale_f32 v10, vcc, v5, v4, v5
	v_fma_f32 v11, -v6, v7, 1.0
	v_fmac_f32_e32 v7, v11, v7
	v_mul_f32_e32 v11, v10, v7
	v_fma_f32 v12, -v6, v11, v10
	v_fmac_f32_e32 v11, v12, v7
	v_fma_f32 v6, -v6, v11, v10
	v_div_fmas_f32 v6, v6, v7, v11
	v_div_fixup_f32 v6, v6, v4, v5
	v_fmac_f32_e32 v4, v5, v6
	v_div_scale_f32 v5, s[4:5], v4, v4, 1.0
	v_rcp_f32_e32 v7, v5
	s_nop 0
	v_fma_f32 v10, -v5, v7, 1.0
	v_fmac_f32_e32 v7, v10, v7
	v_div_scale_f32 v10, vcc, 1.0, v4, 1.0
	v_mul_f32_e32 v11, v10, v7
	v_fma_f32 v12, -v5, v11, v10
	v_fmac_f32_e32 v11, v12, v7
	v_fma_f32 v5, -v5, v11, v10
	v_div_fmas_f32 v5, v5, v7, v11
	v_pk_fma_f32 v[10:11], v[2:3], v[6:7], v[2:3] op_sel:[1,0,0] op_sel_hi:[0,0,1] neg_lo:[1,0,0] neg_hi:[1,0,0]
	v_pk_fma_f32 v[2:3], v[2:3], v[6:7], v[2:3] op_sel:[1,0,0] op_sel_hi:[0,0,1]
	v_div_fixup_f32 v4, v5, v4, 1.0
	v_mov_b32_e32 v3, v11
	v_pk_mul_f32 v[6:7], v[2:3], v[4:5] op_sel_hi:[1,0]
	s_branch .LBB177_144
.LBB177_151:
	s_and_saveexec_b64 s[4:5], s[0:1]
	s_cbranch_execz .LBB177_155
; %bb.152:
	s_cmp_lt_i32 s8, 1
	s_cbranch_scc1 .LBB177_155
; %bb.153:
	s_ashr_i32 s7, s6, 31
	v_lshlrev_b32_e32 v2, 3, v0
	v_mov_b32_e32 v3, 0
	v_lshl_add_u64 v[0:1], s[2:3], 0, v[2:3]
	s_lshl_b64 s[0:1], s[6:7], 3
	v_or_b32_e32 v2, 0x8000, v2
.LBB177_154:                            ; =>This Inner Loop Header: Depth=1
	ds_read_b64 v[4:5], v2
	s_add_i32 s8, s8, -1
	v_add_u32_e32 v2, 0x200, v2
	s_cmp_lg_u32 s8, 0
	s_waitcnt lgkmcnt(0)
	flat_store_dwordx2 v[0:1], v[4:5]
	v_lshl_add_u64 v[0:1], v[0:1], 0, s[0:1]
	s_cbranch_scc1 .LBB177_154
.LBB177_155:
	s_endpgm
	.section	.rodata,"a",@progbits
	.p2align	6, 0x0
	.amdhsa_kernel _ZL31rocblas_trsm_small_right_deviceI19rocblas_complex_numIfES1_PKPKS1_PKPS1_Li64EEv13rocblas_fill_18rocblas_operation_17rocblas_diagonal_iiT0_T1_lilT2_lili
		.amdhsa_group_segment_fixed_size 65536
		.amdhsa_private_segment_fixed_size 0
		.amdhsa_kernarg_size 360
		.amdhsa_user_sgpr_count 2
		.amdhsa_user_sgpr_dispatch_ptr 0
		.amdhsa_user_sgpr_queue_ptr 0
		.amdhsa_user_sgpr_kernarg_segment_ptr 1
		.amdhsa_user_sgpr_dispatch_id 0
		.amdhsa_user_sgpr_kernarg_preload_length 0
		.amdhsa_user_sgpr_kernarg_preload_offset 0
		.amdhsa_user_sgpr_private_segment_size 0
		.amdhsa_uses_dynamic_stack 0
		.amdhsa_enable_private_segment 0
		.amdhsa_system_sgpr_workgroup_id_x 1
		.amdhsa_system_sgpr_workgroup_id_y 0
		.amdhsa_system_sgpr_workgroup_id_z 1
		.amdhsa_system_sgpr_workgroup_info 0
		.amdhsa_system_vgpr_workitem_id 0
		.amdhsa_next_free_vgpr 257
		.amdhsa_next_free_sgpr 96
		.amdhsa_accum_offset 36
		.amdhsa_reserve_vcc 1
		.amdhsa_float_round_mode_32 0
		.amdhsa_float_round_mode_16_64 0
		.amdhsa_float_denorm_mode_32 3
		.amdhsa_float_denorm_mode_16_64 3
		.amdhsa_dx10_clamp 1
		.amdhsa_ieee_mode 1
		.amdhsa_fp16_overflow 0
		.amdhsa_tg_split 0
		.amdhsa_exception_fp_ieee_invalid_op 0
		.amdhsa_exception_fp_denorm_src 0
		.amdhsa_exception_fp_ieee_div_zero 0
		.amdhsa_exception_fp_ieee_overflow 0
		.amdhsa_exception_fp_ieee_underflow 0
		.amdhsa_exception_fp_ieee_inexact 0
		.amdhsa_exception_int_div_zero 0
	.end_amdhsa_kernel
	.section	.text._ZL31rocblas_trsm_small_right_deviceI19rocblas_complex_numIfES1_PKPKS1_PKPS1_Li64EEv13rocblas_fill_18rocblas_operation_17rocblas_diagonal_iiT0_T1_lilT2_lili,"axG",@progbits,_ZL31rocblas_trsm_small_right_deviceI19rocblas_complex_numIfES1_PKPKS1_PKPS1_Li64EEv13rocblas_fill_18rocblas_operation_17rocblas_diagonal_iiT0_T1_lilT2_lili,comdat
.Lfunc_end177:
	.size	_ZL31rocblas_trsm_small_right_deviceI19rocblas_complex_numIfES1_PKPKS1_PKPS1_Li64EEv13rocblas_fill_18rocblas_operation_17rocblas_diagonal_iiT0_T1_lilT2_lili, .Lfunc_end177-_ZL31rocblas_trsm_small_right_deviceI19rocblas_complex_numIfES1_PKPKS1_PKPS1_Li64EEv13rocblas_fill_18rocblas_operation_17rocblas_diagonal_iiT0_T1_lilT2_lili
                                        ; -- End function
	.set _ZL31rocblas_trsm_small_right_deviceI19rocblas_complex_numIfES1_PKPKS1_PKPS1_Li64EEv13rocblas_fill_18rocblas_operation_17rocblas_diagonal_iiT0_T1_lilT2_lili.num_vgpr, 34
	.set _ZL31rocblas_trsm_small_right_deviceI19rocblas_complex_numIfES1_PKPKS1_PKPS1_Li64EEv13rocblas_fill_18rocblas_operation_17rocblas_diagonal_iiT0_T1_lilT2_lili.num_agpr, 0
	.set _ZL31rocblas_trsm_small_right_deviceI19rocblas_complex_numIfES1_PKPKS1_PKPS1_Li64EEv13rocblas_fill_18rocblas_operation_17rocblas_diagonal_iiT0_T1_lilT2_lili.numbered_sgpr, 30
	.set _ZL31rocblas_trsm_small_right_deviceI19rocblas_complex_numIfES1_PKPKS1_PKPS1_Li64EEv13rocblas_fill_18rocblas_operation_17rocblas_diagonal_iiT0_T1_lilT2_lili.num_named_barrier, 0
	.set _ZL31rocblas_trsm_small_right_deviceI19rocblas_complex_numIfES1_PKPKS1_PKPS1_Li64EEv13rocblas_fill_18rocblas_operation_17rocblas_diagonal_iiT0_T1_lilT2_lili.private_seg_size, 0
	.set _ZL31rocblas_trsm_small_right_deviceI19rocblas_complex_numIfES1_PKPKS1_PKPS1_Li64EEv13rocblas_fill_18rocblas_operation_17rocblas_diagonal_iiT0_T1_lilT2_lili.uses_vcc, 1
	.set _ZL31rocblas_trsm_small_right_deviceI19rocblas_complex_numIfES1_PKPKS1_PKPS1_Li64EEv13rocblas_fill_18rocblas_operation_17rocblas_diagonal_iiT0_T1_lilT2_lili.uses_flat_scratch, 0
	.set _ZL31rocblas_trsm_small_right_deviceI19rocblas_complex_numIfES1_PKPKS1_PKPS1_Li64EEv13rocblas_fill_18rocblas_operation_17rocblas_diagonal_iiT0_T1_lilT2_lili.has_dyn_sized_stack, 0
	.set _ZL31rocblas_trsm_small_right_deviceI19rocblas_complex_numIfES1_PKPKS1_PKPS1_Li64EEv13rocblas_fill_18rocblas_operation_17rocblas_diagonal_iiT0_T1_lilT2_lili.has_recursion, 0
	.set _ZL31rocblas_trsm_small_right_deviceI19rocblas_complex_numIfES1_PKPKS1_PKPS1_Li64EEv13rocblas_fill_18rocblas_operation_17rocblas_diagonal_iiT0_T1_lilT2_lili.has_indirect_call, 0
	.section	.AMDGPU.csdata,"",@progbits
; Kernel info:
; codeLenInByte = 13004
; TotalNumSgprs: 36
; NumVgprs: 34
; NumAgprs: 0
; TotalNumVgprs: 34
; ScratchSize: 0
; MemoryBound: 0
; FloatMode: 240
; IeeeMode: 1
; LDSByteSize: 65536 bytes/workgroup (compile time only)
; SGPRBlocks: 12
; VGPRBlocks: 32
; NumSGPRsForWavesPerEU: 102
; NumVGPRsForWavesPerEU: 257
; AccumOffset: 36
; Occupancy: 1
; WaveLimiterHint : 1
; COMPUTE_PGM_RSRC2:SCRATCH_EN: 0
; COMPUTE_PGM_RSRC2:USER_SGPR: 2
; COMPUTE_PGM_RSRC2:TRAP_HANDLER: 0
; COMPUTE_PGM_RSRC2:TGID_X_EN: 1
; COMPUTE_PGM_RSRC2:TGID_Y_EN: 0
; COMPUTE_PGM_RSRC2:TGID_Z_EN: 1
; COMPUTE_PGM_RSRC2:TIDIG_COMP_CNT: 0
; COMPUTE_PGM_RSRC3_GFX90A:ACCUM_OFFSET: 8
; COMPUTE_PGM_RSRC3_GFX90A:TG_SPLIT: 0
	.section	.text._ZL39rocblas_trsm_block_forward_substitutionI19rocblas_complex_numIfES1_PKPKS1_PKPS1_Lb0ELb0ELb0EEv18rocblas_operation_llT0_T1_lllT2_lllib,"axG",@progbits,_ZL39rocblas_trsm_block_forward_substitutionI19rocblas_complex_numIfES1_PKPKS1_PKPS1_Lb0ELb0ELb0EEv18rocblas_operation_llT0_T1_lllT2_lllib,comdat
	.globl	_ZL39rocblas_trsm_block_forward_substitutionI19rocblas_complex_numIfES1_PKPKS1_PKPS1_Lb0ELb0ELb0EEv18rocblas_operation_llT0_T1_lllT2_lllib ; -- Begin function _ZL39rocblas_trsm_block_forward_substitutionI19rocblas_complex_numIfES1_PKPKS1_PKPS1_Lb0ELb0ELb0EEv18rocblas_operation_llT0_T1_lllT2_lllib
	.p2align	8
	.type	_ZL39rocblas_trsm_block_forward_substitutionI19rocblas_complex_numIfES1_PKPKS1_PKPS1_Lb0ELb0ELb0EEv18rocblas_operation_llT0_T1_lllT2_lllib,@function
_ZL39rocblas_trsm_block_forward_substitutionI19rocblas_complex_numIfES1_PKPKS1_PKPS1_Lb0ELb0ELb0EEv18rocblas_operation_llT0_T1_lllT2_lllib: ; @_ZL39rocblas_trsm_block_forward_substitutionI19rocblas_complex_numIfES1_PKPKS1_PKPS1_Lb0ELb0ELb0EEv18rocblas_operation_llT0_T1_lllT2_lllib
; %bb.0:
	s_load_dword s2, s[0:1], 0x64
	s_load_dwordx4 s[8:11], s[0:1], 0x8
	s_load_dwordx4 s[20:23], s[0:1], 0x20
	s_load_dword s26, s[0:1], 0x74
	s_mov_b32 s5, 0
	s_waitcnt lgkmcnt(0)
	s_bitcmp1_b32 s2, 0
	s_cselect_b64 s[6:7], -1, 0
	s_xor_b64 s[12:13], s[6:7], -1
	s_lshl_b64 s[24:25], s[4:5], 3
	s_add_u32 s16, s20, s24
	s_addc_u32 s17, s21, s25
	s_load_dwordx2 s[20:21], s[16:17], 0x0
	s_load_dwordx2 s[14:15], s[0:1], 0x30
	s_load_dwordx4 s[4:7], s[0:1], 0x40
	s_load_dwordx2 s[18:19], s[0:1], 0x50
	s_lshl_b64 s[16:17], s[22:23], 3
	s_waitcnt lgkmcnt(0)
	s_add_u32 s16, s20, s16
	s_addc_u32 s17, s21, s17
	s_add_u32 s4, s4, s24
	s_addc_u32 s5, s5, s25
	s_load_dwordx2 s[4:5], s[4:5], 0x0
	s_add_u32 s20, s0, 0x68
	v_and_b32_e32 v2, 0x3ff, v0
	v_bfe_u32 v12, v0, 10, 10
	s_addc_u32 s21, s1, 0
	s_lshr_b32 s2, s26, 16
	s_and_b64 vcc, exec, s[12:13]
	s_cbranch_vccnz .LBB178_15
; %bb.1:
	s_lshl_b32 s22, s2, 3
	v_cmp_lt_i64_e64 s[24:25], s[8:9], 1
	s_add_i32 s22, s22, 0
	s_and_b64 vcc, exec, s[24:25]
	s_cbranch_vccnz .LBB178_14
; %bb.2:
	v_mov_b32_e32 v3, 0
	v_lshlrev_b32_e32 v0, 3, v2
	v_mov_b32_e32 v1, v3
	v_add_u32_e32 v10, s22, v0
	v_lshl_add_u64 v[0:1], s[16:17], 0, v[0:1]
	v_mad_u64_u32 v[4:5], s[16:17], s14, v2, 0
	v_mov_b32_e32 v6, v5
	v_mad_u64_u32 v[6:7], s[16:17], s15, v2, v[6:7]
	v_cmp_le_u64_e32 vcc, s[8:9], v[2:3]
	v_mov_b32_e32 v5, v6
	v_lshl_add_u64 v[4:5], v[4:5], 3, v[0:1]
	s_xor_b64 s[16:17], vcc, -1
	s_mov_b32 s23, s2
	v_mov_b32_e32 v3, v12
	s_branch .LBB178_6
.LBB178_3:                              ;   in Loop: Header=BB178_6 Depth=1
	s_or_b64 exec, exec, s[28:29]
	s_load_dword s28, s[20:21], 0xc
	s_waitcnt lgkmcnt(0)
	s_and_b32 s28, s28, 0xffff
	v_mul_u32_u24_e32 v6, s28, v2
	v_lshl_add_u32 v6, v6, 3, v10
	ds_write_b64 v6, v[8:9]
.LBB178_4:                              ;   in Loop: Header=BB178_6 Depth=1
	s_or_b64 exec, exec, s[26:27]
.LBB178_5:                              ;   in Loop: Header=BB178_6 Depth=1
	s_or_b64 exec, exec, s[24:25]
	s_ashr_i32 s24, s23, 31
	v_mov_b32_e32 v6, s23
	v_mov_b32_e32 v7, s24
	v_cmp_le_i64_e32 vcc, s[8:9], v[6:7]
	v_add_u32_e32 v3, s2, v3
	s_add_i32 s23, s23, s2
	s_cbranch_vccnz .LBB178_14
.LBB178_6:                              ; =>This Inner Loop Header: Depth=1
	v_cmp_gt_i32_e32 vcc, v2, v3
	s_and_b64 s[24:25], s[16:17], vcc
	s_and_saveexec_b64 s[26:27], s[24:25]
	s_xor_b64 s[24:25], exec, s[26:27]
	s_cbranch_execz .LBB178_8
; %bb.7:                                ;   in Loop: Header=BB178_6 Depth=1
	v_ashrrev_i32_e32 v6, 31, v3
	v_mul_lo_u32 v8, s15, v3
	v_mul_lo_u32 v9, s14, v6
	v_mad_u64_u32 v[6:7], s[26:27], s14, v3, 0
	v_add3_u32 v7, v7, v9, v8
	v_lshl_add_u64 v[6:7], v[6:7], 3, v[0:1]
	flat_load_dwordx2 v[6:7], v[6:7]
	s_load_dword s26, s[20:21], 0xc
	s_waitcnt lgkmcnt(0)
	s_and_b32 s26, s26, 0xffff
	v_mul_lo_u32 v8, v3, s26
	v_lshl_add_u32 v8, v8, 3, v10
	s_waitcnt vmcnt(0)
	ds_write_b64 v8, v[6:7]
.LBB178_8:                              ;   in Loop: Header=BB178_6 Depth=1
	s_andn2_saveexec_b64 s[24:25], s[24:25]
	s_cbranch_execz .LBB178_5
; %bb.9:                                ;   in Loop: Header=BB178_6 Depth=1
	v_cmp_eq_u32_e32 vcc, v2, v3
	s_and_b64 s[28:29], s[16:17], vcc
	s_and_saveexec_b64 s[26:27], s[28:29]
	s_cbranch_execz .LBB178_4
; %bb.10:                               ;   in Loop: Header=BB178_6 Depth=1
	flat_load_dwordx2 v[6:7], v[4:5]
                                        ; implicit-def: $vgpr8_vgpr9
	s_waitcnt vmcnt(0) lgkmcnt(0)
	v_cmp_ngt_f32_e64 s[28:29], |v6|, |v7|
	s_and_saveexec_b64 s[30:31], s[28:29]
	s_xor_b64 s[28:29], exec, s[30:31]
	s_cbranch_execz .LBB178_12
; %bb.11:                               ;   in Loop: Header=BB178_6 Depth=1
	v_div_scale_f32 v8, s[30:31], v7, v7, v6
	v_rcp_f32_e32 v9, v8
	v_div_scale_f32 v11, vcc, v6, v7, v6
	v_fma_f32 v13, -v8, v9, 1.0
	v_fmac_f32_e32 v9, v13, v9
	v_mul_f32_e32 v13, v11, v9
	v_fma_f32 v14, -v8, v13, v11
	v_fmac_f32_e32 v13, v14, v9
	v_fma_f32 v8, -v8, v13, v11
	v_div_fmas_f32 v8, v8, v9, v13
	v_div_fixup_f32 v8, v8, v7, v6
	v_fmac_f32_e32 v7, v6, v8
	v_div_scale_f32 v6, s[30:31], v7, v7, 1.0
	v_rcp_f32_e32 v9, v6
	s_nop 0
	v_fma_f32 v11, -v6, v9, 1.0
	v_fmac_f32_e32 v9, v11, v9
	v_div_scale_f32 v11, vcc, 1.0, v7, 1.0
	v_mul_f32_e32 v13, v11, v9
	v_fma_f32 v14, -v6, v13, v11
	v_fmac_f32_e32 v13, v14, v9
	v_fma_f32 v6, -v6, v13, v11
	v_div_fmas_f32 v6, v6, v9, v13
	v_div_fixup_f32 v6, v6, v7, 1.0
	v_mul_f32_e32 v8, v8, v6
	v_xor_b32_e32 v9, 0x80000000, v6
                                        ; implicit-def: $vgpr6_vgpr7
.LBB178_12:                             ;   in Loop: Header=BB178_6 Depth=1
	s_andn2_saveexec_b64 s[28:29], s[28:29]
	s_cbranch_execz .LBB178_3
; %bb.13:                               ;   in Loop: Header=BB178_6 Depth=1
	v_div_scale_f32 v8, s[30:31], v6, v6, v7
	v_rcp_f32_e32 v9, v8
	v_div_scale_f32 v11, vcc, v7, v6, v7
	v_fma_f32 v13, -v8, v9, 1.0
	v_fmac_f32_e32 v9, v13, v9
	v_mul_f32_e32 v13, v11, v9
	v_fma_f32 v14, -v8, v13, v11
	v_fmac_f32_e32 v13, v14, v9
	v_fma_f32 v8, -v8, v13, v11
	v_div_fmas_f32 v8, v8, v9, v13
	v_div_fixup_f32 v9, v8, v6, v7
	v_fmac_f32_e32 v6, v7, v9
	v_div_scale_f32 v7, s[30:31], v6, v6, 1.0
	v_rcp_f32_e32 v8, v7
	s_nop 0
	v_fma_f32 v11, -v7, v8, 1.0
	v_fmac_f32_e32 v8, v11, v8
	v_div_scale_f32 v11, vcc, 1.0, v6, 1.0
	v_mul_f32_e32 v13, v11, v8
	v_fma_f32 v14, -v7, v13, v11
	v_fmac_f32_e32 v13, v14, v8
	v_fma_f32 v7, -v7, v13, v11
	v_div_fmas_f32 v7, v7, v8, v13
	v_div_fixup_f32 v8, v7, v6, 1.0
	v_mul_f32_e64 v9, v9, -v8
	s_branch .LBB178_3
.LBB178_14:
	s_load_dword s14, s[20:21], 0xc
	s_mov_b64 s[16:17], src_shared_base
	s_mov_b32 s23, s17
	s_mov_b32 s15, 0
	s_mov_b64 s[16:17], s[22:23]
	s_waitcnt lgkmcnt(0)
	s_and_b32 s14, s14, 0xffff
.LBB178_15:
	s_load_dwordx2 s[20:21], s[0:1], 0x18
	s_mul_i32 s3, s3, s2
	v_add_u32_e32 v0, s3, v12
	v_mov_b32_e32 v1, 0
	v_cmp_gt_i64_e32 vcc, s[10:11], v[0:1]
	s_and_saveexec_b64 s[2:3], vcc
	s_cbranch_execz .LBB178_49
; %bb.16:
	v_mov_b32_e32 v3, v1
	v_cmp_gt_i64_e32 vcc, s[8:9], v[2:3]
	s_and_b64 exec, exec, vcc
	s_cbranch_execz .LBB178_49
; %bb.17:
	s_lshl_b64 s[2:3], s[6:7], 3
	s_waitcnt lgkmcnt(0)
	s_add_u32 s2, s4, s2
	s_addc_u32 s3, s5, s3
	v_mad_u64_u32 v[4:5], s[4:5], s18, v0, 0
	v_mov_b32_e32 v6, v5
	v_mad_u64_u32 v[0:1], s[4:5], s19, v0, v[6:7]
	v_mov_b32_e32 v5, v0
	v_lshl_add_u64 v[0:1], v[4:5], 3, s[2:3]
	v_lshlrev_b32_e32 v6, 3, v2
	v_mov_b32_e32 v7, 0
	v_lshl_add_u64 v[0:1], v[0:1], 0, v[6:7]
	flat_load_dwordx2 v[8:9], v[0:1]
	v_cmp_gt_u64_e64 s[6:7], s[8:9], 1
	s_add_u32 s2, s8, -1
	s_mov_b64 s[4:5], -1
	s_addc_u32 s3, s9, -1
	s_and_b64 vcc, exec, s[6:7]
                                        ; implicit-def: $vgpr4_vgpr5
	s_waitcnt vmcnt(0) lgkmcnt(0)
	v_pk_mul_f32 v[16:17], s[20:21], v[8:9] op_sel:[1,1] op_sel_hi:[0,1]
	v_pk_mul_f32 v[14:15], s[20:21], v[8:9]
	v_pk_fma_f32 v[10:11], s[20:21], v[8:9], v[16:17] op_sel_hi:[1,0,1]
	s_nop 0
	v_sub_f32_e32 v10, v14, v16
	s_cbranch_vccnz .LBB178_19
; %bb.18:
	s_mov_b64 s[4:5], 0
	v_mov_b64_e32 v[4:5], v[10:11]
.LBB178_19:
	s_andn2_b64 vcc, exec, s[4:5]
	s_cbranch_vccnz .LBB178_38
; %bb.20:
	s_load_dword s4, s[0:1], 0x0
	v_mad_u64_u32 v[4:5], s[0:1], v2, s14, v[2:3]
	v_mov_b32_e32 v8, v5
	v_mov_b32_e32 v7, 0
	s_waitcnt lgkmcnt(0)
	s_cmpk_lg_i32 s4, 0x71
	v_mad_u64_u32 v[8:9], s[4:5], v2, s15, v[8:9]
	v_mov_b32_e32 v5, v8
	v_lshl_add_u64 v[6:7], s[16:17], 0, v[6:7]
	s_cselect_b64 s[0:1], -1, 0
	v_lshl_add_u64 v[8:9], v[4:5], 3, s[16:17]
	v_lshl_add_u32 v14, v12, 3, 0
	s_lshl_b64 s[4:5], s[14:15], 3
	s_mov_b64 s[6:7], 0
	s_branch .LBB178_23
.LBB178_21:                             ;   in Loop: Header=BB178_23 Depth=1
	ds_read_b64 v[16:17], v14
	s_waitcnt lgkmcnt(0)
	v_pk_mul_f32 v[12:13], v[12:13], v[16:17] op_sel:[0,1] op_sel_hi:[0,0]
	v_pk_fma_f32 v[18:19], v[16:17], v[10:11], v[12:13] neg_lo:[0,0,1] neg_hi:[0,0,1]
	v_pk_fma_f32 v[10:11], v[16:17], v[10:11], v[12:13] op_sel_hi:[1,0,1]
	s_nop 0
	v_mov_b32_e32 v19, v11
	v_pk_add_f32 v[10:11], v[4:5], v[18:19] neg_lo:[0,1] neg_hi:[0,1]
	s_nop 0
	v_mov_b64_e32 v[4:5], v[10:11]
.LBB178_22:                             ;   in Loop: Header=BB178_23 Depth=1
	s_or_b64 exec, exec, s[8:9]
	s_add_u32 s6, s6, 1
	s_addc_u32 s7, s7, 0
	s_cmp_eq_u64 s[2:3], s[6:7]
	v_lshl_add_u64 v[6:7], v[6:7], 0, s[4:5]
	s_cbranch_scc1 .LBB178_38
.LBB178_23:                             ; =>This Inner Loop Header: Depth=1
	v_cmp_eq_u64_e32 vcc, s[6:7], v[2:3]
	v_mov_b64_e32 v[4:5], v[10:11]
	s_barrier
	s_and_saveexec_b64 s[8:9], vcc
	s_cbranch_execz .LBB178_33
; %bb.24:                               ;   in Loop: Header=BB178_23 Depth=1
	flat_load_dwordx2 v[4:5], v[8:9]
	s_mov_b64 s[10:11], -1
	s_and_b64 vcc, exec, s[12:13]
                                        ; implicit-def: $vgpr12_vgpr13
	s_cbranch_vccz .LBB178_30
; %bb.25:                               ;   in Loop: Header=BB178_23 Depth=1
	s_waitcnt vmcnt(0) lgkmcnt(0)
	v_cmp_ngt_f32_e64 s[10:11], |v4|, |v5|
                                        ; implicit-def: $vgpr12_vgpr13
	s_and_saveexec_b64 s[18:19], s[10:11]
	s_xor_b64 s[10:11], exec, s[18:19]
	s_cbranch_execz .LBB178_27
; %bb.26:                               ;   in Loop: Header=BB178_23 Depth=1
	v_div_scale_f32 v12, s[18:19], v5, v5, v4
	v_rcp_f32_e32 v13, v12
	v_div_scale_f32 v15, vcc, v4, v5, v4
	v_fma_f32 v16, -v12, v13, 1.0
	v_fmac_f32_e32 v13, v16, v13
	v_mul_f32_e32 v16, v15, v13
	v_fma_f32 v17, -v12, v16, v15
	v_fmac_f32_e32 v16, v17, v13
	v_fma_f32 v12, -v12, v16, v15
	v_div_fmas_f32 v12, v12, v13, v16
	v_div_fixup_f32 v12, v12, v5, v4
	v_fma_f32 v13, v4, v12, v5
	v_div_scale_f32 v15, s[18:19], v13, v13, 1.0
	v_rcp_f32_e32 v16, v15
	s_nop 0
	v_fma_f32 v17, -v15, v16, 1.0
	v_fmac_f32_e32 v16, v17, v16
	v_div_scale_f32 v17, vcc, 1.0, v13, 1.0
	v_mul_f32_e32 v18, v17, v16
	v_fma_f32 v19, -v15, v18, v17
	v_fmac_f32_e32 v18, v19, v16
	v_fma_f32 v15, -v15, v18, v17
	v_div_fmas_f32 v15, v15, v16, v18
	v_div_fixup_f32 v13, v15, v13, 1.0
	v_mul_f32_e32 v12, v12, v13
	v_xor_b32_e32 v13, 0x80000000, v13
.LBB178_27:                             ;   in Loop: Header=BB178_23 Depth=1
	s_andn2_saveexec_b64 s[10:11], s[10:11]
	s_cbranch_execz .LBB178_29
; %bb.28:                               ;   in Loop: Header=BB178_23 Depth=1
	v_div_scale_f32 v12, s[18:19], v4, v4, v5
	v_rcp_f32_e32 v13, v12
	v_div_scale_f32 v15, vcc, v5, v4, v5
	v_fma_f32 v16, -v12, v13, 1.0
	v_fmac_f32_e32 v13, v16, v13
	v_mul_f32_e32 v16, v15, v13
	v_fma_f32 v17, -v12, v16, v15
	v_fmac_f32_e32 v16, v17, v13
	v_fma_f32 v12, -v12, v16, v15
	v_div_fmas_f32 v12, v12, v13, v16
	v_div_fixup_f32 v13, v12, v4, v5
	v_fma_f32 v12, v5, v13, v4
	v_div_scale_f32 v15, s[18:19], v12, v12, 1.0
	v_rcp_f32_e32 v16, v15
	s_nop 0
	v_fma_f32 v17, -v15, v16, 1.0
	v_fmac_f32_e32 v16, v17, v16
	v_div_scale_f32 v17, vcc, 1.0, v12, 1.0
	v_mul_f32_e32 v18, v17, v16
	v_fma_f32 v19, -v15, v18, v17
	v_fmac_f32_e32 v18, v19, v16
	v_fma_f32 v15, -v15, v18, v17
	v_div_fmas_f32 v15, v15, v16, v18
	v_div_fixup_f32 v12, v15, v12, 1.0
	v_mul_f32_e64 v13, v13, -v12
.LBB178_29:                             ;   in Loop: Header=BB178_23 Depth=1
	s_or_b64 exec, exec, s[10:11]
	s_mov_b64 s[10:11], 0
.LBB178_30:                             ;   in Loop: Header=BB178_23 Depth=1
	s_andn2_b64 vcc, exec, s[10:11]
	s_cbranch_vccnz .LBB178_32
; %bb.31:                               ;   in Loop: Header=BB178_23 Depth=1
	s_waitcnt vmcnt(0) lgkmcnt(0)
	v_mov_b64_e32 v[12:13], v[4:5]
.LBB178_32:                             ;   in Loop: Header=BB178_23 Depth=1
	v_pk_mul_f32 v[16:17], v[10:11], v[12:13] op_sel:[1,1] op_sel_hi:[0,1]
	s_waitcnt vmcnt(0) lgkmcnt(0)
	v_pk_fma_f32 v[4:5], v[10:11], v[12:13], v[16:17] op_sel_hi:[1,0,1] neg_lo:[0,0,1] neg_hi:[0,0,1]
	v_pk_fma_f32 v[10:11], v[10:11], v[12:13], v[16:17] op_sel_hi:[1,0,1]
	s_nop 0
	v_mov_b32_e32 v5, v11
	v_mov_b32_e32 v10, v4
	ds_write_b64 v14, v[4:5]
.LBB178_33:                             ;   in Loop: Header=BB178_23 Depth=1
	s_or_b64 exec, exec, s[8:9]
	v_cmp_lt_u64_e32 vcc, s[6:7], v[2:3]
	s_waitcnt lgkmcnt(0)
	s_barrier
	s_and_saveexec_b64 s[8:9], vcc
	s_cbranch_execz .LBB178_22
; %bb.34:                               ;   in Loop: Header=BB178_23 Depth=1
	s_mov_b64 s[10:11], -1
	s_and_b64 vcc, exec, s[0:1]
                                        ; implicit-def: $vgpr10
                                        ; implicit-def: $vgpr12
	s_cbranch_vccz .LBB178_36
; %bb.35:                               ;   in Loop: Header=BB178_23 Depth=1
	flat_load_dwordx2 v[10:11], v[6:7]
	s_mov_b64 s[10:11], 0
	s_waitcnt vmcnt(0) lgkmcnt(0)
	v_mov_b32_e32 v12, v11
.LBB178_36:                             ;   in Loop: Header=BB178_23 Depth=1
	s_andn2_b64 vcc, exec, s[10:11]
	s_cbranch_vccnz .LBB178_21
; %bb.37:                               ;   in Loop: Header=BB178_23 Depth=1
	flat_load_dwordx2 v[10:11], v[6:7]
	s_waitcnt vmcnt(0) lgkmcnt(0)
	v_xor_b32_e32 v12, 0x80000000, v11
	s_branch .LBB178_21
.LBB178_38:
	v_cmp_eq_u64_e32 vcc, s[2:3], v[2:3]
	s_and_saveexec_b64 s[0:1], vcc
	s_cbranch_execz .LBB178_48
; %bb.39:
	v_mad_u64_u32 v[6:7], s[2:3], v2, s14, v[2:3]
	v_mov_b32_e32 v8, v7
	v_mad_u64_u32 v[2:3], s[2:3], v2, s15, v[8:9]
	v_mov_b32_e32 v7, v2
	v_lshl_add_u64 v[2:3], v[6:7], 3, s[16:17]
	flat_load_dwordx2 v[2:3], v[2:3]
	s_and_b64 vcc, exec, s[12:13]
	s_cbranch_vccz .LBB178_45
; %bb.40:
	s_waitcnt vmcnt(0) lgkmcnt(0)
	v_cmp_ngt_f32_e64 s[2:3], |v2|, |v3|
                                        ; implicit-def: $vgpr6_vgpr7
	s_and_saveexec_b64 s[4:5], s[2:3]
	s_xor_b64 s[2:3], exec, s[4:5]
	s_cbranch_execz .LBB178_42
; %bb.41:
	v_div_scale_f32 v6, s[4:5], v3, v3, v2
	v_rcp_f32_e32 v7, v6
	v_div_scale_f32 v8, vcc, v2, v3, v2
	v_fma_f32 v9, -v6, v7, 1.0
	v_fmac_f32_e32 v7, v9, v7
	v_mul_f32_e32 v9, v8, v7
	v_fma_f32 v10, -v6, v9, v8
	v_fmac_f32_e32 v9, v10, v7
	v_fma_f32 v6, -v6, v9, v8
	v_div_fmas_f32 v6, v6, v7, v9
	v_div_fixup_f32 v6, v6, v3, v2
	v_fma_f32 v7, v2, v6, v3
	v_div_scale_f32 v8, s[4:5], v7, v7, 1.0
	v_rcp_f32_e32 v9, v8
	s_nop 0
	v_fma_f32 v10, -v8, v9, 1.0
	v_fmac_f32_e32 v9, v10, v9
	v_div_scale_f32 v10, vcc, 1.0, v7, 1.0
	v_mul_f32_e32 v11, v10, v9
	v_fma_f32 v12, -v8, v11, v10
	v_fmac_f32_e32 v11, v12, v9
	v_fma_f32 v8, -v8, v11, v10
	v_div_fmas_f32 v8, v8, v9, v11
	v_div_fixup_f32 v7, v8, v7, 1.0
	v_mul_f32_e32 v6, v6, v7
	v_xor_b32_e32 v7, 0x80000000, v7
.LBB178_42:
	s_andn2_saveexec_b64 s[2:3], s[2:3]
	s_cbranch_execz .LBB178_44
; %bb.43:
	v_div_scale_f32 v6, s[4:5], v2, v2, v3
	v_rcp_f32_e32 v7, v6
	v_div_scale_f32 v8, vcc, v3, v2, v3
	v_fma_f32 v9, -v6, v7, 1.0
	v_fmac_f32_e32 v7, v9, v7
	v_mul_f32_e32 v9, v8, v7
	v_fma_f32 v10, -v6, v9, v8
	v_fmac_f32_e32 v9, v10, v7
	v_fma_f32 v6, -v6, v9, v8
	v_div_fmas_f32 v6, v6, v7, v9
	v_div_fixup_f32 v7, v6, v2, v3
	v_fma_f32 v6, v3, v7, v2
	v_div_scale_f32 v8, s[4:5], v6, v6, 1.0
	v_rcp_f32_e32 v9, v8
	s_nop 0
	v_fma_f32 v10, -v8, v9, 1.0
	v_fmac_f32_e32 v9, v10, v9
	v_div_scale_f32 v10, vcc, 1.0, v6, 1.0
	v_mul_f32_e32 v11, v10, v9
	v_fma_f32 v12, -v8, v11, v10
	v_fmac_f32_e32 v11, v12, v9
	v_fma_f32 v8, -v8, v11, v10
	v_div_fmas_f32 v8, v8, v9, v11
	v_div_fixup_f32 v6, v8, v6, 1.0
	v_mul_f32_e64 v7, v7, -v6
.LBB178_44:
	s_or_b64 exec, exec, s[2:3]
	s_cbranch_execz .LBB178_46
	s_branch .LBB178_47
.LBB178_45:
                                        ; implicit-def: $vgpr6_vgpr7
.LBB178_46:
	s_waitcnt vmcnt(0) lgkmcnt(0)
	v_mov_b64_e32 v[6:7], v[2:3]
.LBB178_47:
	s_waitcnt vmcnt(0) lgkmcnt(0)
	v_pk_mul_f32 v[2:3], v[4:5], v[6:7] op_sel:[1,1] op_sel_hi:[1,0]
	s_nop 0
	v_pk_fma_f32 v[8:9], v[4:5], v[6:7], v[2:3] neg_lo:[0,0,1] neg_hi:[0,0,1]
	v_pk_fma_f32 v[2:3], v[4:5], v[6:7], v[2:3] op_sel_hi:[0,1,1]
	v_mov_b32_e32 v9, v3
	v_mov_b64_e32 v[4:5], v[8:9]
.LBB178_48:
	s_or_b64 exec, exec, s[0:1]
	flat_store_dwordx2 v[0:1], v[4:5]
.LBB178_49:
	s_endpgm
	.section	.rodata,"a",@progbits
	.p2align	6, 0x0
	.amdhsa_kernel _ZL39rocblas_trsm_block_forward_substitutionI19rocblas_complex_numIfES1_PKPKS1_PKPS1_Lb0ELb0ELb0EEv18rocblas_operation_llT0_T1_lllT2_lllib
		.amdhsa_group_segment_fixed_size 0
		.amdhsa_private_segment_fixed_size 0
		.amdhsa_kernarg_size 360
		.amdhsa_user_sgpr_count 2
		.amdhsa_user_sgpr_dispatch_ptr 0
		.amdhsa_user_sgpr_queue_ptr 0
		.amdhsa_user_sgpr_kernarg_segment_ptr 1
		.amdhsa_user_sgpr_dispatch_id 0
		.amdhsa_user_sgpr_kernarg_preload_length 0
		.amdhsa_user_sgpr_kernarg_preload_offset 0
		.amdhsa_user_sgpr_private_segment_size 0
		.amdhsa_uses_dynamic_stack 0
		.amdhsa_enable_private_segment 0
		.amdhsa_system_sgpr_workgroup_id_x 1
		.amdhsa_system_sgpr_workgroup_id_y 1
		.amdhsa_system_sgpr_workgroup_id_z 1
		.amdhsa_system_sgpr_workgroup_info 0
		.amdhsa_system_vgpr_workitem_id 1
		.amdhsa_next_free_vgpr 20
		.amdhsa_next_free_sgpr 32
		.amdhsa_accum_offset 20
		.amdhsa_reserve_vcc 1
		.amdhsa_float_round_mode_32 0
		.amdhsa_float_round_mode_16_64 0
		.amdhsa_float_denorm_mode_32 3
		.amdhsa_float_denorm_mode_16_64 3
		.amdhsa_dx10_clamp 1
		.amdhsa_ieee_mode 1
		.amdhsa_fp16_overflow 0
		.amdhsa_tg_split 0
		.amdhsa_exception_fp_ieee_invalid_op 0
		.amdhsa_exception_fp_denorm_src 0
		.amdhsa_exception_fp_ieee_div_zero 0
		.amdhsa_exception_fp_ieee_overflow 0
		.amdhsa_exception_fp_ieee_underflow 0
		.amdhsa_exception_fp_ieee_inexact 0
		.amdhsa_exception_int_div_zero 0
	.end_amdhsa_kernel
	.section	.text._ZL39rocblas_trsm_block_forward_substitutionI19rocblas_complex_numIfES1_PKPKS1_PKPS1_Lb0ELb0ELb0EEv18rocblas_operation_llT0_T1_lllT2_lllib,"axG",@progbits,_ZL39rocblas_trsm_block_forward_substitutionI19rocblas_complex_numIfES1_PKPKS1_PKPS1_Lb0ELb0ELb0EEv18rocblas_operation_llT0_T1_lllT2_lllib,comdat
.Lfunc_end178:
	.size	_ZL39rocblas_trsm_block_forward_substitutionI19rocblas_complex_numIfES1_PKPKS1_PKPS1_Lb0ELb0ELb0EEv18rocblas_operation_llT0_T1_lllT2_lllib, .Lfunc_end178-_ZL39rocblas_trsm_block_forward_substitutionI19rocblas_complex_numIfES1_PKPKS1_PKPS1_Lb0ELb0ELb0EEv18rocblas_operation_llT0_T1_lllT2_lllib
                                        ; -- End function
	.set _ZL39rocblas_trsm_block_forward_substitutionI19rocblas_complex_numIfES1_PKPKS1_PKPS1_Lb0ELb0ELb0EEv18rocblas_operation_llT0_T1_lllT2_lllib.num_vgpr, 20
	.set _ZL39rocblas_trsm_block_forward_substitutionI19rocblas_complex_numIfES1_PKPKS1_PKPS1_Lb0ELb0ELb0EEv18rocblas_operation_llT0_T1_lllT2_lllib.num_agpr, 0
	.set _ZL39rocblas_trsm_block_forward_substitutionI19rocblas_complex_numIfES1_PKPKS1_PKPS1_Lb0ELb0ELb0EEv18rocblas_operation_llT0_T1_lllT2_lllib.numbered_sgpr, 32
	.set _ZL39rocblas_trsm_block_forward_substitutionI19rocblas_complex_numIfES1_PKPKS1_PKPS1_Lb0ELb0ELb0EEv18rocblas_operation_llT0_T1_lllT2_lllib.num_named_barrier, 0
	.set _ZL39rocblas_trsm_block_forward_substitutionI19rocblas_complex_numIfES1_PKPKS1_PKPS1_Lb0ELb0ELb0EEv18rocblas_operation_llT0_T1_lllT2_lllib.private_seg_size, 0
	.set _ZL39rocblas_trsm_block_forward_substitutionI19rocblas_complex_numIfES1_PKPKS1_PKPS1_Lb0ELb0ELb0EEv18rocblas_operation_llT0_T1_lllT2_lllib.uses_vcc, 1
	.set _ZL39rocblas_trsm_block_forward_substitutionI19rocblas_complex_numIfES1_PKPKS1_PKPS1_Lb0ELb0ELb0EEv18rocblas_operation_llT0_T1_lllT2_lllib.uses_flat_scratch, 0
	.set _ZL39rocblas_trsm_block_forward_substitutionI19rocblas_complex_numIfES1_PKPKS1_PKPS1_Lb0ELb0ELb0EEv18rocblas_operation_llT0_T1_lllT2_lllib.has_dyn_sized_stack, 0
	.set _ZL39rocblas_trsm_block_forward_substitutionI19rocblas_complex_numIfES1_PKPKS1_PKPS1_Lb0ELb0ELb0EEv18rocblas_operation_llT0_T1_lllT2_lllib.has_recursion, 0
	.set _ZL39rocblas_trsm_block_forward_substitutionI19rocblas_complex_numIfES1_PKPKS1_PKPS1_Lb0ELb0ELb0EEv18rocblas_operation_llT0_T1_lllT2_lllib.has_indirect_call, 0
	.section	.AMDGPU.csdata,"",@progbits
; Kernel info:
; codeLenInByte = 2332
; TotalNumSgprs: 38
; NumVgprs: 20
; NumAgprs: 0
; TotalNumVgprs: 20
; ScratchSize: 0
; MemoryBound: 0
; FloatMode: 240
; IeeeMode: 1
; LDSByteSize: 0 bytes/workgroup (compile time only)
; SGPRBlocks: 4
; VGPRBlocks: 2
; NumSGPRsForWavesPerEU: 38
; NumVGPRsForWavesPerEU: 20
; AccumOffset: 20
; Occupancy: 8
; WaveLimiterHint : 1
; COMPUTE_PGM_RSRC2:SCRATCH_EN: 0
; COMPUTE_PGM_RSRC2:USER_SGPR: 2
; COMPUTE_PGM_RSRC2:TRAP_HANDLER: 0
; COMPUTE_PGM_RSRC2:TGID_X_EN: 1
; COMPUTE_PGM_RSRC2:TGID_Y_EN: 1
; COMPUTE_PGM_RSRC2:TGID_Z_EN: 1
; COMPUTE_PGM_RSRC2:TIDIG_COMP_CNT: 1
; COMPUTE_PGM_RSRC3_GFX90A:ACCUM_OFFSET: 4
; COMPUTE_PGM_RSRC3_GFX90A:TG_SPLIT: 0
	.section	.text._ZL40rocblas_trsm_block_backward_substitutionI19rocblas_complex_numIfES1_PKPKS1_PKPS1_Lb0ELb0ELb0EEv18rocblas_operation_llT0_T1_lllT2_lllib,"axG",@progbits,_ZL40rocblas_trsm_block_backward_substitutionI19rocblas_complex_numIfES1_PKPKS1_PKPS1_Lb0ELb0ELb0EEv18rocblas_operation_llT0_T1_lllT2_lllib,comdat
	.globl	_ZL40rocblas_trsm_block_backward_substitutionI19rocblas_complex_numIfES1_PKPKS1_PKPS1_Lb0ELb0ELb0EEv18rocblas_operation_llT0_T1_lllT2_lllib ; -- Begin function _ZL40rocblas_trsm_block_backward_substitutionI19rocblas_complex_numIfES1_PKPKS1_PKPS1_Lb0ELb0ELb0EEv18rocblas_operation_llT0_T1_lllT2_lllib
	.p2align	8
	.type	_ZL40rocblas_trsm_block_backward_substitutionI19rocblas_complex_numIfES1_PKPKS1_PKPS1_Lb0ELb0ELb0EEv18rocblas_operation_llT0_T1_lllT2_lllib,@function
_ZL40rocblas_trsm_block_backward_substitutionI19rocblas_complex_numIfES1_PKPKS1_PKPS1_Lb0ELb0ELb0EEv18rocblas_operation_llT0_T1_lllT2_lllib: ; @_ZL40rocblas_trsm_block_backward_substitutionI19rocblas_complex_numIfES1_PKPKS1_PKPS1_Lb0ELb0ELb0EEv18rocblas_operation_llT0_T1_lllT2_lllib
; %bb.0:
	s_load_dword s2, s[0:1], 0x64
	s_load_dwordx4 s[8:11], s[0:1], 0x8
	s_load_dwordx4 s[20:23], s[0:1], 0x20
	s_load_dword s24, s[0:1], 0x74
	s_mov_b32 s5, 0
	s_waitcnt lgkmcnt(0)
	s_bitcmp1_b32 s2, 0
	s_cselect_b64 s[6:7], -1, 0
	s_xor_b64 s[16:17], s[6:7], -1
	s_lshl_b64 s[4:5], s[4:5], 3
	s_add_u32 s6, s20, s4
	s_addc_u32 s7, s21, s5
	s_load_dwordx2 s[20:21], s[6:7], 0x0
	s_load_dwordx2 s[28:29], s[0:1], 0x30
	s_load_dwordx4 s[12:15], s[0:1], 0x40
	s_load_dwordx2 s[18:19], s[0:1], 0x50
	s_lshl_b64 s[6:7], s[22:23], 3
	s_waitcnt lgkmcnt(0)
	s_add_u32 s6, s20, s6
	s_addc_u32 s7, s21, s7
	s_add_u32 s4, s12, s4
	s_addc_u32 s5, s13, s5
	s_load_dwordx2 s[20:21], s[4:5], 0x0
	s_add_u32 s22, s0, 0x68
	v_and_b32_e32 v2, 0x3ff, v0
	v_bfe_u32 v12, v0, 10, 10
	s_addc_u32 s23, s1, 0
	s_lshr_b32 s2, s24, 16
	s_mov_b64 s[4:5], 1
	s_and_b64 vcc, exec, s[16:17]
	s_cbranch_vccnz .LBB179_15
; %bb.1:
	s_lshl_b32 s4, s2, 3
	s_add_i32 s24, s4, 0
	v_cmp_lt_i64_e64 s[4:5], s[8:9], 1
	s_mov_b64 s[12:13], 1
	s_and_b64 vcc, exec, s[4:5]
	s_cbranch_vccnz .LBB179_16
; %bb.2:
	v_mad_u64_u32 v[0:1], s[30:31], s28, v2, 0
	v_mov_b32_e32 v6, v1
	v_mad_u64_u32 v[6:7], s[28:29], s29, v2, v[6:7]
	v_mov_b32_e32 v3, 0
	v_mov_b32_e32 v1, v6
	v_lshlrev_b32_e32 v4, 3, v2
	v_cmp_le_u64_e64 s[26:27], s[8:9], v[2:3]
	v_lshl_add_u64 v[0:1], v[0:1], 3, s[6:7]
	v_mov_b32_e32 v5, v3
	v_add_u32_e32 v13, s24, v4
	v_cmp_gt_u64_e64 s[4:5], s[8:9], v[2:3]
	v_lshl_add_u64 v[4:5], v[0:1], 0, v[4:5]
	s_xor_b64 s[28:29], s[26:27], -1
	s_mov_b32 s25, s2
	v_mov_b32_e32 v6, v12
	s_branch .LBB179_5
.LBB179_3:                              ;   in Loop: Header=BB179_5 Depth=1
	s_or_b64 exec, exec, s[30:31]
	s_load_dword s30, s[22:23], 0xc
	s_waitcnt lgkmcnt(0)
	s_and_b32 s30, s30, 0xffff
	v_mul_u32_u24_e32 v3, s30, v2
	v_lshl_add_u32 v3, v3, 3, v13
	ds_write_b64 v3, v[10:11]
.LBB179_4:                              ;   in Loop: Header=BB179_5 Depth=1
	s_or_b64 exec, exec, s[6:7]
	s_ashr_i32 s6, s25, 31
	v_mov_b32_e32 v8, s25
	v_mov_b32_e32 v9, s6
	v_cmp_le_i64_e32 vcc, s[8:9], v[8:9]
	v_add_u32_e32 v6, s2, v6
	s_add_i32 s25, s25, s2
	s_cbranch_vccnz .LBB179_16
.LBB179_5:                              ; =>This Inner Loop Header: Depth=1
	s_mov_b64 s[34:35], s[26:27]
	s_and_saveexec_b64 s[30:31], s[4:5]
	s_cbranch_execz .LBB179_9
; %bb.6:                                ;   in Loop: Header=BB179_5 Depth=1
	v_ashrrev_i32_e32 v7, 31, v6
	v_cmp_gt_i64_e32 vcc, s[8:9], v[6:7]
	v_cmp_lt_i32_e64 s[6:7], v2, v6
	s_and_b64 s[36:37], s[6:7], vcc
	s_mov_b64 s[34:35], -1
	s_and_saveexec_b64 s[6:7], s[36:37]
	s_cbranch_execz .LBB179_8
; %bb.7:                                ;   in Loop: Header=BB179_5 Depth=1
	v_lshl_add_u64 v[8:9], v[6:7], 3, v[0:1]
	flat_load_dwordx2 v[8:9], v[8:9]
	s_load_dword s33, s[22:23], 0xc
	s_xor_b64 s[34:35], exec, -1
	s_waitcnt lgkmcnt(0)
	s_and_b32 s33, s33, 0xffff
	v_mul_lo_u32 v3, v6, s33
	v_lshl_add_u32 v3, v3, 3, v13
	s_waitcnt vmcnt(0)
	ds_write_b64 v3, v[8:9]
.LBB179_8:                              ;   in Loop: Header=BB179_5 Depth=1
	s_or_b64 exec, exec, s[6:7]
	s_andn2_b64 s[6:7], s[26:27], exec
	s_and_b64 s[34:35], s[34:35], exec
	s_or_b64 s[34:35], s[6:7], s[34:35]
.LBB179_9:                              ;   in Loop: Header=BB179_5 Depth=1
	s_or_b64 exec, exec, s[30:31]
	s_and_saveexec_b64 s[6:7], s[34:35]
	s_cbranch_execz .LBB179_4
; %bb.10:                               ;   in Loop: Header=BB179_5 Depth=1
	v_cmp_eq_u32_e32 vcc, v2, v6
	s_and_b64 s[30:31], s[28:29], vcc
	s_and_b64 exec, exec, s[30:31]
	s_cbranch_execz .LBB179_4
; %bb.11:                               ;   in Loop: Header=BB179_5 Depth=1
	flat_load_dwordx2 v[8:9], v[4:5]
                                        ; implicit-def: $vgpr10_vgpr11
	s_waitcnt vmcnt(0) lgkmcnt(0)
	v_cmp_ngt_f32_e64 s[30:31], |v8|, |v9|
	s_and_saveexec_b64 s[34:35], s[30:31]
	s_xor_b64 s[30:31], exec, s[34:35]
	s_cbranch_execz .LBB179_13
; %bb.12:                               ;   in Loop: Header=BB179_5 Depth=1
	v_div_scale_f32 v3, s[34:35], v9, v9, v8
	v_rcp_f32_e32 v7, v3
	v_div_scale_f32 v10, vcc, v8, v9, v8
	v_fma_f32 v11, -v3, v7, 1.0
	v_fmac_f32_e32 v7, v11, v7
	v_mul_f32_e32 v11, v10, v7
	v_fma_f32 v14, -v3, v11, v10
	v_fmac_f32_e32 v11, v14, v7
	v_fma_f32 v3, -v3, v11, v10
	v_div_fmas_f32 v3, v3, v7, v11
	v_div_fixup_f32 v3, v3, v9, v8
	v_fmac_f32_e32 v9, v8, v3
	v_div_scale_f32 v7, s[34:35], v9, v9, 1.0
	v_rcp_f32_e32 v8, v7
	s_nop 0
	v_fma_f32 v10, -v7, v8, 1.0
	v_fmac_f32_e32 v8, v10, v8
	v_div_scale_f32 v10, vcc, 1.0, v9, 1.0
	v_mul_f32_e32 v11, v10, v8
	v_fma_f32 v14, -v7, v11, v10
	v_fmac_f32_e32 v11, v14, v8
	v_fma_f32 v7, -v7, v11, v10
	v_div_fmas_f32 v7, v7, v8, v11
	v_div_fixup_f32 v7, v7, v9, 1.0
	v_mul_f32_e32 v10, v3, v7
	v_xor_b32_e32 v11, 0x80000000, v7
                                        ; implicit-def: $vgpr8_vgpr9
.LBB179_13:                             ;   in Loop: Header=BB179_5 Depth=1
	s_andn2_saveexec_b64 s[30:31], s[30:31]
	s_cbranch_execz .LBB179_3
; %bb.14:                               ;   in Loop: Header=BB179_5 Depth=1
	v_div_scale_f32 v3, s[34:35], v8, v8, v9
	v_rcp_f32_e32 v7, v3
	v_div_scale_f32 v10, vcc, v9, v8, v9
	v_fma_f32 v11, -v3, v7, 1.0
	v_fmac_f32_e32 v7, v11, v7
	v_mul_f32_e32 v11, v10, v7
	v_fma_f32 v14, -v3, v11, v10
	v_fmac_f32_e32 v11, v14, v7
	v_fma_f32 v3, -v3, v11, v10
	v_div_fmas_f32 v3, v3, v7, v11
	v_div_fixup_f32 v3, v3, v8, v9
	v_fmac_f32_e32 v8, v9, v3
	v_div_scale_f32 v7, s[34:35], v8, v8, 1.0
	v_rcp_f32_e32 v9, v7
	s_nop 0
	v_fma_f32 v10, -v7, v9, 1.0
	v_fmac_f32_e32 v9, v10, v9
	v_div_scale_f32 v10, vcc, 1.0, v8, 1.0
	v_mul_f32_e32 v11, v10, v9
	v_fma_f32 v14, -v7, v11, v10
	v_fmac_f32_e32 v11, v14, v9
	v_fma_f32 v7, -v7, v11, v10
	v_div_fmas_f32 v7, v7, v9, v11
	v_div_fixup_f32 v10, v7, v8, 1.0
	v_mul_f32_e64 v11, v3, -v10
	s_branch .LBB179_3
.LBB179_15:
	s_mov_b64 s[12:13], s[28:29]
	s_branch .LBB179_17
.LBB179_16:
	s_load_dword s4, s[22:23], 0xc
	s_mov_b64 s[6:7], src_shared_base
	s_mov_b32 s25, s7
	s_mov_b32 s5, 0
	s_mov_b64 s[6:7], s[24:25]
	s_waitcnt lgkmcnt(0)
	s_and_b32 s4, s4, 0xffff
.LBB179_17:
	s_load_dwordx2 s[22:23], s[0:1], 0x18
	s_mul_i32 s3, s3, s2
	v_add_u32_e32 v0, s3, v12
	v_mov_b32_e32 v1, 0
	v_cmp_gt_i64_e32 vcc, s[10:11], v[0:1]
	s_and_saveexec_b64 s[2:3], vcc
	s_cbranch_execz .LBB179_51
; %bb.18:
	v_mov_b32_e32 v3, v1
	v_cmp_gt_i64_e32 vcc, s[8:9], v[2:3]
	s_and_b64 exec, exec, vcc
	s_cbranch_execz .LBB179_51
; %bb.19:
	v_mad_u64_u32 v[4:5], s[10:11], s18, v2, 0
	s_lshl_b64 s[2:3], s[14:15], 3
	v_mov_b32_e32 v6, v5
	s_waitcnt lgkmcnt(0)
	s_add_u32 s2, s20, s2
	v_mad_u64_u32 v[6:7], s[10:11], s19, v2, v[6:7]
	s_addc_u32 s3, s21, s3
	v_mov_b32_e32 v5, v6
	v_lshl_add_u64 v[4:5], v[4:5], 3, s[2:3]
	v_lshl_add_u64 v[0:1], v[0:1], 3, v[4:5]
	flat_load_dwordx2 v[4:5], v[0:1]
	v_cmp_gt_u64_e64 s[2:3], s[8:9], 1
	s_and_b64 vcc, exec, s[2:3]
	s_waitcnt vmcnt(0) lgkmcnt(0)
	v_pk_mul_f32 v[10:11], s[22:23], v[4:5] op_sel:[1,1] op_sel_hi:[0,1]
	v_pk_mul_f32 v[8:9], s[22:23], v[4:5]
	v_pk_fma_f32 v[6:7], s[22:23], v[4:5], v[10:11] op_sel_hi:[1,0,1]
	s_nop 0
	v_sub_f32_e32 v6, v8, v10
	s_cbranch_vccnz .LBB179_21
; %bb.20:
	v_mov_b64_e32 v[8:9], v[6:7]
	s_cbranch_execz .LBB179_22
	s_branch .LBB179_40
.LBB179_21:
                                        ; implicit-def: $vgpr8_vgpr9
.LBB179_22:
	s_load_dword s0, s[0:1], 0x0
	v_lshl_add_u32 v14, v12, 3, 0
	s_waitcnt lgkmcnt(0)
	s_cmpk_lg_i32 s0, 0x71
	s_cselect_b64 s[0:1], -1, 0
	s_add_u32 s2, s4, s12
	v_mad_u64_u32 v[4:5], s[2:3], s2, v2, 0
	s_addc_u32 s10, s5, s13
	v_mov_b32_e32 v8, v5
	v_mad_u64_u32 v[8:9], s[2:3], s10, v2, v[8:9]
	s_add_u32 s2, s8, -1
	s_addc_u32 s3, s9, -1
	s_mul_i32 s8, s4, s3
	s_mul_hi_u32 s9, s4, s2
	v_mov_b32_e32 v5, v8
	s_add_i32 s9, s9, s8
	s_mul_i32 s8, s4, s2
	v_mad_u64_u32 v[8:9], s[10:11], s12, v2, 0
	s_lshl_b64 s[8:9], s[8:9], 3
	v_mov_b32_e32 v10, v9
	v_mad_u64_u32 v[10:11], s[10:11], s13, v2, v[10:11]
	s_add_u32 s8, s6, s8
	v_mov_b32_e32 v9, v10
	s_addc_u32 s9, s7, s9
	v_lshl_add_u64 v[10:11], v[8:9], 3, s[8:9]
	s_lshl_b32 s8, s4, 3
	s_sub_u32 s8, 0, s8
	v_lshl_add_u64 v[4:5], v[4:5], 3, s[6:7]
	s_subb_u32 s9, 0, 0
	s_branch .LBB179_25
.LBB179_23:                             ;   in Loop: Header=BB179_25 Depth=1
	ds_read_b64 v[16:17], v14
	s_waitcnt lgkmcnt(0)
	v_pk_mul_f32 v[12:13], v[12:13], v[16:17] op_sel:[0,1] op_sel_hi:[0,0]
	v_pk_fma_f32 v[18:19], v[16:17], v[6:7], v[12:13] neg_lo:[0,0,1] neg_hi:[0,0,1]
	v_pk_fma_f32 v[6:7], v[16:17], v[6:7], v[12:13] op_sel_hi:[1,0,1]
	s_nop 0
	v_mov_b32_e32 v19, v7
	v_pk_add_f32 v[6:7], v[8:9], v[18:19] neg_lo:[0,1] neg_hi:[0,1]
	s_nop 0
	v_mov_b64_e32 v[8:9], v[6:7]
.LBB179_24:                             ;   in Loop: Header=BB179_25 Depth=1
	s_or_b64 exec, exec, s[10:11]
	s_add_u32 s10, s2, -1
	s_addc_u32 s11, s3, -1
	s_add_u32 s2, s2, 1
	s_addc_u32 s3, s3, 0
	v_cmp_lt_u64_e64 s[2:3], s[2:3], 3
	v_lshl_add_u64 v[10:11], v[10:11], 0, s[8:9]
	s_and_b64 vcc, exec, s[2:3]
	s_mov_b64 s[2:3], s[10:11]
	s_cbranch_vccnz .LBB179_40
.LBB179_25:                             ; =>This Inner Loop Header: Depth=1
	v_cmp_eq_u64_e32 vcc, s[2:3], v[2:3]
	v_mov_b64_e32 v[8:9], v[6:7]
	s_barrier
	s_and_saveexec_b64 s[10:11], vcc
	s_cbranch_execz .LBB179_35
; %bb.26:                               ;   in Loop: Header=BB179_25 Depth=1
	flat_load_dwordx2 v[8:9], v[4:5]
	s_mov_b64 s[14:15], -1
	s_and_b64 vcc, exec, s[16:17]
                                        ; implicit-def: $vgpr12_vgpr13
	s_cbranch_vccz .LBB179_32
; %bb.27:                               ;   in Loop: Header=BB179_25 Depth=1
	s_waitcnt vmcnt(0) lgkmcnt(0)
	v_cmp_ngt_f32_e64 s[14:15], |v8|, |v9|
                                        ; implicit-def: $vgpr12_vgpr13
	s_and_saveexec_b64 s[18:19], s[14:15]
	s_xor_b64 s[14:15], exec, s[18:19]
	s_cbranch_execz .LBB179_29
; %bb.28:                               ;   in Loop: Header=BB179_25 Depth=1
	v_div_scale_f32 v12, s[18:19], v9, v9, v8
	v_rcp_f32_e32 v13, v12
	v_div_scale_f32 v15, vcc, v8, v9, v8
	v_fma_f32 v16, -v12, v13, 1.0
	v_fmac_f32_e32 v13, v16, v13
	v_mul_f32_e32 v16, v15, v13
	v_fma_f32 v17, -v12, v16, v15
	v_fmac_f32_e32 v16, v17, v13
	v_fma_f32 v12, -v12, v16, v15
	v_div_fmas_f32 v12, v12, v13, v16
	v_div_fixup_f32 v12, v12, v9, v8
	v_fma_f32 v13, v8, v12, v9
	v_div_scale_f32 v15, s[18:19], v13, v13, 1.0
	v_rcp_f32_e32 v16, v15
	s_nop 0
	v_fma_f32 v17, -v15, v16, 1.0
	v_fmac_f32_e32 v16, v17, v16
	v_div_scale_f32 v17, vcc, 1.0, v13, 1.0
	v_mul_f32_e32 v18, v17, v16
	v_fma_f32 v19, -v15, v18, v17
	v_fmac_f32_e32 v18, v19, v16
	v_fma_f32 v15, -v15, v18, v17
	v_div_fmas_f32 v15, v15, v16, v18
	v_div_fixup_f32 v13, v15, v13, 1.0
	v_mul_f32_e32 v12, v12, v13
	v_xor_b32_e32 v13, 0x80000000, v13
.LBB179_29:                             ;   in Loop: Header=BB179_25 Depth=1
	s_andn2_saveexec_b64 s[14:15], s[14:15]
	s_cbranch_execz .LBB179_31
; %bb.30:                               ;   in Loop: Header=BB179_25 Depth=1
	v_div_scale_f32 v12, s[18:19], v8, v8, v9
	v_rcp_f32_e32 v13, v12
	v_div_scale_f32 v15, vcc, v9, v8, v9
	v_fma_f32 v16, -v12, v13, 1.0
	v_fmac_f32_e32 v13, v16, v13
	v_mul_f32_e32 v16, v15, v13
	v_fma_f32 v17, -v12, v16, v15
	v_fmac_f32_e32 v16, v17, v13
	v_fma_f32 v12, -v12, v16, v15
	v_div_fmas_f32 v12, v12, v13, v16
	v_div_fixup_f32 v13, v12, v8, v9
	v_fma_f32 v12, v9, v13, v8
	v_div_scale_f32 v15, s[18:19], v12, v12, 1.0
	v_rcp_f32_e32 v16, v15
	s_nop 0
	v_fma_f32 v17, -v15, v16, 1.0
	v_fmac_f32_e32 v16, v17, v16
	v_div_scale_f32 v17, vcc, 1.0, v12, 1.0
	v_mul_f32_e32 v18, v17, v16
	v_fma_f32 v19, -v15, v18, v17
	v_fmac_f32_e32 v18, v19, v16
	v_fma_f32 v15, -v15, v18, v17
	v_div_fmas_f32 v15, v15, v16, v18
	v_div_fixup_f32 v12, v15, v12, 1.0
	v_mul_f32_e64 v13, v13, -v12
.LBB179_31:                             ;   in Loop: Header=BB179_25 Depth=1
	s_or_b64 exec, exec, s[14:15]
	s_mov_b64 s[14:15], 0
.LBB179_32:                             ;   in Loop: Header=BB179_25 Depth=1
	s_andn2_b64 vcc, exec, s[14:15]
	s_cbranch_vccnz .LBB179_34
; %bb.33:                               ;   in Loop: Header=BB179_25 Depth=1
	s_waitcnt vmcnt(0) lgkmcnt(0)
	v_mov_b64_e32 v[12:13], v[8:9]
.LBB179_34:                             ;   in Loop: Header=BB179_25 Depth=1
	v_pk_mul_f32 v[16:17], v[6:7], v[12:13] op_sel:[1,1] op_sel_hi:[0,1]
	s_waitcnt vmcnt(0) lgkmcnt(0)
	v_pk_fma_f32 v[8:9], v[6:7], v[12:13], v[16:17] op_sel_hi:[1,0,1] neg_lo:[0,0,1] neg_hi:[0,0,1]
	v_pk_fma_f32 v[6:7], v[6:7], v[12:13], v[16:17] op_sel_hi:[1,0,1]
	s_nop 0
	v_mov_b32_e32 v9, v7
	v_mov_b32_e32 v6, v8
	ds_write_b64 v14, v[8:9]
.LBB179_35:                             ;   in Loop: Header=BB179_25 Depth=1
	s_or_b64 exec, exec, s[10:11]
	v_cmp_gt_i64_e32 vcc, s[2:3], v[2:3]
	s_waitcnt lgkmcnt(0)
	s_barrier
	s_and_saveexec_b64 s[10:11], vcc
	s_cbranch_execz .LBB179_24
; %bb.36:                               ;   in Loop: Header=BB179_25 Depth=1
	s_mov_b64 s[14:15], -1
	s_and_b64 vcc, exec, s[0:1]
                                        ; implicit-def: $vgpr6
                                        ; implicit-def: $vgpr12
	s_cbranch_vccz .LBB179_38
; %bb.37:                               ;   in Loop: Header=BB179_25 Depth=1
	flat_load_dwordx2 v[6:7], v[10:11]
	s_mov_b64 s[14:15], 0
	s_waitcnt vmcnt(0) lgkmcnt(0)
	v_mov_b32_e32 v12, v7
.LBB179_38:                             ;   in Loop: Header=BB179_25 Depth=1
	s_andn2_b64 vcc, exec, s[14:15]
	s_cbranch_vccnz .LBB179_23
; %bb.39:                               ;   in Loop: Header=BB179_25 Depth=1
	flat_load_dwordx2 v[6:7], v[10:11]
	s_waitcnt vmcnt(0) lgkmcnt(0)
	v_xor_b32_e32 v12, 0x80000000, v7
	s_branch .LBB179_23
.LBB179_40:
	v_cmp_eq_u32_e32 vcc, 0, v2
	s_and_saveexec_b64 s[0:1], vcc
	s_cbranch_execz .LBB179_50
; %bb.41:
	s_add_u32 s2, s4, s12
	v_mad_u64_u32 v[4:5], s[2:3], s2, v2, 0
	s_addc_u32 s4, s5, s13
	v_mov_b32_e32 v6, v5
	v_mad_u64_u32 v[2:3], s[2:3], s4, v2, v[6:7]
	v_mov_b32_e32 v5, v2
	v_lshl_add_u64 v[2:3], v[4:5], 3, s[6:7]
	flat_load_dwordx2 v[2:3], v[2:3]
	s_and_b64 vcc, exec, s[16:17]
	s_cbranch_vccz .LBB179_47
; %bb.42:
	s_waitcnt vmcnt(0) lgkmcnt(0)
	v_cmp_ngt_f32_e64 s[2:3], |v2|, |v3|
                                        ; implicit-def: $vgpr4_vgpr5
	s_and_saveexec_b64 s[4:5], s[2:3]
	s_xor_b64 s[2:3], exec, s[4:5]
	s_cbranch_execz .LBB179_44
; %bb.43:
	v_div_scale_f32 v4, s[4:5], v3, v3, v2
	v_rcp_f32_e32 v5, v4
	v_div_scale_f32 v6, vcc, v2, v3, v2
	v_fma_f32 v7, -v4, v5, 1.0
	v_fmac_f32_e32 v5, v7, v5
	v_mul_f32_e32 v7, v6, v5
	v_fma_f32 v10, -v4, v7, v6
	v_fmac_f32_e32 v7, v10, v5
	v_fma_f32 v4, -v4, v7, v6
	v_div_fmas_f32 v4, v4, v5, v7
	v_div_fixup_f32 v4, v4, v3, v2
	v_fma_f32 v5, v2, v4, v3
	v_div_scale_f32 v6, s[4:5], v5, v5, 1.0
	v_rcp_f32_e32 v7, v6
	s_nop 0
	v_fma_f32 v10, -v6, v7, 1.0
	v_fmac_f32_e32 v7, v10, v7
	v_div_scale_f32 v10, vcc, 1.0, v5, 1.0
	v_mul_f32_e32 v11, v10, v7
	v_fma_f32 v12, -v6, v11, v10
	v_fmac_f32_e32 v11, v12, v7
	v_fma_f32 v6, -v6, v11, v10
	v_div_fmas_f32 v6, v6, v7, v11
	v_div_fixup_f32 v5, v6, v5, 1.0
	v_mul_f32_e32 v4, v4, v5
	v_xor_b32_e32 v5, 0x80000000, v5
.LBB179_44:
	s_andn2_saveexec_b64 s[2:3], s[2:3]
	s_cbranch_execz .LBB179_46
; %bb.45:
	v_div_scale_f32 v4, s[4:5], v2, v2, v3
	v_rcp_f32_e32 v5, v4
	v_div_scale_f32 v6, vcc, v3, v2, v3
	v_fma_f32 v7, -v4, v5, 1.0
	v_fmac_f32_e32 v5, v7, v5
	v_mul_f32_e32 v7, v6, v5
	v_fma_f32 v10, -v4, v7, v6
	v_fmac_f32_e32 v7, v10, v5
	v_fma_f32 v4, -v4, v7, v6
	v_div_fmas_f32 v4, v4, v5, v7
	v_div_fixup_f32 v5, v4, v2, v3
	v_fma_f32 v4, v3, v5, v2
	v_div_scale_f32 v6, s[4:5], v4, v4, 1.0
	v_rcp_f32_e32 v7, v6
	s_nop 0
	v_fma_f32 v10, -v6, v7, 1.0
	v_fmac_f32_e32 v7, v10, v7
	v_div_scale_f32 v10, vcc, 1.0, v4, 1.0
	v_mul_f32_e32 v11, v10, v7
	v_fma_f32 v12, -v6, v11, v10
	v_fmac_f32_e32 v11, v12, v7
	v_fma_f32 v6, -v6, v11, v10
	v_div_fmas_f32 v6, v6, v7, v11
	v_div_fixup_f32 v4, v6, v4, 1.0
	v_mul_f32_e64 v5, v5, -v4
.LBB179_46:
	s_or_b64 exec, exec, s[2:3]
	s_cbranch_execz .LBB179_48
	s_branch .LBB179_49
.LBB179_47:
                                        ; implicit-def: $vgpr4_vgpr5
.LBB179_48:
	s_waitcnt vmcnt(0) lgkmcnt(0)
	v_mov_b64_e32 v[4:5], v[2:3]
.LBB179_49:
	s_waitcnt vmcnt(0) lgkmcnt(0)
	v_pk_mul_f32 v[2:3], v[8:9], v[4:5] op_sel:[1,1] op_sel_hi:[1,0]
	s_nop 0
	v_pk_fma_f32 v[6:7], v[8:9], v[4:5], v[2:3] neg_lo:[0,0,1] neg_hi:[0,0,1]
	v_pk_fma_f32 v[2:3], v[8:9], v[4:5], v[2:3] op_sel_hi:[0,1,1]
	v_mov_b32_e32 v7, v3
	v_mov_b64_e32 v[8:9], v[6:7]
.LBB179_50:
	s_or_b64 exec, exec, s[0:1]
	flat_store_dwordx2 v[0:1], v[8:9]
.LBB179_51:
	s_endpgm
	.section	.rodata,"a",@progbits
	.p2align	6, 0x0
	.amdhsa_kernel _ZL40rocblas_trsm_block_backward_substitutionI19rocblas_complex_numIfES1_PKPKS1_PKPS1_Lb0ELb0ELb0EEv18rocblas_operation_llT0_T1_lllT2_lllib
		.amdhsa_group_segment_fixed_size 0
		.amdhsa_private_segment_fixed_size 0
		.amdhsa_kernarg_size 360
		.amdhsa_user_sgpr_count 2
		.amdhsa_user_sgpr_dispatch_ptr 0
		.amdhsa_user_sgpr_queue_ptr 0
		.amdhsa_user_sgpr_kernarg_segment_ptr 1
		.amdhsa_user_sgpr_dispatch_id 0
		.amdhsa_user_sgpr_kernarg_preload_length 0
		.amdhsa_user_sgpr_kernarg_preload_offset 0
		.amdhsa_user_sgpr_private_segment_size 0
		.amdhsa_uses_dynamic_stack 0
		.amdhsa_enable_private_segment 0
		.amdhsa_system_sgpr_workgroup_id_x 1
		.amdhsa_system_sgpr_workgroup_id_y 1
		.amdhsa_system_sgpr_workgroup_id_z 1
		.amdhsa_system_sgpr_workgroup_info 0
		.amdhsa_system_vgpr_workitem_id 1
		.amdhsa_next_free_vgpr 20
		.amdhsa_next_free_sgpr 38
		.amdhsa_accum_offset 20
		.amdhsa_reserve_vcc 1
		.amdhsa_float_round_mode_32 0
		.amdhsa_float_round_mode_16_64 0
		.amdhsa_float_denorm_mode_32 3
		.amdhsa_float_denorm_mode_16_64 3
		.amdhsa_dx10_clamp 1
		.amdhsa_ieee_mode 1
		.amdhsa_fp16_overflow 0
		.amdhsa_tg_split 0
		.amdhsa_exception_fp_ieee_invalid_op 0
		.amdhsa_exception_fp_denorm_src 0
		.amdhsa_exception_fp_ieee_div_zero 0
		.amdhsa_exception_fp_ieee_overflow 0
		.amdhsa_exception_fp_ieee_underflow 0
		.amdhsa_exception_fp_ieee_inexact 0
		.amdhsa_exception_int_div_zero 0
	.end_amdhsa_kernel
	.section	.text._ZL40rocblas_trsm_block_backward_substitutionI19rocblas_complex_numIfES1_PKPKS1_PKPS1_Lb0ELb0ELb0EEv18rocblas_operation_llT0_T1_lllT2_lllib,"axG",@progbits,_ZL40rocblas_trsm_block_backward_substitutionI19rocblas_complex_numIfES1_PKPKS1_PKPS1_Lb0ELb0ELb0EEv18rocblas_operation_llT0_T1_lllT2_lllib,comdat
.Lfunc_end179:
	.size	_ZL40rocblas_trsm_block_backward_substitutionI19rocblas_complex_numIfES1_PKPKS1_PKPS1_Lb0ELb0ELb0EEv18rocblas_operation_llT0_T1_lllT2_lllib, .Lfunc_end179-_ZL40rocblas_trsm_block_backward_substitutionI19rocblas_complex_numIfES1_PKPKS1_PKPS1_Lb0ELb0ELb0EEv18rocblas_operation_llT0_T1_lllT2_lllib
                                        ; -- End function
	.set _ZL40rocblas_trsm_block_backward_substitutionI19rocblas_complex_numIfES1_PKPKS1_PKPS1_Lb0ELb0ELb0EEv18rocblas_operation_llT0_T1_lllT2_lllib.num_vgpr, 20
	.set _ZL40rocblas_trsm_block_backward_substitutionI19rocblas_complex_numIfES1_PKPKS1_PKPS1_Lb0ELb0ELb0EEv18rocblas_operation_llT0_T1_lllT2_lllib.num_agpr, 0
	.set _ZL40rocblas_trsm_block_backward_substitutionI19rocblas_complex_numIfES1_PKPKS1_PKPS1_Lb0ELb0ELb0EEv18rocblas_operation_llT0_T1_lllT2_lllib.numbered_sgpr, 38
	.set _ZL40rocblas_trsm_block_backward_substitutionI19rocblas_complex_numIfES1_PKPKS1_PKPS1_Lb0ELb0ELb0EEv18rocblas_operation_llT0_T1_lllT2_lllib.num_named_barrier, 0
	.set _ZL40rocblas_trsm_block_backward_substitutionI19rocblas_complex_numIfES1_PKPKS1_PKPS1_Lb0ELb0ELb0EEv18rocblas_operation_llT0_T1_lllT2_lllib.private_seg_size, 0
	.set _ZL40rocblas_trsm_block_backward_substitutionI19rocblas_complex_numIfES1_PKPKS1_PKPS1_Lb0ELb0ELb0EEv18rocblas_operation_llT0_T1_lllT2_lllib.uses_vcc, 1
	.set _ZL40rocblas_trsm_block_backward_substitutionI19rocblas_complex_numIfES1_PKPKS1_PKPS1_Lb0ELb0ELb0EEv18rocblas_operation_llT0_T1_lllT2_lllib.uses_flat_scratch, 0
	.set _ZL40rocblas_trsm_block_backward_substitutionI19rocblas_complex_numIfES1_PKPKS1_PKPS1_Lb0ELb0ELb0EEv18rocblas_operation_llT0_T1_lllT2_lllib.has_dyn_sized_stack, 0
	.set _ZL40rocblas_trsm_block_backward_substitutionI19rocblas_complex_numIfES1_PKPKS1_PKPS1_Lb0ELb0ELb0EEv18rocblas_operation_llT0_T1_lllT2_lllib.has_recursion, 0
	.set _ZL40rocblas_trsm_block_backward_substitutionI19rocblas_complex_numIfES1_PKPKS1_PKPS1_Lb0ELb0ELb0EEv18rocblas_operation_llT0_T1_lllT2_lllib.has_indirect_call, 0
	.section	.AMDGPU.csdata,"",@progbits
; Kernel info:
; codeLenInByte = 2440
; TotalNumSgprs: 44
; NumVgprs: 20
; NumAgprs: 0
; TotalNumVgprs: 20
; ScratchSize: 0
; MemoryBound: 0
; FloatMode: 240
; IeeeMode: 1
; LDSByteSize: 0 bytes/workgroup (compile time only)
; SGPRBlocks: 5
; VGPRBlocks: 2
; NumSGPRsForWavesPerEU: 44
; NumVGPRsForWavesPerEU: 20
; AccumOffset: 20
; Occupancy: 8
; WaveLimiterHint : 1
; COMPUTE_PGM_RSRC2:SCRATCH_EN: 0
; COMPUTE_PGM_RSRC2:USER_SGPR: 2
; COMPUTE_PGM_RSRC2:TRAP_HANDLER: 0
; COMPUTE_PGM_RSRC2:TGID_X_EN: 1
; COMPUTE_PGM_RSRC2:TGID_Y_EN: 1
; COMPUTE_PGM_RSRC2:TGID_Z_EN: 1
; COMPUTE_PGM_RSRC2:TIDIG_COMP_CNT: 1
; COMPUTE_PGM_RSRC3_GFX90A:ACCUM_OFFSET: 4
; COMPUTE_PGM_RSRC3_GFX90A:TG_SPLIT: 0
	.section	.text._ZL39rocblas_trsm_block_forward_substitutionI19rocblas_complex_numIfES1_PKPKS1_PKPS1_Lb0ELb0ELb1EEv18rocblas_operation_llT0_T1_lllT2_lllib,"axG",@progbits,_ZL39rocblas_trsm_block_forward_substitutionI19rocblas_complex_numIfES1_PKPKS1_PKPS1_Lb0ELb0ELb1EEv18rocblas_operation_llT0_T1_lllT2_lllib,comdat
	.globl	_ZL39rocblas_trsm_block_forward_substitutionI19rocblas_complex_numIfES1_PKPKS1_PKPS1_Lb0ELb0ELb1EEv18rocblas_operation_llT0_T1_lllT2_lllib ; -- Begin function _ZL39rocblas_trsm_block_forward_substitutionI19rocblas_complex_numIfES1_PKPKS1_PKPS1_Lb0ELb0ELb1EEv18rocblas_operation_llT0_T1_lllT2_lllib
	.p2align	8
	.type	_ZL39rocblas_trsm_block_forward_substitutionI19rocblas_complex_numIfES1_PKPKS1_PKPS1_Lb0ELb0ELb1EEv18rocblas_operation_llT0_T1_lllT2_lllib,@function
_ZL39rocblas_trsm_block_forward_substitutionI19rocblas_complex_numIfES1_PKPKS1_PKPS1_Lb0ELb0ELb1EEv18rocblas_operation_llT0_T1_lllT2_lllib: ; @_ZL39rocblas_trsm_block_forward_substitutionI19rocblas_complex_numIfES1_PKPKS1_PKPS1_Lb0ELb0ELb1EEv18rocblas_operation_llT0_T1_lllT2_lllib
; %bb.0:
	s_load_dwordx4 s[12:15], s[0:1], 0x20
	s_mov_b32 s5, 0
	s_lshl_b64 s[18:19], s[4:5], 3
	v_and_b32_e32 v2, 0x3ff, v0
	v_bfe_u32 v8, v0, 10, 10
	s_waitcnt lgkmcnt(0)
	s_add_u32 s16, s12, s18
	s_addc_u32 s17, s13, s19
	s_load_dwordx2 s[20:21], s[16:17], 0x0
	s_load_dwordx4 s[8:11], s[0:1], 0x8
	s_load_dwordx4 s[4:7], s[0:1], 0x40
	s_load_dwordx2 s[12:13], s[0:1], 0x30
	s_lshl_b64 s[14:15], s[14:15], 3
	s_waitcnt lgkmcnt(0)
	s_add_u32 s16, s20, s14
	s_addc_u32 s17, s21, s15
	s_add_u32 s4, s4, s18
	s_addc_u32 s5, s5, s19
	s_load_dwordx2 s[14:15], s[0:1], 0x50
	s_load_dword s22, s[0:1], 0x64
	s_load_dword s2, s[0:1], 0x74
	s_load_dwordx2 s[18:19], s[4:5], 0x0
	s_add_u32 s20, s0, 0x68
	s_addc_u32 s21, s1, 0
	s_waitcnt lgkmcnt(0)
	s_lshr_b32 s2, s2, 16
	s_bitcmp0_b32 s22, 0
	s_cbranch_scc1 .LBB180_7
; %bb.1:
	s_lshl_b32 s4, s2, 3
	s_add_i32 s22, s4, 0
	v_cmp_lt_i64_e64 s[4:5], s[8:9], 1
	s_and_b64 vcc, exec, s[4:5]
	s_cbranch_vccnz .LBB180_6
; %bb.2:
	v_mov_b32_e32 v3, 0
	v_lshlrev_b32_e32 v0, 3, v2
	v_mov_b32_e32 v1, v3
	v_add_u32_e32 v4, s22, v0
	v_cmp_gt_u64_e64 s[4:5], s[8:9], v[2:3]
	v_lshl_add_u64 v[0:1], s[16:17], 0, v[0:1]
	s_mov_b32 s23, 0
	s_branch .LBB180_4
.LBB180_3:                              ;   in Loop: Header=BB180_4 Depth=1
	s_or_b64 exec, exec, s[16:17]
	s_add_i32 s23, s23, s2
	s_ashr_i32 s16, s23, 31
	v_mov_b32_e32 v6, s23
	v_mov_b32_e32 v7, s16
	v_cmp_le_i64_e32 vcc, s[8:9], v[6:7]
	s_cbranch_vccnz .LBB180_6
.LBB180_4:                              ; =>This Inner Loop Header: Depth=1
	v_add_u32_e32 v3, s23, v8
	v_cmp_gt_i32_e32 vcc, v2, v3
	s_and_b64 s[24:25], s[4:5], vcc
	s_and_saveexec_b64 s[16:17], s[24:25]
	s_cbranch_execz .LBB180_3
; %bb.5:                                ;   in Loop: Header=BB180_4 Depth=1
	v_ashrrev_i32_e32 v5, 31, v3
	v_mul_lo_u32 v9, s13, v3
	v_mul_lo_u32 v5, s12, v5
	v_mad_u64_u32 v[6:7], s[24:25], s12, v3, 0
	v_add3_u32 v7, v7, v5, v9
	v_lshl_add_u64 v[6:7], v[6:7], 3, v[0:1]
	flat_load_dwordx2 v[6:7], v[6:7]
	s_load_dword s24, s[20:21], 0xc
	s_waitcnt lgkmcnt(0)
	s_and_b32 s24, s24, 0xffff
	v_mul_lo_u32 v3, v3, s24
	v_lshl_add_u32 v3, v3, 3, v4
	s_waitcnt vmcnt(0)
	ds_write_b64 v3, v[6:7]
	s_branch .LBB180_3
.LBB180_6:
	s_mov_b64 s[4:5], src_shared_base
	s_load_dword s4, s[20:21], 0xc
	s_mov_b32 s23, s5
	s_mov_b32 s13, 0
	s_mov_b64 s[16:17], s[22:23]
	s_waitcnt lgkmcnt(0)
	s_and_b32 s12, s4, 0xffff
.LBB180_7:
	s_load_dwordx2 s[4:5], s[0:1], 0x18
	s_mul_i32 s3, s3, s2
	v_add_u32_e32 v0, s3, v8
	v_mov_b32_e32 v1, 0
	v_cmp_gt_i64_e32 vcc, s[10:11], v[0:1]
	s_and_saveexec_b64 s[2:3], vcc
	s_cbranch_execz .LBB180_23
; %bb.8:
	v_mov_b32_e32 v3, v1
	v_cmp_gt_i64_e32 vcc, s[8:9], v[2:3]
	s_and_b64 exec, exec, vcc
	s_cbranch_execz .LBB180_23
; %bb.9:
	s_lshl_b64 s[2:3], s[6:7], 3
	v_mad_u64_u32 v[4:5], s[6:7], s14, v0, 0
	v_mov_b32_e32 v6, v5
	s_add_u32 s2, s18, s2
	v_mad_u64_u32 v[0:1], s[6:7], s15, v0, v[6:7]
	s_addc_u32 s3, s19, s3
	v_mov_b32_e32 v5, v0
	v_lshl_add_u64 v[0:1], v[4:5], 3, s[2:3]
	v_lshlrev_b32_e32 v6, 3, v2
	v_mov_b32_e32 v7, 0
	v_lshl_add_u64 v[0:1], v[0:1], 0, v[6:7]
	flat_load_dwordx2 v[4:5], v[0:1]
	v_cmp_gt_u64_e64 s[2:3], s[8:9], 1
	s_and_b64 vcc, exec, s[2:3]
	s_waitcnt vmcnt(0) lgkmcnt(0)
	v_pk_mul_f32 v[12:13], s[4:5], v[4:5] op_sel:[1,1] op_sel_hi:[0,1]
	v_pk_mul_f32 v[10:11], s[4:5], v[4:5]
	v_pk_fma_f32 v[4:5], s[4:5], v[4:5], v[12:13] op_sel_hi:[1,0,1]
	s_nop 0
	v_sub_f32_e32 v4, v10, v12
	s_cbranch_vccnz .LBB180_11
; %bb.10:
	s_cbranch_execz .LBB180_12
	s_branch .LBB180_22
.LBB180_11:
.LBB180_12:
	s_load_dword s0, s[0:1], 0x0
	v_mov_b32_e32 v7, 0
	v_lshl_add_u32 v11, v8, 3, 0
	v_lshl_add_u64 v[6:7], s[16:17], 0, v[6:7]
	s_mov_b64 s[6:7], 0
	s_waitcnt lgkmcnt(0)
	s_cmpk_lg_i32 s0, 0x71
	s_cselect_b64 s[0:1], -1, 0
	s_add_u32 s2, s8, -1
	s_addc_u32 s3, s9, -1
	s_lshl_b64 s[4:5], s[12:13], 3
	s_branch .LBB180_15
.LBB180_13:                             ;   in Loop: Header=BB180_15 Depth=1
	ds_read_b64 v[12:13], v11
	s_waitcnt lgkmcnt(0)
	v_pk_mul_f32 v[14:15], v[10:11], v[12:13] op_sel:[0,1] op_sel_hi:[0,0]
	v_pk_fma_f32 v[16:17], v[12:13], v[8:9], v[14:15] neg_lo:[0,0,1] neg_hi:[0,0,1]
	v_pk_fma_f32 v[8:9], v[12:13], v[8:9], v[14:15] op_sel_hi:[1,0,1]
	s_nop 0
	v_mov_b32_e32 v17, v9
	v_pk_add_f32 v[4:5], v[4:5], v[16:17] neg_lo:[0,1] neg_hi:[0,1]
.LBB180_14:                             ;   in Loop: Header=BB180_15 Depth=1
	s_or_b64 exec, exec, s[8:9]
	s_add_u32 s6, s6, 1
	s_addc_u32 s7, s7, 0
	s_cmp_eq_u64 s[2:3], s[6:7]
	v_lshl_add_u64 v[6:7], v[6:7], 0, s[4:5]
	s_cbranch_scc1 .LBB180_22
.LBB180_15:                             ; =>This Inner Loop Header: Depth=1
	v_cmp_eq_u64_e32 vcc, s[6:7], v[2:3]
	s_barrier
	s_and_saveexec_b64 s[8:9], vcc
; %bb.16:                               ;   in Loop: Header=BB180_15 Depth=1
	ds_write_b64 v11, v[4:5]
; %bb.17:                               ;   in Loop: Header=BB180_15 Depth=1
	s_or_b64 exec, exec, s[8:9]
	v_cmp_lt_u64_e32 vcc, s[6:7], v[2:3]
	s_waitcnt lgkmcnt(0)
	s_barrier
	s_and_saveexec_b64 s[8:9], vcc
	s_cbranch_execz .LBB180_14
; %bb.18:                               ;   in Loop: Header=BB180_15 Depth=1
	s_mov_b64 s[10:11], -1
	s_and_b64 vcc, exec, s[0:1]
                                        ; implicit-def: $vgpr8
                                        ; implicit-def: $vgpr10
	s_cbranch_vccz .LBB180_20
; %bb.19:                               ;   in Loop: Header=BB180_15 Depth=1
	flat_load_dwordx2 v[8:9], v[6:7]
	s_mov_b64 s[10:11], 0
	s_waitcnt vmcnt(0) lgkmcnt(0)
	v_mov_b32_e32 v10, v9
.LBB180_20:                             ;   in Loop: Header=BB180_15 Depth=1
	s_andn2_b64 vcc, exec, s[10:11]
	s_cbranch_vccnz .LBB180_13
; %bb.21:                               ;   in Loop: Header=BB180_15 Depth=1
	flat_load_dwordx2 v[8:9], v[6:7]
	s_waitcnt vmcnt(0) lgkmcnt(0)
	v_xor_b32_e32 v10, 0x80000000, v9
	s_branch .LBB180_13
.LBB180_22:
	flat_store_dwordx2 v[0:1], v[4:5]
.LBB180_23:
	s_endpgm
	.section	.rodata,"a",@progbits
	.p2align	6, 0x0
	.amdhsa_kernel _ZL39rocblas_trsm_block_forward_substitutionI19rocblas_complex_numIfES1_PKPKS1_PKPS1_Lb0ELb0ELb1EEv18rocblas_operation_llT0_T1_lllT2_lllib
		.amdhsa_group_segment_fixed_size 0
		.amdhsa_private_segment_fixed_size 0
		.amdhsa_kernarg_size 360
		.amdhsa_user_sgpr_count 2
		.amdhsa_user_sgpr_dispatch_ptr 0
		.amdhsa_user_sgpr_queue_ptr 0
		.amdhsa_user_sgpr_kernarg_segment_ptr 1
		.amdhsa_user_sgpr_dispatch_id 0
		.amdhsa_user_sgpr_kernarg_preload_length 0
		.amdhsa_user_sgpr_kernarg_preload_offset 0
		.amdhsa_user_sgpr_private_segment_size 0
		.amdhsa_uses_dynamic_stack 0
		.amdhsa_enable_private_segment 0
		.amdhsa_system_sgpr_workgroup_id_x 1
		.amdhsa_system_sgpr_workgroup_id_y 1
		.amdhsa_system_sgpr_workgroup_id_z 1
		.amdhsa_system_sgpr_workgroup_info 0
		.amdhsa_system_vgpr_workitem_id 1
		.amdhsa_next_free_vgpr 18
		.amdhsa_next_free_sgpr 26
		.amdhsa_accum_offset 20
		.amdhsa_reserve_vcc 1
		.amdhsa_float_round_mode_32 0
		.amdhsa_float_round_mode_16_64 0
		.amdhsa_float_denorm_mode_32 3
		.amdhsa_float_denorm_mode_16_64 3
		.amdhsa_dx10_clamp 1
		.amdhsa_ieee_mode 1
		.amdhsa_fp16_overflow 0
		.amdhsa_tg_split 0
		.amdhsa_exception_fp_ieee_invalid_op 0
		.amdhsa_exception_fp_denorm_src 0
		.amdhsa_exception_fp_ieee_div_zero 0
		.amdhsa_exception_fp_ieee_overflow 0
		.amdhsa_exception_fp_ieee_underflow 0
		.amdhsa_exception_fp_ieee_inexact 0
		.amdhsa_exception_int_div_zero 0
	.end_amdhsa_kernel
	.section	.text._ZL39rocblas_trsm_block_forward_substitutionI19rocblas_complex_numIfES1_PKPKS1_PKPS1_Lb0ELb0ELb1EEv18rocblas_operation_llT0_T1_lllT2_lllib,"axG",@progbits,_ZL39rocblas_trsm_block_forward_substitutionI19rocblas_complex_numIfES1_PKPKS1_PKPS1_Lb0ELb0ELb1EEv18rocblas_operation_llT0_T1_lllT2_lllib,comdat
.Lfunc_end180:
	.size	_ZL39rocblas_trsm_block_forward_substitutionI19rocblas_complex_numIfES1_PKPKS1_PKPS1_Lb0ELb0ELb1EEv18rocblas_operation_llT0_T1_lllT2_lllib, .Lfunc_end180-_ZL39rocblas_trsm_block_forward_substitutionI19rocblas_complex_numIfES1_PKPKS1_PKPS1_Lb0ELb0ELb1EEv18rocblas_operation_llT0_T1_lllT2_lllib
                                        ; -- End function
	.set _ZL39rocblas_trsm_block_forward_substitutionI19rocblas_complex_numIfES1_PKPKS1_PKPS1_Lb0ELb0ELb1EEv18rocblas_operation_llT0_T1_lllT2_lllib.num_vgpr, 18
	.set _ZL39rocblas_trsm_block_forward_substitutionI19rocblas_complex_numIfES1_PKPKS1_PKPS1_Lb0ELb0ELb1EEv18rocblas_operation_llT0_T1_lllT2_lllib.num_agpr, 0
	.set _ZL39rocblas_trsm_block_forward_substitutionI19rocblas_complex_numIfES1_PKPKS1_PKPS1_Lb0ELb0ELb1EEv18rocblas_operation_llT0_T1_lllT2_lllib.numbered_sgpr, 26
	.set _ZL39rocblas_trsm_block_forward_substitutionI19rocblas_complex_numIfES1_PKPKS1_PKPS1_Lb0ELb0ELb1EEv18rocblas_operation_llT0_T1_lllT2_lllib.num_named_barrier, 0
	.set _ZL39rocblas_trsm_block_forward_substitutionI19rocblas_complex_numIfES1_PKPKS1_PKPS1_Lb0ELb0ELb1EEv18rocblas_operation_llT0_T1_lllT2_lllib.private_seg_size, 0
	.set _ZL39rocblas_trsm_block_forward_substitutionI19rocblas_complex_numIfES1_PKPKS1_PKPS1_Lb0ELb0ELb1EEv18rocblas_operation_llT0_T1_lllT2_lllib.uses_vcc, 1
	.set _ZL39rocblas_trsm_block_forward_substitutionI19rocblas_complex_numIfES1_PKPKS1_PKPS1_Lb0ELb0ELb1EEv18rocblas_operation_llT0_T1_lllT2_lllib.uses_flat_scratch, 0
	.set _ZL39rocblas_trsm_block_forward_substitutionI19rocblas_complex_numIfES1_PKPKS1_PKPS1_Lb0ELb0ELb1EEv18rocblas_operation_llT0_T1_lllT2_lllib.has_dyn_sized_stack, 0
	.set _ZL39rocblas_trsm_block_forward_substitutionI19rocblas_complex_numIfES1_PKPKS1_PKPS1_Lb0ELb0ELb1EEv18rocblas_operation_llT0_T1_lllT2_lllib.has_recursion, 0
	.set _ZL39rocblas_trsm_block_forward_substitutionI19rocblas_complex_numIfES1_PKPKS1_PKPS1_Lb0ELb0ELb1EEv18rocblas_operation_llT0_T1_lllT2_lllib.has_indirect_call, 0
	.section	.AMDGPU.csdata,"",@progbits
; Kernel info:
; codeLenInByte = 848
; TotalNumSgprs: 32
; NumVgprs: 18
; NumAgprs: 0
; TotalNumVgprs: 18
; ScratchSize: 0
; MemoryBound: 0
; FloatMode: 240
; IeeeMode: 1
; LDSByteSize: 0 bytes/workgroup (compile time only)
; SGPRBlocks: 3
; VGPRBlocks: 2
; NumSGPRsForWavesPerEU: 32
; NumVGPRsForWavesPerEU: 18
; AccumOffset: 20
; Occupancy: 8
; WaveLimiterHint : 1
; COMPUTE_PGM_RSRC2:SCRATCH_EN: 0
; COMPUTE_PGM_RSRC2:USER_SGPR: 2
; COMPUTE_PGM_RSRC2:TRAP_HANDLER: 0
; COMPUTE_PGM_RSRC2:TGID_X_EN: 1
; COMPUTE_PGM_RSRC2:TGID_Y_EN: 1
; COMPUTE_PGM_RSRC2:TGID_Z_EN: 1
; COMPUTE_PGM_RSRC2:TIDIG_COMP_CNT: 1
; COMPUTE_PGM_RSRC3_GFX90A:ACCUM_OFFSET: 4
; COMPUTE_PGM_RSRC3_GFX90A:TG_SPLIT: 0
	.section	.text._ZL40rocblas_trsm_block_backward_substitutionI19rocblas_complex_numIfES1_PKPKS1_PKPS1_Lb0ELb0ELb1EEv18rocblas_operation_llT0_T1_lllT2_lllib,"axG",@progbits,_ZL40rocblas_trsm_block_backward_substitutionI19rocblas_complex_numIfES1_PKPKS1_PKPS1_Lb0ELb0ELb1EEv18rocblas_operation_llT0_T1_lllT2_lllib,comdat
	.globl	_ZL40rocblas_trsm_block_backward_substitutionI19rocblas_complex_numIfES1_PKPKS1_PKPS1_Lb0ELb0ELb1EEv18rocblas_operation_llT0_T1_lllT2_lllib ; -- Begin function _ZL40rocblas_trsm_block_backward_substitutionI19rocblas_complex_numIfES1_PKPKS1_PKPS1_Lb0ELb0ELb1EEv18rocblas_operation_llT0_T1_lllT2_lllib
	.p2align	8
	.type	_ZL40rocblas_trsm_block_backward_substitutionI19rocblas_complex_numIfES1_PKPKS1_PKPS1_Lb0ELb0ELb1EEv18rocblas_operation_llT0_T1_lllT2_lllib,@function
_ZL40rocblas_trsm_block_backward_substitutionI19rocblas_complex_numIfES1_PKPKS1_PKPS1_Lb0ELb0ELb1EEv18rocblas_operation_llT0_T1_lllT2_lllib: ; @_ZL40rocblas_trsm_block_backward_substitutionI19rocblas_complex_numIfES1_PKPKS1_PKPS1_Lb0ELb0ELb1EEv18rocblas_operation_llT0_T1_lllT2_lllib
; %bb.0:
	s_load_dwordx4 s[16:19], s[0:1], 0x20
	s_mov_b32 s5, 0
	s_lshl_b64 s[4:5], s[4:5], 3
	v_and_b32_e32 v2, 0x3ff, v0
	v_bfe_u32 v6, v0, 10, 10
	s_waitcnt lgkmcnt(0)
	s_add_u32 s6, s16, s4
	s_addc_u32 s7, s17, s5
	s_load_dwordx2 s[16:17], s[6:7], 0x0
	s_load_dwordx4 s[8:11], s[0:1], 0x8
	s_load_dwordx4 s[12:15], s[0:1], 0x40
	s_load_dwordx2 s[24:25], s[0:1], 0x30
	s_lshl_b64 s[6:7], s[18:19], 3
	s_waitcnt lgkmcnt(0)
	s_add_u32 s6, s16, s6
	s_addc_u32 s7, s17, s7
	s_add_u32 s4, s12, s4
	s_addc_u32 s5, s13, s5
	s_load_dwordx2 s[18:19], s[4:5], 0x0
	s_load_dwordx2 s[16:17], s[0:1], 0x50
	s_load_dword s12, s[0:1], 0x64
	s_load_dword s2, s[0:1], 0x74
	s_add_u32 s20, s0, 0x68
	s_addc_u32 s21, s1, 0
	s_mov_b64 s[4:5], 1
	s_waitcnt lgkmcnt(0)
	s_lshr_b32 s2, s2, 16
	s_bitcmp0_b32 s12, 0
	s_cbranch_scc1 .LBB181_6
; %bb.1:
	s_lshl_b32 s4, s2, 3
	s_add_i32 s22, s4, 0
	v_cmp_lt_i64_e64 s[4:5], s[8:9], 1
	s_mov_b64 s[12:13], 1
	s_and_b64 vcc, exec, s[4:5]
	s_cbranch_vccnz .LBB181_7
; %bb.2:
	v_mad_u64_u32 v[0:1], s[26:27], s24, v2, 0
	v_mov_b32_e32 v4, v1
	v_mad_u64_u32 v[4:5], s[24:25], s25, v2, v[4:5]
	v_mov_b32_e32 v3, 0
	v_mov_b32_e32 v1, v4
	v_lshl_add_u32 v7, v2, 3, s22
	v_cmp_gt_u64_e64 s[4:5], s[8:9], v[2:3]
	v_lshl_add_u64 v[0:1], v[0:1], 3, s[6:7]
	s_mov_b32 s23, 0
	s_branch .LBB181_4
.LBB181_3:                              ;   in Loop: Header=BB181_4 Depth=1
	s_or_b64 exec, exec, s[6:7]
	s_add_i32 s23, s23, s2
	s_ashr_i32 s6, s23, 31
	v_mov_b32_e32 v4, s23
	v_mov_b32_e32 v5, s6
	v_cmp_le_i64_e32 vcc, s[8:9], v[4:5]
	s_cbranch_vccnz .LBB181_7
.LBB181_4:                              ; =>This Inner Loop Header: Depth=1
	v_add_u32_e32 v4, s23, v6
	v_ashrrev_i32_e32 v5, 31, v4
	v_cmp_gt_i64_e32 vcc, s[8:9], v[4:5]
	v_cmp_lt_i32_e64 s[6:7], v2, v4
	s_and_b64 s[6:7], s[6:7], vcc
	s_and_b64 s[24:25], s[4:5], s[6:7]
	s_and_saveexec_b64 s[6:7], s[24:25]
	s_cbranch_execz .LBB181_3
; %bb.5:                                ;   in Loop: Header=BB181_4 Depth=1
	v_lshl_add_u64 v[8:9], v[4:5], 3, v[0:1]
	flat_load_dwordx2 v[8:9], v[8:9]
	s_load_dword s24, s[20:21], 0xc
	s_waitcnt lgkmcnt(0)
	s_and_b32 s24, s24, 0xffff
	v_mul_lo_u32 v3, v4, s24
	v_lshl_add_u32 v3, v3, 3, v7
	s_waitcnt vmcnt(0)
	ds_write_b64 v3, v[8:9]
	s_branch .LBB181_3
.LBB181_6:
	s_mov_b64 s[12:13], s[24:25]
	s_branch .LBB181_8
.LBB181_7:
	s_mov_b64 s[4:5], src_shared_base
	s_load_dword s4, s[20:21], 0xc
	s_mov_b32 s23, s5
	s_mov_b64 s[6:7], s[22:23]
	s_waitcnt lgkmcnt(0)
	s_and_b32 s4, s4, 0xffff
.LBB181_8:
	s_load_dwordx2 s[20:21], s[0:1], 0x18
	s_mul_i32 s3, s3, s2
	v_add_u32_e32 v0, s3, v6
	v_mov_b32_e32 v1, 0
	v_cmp_gt_i64_e32 vcc, s[10:11], v[0:1]
	s_and_saveexec_b64 s[2:3], vcc
	s_cbranch_execz .LBB181_24
; %bb.9:
	v_mov_b32_e32 v3, v1
	v_cmp_gt_i64_e32 vcc, s[8:9], v[2:3]
	s_and_b64 exec, exec, vcc
	s_cbranch_execz .LBB181_24
; %bb.10:
	v_mad_u64_u32 v[4:5], s[10:11], s16, v2, 0
	s_lshl_b64 s[2:3], s[14:15], 3
	v_mov_b32_e32 v8, v5
	s_add_u32 s2, s18, s2
	v_mad_u64_u32 v[8:9], s[10:11], s17, v2, v[8:9]
	s_addc_u32 s3, s19, s3
	v_mov_b32_e32 v5, v8
	v_lshl_add_u64 v[4:5], v[4:5], 3, s[2:3]
	v_lshl_add_u64 v[0:1], v[0:1], 3, v[4:5]
	flat_load_dwordx2 v[4:5], v[0:1]
	v_cmp_gt_u64_e64 s[2:3], s[8:9], 1
	s_and_b64 vcc, exec, s[2:3]
	s_waitcnt vmcnt(0) lgkmcnt(0)
	v_pk_mul_f32 v[10:11], s[20:21], v[4:5] op_sel:[1,1] op_sel_hi:[0,1]
	v_pk_mul_f32 v[8:9], s[20:21], v[4:5]
	v_pk_fma_f32 v[4:5], s[20:21], v[4:5], v[10:11] op_sel_hi:[1,0,1]
	s_nop 0
	v_sub_f32_e32 v4, v8, v10
	s_cbranch_vccnz .LBB181_12
; %bb.11:
	s_cbranch_execz .LBB181_13
	s_branch .LBB181_23
.LBB181_12:
.LBB181_13:
	s_load_dword s0, s[0:1], 0x0
	v_lshl_add_u32 v11, v6, 3, 0
	v_mad_u64_u32 v[6:7], s[10:11], s12, v2, 0
	v_mov_b32_e32 v8, v7
	s_waitcnt lgkmcnt(0)
	s_cmpk_lg_i32 s0, 0x71
	s_cselect_b64 s[0:1], -1, 0
	s_add_u32 s2, s8, -1
	s_addc_u32 s3, s9, -1
	s_mul_hi_u32 s5, s4, s2
	s_mul_i32 s9, s4, s3
	s_mul_i32 s8, s4, s2
	s_add_i32 s9, s5, s9
	s_lshl_b64 s[8:9], s[8:9], 3
	s_add_u32 s6, s6, s8
	v_mad_u64_u32 v[8:9], s[10:11], s13, v2, v[8:9]
	s_addc_u32 s7, s7, s9
	s_lshl_b32 s4, s4, 3
	v_mov_b32_e32 v7, v8
	s_sub_u32 s4, 0, s4
	v_lshl_add_u64 v[6:7], v[6:7], 3, s[6:7]
	s_subb_u32 s5, 0, 0
	s_branch .LBB181_16
.LBB181_14:                             ;   in Loop: Header=BB181_16 Depth=1
	ds_read_b64 v[12:13], v11
	s_waitcnt lgkmcnt(0)
	v_pk_mul_f32 v[14:15], v[10:11], v[12:13] op_sel:[0,1] op_sel_hi:[0,0]
	v_pk_fma_f32 v[16:17], v[12:13], v[8:9], v[14:15] neg_lo:[0,0,1] neg_hi:[0,0,1]
	v_pk_fma_f32 v[8:9], v[12:13], v[8:9], v[14:15] op_sel_hi:[1,0,1]
	s_nop 0
	v_mov_b32_e32 v17, v9
	v_pk_add_f32 v[4:5], v[4:5], v[16:17] neg_lo:[0,1] neg_hi:[0,1]
.LBB181_15:                             ;   in Loop: Header=BB181_16 Depth=1
	s_or_b64 exec, exec, s[6:7]
	s_add_u32 s6, s2, -1
	s_addc_u32 s7, s3, -1
	s_add_u32 s2, s2, 1
	s_addc_u32 s3, s3, 0
	v_cmp_lt_u64_e64 s[2:3], s[2:3], 3
	v_lshl_add_u64 v[6:7], v[6:7], 0, s[4:5]
	s_and_b64 vcc, exec, s[2:3]
	s_mov_b64 s[2:3], s[6:7]
	s_cbranch_vccnz .LBB181_23
.LBB181_16:                             ; =>This Inner Loop Header: Depth=1
	v_cmp_eq_u64_e32 vcc, s[2:3], v[2:3]
	s_barrier
	s_and_saveexec_b64 s[6:7], vcc
; %bb.17:                               ;   in Loop: Header=BB181_16 Depth=1
	ds_write_b64 v11, v[4:5]
; %bb.18:                               ;   in Loop: Header=BB181_16 Depth=1
	s_or_b64 exec, exec, s[6:7]
	v_cmp_gt_i64_e32 vcc, s[2:3], v[2:3]
	s_waitcnt lgkmcnt(0)
	s_barrier
	s_and_saveexec_b64 s[6:7], vcc
	s_cbranch_execz .LBB181_15
; %bb.19:                               ;   in Loop: Header=BB181_16 Depth=1
	s_mov_b64 s[8:9], -1
	s_and_b64 vcc, exec, s[0:1]
                                        ; implicit-def: $vgpr8
                                        ; implicit-def: $vgpr10
	s_cbranch_vccz .LBB181_21
; %bb.20:                               ;   in Loop: Header=BB181_16 Depth=1
	flat_load_dwordx2 v[8:9], v[6:7]
	s_mov_b64 s[8:9], 0
	s_waitcnt vmcnt(0) lgkmcnt(0)
	v_mov_b32_e32 v10, v9
.LBB181_21:                             ;   in Loop: Header=BB181_16 Depth=1
	s_andn2_b64 vcc, exec, s[8:9]
	s_cbranch_vccnz .LBB181_14
; %bb.22:                               ;   in Loop: Header=BB181_16 Depth=1
	flat_load_dwordx2 v[8:9], v[6:7]
	s_waitcnt vmcnt(0) lgkmcnt(0)
	v_xor_b32_e32 v10, 0x80000000, v9
	s_branch .LBB181_14
.LBB181_23:
	flat_store_dwordx2 v[0:1], v[4:5]
.LBB181_24:
	s_endpgm
	.section	.rodata,"a",@progbits
	.p2align	6, 0x0
	.amdhsa_kernel _ZL40rocblas_trsm_block_backward_substitutionI19rocblas_complex_numIfES1_PKPKS1_PKPS1_Lb0ELb0ELb1EEv18rocblas_operation_llT0_T1_lllT2_lllib
		.amdhsa_group_segment_fixed_size 0
		.amdhsa_private_segment_fixed_size 0
		.amdhsa_kernarg_size 360
		.amdhsa_user_sgpr_count 2
		.amdhsa_user_sgpr_dispatch_ptr 0
		.amdhsa_user_sgpr_queue_ptr 0
		.amdhsa_user_sgpr_kernarg_segment_ptr 1
		.amdhsa_user_sgpr_dispatch_id 0
		.amdhsa_user_sgpr_kernarg_preload_length 0
		.amdhsa_user_sgpr_kernarg_preload_offset 0
		.amdhsa_user_sgpr_private_segment_size 0
		.amdhsa_uses_dynamic_stack 0
		.amdhsa_enable_private_segment 0
		.amdhsa_system_sgpr_workgroup_id_x 1
		.amdhsa_system_sgpr_workgroup_id_y 1
		.amdhsa_system_sgpr_workgroup_id_z 1
		.amdhsa_system_sgpr_workgroup_info 0
		.amdhsa_system_vgpr_workitem_id 1
		.amdhsa_next_free_vgpr 18
		.amdhsa_next_free_sgpr 28
		.amdhsa_accum_offset 20
		.amdhsa_reserve_vcc 1
		.amdhsa_float_round_mode_32 0
		.amdhsa_float_round_mode_16_64 0
		.amdhsa_float_denorm_mode_32 3
		.amdhsa_float_denorm_mode_16_64 3
		.amdhsa_dx10_clamp 1
		.amdhsa_ieee_mode 1
		.amdhsa_fp16_overflow 0
		.amdhsa_tg_split 0
		.amdhsa_exception_fp_ieee_invalid_op 0
		.amdhsa_exception_fp_denorm_src 0
		.amdhsa_exception_fp_ieee_div_zero 0
		.amdhsa_exception_fp_ieee_overflow 0
		.amdhsa_exception_fp_ieee_underflow 0
		.amdhsa_exception_fp_ieee_inexact 0
		.amdhsa_exception_int_div_zero 0
	.end_amdhsa_kernel
	.section	.text._ZL40rocblas_trsm_block_backward_substitutionI19rocblas_complex_numIfES1_PKPKS1_PKPS1_Lb0ELb0ELb1EEv18rocblas_operation_llT0_T1_lllT2_lllib,"axG",@progbits,_ZL40rocblas_trsm_block_backward_substitutionI19rocblas_complex_numIfES1_PKPKS1_PKPS1_Lb0ELb0ELb1EEv18rocblas_operation_llT0_T1_lllT2_lllib,comdat
.Lfunc_end181:
	.size	_ZL40rocblas_trsm_block_backward_substitutionI19rocblas_complex_numIfES1_PKPKS1_PKPS1_Lb0ELb0ELb1EEv18rocblas_operation_llT0_T1_lllT2_lllib, .Lfunc_end181-_ZL40rocblas_trsm_block_backward_substitutionI19rocblas_complex_numIfES1_PKPKS1_PKPS1_Lb0ELb0ELb1EEv18rocblas_operation_llT0_T1_lllT2_lllib
                                        ; -- End function
	.set _ZL40rocblas_trsm_block_backward_substitutionI19rocblas_complex_numIfES1_PKPKS1_PKPS1_Lb0ELb0ELb1EEv18rocblas_operation_llT0_T1_lllT2_lllib.num_vgpr, 18
	.set _ZL40rocblas_trsm_block_backward_substitutionI19rocblas_complex_numIfES1_PKPKS1_PKPS1_Lb0ELb0ELb1EEv18rocblas_operation_llT0_T1_lllT2_lllib.num_agpr, 0
	.set _ZL40rocblas_trsm_block_backward_substitutionI19rocblas_complex_numIfES1_PKPKS1_PKPS1_Lb0ELb0ELb1EEv18rocblas_operation_llT0_T1_lllT2_lllib.numbered_sgpr, 28
	.set _ZL40rocblas_trsm_block_backward_substitutionI19rocblas_complex_numIfES1_PKPKS1_PKPS1_Lb0ELb0ELb1EEv18rocblas_operation_llT0_T1_lllT2_lllib.num_named_barrier, 0
	.set _ZL40rocblas_trsm_block_backward_substitutionI19rocblas_complex_numIfES1_PKPKS1_PKPS1_Lb0ELb0ELb1EEv18rocblas_operation_llT0_T1_lllT2_lllib.private_seg_size, 0
	.set _ZL40rocblas_trsm_block_backward_substitutionI19rocblas_complex_numIfES1_PKPKS1_PKPS1_Lb0ELb0ELb1EEv18rocblas_operation_llT0_T1_lllT2_lllib.uses_vcc, 1
	.set _ZL40rocblas_trsm_block_backward_substitutionI19rocblas_complex_numIfES1_PKPKS1_PKPS1_Lb0ELb0ELb1EEv18rocblas_operation_llT0_T1_lllT2_lllib.uses_flat_scratch, 0
	.set _ZL40rocblas_trsm_block_backward_substitutionI19rocblas_complex_numIfES1_PKPKS1_PKPS1_Lb0ELb0ELb1EEv18rocblas_operation_llT0_T1_lllT2_lllib.has_dyn_sized_stack, 0
	.set _ZL40rocblas_trsm_block_backward_substitutionI19rocblas_complex_numIfES1_PKPKS1_PKPS1_Lb0ELb0ELb1EEv18rocblas_operation_llT0_T1_lllT2_lllib.has_recursion, 0
	.set _ZL40rocblas_trsm_block_backward_substitutionI19rocblas_complex_numIfES1_PKPKS1_PKPS1_Lb0ELb0ELb1EEv18rocblas_operation_llT0_T1_lllT2_lllib.has_indirect_call, 0
	.section	.AMDGPU.csdata,"",@progbits
; Kernel info:
; codeLenInByte = 924
; TotalNumSgprs: 34
; NumVgprs: 18
; NumAgprs: 0
; TotalNumVgprs: 18
; ScratchSize: 0
; MemoryBound: 0
; FloatMode: 240
; IeeeMode: 1
; LDSByteSize: 0 bytes/workgroup (compile time only)
; SGPRBlocks: 4
; VGPRBlocks: 2
; NumSGPRsForWavesPerEU: 34
; NumVGPRsForWavesPerEU: 18
; AccumOffset: 20
; Occupancy: 8
; WaveLimiterHint : 1
; COMPUTE_PGM_RSRC2:SCRATCH_EN: 0
; COMPUTE_PGM_RSRC2:USER_SGPR: 2
; COMPUTE_PGM_RSRC2:TRAP_HANDLER: 0
; COMPUTE_PGM_RSRC2:TGID_X_EN: 1
; COMPUTE_PGM_RSRC2:TGID_Y_EN: 1
; COMPUTE_PGM_RSRC2:TGID_Z_EN: 1
; COMPUTE_PGM_RSRC2:TIDIG_COMP_CNT: 1
; COMPUTE_PGM_RSRC3_GFX90A:ACCUM_OFFSET: 4
; COMPUTE_PGM_RSRC3_GFX90A:TG_SPLIT: 0
	.section	.text._ZL39rocblas_trsm_block_forward_substitutionI19rocblas_complex_numIfES1_PKPKS1_PKPS1_Lb0ELb1ELb0EEv18rocblas_operation_llT0_T1_lllT2_lllib,"axG",@progbits,_ZL39rocblas_trsm_block_forward_substitutionI19rocblas_complex_numIfES1_PKPKS1_PKPS1_Lb0ELb1ELb0EEv18rocblas_operation_llT0_T1_lllT2_lllib,comdat
	.globl	_ZL39rocblas_trsm_block_forward_substitutionI19rocblas_complex_numIfES1_PKPKS1_PKPS1_Lb0ELb1ELb0EEv18rocblas_operation_llT0_T1_lllT2_lllib ; -- Begin function _ZL39rocblas_trsm_block_forward_substitutionI19rocblas_complex_numIfES1_PKPKS1_PKPS1_Lb0ELb1ELb0EEv18rocblas_operation_llT0_T1_lllT2_lllib
	.p2align	8
	.type	_ZL39rocblas_trsm_block_forward_substitutionI19rocblas_complex_numIfES1_PKPKS1_PKPS1_Lb0ELb1ELb0EEv18rocblas_operation_llT0_T1_lllT2_lllib,@function
_ZL39rocblas_trsm_block_forward_substitutionI19rocblas_complex_numIfES1_PKPKS1_PKPS1_Lb0ELb1ELb0EEv18rocblas_operation_llT0_T1_lllT2_lllib: ; @_ZL39rocblas_trsm_block_forward_substitutionI19rocblas_complex_numIfES1_PKPKS1_PKPS1_Lb0ELb1ELb0EEv18rocblas_operation_llT0_T1_lllT2_lllib
; %bb.0:
	s_load_dword s2, s[0:1], 0x64
	s_load_dwordx4 s[8:11], s[0:1], 0x8
	s_load_dwordx4 s[20:23], s[0:1], 0x20
	s_load_dword s26, s[0:1], 0x74
	s_mov_b32 s5, 0
	s_waitcnt lgkmcnt(0)
	s_bitcmp1_b32 s2, 0
	s_cselect_b64 s[6:7], -1, 0
	s_xor_b64 s[12:13], s[6:7], -1
	s_lshl_b64 s[24:25], s[4:5], 3
	s_add_u32 s16, s20, s24
	s_addc_u32 s17, s21, s25
	s_load_dwordx2 s[20:21], s[16:17], 0x0
	s_load_dwordx2 s[14:15], s[0:1], 0x30
	s_load_dwordx4 s[4:7], s[0:1], 0x40
	s_load_dwordx2 s[18:19], s[0:1], 0x50
	s_lshl_b64 s[16:17], s[22:23], 3
	s_waitcnt lgkmcnt(0)
	s_add_u32 s16, s20, s16
	s_addc_u32 s17, s21, s17
	s_add_u32 s4, s4, s24
	s_addc_u32 s5, s5, s25
	s_load_dwordx2 s[4:5], s[4:5], 0x0
	s_add_u32 s20, s0, 0x68
	v_and_b32_e32 v2, 0x3ff, v0
	v_bfe_u32 v12, v0, 10, 10
	s_addc_u32 s21, s1, 0
	s_lshr_b32 s2, s26, 16
	s_and_b64 vcc, exec, s[12:13]
	s_cbranch_vccnz .LBB182_15
; %bb.1:
	s_lshl_b32 s22, s2, 3
	v_cmp_lt_i64_e64 s[24:25], s[8:9], 1
	s_add_i32 s22, s22, 0
	s_and_b64 vcc, exec, s[24:25]
	s_cbranch_vccnz .LBB182_14
; %bb.2:
	v_mov_b32_e32 v3, 0
	v_lshlrev_b32_e32 v0, 3, v2
	v_mov_b32_e32 v1, v3
	v_add_u32_e32 v10, s22, v0
	v_lshl_add_u64 v[0:1], s[16:17], 0, v[0:1]
	v_mad_u64_u32 v[4:5], s[16:17], s14, v2, 0
	v_mov_b32_e32 v6, v5
	v_mad_u64_u32 v[6:7], s[16:17], s15, v2, v[6:7]
	v_cmp_le_u64_e32 vcc, s[8:9], v[2:3]
	v_mov_b32_e32 v5, v6
	v_lshl_add_u64 v[4:5], v[4:5], 3, v[0:1]
	s_xor_b64 s[16:17], vcc, -1
	s_mov_b32 s23, s2
	v_mov_b32_e32 v3, v12
	s_branch .LBB182_6
.LBB182_3:                              ;   in Loop: Header=BB182_6 Depth=1
	s_or_b64 exec, exec, s[28:29]
	s_load_dword s28, s[20:21], 0xc
	s_waitcnt lgkmcnt(0)
	s_and_b32 s28, s28, 0xffff
	v_mul_u32_u24_e32 v6, s28, v2
	v_lshl_add_u32 v6, v6, 3, v10
	ds_write_b64 v6, v[8:9]
.LBB182_4:                              ;   in Loop: Header=BB182_6 Depth=1
	s_or_b64 exec, exec, s[26:27]
.LBB182_5:                              ;   in Loop: Header=BB182_6 Depth=1
	s_or_b64 exec, exec, s[24:25]
	s_ashr_i32 s24, s23, 31
	v_mov_b32_e32 v6, s23
	v_mov_b32_e32 v7, s24
	v_cmp_le_i64_e32 vcc, s[8:9], v[6:7]
	v_add_u32_e32 v3, s2, v3
	s_add_i32 s23, s23, s2
	s_cbranch_vccnz .LBB182_14
.LBB182_6:                              ; =>This Inner Loop Header: Depth=1
	v_cmp_gt_i32_e32 vcc, v2, v3
	s_and_b64 s[24:25], s[16:17], vcc
	s_and_saveexec_b64 s[26:27], s[24:25]
	s_xor_b64 s[24:25], exec, s[26:27]
	s_cbranch_execz .LBB182_8
; %bb.7:                                ;   in Loop: Header=BB182_6 Depth=1
	v_ashrrev_i32_e32 v6, 31, v3
	v_mul_lo_u32 v8, s15, v3
	v_mul_lo_u32 v9, s14, v6
	v_mad_u64_u32 v[6:7], s[26:27], s14, v3, 0
	v_add3_u32 v7, v7, v9, v8
	v_lshl_add_u64 v[6:7], v[6:7], 3, v[0:1]
	flat_load_dwordx2 v[6:7], v[6:7]
	s_load_dword s26, s[20:21], 0xc
	s_waitcnt lgkmcnt(0)
	s_and_b32 s26, s26, 0xffff
	v_mul_lo_u32 v8, v3, s26
	v_lshl_add_u32 v8, v8, 3, v10
	s_waitcnt vmcnt(0)
	ds_write_b64 v8, v[6:7]
.LBB182_8:                              ;   in Loop: Header=BB182_6 Depth=1
	s_andn2_saveexec_b64 s[24:25], s[24:25]
	s_cbranch_execz .LBB182_5
; %bb.9:                                ;   in Loop: Header=BB182_6 Depth=1
	v_cmp_eq_u32_e32 vcc, v2, v3
	s_and_b64 s[28:29], s[16:17], vcc
	s_and_saveexec_b64 s[26:27], s[28:29]
	s_cbranch_execz .LBB182_4
; %bb.10:                               ;   in Loop: Header=BB182_6 Depth=1
	flat_load_dwordx2 v[6:7], v[4:5]
                                        ; implicit-def: $vgpr8_vgpr9
	s_waitcnt vmcnt(0) lgkmcnt(0)
	v_cmp_ngt_f32_e64 s[28:29], |v6|, |v7|
	s_and_saveexec_b64 s[30:31], s[28:29]
	s_xor_b64 s[28:29], exec, s[30:31]
	s_cbranch_execz .LBB182_12
; %bb.11:                               ;   in Loop: Header=BB182_6 Depth=1
	v_div_scale_f32 v8, s[30:31], v7, v7, v6
	v_rcp_f32_e32 v9, v8
	v_div_scale_f32 v11, vcc, v6, v7, v6
	v_fma_f32 v13, -v8, v9, 1.0
	v_fmac_f32_e32 v9, v13, v9
	v_mul_f32_e32 v13, v11, v9
	v_fma_f32 v14, -v8, v13, v11
	v_fmac_f32_e32 v13, v14, v9
	v_fma_f32 v8, -v8, v13, v11
	v_div_fmas_f32 v8, v8, v9, v13
	v_div_fixup_f32 v8, v8, v7, v6
	v_fmac_f32_e32 v7, v6, v8
	v_div_scale_f32 v6, s[30:31], v7, v7, 1.0
	v_rcp_f32_e32 v9, v6
	s_nop 0
	v_fma_f32 v11, -v6, v9, 1.0
	v_fmac_f32_e32 v9, v11, v9
	v_div_scale_f32 v11, vcc, 1.0, v7, 1.0
	v_mul_f32_e32 v13, v11, v9
	v_fma_f32 v14, -v6, v13, v11
	v_fmac_f32_e32 v13, v14, v9
	v_fma_f32 v6, -v6, v13, v11
	v_div_fmas_f32 v6, v6, v9, v13
	v_div_fixup_f32 v6, v6, v7, 1.0
	v_mul_f32_e32 v8, v8, v6
	v_xor_b32_e32 v9, 0x80000000, v6
                                        ; implicit-def: $vgpr6_vgpr7
.LBB182_12:                             ;   in Loop: Header=BB182_6 Depth=1
	s_andn2_saveexec_b64 s[28:29], s[28:29]
	s_cbranch_execz .LBB182_3
; %bb.13:                               ;   in Loop: Header=BB182_6 Depth=1
	v_div_scale_f32 v8, s[30:31], v6, v6, v7
	v_rcp_f32_e32 v9, v8
	v_div_scale_f32 v11, vcc, v7, v6, v7
	v_fma_f32 v13, -v8, v9, 1.0
	v_fmac_f32_e32 v9, v13, v9
	v_mul_f32_e32 v13, v11, v9
	v_fma_f32 v14, -v8, v13, v11
	v_fmac_f32_e32 v13, v14, v9
	v_fma_f32 v8, -v8, v13, v11
	v_div_fmas_f32 v8, v8, v9, v13
	v_div_fixup_f32 v9, v8, v6, v7
	v_fmac_f32_e32 v6, v7, v9
	v_div_scale_f32 v7, s[30:31], v6, v6, 1.0
	v_rcp_f32_e32 v8, v7
	s_nop 0
	v_fma_f32 v11, -v7, v8, 1.0
	v_fmac_f32_e32 v8, v11, v8
	v_div_scale_f32 v11, vcc, 1.0, v6, 1.0
	v_mul_f32_e32 v13, v11, v8
	v_fma_f32 v14, -v7, v13, v11
	v_fmac_f32_e32 v13, v14, v8
	v_fma_f32 v7, -v7, v13, v11
	v_div_fmas_f32 v7, v7, v8, v13
	v_div_fixup_f32 v8, v7, v6, 1.0
	v_mul_f32_e64 v9, v9, -v8
	s_branch .LBB182_3
.LBB182_14:
	s_load_dword s14, s[20:21], 0xc
	s_mov_b64 s[16:17], src_shared_base
	s_mov_b32 s23, s17
	s_mov_b32 s15, 0
	s_mov_b64 s[16:17], s[22:23]
	s_waitcnt lgkmcnt(0)
	s_and_b32 s14, s14, 0xffff
.LBB182_15:
	s_load_dwordx2 s[20:21], s[0:1], 0x18
	s_mul_i32 s3, s3, s2
	v_add_u32_e32 v0, s3, v12
	v_mov_b32_e32 v1, 0
	v_cmp_gt_i64_e32 vcc, s[10:11], v[0:1]
	s_and_saveexec_b64 s[2:3], vcc
	s_cbranch_execz .LBB182_49
; %bb.16:
	v_mov_b32_e32 v3, v1
	v_cmp_gt_i64_e32 vcc, s[8:9], v[2:3]
	s_and_b64 exec, exec, vcc
	s_cbranch_execz .LBB182_49
; %bb.17:
	s_lshl_b64 s[2:3], s[6:7], 3
	s_waitcnt lgkmcnt(0)
	s_add_u32 s2, s4, s2
	s_addc_u32 s3, s5, s3
	v_mad_u64_u32 v[4:5], s[4:5], s18, v2, 0
	v_mov_b32_e32 v6, v5
	v_mad_u64_u32 v[6:7], s[4:5], s19, v2, v[6:7]
	v_mov_b32_e32 v5, v6
	v_lshl_add_u64 v[4:5], v[4:5], 3, s[2:3]
	v_lshl_add_u64 v[0:1], v[0:1], 3, v[4:5]
	flat_load_dwordx2 v[6:7], v[0:1]
	v_cmp_gt_u64_e64 s[6:7], s[8:9], 1
	s_add_u32 s2, s8, -1
	s_mov_b64 s[4:5], -1
	s_addc_u32 s3, s9, -1
	s_and_b64 vcc, exec, s[6:7]
                                        ; implicit-def: $vgpr4_vgpr5
	s_waitcnt vmcnt(0) lgkmcnt(0)
	v_pk_mul_f32 v[14:15], s[20:21], v[6:7] op_sel:[1,1] op_sel_hi:[0,1]
	v_pk_mul_f32 v[8:9], s[20:21], v[6:7]
	v_pk_fma_f32 v[10:11], s[20:21], v[6:7], v[14:15] op_sel_hi:[1,0,1]
	s_nop 0
	v_sub_f32_e32 v10, v8, v14
	s_cbranch_vccnz .LBB182_19
; %bb.18:
	s_mov_b64 s[4:5], 0
	v_mov_b64_e32 v[4:5], v[10:11]
.LBB182_19:
	s_andn2_b64 vcc, exec, s[4:5]
	s_cbranch_vccnz .LBB182_38
; %bb.20:
	s_load_dword s0, s[0:1], 0x0
	v_lshlrev_b32_e32 v4, 3, v2
	v_mov_b32_e32 v5, 0
	v_lshl_add_u64 v[6:7], s[16:17], 0, v[4:5]
	v_mad_u64_u32 v[4:5], s[4:5], v2, s14, v[2:3]
	v_mov_b32_e32 v8, v5
	v_mad_u64_u32 v[8:9], s[4:5], v2, s15, v[8:9]
	s_waitcnt lgkmcnt(0)
	s_cmpk_lg_i32 s0, 0x71
	v_mov_b32_e32 v5, v8
	s_cselect_b64 s[0:1], -1, 0
	v_lshl_add_u64 v[8:9], v[4:5], 3, s[16:17]
	v_lshl_add_u32 v14, v12, 3, 0
	s_lshl_b64 s[4:5], s[14:15], 3
	s_mov_b64 s[6:7], 0
	s_branch .LBB182_23
.LBB182_21:                             ;   in Loop: Header=BB182_23 Depth=1
	ds_read_b64 v[16:17], v14
	s_waitcnt lgkmcnt(0)
	v_pk_mul_f32 v[12:13], v[12:13], v[16:17] op_sel:[0,1] op_sel_hi:[0,0]
	v_pk_fma_f32 v[18:19], v[16:17], v[10:11], v[12:13] neg_lo:[0,0,1] neg_hi:[0,0,1]
	v_pk_fma_f32 v[10:11], v[16:17], v[10:11], v[12:13] op_sel_hi:[1,0,1]
	s_nop 0
	v_mov_b32_e32 v19, v11
	v_pk_add_f32 v[10:11], v[4:5], v[18:19] neg_lo:[0,1] neg_hi:[0,1]
	s_nop 0
	v_mov_b64_e32 v[4:5], v[10:11]
.LBB182_22:                             ;   in Loop: Header=BB182_23 Depth=1
	s_or_b64 exec, exec, s[8:9]
	s_add_u32 s6, s6, 1
	s_addc_u32 s7, s7, 0
	s_cmp_eq_u64 s[2:3], s[6:7]
	v_lshl_add_u64 v[6:7], v[6:7], 0, s[4:5]
	s_cbranch_scc1 .LBB182_38
.LBB182_23:                             ; =>This Inner Loop Header: Depth=1
	v_cmp_eq_u64_e32 vcc, s[6:7], v[2:3]
	v_mov_b64_e32 v[4:5], v[10:11]
	s_barrier
	s_and_saveexec_b64 s[8:9], vcc
	s_cbranch_execz .LBB182_33
; %bb.24:                               ;   in Loop: Header=BB182_23 Depth=1
	flat_load_dwordx2 v[4:5], v[8:9]
	s_mov_b64 s[10:11], -1
	s_and_b64 vcc, exec, s[12:13]
                                        ; implicit-def: $vgpr12_vgpr13
	s_cbranch_vccz .LBB182_30
; %bb.25:                               ;   in Loop: Header=BB182_23 Depth=1
	s_waitcnt vmcnt(0) lgkmcnt(0)
	v_cmp_ngt_f32_e64 s[10:11], |v4|, |v5|
                                        ; implicit-def: $vgpr12_vgpr13
	s_and_saveexec_b64 s[18:19], s[10:11]
	s_xor_b64 s[10:11], exec, s[18:19]
	s_cbranch_execz .LBB182_27
; %bb.26:                               ;   in Loop: Header=BB182_23 Depth=1
	v_div_scale_f32 v12, s[18:19], v5, v5, v4
	v_rcp_f32_e32 v13, v12
	v_div_scale_f32 v15, vcc, v4, v5, v4
	v_fma_f32 v16, -v12, v13, 1.0
	v_fmac_f32_e32 v13, v16, v13
	v_mul_f32_e32 v16, v15, v13
	v_fma_f32 v17, -v12, v16, v15
	v_fmac_f32_e32 v16, v17, v13
	v_fma_f32 v12, -v12, v16, v15
	v_div_fmas_f32 v12, v12, v13, v16
	v_div_fixup_f32 v12, v12, v5, v4
	v_fma_f32 v13, v4, v12, v5
	v_div_scale_f32 v15, s[18:19], v13, v13, 1.0
	v_rcp_f32_e32 v16, v15
	s_nop 0
	v_fma_f32 v17, -v15, v16, 1.0
	v_fmac_f32_e32 v16, v17, v16
	v_div_scale_f32 v17, vcc, 1.0, v13, 1.0
	v_mul_f32_e32 v18, v17, v16
	v_fma_f32 v19, -v15, v18, v17
	v_fmac_f32_e32 v18, v19, v16
	v_fma_f32 v15, -v15, v18, v17
	v_div_fmas_f32 v15, v15, v16, v18
	v_div_fixup_f32 v13, v15, v13, 1.0
	v_mul_f32_e32 v12, v12, v13
	v_xor_b32_e32 v13, 0x80000000, v13
.LBB182_27:                             ;   in Loop: Header=BB182_23 Depth=1
	s_andn2_saveexec_b64 s[10:11], s[10:11]
	s_cbranch_execz .LBB182_29
; %bb.28:                               ;   in Loop: Header=BB182_23 Depth=1
	v_div_scale_f32 v12, s[18:19], v4, v4, v5
	v_rcp_f32_e32 v13, v12
	v_div_scale_f32 v15, vcc, v5, v4, v5
	v_fma_f32 v16, -v12, v13, 1.0
	v_fmac_f32_e32 v13, v16, v13
	v_mul_f32_e32 v16, v15, v13
	v_fma_f32 v17, -v12, v16, v15
	v_fmac_f32_e32 v16, v17, v13
	v_fma_f32 v12, -v12, v16, v15
	v_div_fmas_f32 v12, v12, v13, v16
	v_div_fixup_f32 v13, v12, v4, v5
	v_fma_f32 v12, v5, v13, v4
	v_div_scale_f32 v15, s[18:19], v12, v12, 1.0
	v_rcp_f32_e32 v16, v15
	s_nop 0
	v_fma_f32 v17, -v15, v16, 1.0
	v_fmac_f32_e32 v16, v17, v16
	v_div_scale_f32 v17, vcc, 1.0, v12, 1.0
	v_mul_f32_e32 v18, v17, v16
	v_fma_f32 v19, -v15, v18, v17
	v_fmac_f32_e32 v18, v19, v16
	v_fma_f32 v15, -v15, v18, v17
	v_div_fmas_f32 v15, v15, v16, v18
	v_div_fixup_f32 v12, v15, v12, 1.0
	v_mul_f32_e64 v13, v13, -v12
.LBB182_29:                             ;   in Loop: Header=BB182_23 Depth=1
	s_or_b64 exec, exec, s[10:11]
	s_mov_b64 s[10:11], 0
.LBB182_30:                             ;   in Loop: Header=BB182_23 Depth=1
	s_andn2_b64 vcc, exec, s[10:11]
	s_cbranch_vccnz .LBB182_32
; %bb.31:                               ;   in Loop: Header=BB182_23 Depth=1
	s_waitcnt vmcnt(0) lgkmcnt(0)
	v_mov_b64_e32 v[12:13], v[4:5]
.LBB182_32:                             ;   in Loop: Header=BB182_23 Depth=1
	v_pk_mul_f32 v[16:17], v[10:11], v[12:13] op_sel:[1,1] op_sel_hi:[0,1]
	s_waitcnt vmcnt(0) lgkmcnt(0)
	v_pk_fma_f32 v[4:5], v[10:11], v[12:13], v[16:17] op_sel_hi:[1,0,1] neg_lo:[0,0,1] neg_hi:[0,0,1]
	v_pk_fma_f32 v[10:11], v[10:11], v[12:13], v[16:17] op_sel_hi:[1,0,1]
	s_nop 0
	v_mov_b32_e32 v5, v11
	v_mov_b32_e32 v10, v4
	ds_write_b64 v14, v[4:5]
.LBB182_33:                             ;   in Loop: Header=BB182_23 Depth=1
	s_or_b64 exec, exec, s[8:9]
	v_cmp_lt_u64_e32 vcc, s[6:7], v[2:3]
	s_waitcnt lgkmcnt(0)
	s_barrier
	s_and_saveexec_b64 s[8:9], vcc
	s_cbranch_execz .LBB182_22
; %bb.34:                               ;   in Loop: Header=BB182_23 Depth=1
	s_mov_b64 s[10:11], -1
	s_and_b64 vcc, exec, s[0:1]
                                        ; implicit-def: $vgpr10
                                        ; implicit-def: $vgpr12
	s_cbranch_vccz .LBB182_36
; %bb.35:                               ;   in Loop: Header=BB182_23 Depth=1
	flat_load_dwordx2 v[10:11], v[6:7]
	s_mov_b64 s[10:11], 0
	s_waitcnt vmcnt(0) lgkmcnt(0)
	v_mov_b32_e32 v12, v11
.LBB182_36:                             ;   in Loop: Header=BB182_23 Depth=1
	s_andn2_b64 vcc, exec, s[10:11]
	s_cbranch_vccnz .LBB182_21
; %bb.37:                               ;   in Loop: Header=BB182_23 Depth=1
	flat_load_dwordx2 v[10:11], v[6:7]
	s_waitcnt vmcnt(0) lgkmcnt(0)
	v_xor_b32_e32 v12, 0x80000000, v11
	s_branch .LBB182_21
.LBB182_38:
	v_cmp_eq_u64_e32 vcc, s[2:3], v[2:3]
	s_and_saveexec_b64 s[0:1], vcc
	s_cbranch_execz .LBB182_48
; %bb.39:
	v_mad_u64_u32 v[6:7], s[2:3], v2, s14, v[2:3]
	v_mov_b32_e32 v8, v7
	v_mad_u64_u32 v[2:3], s[2:3], v2, s15, v[8:9]
	v_mov_b32_e32 v7, v2
	v_lshl_add_u64 v[2:3], v[6:7], 3, s[16:17]
	flat_load_dwordx2 v[2:3], v[2:3]
	s_and_b64 vcc, exec, s[12:13]
	s_cbranch_vccz .LBB182_45
; %bb.40:
	s_waitcnt vmcnt(0) lgkmcnt(0)
	v_cmp_ngt_f32_e64 s[2:3], |v2|, |v3|
                                        ; implicit-def: $vgpr6_vgpr7
	s_and_saveexec_b64 s[4:5], s[2:3]
	s_xor_b64 s[2:3], exec, s[4:5]
	s_cbranch_execz .LBB182_42
; %bb.41:
	v_div_scale_f32 v6, s[4:5], v3, v3, v2
	v_rcp_f32_e32 v7, v6
	v_div_scale_f32 v8, vcc, v2, v3, v2
	v_fma_f32 v9, -v6, v7, 1.0
	v_fmac_f32_e32 v7, v9, v7
	v_mul_f32_e32 v9, v8, v7
	v_fma_f32 v10, -v6, v9, v8
	v_fmac_f32_e32 v9, v10, v7
	v_fma_f32 v6, -v6, v9, v8
	v_div_fmas_f32 v6, v6, v7, v9
	v_div_fixup_f32 v6, v6, v3, v2
	v_fma_f32 v7, v2, v6, v3
	v_div_scale_f32 v8, s[4:5], v7, v7, 1.0
	v_rcp_f32_e32 v9, v8
	s_nop 0
	v_fma_f32 v10, -v8, v9, 1.0
	v_fmac_f32_e32 v9, v10, v9
	v_div_scale_f32 v10, vcc, 1.0, v7, 1.0
	v_mul_f32_e32 v11, v10, v9
	v_fma_f32 v12, -v8, v11, v10
	v_fmac_f32_e32 v11, v12, v9
	v_fma_f32 v8, -v8, v11, v10
	v_div_fmas_f32 v8, v8, v9, v11
	v_div_fixup_f32 v7, v8, v7, 1.0
	v_mul_f32_e32 v6, v6, v7
	v_xor_b32_e32 v7, 0x80000000, v7
.LBB182_42:
	s_andn2_saveexec_b64 s[2:3], s[2:3]
	s_cbranch_execz .LBB182_44
; %bb.43:
	v_div_scale_f32 v6, s[4:5], v2, v2, v3
	v_rcp_f32_e32 v7, v6
	v_div_scale_f32 v8, vcc, v3, v2, v3
	v_fma_f32 v9, -v6, v7, 1.0
	v_fmac_f32_e32 v7, v9, v7
	v_mul_f32_e32 v9, v8, v7
	v_fma_f32 v10, -v6, v9, v8
	v_fmac_f32_e32 v9, v10, v7
	v_fma_f32 v6, -v6, v9, v8
	v_div_fmas_f32 v6, v6, v7, v9
	v_div_fixup_f32 v7, v6, v2, v3
	v_fma_f32 v6, v3, v7, v2
	v_div_scale_f32 v8, s[4:5], v6, v6, 1.0
	v_rcp_f32_e32 v9, v8
	s_nop 0
	v_fma_f32 v10, -v8, v9, 1.0
	v_fmac_f32_e32 v9, v10, v9
	v_div_scale_f32 v10, vcc, 1.0, v6, 1.0
	v_mul_f32_e32 v11, v10, v9
	v_fma_f32 v12, -v8, v11, v10
	v_fmac_f32_e32 v11, v12, v9
	v_fma_f32 v8, -v8, v11, v10
	v_div_fmas_f32 v8, v8, v9, v11
	v_div_fixup_f32 v6, v8, v6, 1.0
	v_mul_f32_e64 v7, v7, -v6
.LBB182_44:
	s_or_b64 exec, exec, s[2:3]
	s_cbranch_execz .LBB182_46
	s_branch .LBB182_47
.LBB182_45:
                                        ; implicit-def: $vgpr6_vgpr7
.LBB182_46:
	s_waitcnt vmcnt(0) lgkmcnt(0)
	v_mov_b64_e32 v[6:7], v[2:3]
.LBB182_47:
	s_waitcnt vmcnt(0) lgkmcnt(0)
	v_pk_mul_f32 v[2:3], v[4:5], v[6:7] op_sel:[1,1] op_sel_hi:[1,0]
	s_nop 0
	v_pk_fma_f32 v[8:9], v[4:5], v[6:7], v[2:3] neg_lo:[0,0,1] neg_hi:[0,0,1]
	v_pk_fma_f32 v[2:3], v[4:5], v[6:7], v[2:3] op_sel_hi:[0,1,1]
	v_mov_b32_e32 v9, v3
	v_mov_b64_e32 v[4:5], v[8:9]
.LBB182_48:
	s_or_b64 exec, exec, s[0:1]
	flat_store_dwordx2 v[0:1], v[4:5]
.LBB182_49:
	s_endpgm
	.section	.rodata,"a",@progbits
	.p2align	6, 0x0
	.amdhsa_kernel _ZL39rocblas_trsm_block_forward_substitutionI19rocblas_complex_numIfES1_PKPKS1_PKPS1_Lb0ELb1ELb0EEv18rocblas_operation_llT0_T1_lllT2_lllib
		.amdhsa_group_segment_fixed_size 0
		.amdhsa_private_segment_fixed_size 0
		.amdhsa_kernarg_size 360
		.amdhsa_user_sgpr_count 2
		.amdhsa_user_sgpr_dispatch_ptr 0
		.amdhsa_user_sgpr_queue_ptr 0
		.amdhsa_user_sgpr_kernarg_segment_ptr 1
		.amdhsa_user_sgpr_dispatch_id 0
		.amdhsa_user_sgpr_kernarg_preload_length 0
		.amdhsa_user_sgpr_kernarg_preload_offset 0
		.amdhsa_user_sgpr_private_segment_size 0
		.amdhsa_uses_dynamic_stack 0
		.amdhsa_enable_private_segment 0
		.amdhsa_system_sgpr_workgroup_id_x 1
		.amdhsa_system_sgpr_workgroup_id_y 1
		.amdhsa_system_sgpr_workgroup_id_z 1
		.amdhsa_system_sgpr_workgroup_info 0
		.amdhsa_system_vgpr_workitem_id 1
		.amdhsa_next_free_vgpr 20
		.amdhsa_next_free_sgpr 32
		.amdhsa_accum_offset 20
		.amdhsa_reserve_vcc 1
		.amdhsa_float_round_mode_32 0
		.amdhsa_float_round_mode_16_64 0
		.amdhsa_float_denorm_mode_32 3
		.amdhsa_float_denorm_mode_16_64 3
		.amdhsa_dx10_clamp 1
		.amdhsa_ieee_mode 1
		.amdhsa_fp16_overflow 0
		.amdhsa_tg_split 0
		.amdhsa_exception_fp_ieee_invalid_op 0
		.amdhsa_exception_fp_denorm_src 0
		.amdhsa_exception_fp_ieee_div_zero 0
		.amdhsa_exception_fp_ieee_overflow 0
		.amdhsa_exception_fp_ieee_underflow 0
		.amdhsa_exception_fp_ieee_inexact 0
		.amdhsa_exception_int_div_zero 0
	.end_amdhsa_kernel
	.section	.text._ZL39rocblas_trsm_block_forward_substitutionI19rocblas_complex_numIfES1_PKPKS1_PKPS1_Lb0ELb1ELb0EEv18rocblas_operation_llT0_T1_lllT2_lllib,"axG",@progbits,_ZL39rocblas_trsm_block_forward_substitutionI19rocblas_complex_numIfES1_PKPKS1_PKPS1_Lb0ELb1ELb0EEv18rocblas_operation_llT0_T1_lllT2_lllib,comdat
.Lfunc_end182:
	.size	_ZL39rocblas_trsm_block_forward_substitutionI19rocblas_complex_numIfES1_PKPKS1_PKPS1_Lb0ELb1ELb0EEv18rocblas_operation_llT0_T1_lllT2_lllib, .Lfunc_end182-_ZL39rocblas_trsm_block_forward_substitutionI19rocblas_complex_numIfES1_PKPKS1_PKPS1_Lb0ELb1ELb0EEv18rocblas_operation_llT0_T1_lllT2_lllib
                                        ; -- End function
	.set _ZL39rocblas_trsm_block_forward_substitutionI19rocblas_complex_numIfES1_PKPKS1_PKPS1_Lb0ELb1ELb0EEv18rocblas_operation_llT0_T1_lllT2_lllib.num_vgpr, 20
	.set _ZL39rocblas_trsm_block_forward_substitutionI19rocblas_complex_numIfES1_PKPKS1_PKPS1_Lb0ELb1ELb0EEv18rocblas_operation_llT0_T1_lllT2_lllib.num_agpr, 0
	.set _ZL39rocblas_trsm_block_forward_substitutionI19rocblas_complex_numIfES1_PKPKS1_PKPS1_Lb0ELb1ELb0EEv18rocblas_operation_llT0_T1_lllT2_lllib.numbered_sgpr, 32
	.set _ZL39rocblas_trsm_block_forward_substitutionI19rocblas_complex_numIfES1_PKPKS1_PKPS1_Lb0ELb1ELb0EEv18rocblas_operation_llT0_T1_lllT2_lllib.num_named_barrier, 0
	.set _ZL39rocblas_trsm_block_forward_substitutionI19rocblas_complex_numIfES1_PKPKS1_PKPS1_Lb0ELb1ELb0EEv18rocblas_operation_llT0_T1_lllT2_lllib.private_seg_size, 0
	.set _ZL39rocblas_trsm_block_forward_substitutionI19rocblas_complex_numIfES1_PKPKS1_PKPS1_Lb0ELb1ELb0EEv18rocblas_operation_llT0_T1_lllT2_lllib.uses_vcc, 1
	.set _ZL39rocblas_trsm_block_forward_substitutionI19rocblas_complex_numIfES1_PKPKS1_PKPS1_Lb0ELb1ELb0EEv18rocblas_operation_llT0_T1_lllT2_lllib.uses_flat_scratch, 0
	.set _ZL39rocblas_trsm_block_forward_substitutionI19rocblas_complex_numIfES1_PKPKS1_PKPS1_Lb0ELb1ELb0EEv18rocblas_operation_llT0_T1_lllT2_lllib.has_dyn_sized_stack, 0
	.set _ZL39rocblas_trsm_block_forward_substitutionI19rocblas_complex_numIfES1_PKPKS1_PKPS1_Lb0ELb1ELb0EEv18rocblas_operation_llT0_T1_lllT2_lllib.has_recursion, 0
	.set _ZL39rocblas_trsm_block_forward_substitutionI19rocblas_complex_numIfES1_PKPKS1_PKPS1_Lb0ELb1ELb0EEv18rocblas_operation_llT0_T1_lllT2_lllib.has_indirect_call, 0
	.section	.AMDGPU.csdata,"",@progbits
; Kernel info:
; codeLenInByte = 2328
; TotalNumSgprs: 38
; NumVgprs: 20
; NumAgprs: 0
; TotalNumVgprs: 20
; ScratchSize: 0
; MemoryBound: 0
; FloatMode: 240
; IeeeMode: 1
; LDSByteSize: 0 bytes/workgroup (compile time only)
; SGPRBlocks: 4
; VGPRBlocks: 2
; NumSGPRsForWavesPerEU: 38
; NumVGPRsForWavesPerEU: 20
; AccumOffset: 20
; Occupancy: 8
; WaveLimiterHint : 1
; COMPUTE_PGM_RSRC2:SCRATCH_EN: 0
; COMPUTE_PGM_RSRC2:USER_SGPR: 2
; COMPUTE_PGM_RSRC2:TRAP_HANDLER: 0
; COMPUTE_PGM_RSRC2:TGID_X_EN: 1
; COMPUTE_PGM_RSRC2:TGID_Y_EN: 1
; COMPUTE_PGM_RSRC2:TGID_Z_EN: 1
; COMPUTE_PGM_RSRC2:TIDIG_COMP_CNT: 1
; COMPUTE_PGM_RSRC3_GFX90A:ACCUM_OFFSET: 4
; COMPUTE_PGM_RSRC3_GFX90A:TG_SPLIT: 0
	.section	.text._ZL40rocblas_trsm_block_backward_substitutionI19rocblas_complex_numIfES1_PKPKS1_PKPS1_Lb0ELb1ELb0EEv18rocblas_operation_llT0_T1_lllT2_lllib,"axG",@progbits,_ZL40rocblas_trsm_block_backward_substitutionI19rocblas_complex_numIfES1_PKPKS1_PKPS1_Lb0ELb1ELb0EEv18rocblas_operation_llT0_T1_lllT2_lllib,comdat
	.globl	_ZL40rocblas_trsm_block_backward_substitutionI19rocblas_complex_numIfES1_PKPKS1_PKPS1_Lb0ELb1ELb0EEv18rocblas_operation_llT0_T1_lllT2_lllib ; -- Begin function _ZL40rocblas_trsm_block_backward_substitutionI19rocblas_complex_numIfES1_PKPKS1_PKPS1_Lb0ELb1ELb0EEv18rocblas_operation_llT0_T1_lllT2_lllib
	.p2align	8
	.type	_ZL40rocblas_trsm_block_backward_substitutionI19rocblas_complex_numIfES1_PKPKS1_PKPS1_Lb0ELb1ELb0EEv18rocblas_operation_llT0_T1_lllT2_lllib,@function
_ZL40rocblas_trsm_block_backward_substitutionI19rocblas_complex_numIfES1_PKPKS1_PKPS1_Lb0ELb1ELb0EEv18rocblas_operation_llT0_T1_lllT2_lllib: ; @_ZL40rocblas_trsm_block_backward_substitutionI19rocblas_complex_numIfES1_PKPKS1_PKPS1_Lb0ELb1ELb0EEv18rocblas_operation_llT0_T1_lllT2_lllib
; %bb.0:
	s_load_dword s2, s[0:1], 0x64
	s_load_dwordx4 s[8:11], s[0:1], 0x8
	s_load_dwordx4 s[20:23], s[0:1], 0x20
	s_load_dword s24, s[0:1], 0x74
	s_mov_b32 s5, 0
	s_waitcnt lgkmcnt(0)
	s_bitcmp1_b32 s2, 0
	s_cselect_b64 s[6:7], -1, 0
	s_xor_b64 s[16:17], s[6:7], -1
	s_lshl_b64 s[4:5], s[4:5], 3
	s_add_u32 s6, s20, s4
	s_addc_u32 s7, s21, s5
	s_load_dwordx2 s[20:21], s[6:7], 0x0
	s_load_dwordx2 s[28:29], s[0:1], 0x30
	s_load_dwordx4 s[12:15], s[0:1], 0x40
	s_load_dwordx2 s[18:19], s[0:1], 0x50
	s_lshl_b64 s[6:7], s[22:23], 3
	s_waitcnt lgkmcnt(0)
	s_add_u32 s6, s20, s6
	s_addc_u32 s7, s21, s7
	s_add_u32 s4, s12, s4
	s_addc_u32 s5, s13, s5
	s_load_dwordx2 s[20:21], s[4:5], 0x0
	s_add_u32 s22, s0, 0x68
	v_and_b32_e32 v2, 0x3ff, v0
	v_bfe_u32 v12, v0, 10, 10
	s_addc_u32 s23, s1, 0
	s_lshr_b32 s2, s24, 16
	s_mov_b64 s[4:5], 1
	s_and_b64 vcc, exec, s[16:17]
	s_cbranch_vccnz .LBB183_15
; %bb.1:
	s_lshl_b32 s4, s2, 3
	s_add_i32 s24, s4, 0
	v_cmp_lt_i64_e64 s[4:5], s[8:9], 1
	s_mov_b64 s[12:13], 1
	s_and_b64 vcc, exec, s[4:5]
	s_cbranch_vccnz .LBB183_16
; %bb.2:
	v_mad_u64_u32 v[0:1], s[30:31], s28, v2, 0
	v_mov_b32_e32 v6, v1
	v_mad_u64_u32 v[6:7], s[28:29], s29, v2, v[6:7]
	v_mov_b32_e32 v3, 0
	v_mov_b32_e32 v1, v6
	v_lshlrev_b32_e32 v4, 3, v2
	v_cmp_le_u64_e64 s[26:27], s[8:9], v[2:3]
	v_lshl_add_u64 v[0:1], v[0:1], 3, s[6:7]
	v_mov_b32_e32 v5, v3
	v_add_u32_e32 v13, s24, v4
	v_cmp_gt_u64_e64 s[4:5], s[8:9], v[2:3]
	v_lshl_add_u64 v[4:5], v[0:1], 0, v[4:5]
	s_xor_b64 s[28:29], s[26:27], -1
	s_mov_b32 s25, s2
	v_mov_b32_e32 v6, v12
	s_branch .LBB183_5
.LBB183_3:                              ;   in Loop: Header=BB183_5 Depth=1
	s_or_b64 exec, exec, s[30:31]
	s_load_dword s30, s[22:23], 0xc
	s_waitcnt lgkmcnt(0)
	s_and_b32 s30, s30, 0xffff
	v_mul_u32_u24_e32 v3, s30, v2
	v_lshl_add_u32 v3, v3, 3, v13
	ds_write_b64 v3, v[10:11]
.LBB183_4:                              ;   in Loop: Header=BB183_5 Depth=1
	s_or_b64 exec, exec, s[6:7]
	s_ashr_i32 s6, s25, 31
	v_mov_b32_e32 v8, s25
	v_mov_b32_e32 v9, s6
	v_cmp_le_i64_e32 vcc, s[8:9], v[8:9]
	v_add_u32_e32 v6, s2, v6
	s_add_i32 s25, s25, s2
	s_cbranch_vccnz .LBB183_16
.LBB183_5:                              ; =>This Inner Loop Header: Depth=1
	s_mov_b64 s[34:35], s[26:27]
	s_and_saveexec_b64 s[30:31], s[4:5]
	s_cbranch_execz .LBB183_9
; %bb.6:                                ;   in Loop: Header=BB183_5 Depth=1
	v_ashrrev_i32_e32 v7, 31, v6
	v_cmp_gt_i64_e32 vcc, s[8:9], v[6:7]
	v_cmp_lt_i32_e64 s[6:7], v2, v6
	s_and_b64 s[36:37], s[6:7], vcc
	s_mov_b64 s[34:35], -1
	s_and_saveexec_b64 s[6:7], s[36:37]
	s_cbranch_execz .LBB183_8
; %bb.7:                                ;   in Loop: Header=BB183_5 Depth=1
	v_lshl_add_u64 v[8:9], v[6:7], 3, v[0:1]
	flat_load_dwordx2 v[8:9], v[8:9]
	s_load_dword s33, s[22:23], 0xc
	s_xor_b64 s[34:35], exec, -1
	s_waitcnt lgkmcnt(0)
	s_and_b32 s33, s33, 0xffff
	v_mul_lo_u32 v3, v6, s33
	v_lshl_add_u32 v3, v3, 3, v13
	s_waitcnt vmcnt(0)
	ds_write_b64 v3, v[8:9]
.LBB183_8:                              ;   in Loop: Header=BB183_5 Depth=1
	s_or_b64 exec, exec, s[6:7]
	s_andn2_b64 s[6:7], s[26:27], exec
	s_and_b64 s[34:35], s[34:35], exec
	s_or_b64 s[34:35], s[6:7], s[34:35]
.LBB183_9:                              ;   in Loop: Header=BB183_5 Depth=1
	s_or_b64 exec, exec, s[30:31]
	s_and_saveexec_b64 s[6:7], s[34:35]
	s_cbranch_execz .LBB183_4
; %bb.10:                               ;   in Loop: Header=BB183_5 Depth=1
	v_cmp_eq_u32_e32 vcc, v2, v6
	s_and_b64 s[30:31], s[28:29], vcc
	s_and_b64 exec, exec, s[30:31]
	s_cbranch_execz .LBB183_4
; %bb.11:                               ;   in Loop: Header=BB183_5 Depth=1
	flat_load_dwordx2 v[8:9], v[4:5]
                                        ; implicit-def: $vgpr10_vgpr11
	s_waitcnt vmcnt(0) lgkmcnt(0)
	v_cmp_ngt_f32_e64 s[30:31], |v8|, |v9|
	s_and_saveexec_b64 s[34:35], s[30:31]
	s_xor_b64 s[30:31], exec, s[34:35]
	s_cbranch_execz .LBB183_13
; %bb.12:                               ;   in Loop: Header=BB183_5 Depth=1
	v_div_scale_f32 v3, s[34:35], v9, v9, v8
	v_rcp_f32_e32 v7, v3
	v_div_scale_f32 v10, vcc, v8, v9, v8
	v_fma_f32 v11, -v3, v7, 1.0
	v_fmac_f32_e32 v7, v11, v7
	v_mul_f32_e32 v11, v10, v7
	v_fma_f32 v14, -v3, v11, v10
	v_fmac_f32_e32 v11, v14, v7
	v_fma_f32 v3, -v3, v11, v10
	v_div_fmas_f32 v3, v3, v7, v11
	v_div_fixup_f32 v3, v3, v9, v8
	v_fmac_f32_e32 v9, v8, v3
	v_div_scale_f32 v7, s[34:35], v9, v9, 1.0
	v_rcp_f32_e32 v8, v7
	s_nop 0
	v_fma_f32 v10, -v7, v8, 1.0
	v_fmac_f32_e32 v8, v10, v8
	v_div_scale_f32 v10, vcc, 1.0, v9, 1.0
	v_mul_f32_e32 v11, v10, v8
	v_fma_f32 v14, -v7, v11, v10
	v_fmac_f32_e32 v11, v14, v8
	v_fma_f32 v7, -v7, v11, v10
	v_div_fmas_f32 v7, v7, v8, v11
	v_div_fixup_f32 v7, v7, v9, 1.0
	v_mul_f32_e32 v10, v3, v7
	v_xor_b32_e32 v11, 0x80000000, v7
                                        ; implicit-def: $vgpr8_vgpr9
.LBB183_13:                             ;   in Loop: Header=BB183_5 Depth=1
	s_andn2_saveexec_b64 s[30:31], s[30:31]
	s_cbranch_execz .LBB183_3
; %bb.14:                               ;   in Loop: Header=BB183_5 Depth=1
	v_div_scale_f32 v3, s[34:35], v8, v8, v9
	v_rcp_f32_e32 v7, v3
	v_div_scale_f32 v10, vcc, v9, v8, v9
	v_fma_f32 v11, -v3, v7, 1.0
	v_fmac_f32_e32 v7, v11, v7
	v_mul_f32_e32 v11, v10, v7
	v_fma_f32 v14, -v3, v11, v10
	v_fmac_f32_e32 v11, v14, v7
	v_fma_f32 v3, -v3, v11, v10
	v_div_fmas_f32 v3, v3, v7, v11
	v_div_fixup_f32 v3, v3, v8, v9
	v_fmac_f32_e32 v8, v9, v3
	v_div_scale_f32 v7, s[34:35], v8, v8, 1.0
	v_rcp_f32_e32 v9, v7
	s_nop 0
	v_fma_f32 v10, -v7, v9, 1.0
	v_fmac_f32_e32 v9, v10, v9
	v_div_scale_f32 v10, vcc, 1.0, v8, 1.0
	v_mul_f32_e32 v11, v10, v9
	v_fma_f32 v14, -v7, v11, v10
	v_fmac_f32_e32 v11, v14, v9
	v_fma_f32 v7, -v7, v11, v10
	v_div_fmas_f32 v7, v7, v9, v11
	v_div_fixup_f32 v10, v7, v8, 1.0
	v_mul_f32_e64 v11, v3, -v10
	s_branch .LBB183_3
.LBB183_15:
	s_mov_b64 s[12:13], s[28:29]
	s_branch .LBB183_17
.LBB183_16:
	s_load_dword s4, s[22:23], 0xc
	s_mov_b64 s[6:7], src_shared_base
	s_mov_b32 s25, s7
	s_mov_b32 s5, 0
	s_mov_b64 s[6:7], s[24:25]
	s_waitcnt lgkmcnt(0)
	s_and_b32 s4, s4, 0xffff
.LBB183_17:
	s_load_dwordx2 s[22:23], s[0:1], 0x18
	s_mul_i32 s3, s3, s2
	v_add_u32_e32 v0, s3, v12
	v_mov_b32_e32 v1, 0
	v_cmp_gt_i64_e32 vcc, s[10:11], v[0:1]
	s_and_saveexec_b64 s[2:3], vcc
	s_cbranch_execz .LBB183_51
; %bb.18:
	v_mov_b32_e32 v3, v1
	v_cmp_gt_i64_e32 vcc, s[8:9], v[2:3]
	s_and_b64 exec, exec, vcc
	s_cbranch_execz .LBB183_51
; %bb.19:
	v_mad_u64_u32 v[4:5], s[10:11], s18, v0, 0
	s_lshl_b64 s[2:3], s[14:15], 3
	v_mov_b32_e32 v6, v5
	s_waitcnt lgkmcnt(0)
	s_add_u32 s2, s20, s2
	v_mad_u64_u32 v[0:1], s[10:11], s19, v0, v[6:7]
	s_addc_u32 s3, s21, s3
	v_mov_b32_e32 v5, v0
	v_lshl_add_u64 v[0:1], v[4:5], 3, s[2:3]
	v_lshlrev_b32_e32 v4, 3, v2
	v_mov_b32_e32 v5, 0
	v_lshl_add_u64 v[0:1], v[0:1], 0, v[4:5]
	flat_load_dwordx2 v[4:5], v[0:1]
	v_cmp_gt_u64_e64 s[2:3], s[8:9], 1
	s_and_b64 vcc, exec, s[2:3]
	s_waitcnt vmcnt(0) lgkmcnt(0)
	v_pk_mul_f32 v[10:11], s[22:23], v[4:5] op_sel:[1,1] op_sel_hi:[0,1]
	v_pk_mul_f32 v[8:9], s[22:23], v[4:5]
	v_pk_fma_f32 v[6:7], s[22:23], v[4:5], v[10:11] op_sel_hi:[1,0,1]
	s_nop 0
	v_sub_f32_e32 v6, v8, v10
	s_cbranch_vccnz .LBB183_21
; %bb.20:
	v_mov_b64_e32 v[8:9], v[6:7]
	s_cbranch_execz .LBB183_22
	s_branch .LBB183_40
.LBB183_21:
                                        ; implicit-def: $vgpr8_vgpr9
.LBB183_22:
	s_load_dword s0, s[0:1], 0x0
	v_lshl_add_u32 v14, v12, 3, 0
	s_waitcnt lgkmcnt(0)
	s_cmpk_lg_i32 s0, 0x71
	s_cselect_b64 s[0:1], -1, 0
	s_add_u32 s2, s4, s12
	v_mad_u64_u32 v[4:5], s[2:3], s2, v2, 0
	s_addc_u32 s10, s5, s13
	v_mov_b32_e32 v8, v5
	v_mad_u64_u32 v[8:9], s[2:3], s10, v2, v[8:9]
	s_add_u32 s2, s8, -1
	s_addc_u32 s3, s9, -1
	s_mul_i32 s8, s4, s3
	s_mul_hi_u32 s9, s4, s2
	v_mov_b32_e32 v5, v8
	s_add_i32 s9, s9, s8
	s_mul_i32 s8, s4, s2
	v_mad_u64_u32 v[8:9], s[10:11], s12, v2, 0
	s_lshl_b64 s[8:9], s[8:9], 3
	v_mov_b32_e32 v10, v9
	v_mad_u64_u32 v[10:11], s[10:11], s13, v2, v[10:11]
	s_add_u32 s8, s6, s8
	v_mov_b32_e32 v9, v10
	s_addc_u32 s9, s7, s9
	v_lshl_add_u64 v[10:11], v[8:9], 3, s[8:9]
	s_lshl_b32 s8, s4, 3
	s_sub_u32 s8, 0, s8
	v_lshl_add_u64 v[4:5], v[4:5], 3, s[6:7]
	s_subb_u32 s9, 0, 0
	s_branch .LBB183_25
.LBB183_23:                             ;   in Loop: Header=BB183_25 Depth=1
	ds_read_b64 v[16:17], v14
	s_waitcnt lgkmcnt(0)
	v_pk_mul_f32 v[12:13], v[12:13], v[16:17] op_sel:[0,1] op_sel_hi:[0,0]
	v_pk_fma_f32 v[18:19], v[16:17], v[6:7], v[12:13] neg_lo:[0,0,1] neg_hi:[0,0,1]
	v_pk_fma_f32 v[6:7], v[16:17], v[6:7], v[12:13] op_sel_hi:[1,0,1]
	s_nop 0
	v_mov_b32_e32 v19, v7
	v_pk_add_f32 v[6:7], v[8:9], v[18:19] neg_lo:[0,1] neg_hi:[0,1]
	s_nop 0
	v_mov_b64_e32 v[8:9], v[6:7]
.LBB183_24:                             ;   in Loop: Header=BB183_25 Depth=1
	s_or_b64 exec, exec, s[10:11]
	s_add_u32 s10, s2, -1
	s_addc_u32 s11, s3, -1
	s_add_u32 s2, s2, 1
	s_addc_u32 s3, s3, 0
	v_cmp_lt_u64_e64 s[2:3], s[2:3], 3
	v_lshl_add_u64 v[10:11], v[10:11], 0, s[8:9]
	s_and_b64 vcc, exec, s[2:3]
	s_mov_b64 s[2:3], s[10:11]
	s_cbranch_vccnz .LBB183_40
.LBB183_25:                             ; =>This Inner Loop Header: Depth=1
	v_cmp_eq_u64_e32 vcc, s[2:3], v[2:3]
	v_mov_b64_e32 v[8:9], v[6:7]
	s_barrier
	s_and_saveexec_b64 s[10:11], vcc
	s_cbranch_execz .LBB183_35
; %bb.26:                               ;   in Loop: Header=BB183_25 Depth=1
	flat_load_dwordx2 v[8:9], v[4:5]
	s_mov_b64 s[14:15], -1
	s_and_b64 vcc, exec, s[16:17]
                                        ; implicit-def: $vgpr12_vgpr13
	s_cbranch_vccz .LBB183_32
; %bb.27:                               ;   in Loop: Header=BB183_25 Depth=1
	s_waitcnt vmcnt(0) lgkmcnt(0)
	v_cmp_ngt_f32_e64 s[14:15], |v8|, |v9|
                                        ; implicit-def: $vgpr12_vgpr13
	s_and_saveexec_b64 s[18:19], s[14:15]
	s_xor_b64 s[14:15], exec, s[18:19]
	s_cbranch_execz .LBB183_29
; %bb.28:                               ;   in Loop: Header=BB183_25 Depth=1
	v_div_scale_f32 v12, s[18:19], v9, v9, v8
	v_rcp_f32_e32 v13, v12
	v_div_scale_f32 v15, vcc, v8, v9, v8
	v_fma_f32 v16, -v12, v13, 1.0
	v_fmac_f32_e32 v13, v16, v13
	v_mul_f32_e32 v16, v15, v13
	v_fma_f32 v17, -v12, v16, v15
	v_fmac_f32_e32 v16, v17, v13
	v_fma_f32 v12, -v12, v16, v15
	v_div_fmas_f32 v12, v12, v13, v16
	v_div_fixup_f32 v12, v12, v9, v8
	v_fma_f32 v13, v8, v12, v9
	v_div_scale_f32 v15, s[18:19], v13, v13, 1.0
	v_rcp_f32_e32 v16, v15
	s_nop 0
	v_fma_f32 v17, -v15, v16, 1.0
	v_fmac_f32_e32 v16, v17, v16
	v_div_scale_f32 v17, vcc, 1.0, v13, 1.0
	v_mul_f32_e32 v18, v17, v16
	v_fma_f32 v19, -v15, v18, v17
	v_fmac_f32_e32 v18, v19, v16
	v_fma_f32 v15, -v15, v18, v17
	v_div_fmas_f32 v15, v15, v16, v18
	v_div_fixup_f32 v13, v15, v13, 1.0
	v_mul_f32_e32 v12, v12, v13
	v_xor_b32_e32 v13, 0x80000000, v13
.LBB183_29:                             ;   in Loop: Header=BB183_25 Depth=1
	s_andn2_saveexec_b64 s[14:15], s[14:15]
	s_cbranch_execz .LBB183_31
; %bb.30:                               ;   in Loop: Header=BB183_25 Depth=1
	v_div_scale_f32 v12, s[18:19], v8, v8, v9
	v_rcp_f32_e32 v13, v12
	v_div_scale_f32 v15, vcc, v9, v8, v9
	v_fma_f32 v16, -v12, v13, 1.0
	v_fmac_f32_e32 v13, v16, v13
	v_mul_f32_e32 v16, v15, v13
	v_fma_f32 v17, -v12, v16, v15
	v_fmac_f32_e32 v16, v17, v13
	v_fma_f32 v12, -v12, v16, v15
	v_div_fmas_f32 v12, v12, v13, v16
	v_div_fixup_f32 v13, v12, v8, v9
	v_fma_f32 v12, v9, v13, v8
	v_div_scale_f32 v15, s[18:19], v12, v12, 1.0
	v_rcp_f32_e32 v16, v15
	s_nop 0
	v_fma_f32 v17, -v15, v16, 1.0
	v_fmac_f32_e32 v16, v17, v16
	v_div_scale_f32 v17, vcc, 1.0, v12, 1.0
	v_mul_f32_e32 v18, v17, v16
	v_fma_f32 v19, -v15, v18, v17
	v_fmac_f32_e32 v18, v19, v16
	v_fma_f32 v15, -v15, v18, v17
	v_div_fmas_f32 v15, v15, v16, v18
	v_div_fixup_f32 v12, v15, v12, 1.0
	v_mul_f32_e64 v13, v13, -v12
.LBB183_31:                             ;   in Loop: Header=BB183_25 Depth=1
	s_or_b64 exec, exec, s[14:15]
	s_mov_b64 s[14:15], 0
.LBB183_32:                             ;   in Loop: Header=BB183_25 Depth=1
	s_andn2_b64 vcc, exec, s[14:15]
	s_cbranch_vccnz .LBB183_34
; %bb.33:                               ;   in Loop: Header=BB183_25 Depth=1
	s_waitcnt vmcnt(0) lgkmcnt(0)
	v_mov_b64_e32 v[12:13], v[8:9]
.LBB183_34:                             ;   in Loop: Header=BB183_25 Depth=1
	v_pk_mul_f32 v[16:17], v[6:7], v[12:13] op_sel:[1,1] op_sel_hi:[0,1]
	s_waitcnt vmcnt(0) lgkmcnt(0)
	v_pk_fma_f32 v[8:9], v[6:7], v[12:13], v[16:17] op_sel_hi:[1,0,1] neg_lo:[0,0,1] neg_hi:[0,0,1]
	v_pk_fma_f32 v[6:7], v[6:7], v[12:13], v[16:17] op_sel_hi:[1,0,1]
	s_nop 0
	v_mov_b32_e32 v9, v7
	v_mov_b32_e32 v6, v8
	ds_write_b64 v14, v[8:9]
.LBB183_35:                             ;   in Loop: Header=BB183_25 Depth=1
	s_or_b64 exec, exec, s[10:11]
	v_cmp_gt_i64_e32 vcc, s[2:3], v[2:3]
	s_waitcnt lgkmcnt(0)
	s_barrier
	s_and_saveexec_b64 s[10:11], vcc
	s_cbranch_execz .LBB183_24
; %bb.36:                               ;   in Loop: Header=BB183_25 Depth=1
	s_mov_b64 s[14:15], -1
	s_and_b64 vcc, exec, s[0:1]
                                        ; implicit-def: $vgpr6
                                        ; implicit-def: $vgpr12
	s_cbranch_vccz .LBB183_38
; %bb.37:                               ;   in Loop: Header=BB183_25 Depth=1
	flat_load_dwordx2 v[6:7], v[10:11]
	s_mov_b64 s[14:15], 0
	s_waitcnt vmcnt(0) lgkmcnt(0)
	v_mov_b32_e32 v12, v7
.LBB183_38:                             ;   in Loop: Header=BB183_25 Depth=1
	s_andn2_b64 vcc, exec, s[14:15]
	s_cbranch_vccnz .LBB183_23
; %bb.39:                               ;   in Loop: Header=BB183_25 Depth=1
	flat_load_dwordx2 v[6:7], v[10:11]
	s_waitcnt vmcnt(0) lgkmcnt(0)
	v_xor_b32_e32 v12, 0x80000000, v7
	s_branch .LBB183_23
.LBB183_40:
	v_cmp_eq_u32_e32 vcc, 0, v2
	s_and_saveexec_b64 s[0:1], vcc
	s_cbranch_execz .LBB183_50
; %bb.41:
	s_add_u32 s2, s4, s12
	v_mad_u64_u32 v[4:5], s[2:3], s2, v2, 0
	s_addc_u32 s4, s5, s13
	v_mov_b32_e32 v6, v5
	v_mad_u64_u32 v[2:3], s[2:3], s4, v2, v[6:7]
	v_mov_b32_e32 v5, v2
	v_lshl_add_u64 v[2:3], v[4:5], 3, s[6:7]
	flat_load_dwordx2 v[2:3], v[2:3]
	s_and_b64 vcc, exec, s[16:17]
	s_cbranch_vccz .LBB183_47
; %bb.42:
	s_waitcnt vmcnt(0) lgkmcnt(0)
	v_cmp_ngt_f32_e64 s[2:3], |v2|, |v3|
                                        ; implicit-def: $vgpr4_vgpr5
	s_and_saveexec_b64 s[4:5], s[2:3]
	s_xor_b64 s[2:3], exec, s[4:5]
	s_cbranch_execz .LBB183_44
; %bb.43:
	v_div_scale_f32 v4, s[4:5], v3, v3, v2
	v_rcp_f32_e32 v5, v4
	v_div_scale_f32 v6, vcc, v2, v3, v2
	v_fma_f32 v7, -v4, v5, 1.0
	v_fmac_f32_e32 v5, v7, v5
	v_mul_f32_e32 v7, v6, v5
	v_fma_f32 v10, -v4, v7, v6
	v_fmac_f32_e32 v7, v10, v5
	v_fma_f32 v4, -v4, v7, v6
	v_div_fmas_f32 v4, v4, v5, v7
	v_div_fixup_f32 v4, v4, v3, v2
	v_fma_f32 v5, v2, v4, v3
	v_div_scale_f32 v6, s[4:5], v5, v5, 1.0
	v_rcp_f32_e32 v7, v6
	s_nop 0
	v_fma_f32 v10, -v6, v7, 1.0
	v_fmac_f32_e32 v7, v10, v7
	v_div_scale_f32 v10, vcc, 1.0, v5, 1.0
	v_mul_f32_e32 v11, v10, v7
	v_fma_f32 v12, -v6, v11, v10
	v_fmac_f32_e32 v11, v12, v7
	v_fma_f32 v6, -v6, v11, v10
	v_div_fmas_f32 v6, v6, v7, v11
	v_div_fixup_f32 v5, v6, v5, 1.0
	v_mul_f32_e32 v4, v4, v5
	v_xor_b32_e32 v5, 0x80000000, v5
.LBB183_44:
	s_andn2_saveexec_b64 s[2:3], s[2:3]
	s_cbranch_execz .LBB183_46
; %bb.45:
	v_div_scale_f32 v4, s[4:5], v2, v2, v3
	v_rcp_f32_e32 v5, v4
	v_div_scale_f32 v6, vcc, v3, v2, v3
	v_fma_f32 v7, -v4, v5, 1.0
	v_fmac_f32_e32 v5, v7, v5
	v_mul_f32_e32 v7, v6, v5
	v_fma_f32 v10, -v4, v7, v6
	v_fmac_f32_e32 v7, v10, v5
	v_fma_f32 v4, -v4, v7, v6
	v_div_fmas_f32 v4, v4, v5, v7
	v_div_fixup_f32 v5, v4, v2, v3
	v_fma_f32 v4, v3, v5, v2
	v_div_scale_f32 v6, s[4:5], v4, v4, 1.0
	v_rcp_f32_e32 v7, v6
	s_nop 0
	v_fma_f32 v10, -v6, v7, 1.0
	v_fmac_f32_e32 v7, v10, v7
	v_div_scale_f32 v10, vcc, 1.0, v4, 1.0
	v_mul_f32_e32 v11, v10, v7
	v_fma_f32 v12, -v6, v11, v10
	v_fmac_f32_e32 v11, v12, v7
	v_fma_f32 v6, -v6, v11, v10
	v_div_fmas_f32 v6, v6, v7, v11
	v_div_fixup_f32 v4, v6, v4, 1.0
	v_mul_f32_e64 v5, v5, -v4
.LBB183_46:
	s_or_b64 exec, exec, s[2:3]
	s_cbranch_execz .LBB183_48
	s_branch .LBB183_49
.LBB183_47:
                                        ; implicit-def: $vgpr4_vgpr5
.LBB183_48:
	s_waitcnt vmcnt(0) lgkmcnt(0)
	v_mov_b64_e32 v[4:5], v[2:3]
.LBB183_49:
	s_waitcnt vmcnt(0) lgkmcnt(0)
	v_pk_mul_f32 v[2:3], v[8:9], v[4:5] op_sel:[1,1] op_sel_hi:[1,0]
	s_nop 0
	v_pk_fma_f32 v[6:7], v[8:9], v[4:5], v[2:3] neg_lo:[0,0,1] neg_hi:[0,0,1]
	v_pk_fma_f32 v[2:3], v[8:9], v[4:5], v[2:3] op_sel_hi:[0,1,1]
	v_mov_b32_e32 v7, v3
	v_mov_b64_e32 v[8:9], v[6:7]
.LBB183_50:
	s_or_b64 exec, exec, s[0:1]
	flat_store_dwordx2 v[0:1], v[8:9]
.LBB183_51:
	s_endpgm
	.section	.rodata,"a",@progbits
	.p2align	6, 0x0
	.amdhsa_kernel _ZL40rocblas_trsm_block_backward_substitutionI19rocblas_complex_numIfES1_PKPKS1_PKPS1_Lb0ELb1ELb0EEv18rocblas_operation_llT0_T1_lllT2_lllib
		.amdhsa_group_segment_fixed_size 0
		.amdhsa_private_segment_fixed_size 0
		.amdhsa_kernarg_size 360
		.amdhsa_user_sgpr_count 2
		.amdhsa_user_sgpr_dispatch_ptr 0
		.amdhsa_user_sgpr_queue_ptr 0
		.amdhsa_user_sgpr_kernarg_segment_ptr 1
		.amdhsa_user_sgpr_dispatch_id 0
		.amdhsa_user_sgpr_kernarg_preload_length 0
		.amdhsa_user_sgpr_kernarg_preload_offset 0
		.amdhsa_user_sgpr_private_segment_size 0
		.amdhsa_uses_dynamic_stack 0
		.amdhsa_enable_private_segment 0
		.amdhsa_system_sgpr_workgroup_id_x 1
		.amdhsa_system_sgpr_workgroup_id_y 1
		.amdhsa_system_sgpr_workgroup_id_z 1
		.amdhsa_system_sgpr_workgroup_info 0
		.amdhsa_system_vgpr_workitem_id 1
		.amdhsa_next_free_vgpr 20
		.amdhsa_next_free_sgpr 38
		.amdhsa_accum_offset 20
		.amdhsa_reserve_vcc 1
		.amdhsa_float_round_mode_32 0
		.amdhsa_float_round_mode_16_64 0
		.amdhsa_float_denorm_mode_32 3
		.amdhsa_float_denorm_mode_16_64 3
		.amdhsa_dx10_clamp 1
		.amdhsa_ieee_mode 1
		.amdhsa_fp16_overflow 0
		.amdhsa_tg_split 0
		.amdhsa_exception_fp_ieee_invalid_op 0
		.amdhsa_exception_fp_denorm_src 0
		.amdhsa_exception_fp_ieee_div_zero 0
		.amdhsa_exception_fp_ieee_overflow 0
		.amdhsa_exception_fp_ieee_underflow 0
		.amdhsa_exception_fp_ieee_inexact 0
		.amdhsa_exception_int_div_zero 0
	.end_amdhsa_kernel
	.section	.text._ZL40rocblas_trsm_block_backward_substitutionI19rocblas_complex_numIfES1_PKPKS1_PKPS1_Lb0ELb1ELb0EEv18rocblas_operation_llT0_T1_lllT2_lllib,"axG",@progbits,_ZL40rocblas_trsm_block_backward_substitutionI19rocblas_complex_numIfES1_PKPKS1_PKPS1_Lb0ELb1ELb0EEv18rocblas_operation_llT0_T1_lllT2_lllib,comdat
.Lfunc_end183:
	.size	_ZL40rocblas_trsm_block_backward_substitutionI19rocblas_complex_numIfES1_PKPKS1_PKPS1_Lb0ELb1ELb0EEv18rocblas_operation_llT0_T1_lllT2_lllib, .Lfunc_end183-_ZL40rocblas_trsm_block_backward_substitutionI19rocblas_complex_numIfES1_PKPKS1_PKPS1_Lb0ELb1ELb0EEv18rocblas_operation_llT0_T1_lllT2_lllib
                                        ; -- End function
	.set _ZL40rocblas_trsm_block_backward_substitutionI19rocblas_complex_numIfES1_PKPKS1_PKPS1_Lb0ELb1ELb0EEv18rocblas_operation_llT0_T1_lllT2_lllib.num_vgpr, 20
	.set _ZL40rocblas_trsm_block_backward_substitutionI19rocblas_complex_numIfES1_PKPKS1_PKPS1_Lb0ELb1ELb0EEv18rocblas_operation_llT0_T1_lllT2_lllib.num_agpr, 0
	.set _ZL40rocblas_trsm_block_backward_substitutionI19rocblas_complex_numIfES1_PKPKS1_PKPS1_Lb0ELb1ELb0EEv18rocblas_operation_llT0_T1_lllT2_lllib.numbered_sgpr, 38
	.set _ZL40rocblas_trsm_block_backward_substitutionI19rocblas_complex_numIfES1_PKPKS1_PKPS1_Lb0ELb1ELb0EEv18rocblas_operation_llT0_T1_lllT2_lllib.num_named_barrier, 0
	.set _ZL40rocblas_trsm_block_backward_substitutionI19rocblas_complex_numIfES1_PKPKS1_PKPS1_Lb0ELb1ELb0EEv18rocblas_operation_llT0_T1_lllT2_lllib.private_seg_size, 0
	.set _ZL40rocblas_trsm_block_backward_substitutionI19rocblas_complex_numIfES1_PKPKS1_PKPS1_Lb0ELb1ELb0EEv18rocblas_operation_llT0_T1_lllT2_lllib.uses_vcc, 1
	.set _ZL40rocblas_trsm_block_backward_substitutionI19rocblas_complex_numIfES1_PKPKS1_PKPS1_Lb0ELb1ELb0EEv18rocblas_operation_llT0_T1_lllT2_lllib.uses_flat_scratch, 0
	.set _ZL40rocblas_trsm_block_backward_substitutionI19rocblas_complex_numIfES1_PKPKS1_PKPS1_Lb0ELb1ELb0EEv18rocblas_operation_llT0_T1_lllT2_lllib.has_dyn_sized_stack, 0
	.set _ZL40rocblas_trsm_block_backward_substitutionI19rocblas_complex_numIfES1_PKPKS1_PKPS1_Lb0ELb1ELb0EEv18rocblas_operation_llT0_T1_lllT2_lllib.has_recursion, 0
	.set _ZL40rocblas_trsm_block_backward_substitutionI19rocblas_complex_numIfES1_PKPKS1_PKPS1_Lb0ELb1ELb0EEv18rocblas_operation_llT0_T1_lllT2_lllib.has_indirect_call, 0
	.section	.AMDGPU.csdata,"",@progbits
; Kernel info:
; codeLenInByte = 2448
; TotalNumSgprs: 44
; NumVgprs: 20
; NumAgprs: 0
; TotalNumVgprs: 20
; ScratchSize: 0
; MemoryBound: 0
; FloatMode: 240
; IeeeMode: 1
; LDSByteSize: 0 bytes/workgroup (compile time only)
; SGPRBlocks: 5
; VGPRBlocks: 2
; NumSGPRsForWavesPerEU: 44
; NumVGPRsForWavesPerEU: 20
; AccumOffset: 20
; Occupancy: 8
; WaveLimiterHint : 1
; COMPUTE_PGM_RSRC2:SCRATCH_EN: 0
; COMPUTE_PGM_RSRC2:USER_SGPR: 2
; COMPUTE_PGM_RSRC2:TRAP_HANDLER: 0
; COMPUTE_PGM_RSRC2:TGID_X_EN: 1
; COMPUTE_PGM_RSRC2:TGID_Y_EN: 1
; COMPUTE_PGM_RSRC2:TGID_Z_EN: 1
; COMPUTE_PGM_RSRC2:TIDIG_COMP_CNT: 1
; COMPUTE_PGM_RSRC3_GFX90A:ACCUM_OFFSET: 4
; COMPUTE_PGM_RSRC3_GFX90A:TG_SPLIT: 0
	.section	.text._ZL39rocblas_trsm_block_forward_substitutionI19rocblas_complex_numIfES1_PKPKS1_PKPS1_Lb0ELb1ELb1EEv18rocblas_operation_llT0_T1_lllT2_lllib,"axG",@progbits,_ZL39rocblas_trsm_block_forward_substitutionI19rocblas_complex_numIfES1_PKPKS1_PKPS1_Lb0ELb1ELb1EEv18rocblas_operation_llT0_T1_lllT2_lllib,comdat
	.globl	_ZL39rocblas_trsm_block_forward_substitutionI19rocblas_complex_numIfES1_PKPKS1_PKPS1_Lb0ELb1ELb1EEv18rocblas_operation_llT0_T1_lllT2_lllib ; -- Begin function _ZL39rocblas_trsm_block_forward_substitutionI19rocblas_complex_numIfES1_PKPKS1_PKPS1_Lb0ELb1ELb1EEv18rocblas_operation_llT0_T1_lllT2_lllib
	.p2align	8
	.type	_ZL39rocblas_trsm_block_forward_substitutionI19rocblas_complex_numIfES1_PKPKS1_PKPS1_Lb0ELb1ELb1EEv18rocblas_operation_llT0_T1_lllT2_lllib,@function
_ZL39rocblas_trsm_block_forward_substitutionI19rocblas_complex_numIfES1_PKPKS1_PKPS1_Lb0ELb1ELb1EEv18rocblas_operation_llT0_T1_lllT2_lllib: ; @_ZL39rocblas_trsm_block_forward_substitutionI19rocblas_complex_numIfES1_PKPKS1_PKPS1_Lb0ELb1ELb1EEv18rocblas_operation_llT0_T1_lllT2_lllib
; %bb.0:
	s_load_dwordx4 s[12:15], s[0:1], 0x20
	s_mov_b32 s5, 0
	s_lshl_b64 s[18:19], s[4:5], 3
	v_and_b32_e32 v2, 0x3ff, v0
	v_bfe_u32 v6, v0, 10, 10
	s_waitcnt lgkmcnt(0)
	s_add_u32 s16, s12, s18
	s_addc_u32 s17, s13, s19
	s_load_dwordx2 s[20:21], s[16:17], 0x0
	s_load_dwordx4 s[8:11], s[0:1], 0x8
	s_load_dwordx4 s[4:7], s[0:1], 0x40
	s_load_dwordx2 s[12:13], s[0:1], 0x30
	s_lshl_b64 s[14:15], s[14:15], 3
	s_waitcnt lgkmcnt(0)
	s_add_u32 s16, s20, s14
	s_addc_u32 s17, s21, s15
	s_add_u32 s4, s4, s18
	s_addc_u32 s5, s5, s19
	s_load_dwordx2 s[14:15], s[0:1], 0x50
	s_load_dword s22, s[0:1], 0x64
	s_load_dword s2, s[0:1], 0x74
	s_load_dwordx2 s[18:19], s[4:5], 0x0
	s_add_u32 s20, s0, 0x68
	s_addc_u32 s21, s1, 0
	s_waitcnt lgkmcnt(0)
	s_lshr_b32 s2, s2, 16
	s_bitcmp0_b32 s22, 0
	s_cbranch_scc1 .LBB184_7
; %bb.1:
	s_lshl_b32 s4, s2, 3
	s_add_i32 s22, s4, 0
	v_cmp_lt_i64_e64 s[4:5], s[8:9], 1
	s_and_b64 vcc, exec, s[4:5]
	s_cbranch_vccnz .LBB184_6
; %bb.2:
	v_mov_b32_e32 v3, 0
	v_lshlrev_b32_e32 v0, 3, v2
	v_mov_b32_e32 v1, v3
	v_add_u32_e32 v4, s22, v0
	v_cmp_gt_u64_e64 s[4:5], s[8:9], v[2:3]
	v_lshl_add_u64 v[0:1], s[16:17], 0, v[0:1]
	s_mov_b32 s23, 0
	s_branch .LBB184_4
.LBB184_3:                              ;   in Loop: Header=BB184_4 Depth=1
	s_or_b64 exec, exec, s[16:17]
	s_add_i32 s23, s23, s2
	s_ashr_i32 s16, s23, 31
	v_mov_b32_e32 v8, s23
	v_mov_b32_e32 v9, s16
	v_cmp_le_i64_e32 vcc, s[8:9], v[8:9]
	s_cbranch_vccnz .LBB184_6
.LBB184_4:                              ; =>This Inner Loop Header: Depth=1
	v_add_u32_e32 v3, s23, v6
	v_cmp_gt_i32_e32 vcc, v2, v3
	s_and_b64 s[24:25], s[4:5], vcc
	s_and_saveexec_b64 s[16:17], s[24:25]
	s_cbranch_execz .LBB184_3
; %bb.5:                                ;   in Loop: Header=BB184_4 Depth=1
	v_ashrrev_i32_e32 v5, 31, v3
	v_mul_lo_u32 v7, s13, v3
	v_mul_lo_u32 v5, s12, v5
	v_mad_u64_u32 v[8:9], s[24:25], s12, v3, 0
	v_add3_u32 v9, v9, v5, v7
	v_lshl_add_u64 v[8:9], v[8:9], 3, v[0:1]
	flat_load_dwordx2 v[8:9], v[8:9]
	s_load_dword s24, s[20:21], 0xc
	s_waitcnt lgkmcnt(0)
	s_and_b32 s24, s24, 0xffff
	v_mul_lo_u32 v3, v3, s24
	v_lshl_add_u32 v3, v3, 3, v4
	s_waitcnt vmcnt(0)
	ds_write_b64 v3, v[8:9]
	s_branch .LBB184_3
.LBB184_6:
	s_mov_b64 s[4:5], src_shared_base
	s_load_dword s4, s[20:21], 0xc
	s_mov_b32 s23, s5
	s_mov_b32 s13, 0
	s_mov_b64 s[16:17], s[22:23]
	s_waitcnt lgkmcnt(0)
	s_and_b32 s12, s4, 0xffff
.LBB184_7:
	s_load_dwordx2 s[4:5], s[0:1], 0x18
	s_mul_i32 s3, s3, s2
	v_add_u32_e32 v0, s3, v6
	v_mov_b32_e32 v1, 0
	v_cmp_gt_i64_e32 vcc, s[10:11], v[0:1]
	s_and_saveexec_b64 s[2:3], vcc
	s_cbranch_execz .LBB184_23
; %bb.8:
	v_mov_b32_e32 v3, v1
	v_cmp_gt_i64_e32 vcc, s[8:9], v[2:3]
	s_and_b64 exec, exec, vcc
	s_cbranch_execz .LBB184_23
; %bb.9:
	s_lshl_b64 s[2:3], s[6:7], 3
	v_mad_u64_u32 v[4:5], s[6:7], s14, v2, 0
	v_mov_b32_e32 v8, v5
	s_add_u32 s2, s18, s2
	v_mad_u64_u32 v[8:9], s[6:7], s15, v2, v[8:9]
	s_addc_u32 s3, s19, s3
	v_mov_b32_e32 v5, v8
	v_lshl_add_u64 v[4:5], v[4:5], 3, s[2:3]
	v_lshl_add_u64 v[0:1], v[0:1], 3, v[4:5]
	flat_load_dwordx2 v[4:5], v[0:1]
	v_cmp_gt_u64_e64 s[2:3], s[8:9], 1
	s_and_b64 vcc, exec, s[2:3]
	s_waitcnt vmcnt(0) lgkmcnt(0)
	v_pk_mul_f32 v[10:11], s[4:5], v[4:5] op_sel:[1,1] op_sel_hi:[0,1]
	v_pk_mul_f32 v[8:9], s[4:5], v[4:5]
	v_pk_fma_f32 v[4:5], s[4:5], v[4:5], v[10:11] op_sel_hi:[1,0,1]
	s_nop 0
	v_sub_f32_e32 v4, v8, v10
	s_cbranch_vccnz .LBB184_11
; %bb.10:
	s_cbranch_execz .LBB184_12
	s_branch .LBB184_22
.LBB184_11:
.LBB184_12:
	s_load_dword s0, s[0:1], 0x0
	v_lshlrev_b32_e32 v8, 3, v2
	v_mov_b32_e32 v9, 0
	v_lshl_add_u32 v11, v6, 3, 0
	v_lshl_add_u64 v[6:7], s[16:17], 0, v[8:9]
	s_waitcnt lgkmcnt(0)
	s_cmpk_lg_i32 s0, 0x71
	s_cselect_b64 s[0:1], -1, 0
	s_add_u32 s2, s8, -1
	s_addc_u32 s3, s9, -1
	s_lshl_b64 s[4:5], s[12:13], 3
	s_mov_b64 s[6:7], 0
	s_branch .LBB184_15
.LBB184_13:                             ;   in Loop: Header=BB184_15 Depth=1
	ds_read_b64 v[12:13], v11
	s_waitcnt lgkmcnt(0)
	v_pk_mul_f32 v[14:15], v[10:11], v[12:13] op_sel:[0,1] op_sel_hi:[0,0]
	v_pk_fma_f32 v[16:17], v[12:13], v[8:9], v[14:15] neg_lo:[0,0,1] neg_hi:[0,0,1]
	v_pk_fma_f32 v[8:9], v[12:13], v[8:9], v[14:15] op_sel_hi:[1,0,1]
	s_nop 0
	v_mov_b32_e32 v17, v9
	v_pk_add_f32 v[4:5], v[4:5], v[16:17] neg_lo:[0,1] neg_hi:[0,1]
.LBB184_14:                             ;   in Loop: Header=BB184_15 Depth=1
	s_or_b64 exec, exec, s[8:9]
	s_add_u32 s6, s6, 1
	s_addc_u32 s7, s7, 0
	s_cmp_eq_u64 s[2:3], s[6:7]
	v_lshl_add_u64 v[6:7], v[6:7], 0, s[4:5]
	s_cbranch_scc1 .LBB184_22
.LBB184_15:                             ; =>This Inner Loop Header: Depth=1
	v_cmp_eq_u64_e32 vcc, s[6:7], v[2:3]
	s_barrier
	s_and_saveexec_b64 s[8:9], vcc
; %bb.16:                               ;   in Loop: Header=BB184_15 Depth=1
	ds_write_b64 v11, v[4:5]
; %bb.17:                               ;   in Loop: Header=BB184_15 Depth=1
	s_or_b64 exec, exec, s[8:9]
	v_cmp_lt_u64_e32 vcc, s[6:7], v[2:3]
	s_waitcnt lgkmcnt(0)
	s_barrier
	s_and_saveexec_b64 s[8:9], vcc
	s_cbranch_execz .LBB184_14
; %bb.18:                               ;   in Loop: Header=BB184_15 Depth=1
	s_mov_b64 s[10:11], -1
	s_and_b64 vcc, exec, s[0:1]
                                        ; implicit-def: $vgpr8
                                        ; implicit-def: $vgpr10
	s_cbranch_vccz .LBB184_20
; %bb.19:                               ;   in Loop: Header=BB184_15 Depth=1
	flat_load_dwordx2 v[8:9], v[6:7]
	s_mov_b64 s[10:11], 0
	s_waitcnt vmcnt(0) lgkmcnt(0)
	v_mov_b32_e32 v10, v9
.LBB184_20:                             ;   in Loop: Header=BB184_15 Depth=1
	s_andn2_b64 vcc, exec, s[10:11]
	s_cbranch_vccnz .LBB184_13
; %bb.21:                               ;   in Loop: Header=BB184_15 Depth=1
	flat_load_dwordx2 v[8:9], v[6:7]
	s_waitcnt vmcnt(0) lgkmcnt(0)
	v_xor_b32_e32 v10, 0x80000000, v9
	s_branch .LBB184_13
.LBB184_22:
	flat_store_dwordx2 v[0:1], v[4:5]
.LBB184_23:
	s_endpgm
	.section	.rodata,"a",@progbits
	.p2align	6, 0x0
	.amdhsa_kernel _ZL39rocblas_trsm_block_forward_substitutionI19rocblas_complex_numIfES1_PKPKS1_PKPS1_Lb0ELb1ELb1EEv18rocblas_operation_llT0_T1_lllT2_lllib
		.amdhsa_group_segment_fixed_size 0
		.amdhsa_private_segment_fixed_size 0
		.amdhsa_kernarg_size 360
		.amdhsa_user_sgpr_count 2
		.amdhsa_user_sgpr_dispatch_ptr 0
		.amdhsa_user_sgpr_queue_ptr 0
		.amdhsa_user_sgpr_kernarg_segment_ptr 1
		.amdhsa_user_sgpr_dispatch_id 0
		.amdhsa_user_sgpr_kernarg_preload_length 0
		.amdhsa_user_sgpr_kernarg_preload_offset 0
		.amdhsa_user_sgpr_private_segment_size 0
		.amdhsa_uses_dynamic_stack 0
		.amdhsa_enable_private_segment 0
		.amdhsa_system_sgpr_workgroup_id_x 1
		.amdhsa_system_sgpr_workgroup_id_y 1
		.amdhsa_system_sgpr_workgroup_id_z 1
		.amdhsa_system_sgpr_workgroup_info 0
		.amdhsa_system_vgpr_workitem_id 1
		.amdhsa_next_free_vgpr 18
		.amdhsa_next_free_sgpr 26
		.amdhsa_accum_offset 20
		.amdhsa_reserve_vcc 1
		.amdhsa_float_round_mode_32 0
		.amdhsa_float_round_mode_16_64 0
		.amdhsa_float_denorm_mode_32 3
		.amdhsa_float_denorm_mode_16_64 3
		.amdhsa_dx10_clamp 1
		.amdhsa_ieee_mode 1
		.amdhsa_fp16_overflow 0
		.amdhsa_tg_split 0
		.amdhsa_exception_fp_ieee_invalid_op 0
		.amdhsa_exception_fp_denorm_src 0
		.amdhsa_exception_fp_ieee_div_zero 0
		.amdhsa_exception_fp_ieee_overflow 0
		.amdhsa_exception_fp_ieee_underflow 0
		.amdhsa_exception_fp_ieee_inexact 0
		.amdhsa_exception_int_div_zero 0
	.end_amdhsa_kernel
	.section	.text._ZL39rocblas_trsm_block_forward_substitutionI19rocblas_complex_numIfES1_PKPKS1_PKPS1_Lb0ELb1ELb1EEv18rocblas_operation_llT0_T1_lllT2_lllib,"axG",@progbits,_ZL39rocblas_trsm_block_forward_substitutionI19rocblas_complex_numIfES1_PKPKS1_PKPS1_Lb0ELb1ELb1EEv18rocblas_operation_llT0_T1_lllT2_lllib,comdat
.Lfunc_end184:
	.size	_ZL39rocblas_trsm_block_forward_substitutionI19rocblas_complex_numIfES1_PKPKS1_PKPS1_Lb0ELb1ELb1EEv18rocblas_operation_llT0_T1_lllT2_lllib, .Lfunc_end184-_ZL39rocblas_trsm_block_forward_substitutionI19rocblas_complex_numIfES1_PKPKS1_PKPS1_Lb0ELb1ELb1EEv18rocblas_operation_llT0_T1_lllT2_lllib
                                        ; -- End function
	.set _ZL39rocblas_trsm_block_forward_substitutionI19rocblas_complex_numIfES1_PKPKS1_PKPS1_Lb0ELb1ELb1EEv18rocblas_operation_llT0_T1_lllT2_lllib.num_vgpr, 18
	.set _ZL39rocblas_trsm_block_forward_substitutionI19rocblas_complex_numIfES1_PKPKS1_PKPS1_Lb0ELb1ELb1EEv18rocblas_operation_llT0_T1_lllT2_lllib.num_agpr, 0
	.set _ZL39rocblas_trsm_block_forward_substitutionI19rocblas_complex_numIfES1_PKPKS1_PKPS1_Lb0ELb1ELb1EEv18rocblas_operation_llT0_T1_lllT2_lllib.numbered_sgpr, 26
	.set _ZL39rocblas_trsm_block_forward_substitutionI19rocblas_complex_numIfES1_PKPKS1_PKPS1_Lb0ELb1ELb1EEv18rocblas_operation_llT0_T1_lllT2_lllib.num_named_barrier, 0
	.set _ZL39rocblas_trsm_block_forward_substitutionI19rocblas_complex_numIfES1_PKPKS1_PKPS1_Lb0ELb1ELb1EEv18rocblas_operation_llT0_T1_lllT2_lllib.private_seg_size, 0
	.set _ZL39rocblas_trsm_block_forward_substitutionI19rocblas_complex_numIfES1_PKPKS1_PKPS1_Lb0ELb1ELb1EEv18rocblas_operation_llT0_T1_lllT2_lllib.uses_vcc, 1
	.set _ZL39rocblas_trsm_block_forward_substitutionI19rocblas_complex_numIfES1_PKPKS1_PKPS1_Lb0ELb1ELb1EEv18rocblas_operation_llT0_T1_lllT2_lllib.uses_flat_scratch, 0
	.set _ZL39rocblas_trsm_block_forward_substitutionI19rocblas_complex_numIfES1_PKPKS1_PKPS1_Lb0ELb1ELb1EEv18rocblas_operation_llT0_T1_lllT2_lllib.has_dyn_sized_stack, 0
	.set _ZL39rocblas_trsm_block_forward_substitutionI19rocblas_complex_numIfES1_PKPKS1_PKPS1_Lb0ELb1ELb1EEv18rocblas_operation_llT0_T1_lllT2_lllib.has_recursion, 0
	.set _ZL39rocblas_trsm_block_forward_substitutionI19rocblas_complex_numIfES1_PKPKS1_PKPS1_Lb0ELb1ELb1EEv18rocblas_operation_llT0_T1_lllT2_lllib.has_indirect_call, 0
	.section	.AMDGPU.csdata,"",@progbits
; Kernel info:
; codeLenInByte = 844
; TotalNumSgprs: 32
; NumVgprs: 18
; NumAgprs: 0
; TotalNumVgprs: 18
; ScratchSize: 0
; MemoryBound: 0
; FloatMode: 240
; IeeeMode: 1
; LDSByteSize: 0 bytes/workgroup (compile time only)
; SGPRBlocks: 3
; VGPRBlocks: 2
; NumSGPRsForWavesPerEU: 32
; NumVGPRsForWavesPerEU: 18
; AccumOffset: 20
; Occupancy: 8
; WaveLimiterHint : 1
; COMPUTE_PGM_RSRC2:SCRATCH_EN: 0
; COMPUTE_PGM_RSRC2:USER_SGPR: 2
; COMPUTE_PGM_RSRC2:TRAP_HANDLER: 0
; COMPUTE_PGM_RSRC2:TGID_X_EN: 1
; COMPUTE_PGM_RSRC2:TGID_Y_EN: 1
; COMPUTE_PGM_RSRC2:TGID_Z_EN: 1
; COMPUTE_PGM_RSRC2:TIDIG_COMP_CNT: 1
; COMPUTE_PGM_RSRC3_GFX90A:ACCUM_OFFSET: 4
; COMPUTE_PGM_RSRC3_GFX90A:TG_SPLIT: 0
	.section	.text._ZL40rocblas_trsm_block_backward_substitutionI19rocblas_complex_numIfES1_PKPKS1_PKPS1_Lb0ELb1ELb1EEv18rocblas_operation_llT0_T1_lllT2_lllib,"axG",@progbits,_ZL40rocblas_trsm_block_backward_substitutionI19rocblas_complex_numIfES1_PKPKS1_PKPS1_Lb0ELb1ELb1EEv18rocblas_operation_llT0_T1_lllT2_lllib,comdat
	.globl	_ZL40rocblas_trsm_block_backward_substitutionI19rocblas_complex_numIfES1_PKPKS1_PKPS1_Lb0ELb1ELb1EEv18rocblas_operation_llT0_T1_lllT2_lllib ; -- Begin function _ZL40rocblas_trsm_block_backward_substitutionI19rocblas_complex_numIfES1_PKPKS1_PKPS1_Lb0ELb1ELb1EEv18rocblas_operation_llT0_T1_lllT2_lllib
	.p2align	8
	.type	_ZL40rocblas_trsm_block_backward_substitutionI19rocblas_complex_numIfES1_PKPKS1_PKPS1_Lb0ELb1ELb1EEv18rocblas_operation_llT0_T1_lllT2_lllib,@function
_ZL40rocblas_trsm_block_backward_substitutionI19rocblas_complex_numIfES1_PKPKS1_PKPS1_Lb0ELb1ELb1EEv18rocblas_operation_llT0_T1_lllT2_lllib: ; @_ZL40rocblas_trsm_block_backward_substitutionI19rocblas_complex_numIfES1_PKPKS1_PKPS1_Lb0ELb1ELb1EEv18rocblas_operation_llT0_T1_lllT2_lllib
; %bb.0:
	s_load_dwordx4 s[16:19], s[0:1], 0x20
	s_mov_b32 s5, 0
	s_lshl_b64 s[4:5], s[4:5], 3
	v_and_b32_e32 v2, 0x3ff, v0
	v_bfe_u32 v6, v0, 10, 10
	s_waitcnt lgkmcnt(0)
	s_add_u32 s6, s16, s4
	s_addc_u32 s7, s17, s5
	s_load_dwordx2 s[16:17], s[6:7], 0x0
	s_load_dwordx4 s[8:11], s[0:1], 0x8
	s_load_dwordx4 s[12:15], s[0:1], 0x40
	s_load_dwordx2 s[24:25], s[0:1], 0x30
	s_lshl_b64 s[6:7], s[18:19], 3
	s_waitcnt lgkmcnt(0)
	s_add_u32 s6, s16, s6
	s_addc_u32 s7, s17, s7
	s_add_u32 s4, s12, s4
	s_addc_u32 s5, s13, s5
	s_load_dwordx2 s[18:19], s[4:5], 0x0
	s_load_dwordx2 s[16:17], s[0:1], 0x50
	s_load_dword s12, s[0:1], 0x64
	s_load_dword s2, s[0:1], 0x74
	s_add_u32 s20, s0, 0x68
	s_addc_u32 s21, s1, 0
	s_mov_b64 s[4:5], 1
	s_waitcnt lgkmcnt(0)
	s_lshr_b32 s2, s2, 16
	s_bitcmp0_b32 s12, 0
	s_cbranch_scc1 .LBB185_6
; %bb.1:
	s_lshl_b32 s4, s2, 3
	s_add_i32 s22, s4, 0
	v_cmp_lt_i64_e64 s[4:5], s[8:9], 1
	s_mov_b64 s[12:13], 1
	s_and_b64 vcc, exec, s[4:5]
	s_cbranch_vccnz .LBB185_7
; %bb.2:
	v_mad_u64_u32 v[0:1], s[26:27], s24, v2, 0
	v_mov_b32_e32 v4, v1
	v_mad_u64_u32 v[4:5], s[24:25], s25, v2, v[4:5]
	v_mov_b32_e32 v3, 0
	v_mov_b32_e32 v1, v4
	v_lshl_add_u32 v7, v2, 3, s22
	v_cmp_gt_u64_e64 s[4:5], s[8:9], v[2:3]
	v_lshl_add_u64 v[0:1], v[0:1], 3, s[6:7]
	s_mov_b32 s23, 0
	s_branch .LBB185_4
.LBB185_3:                              ;   in Loop: Header=BB185_4 Depth=1
	s_or_b64 exec, exec, s[6:7]
	s_add_i32 s23, s23, s2
	s_ashr_i32 s6, s23, 31
	v_mov_b32_e32 v4, s23
	v_mov_b32_e32 v5, s6
	v_cmp_le_i64_e32 vcc, s[8:9], v[4:5]
	s_cbranch_vccnz .LBB185_7
.LBB185_4:                              ; =>This Inner Loop Header: Depth=1
	v_add_u32_e32 v4, s23, v6
	v_ashrrev_i32_e32 v5, 31, v4
	v_cmp_gt_i64_e32 vcc, s[8:9], v[4:5]
	v_cmp_lt_i32_e64 s[6:7], v2, v4
	s_and_b64 s[6:7], s[6:7], vcc
	s_and_b64 s[24:25], s[4:5], s[6:7]
	s_and_saveexec_b64 s[6:7], s[24:25]
	s_cbranch_execz .LBB185_3
; %bb.5:                                ;   in Loop: Header=BB185_4 Depth=1
	v_lshl_add_u64 v[8:9], v[4:5], 3, v[0:1]
	flat_load_dwordx2 v[8:9], v[8:9]
	s_load_dword s24, s[20:21], 0xc
	s_waitcnt lgkmcnt(0)
	s_and_b32 s24, s24, 0xffff
	v_mul_lo_u32 v3, v4, s24
	v_lshl_add_u32 v3, v3, 3, v7
	s_waitcnt vmcnt(0)
	ds_write_b64 v3, v[8:9]
	s_branch .LBB185_3
.LBB185_6:
	s_mov_b64 s[12:13], s[24:25]
	s_branch .LBB185_8
.LBB185_7:
	s_mov_b64 s[4:5], src_shared_base
	s_load_dword s4, s[20:21], 0xc
	s_mov_b32 s23, s5
	s_mov_b64 s[6:7], s[22:23]
	s_waitcnt lgkmcnt(0)
	s_and_b32 s4, s4, 0xffff
.LBB185_8:
	s_load_dwordx2 s[20:21], s[0:1], 0x18
	s_mul_i32 s3, s3, s2
	v_add_u32_e32 v0, s3, v6
	v_mov_b32_e32 v1, 0
	v_cmp_gt_i64_e32 vcc, s[10:11], v[0:1]
	s_and_saveexec_b64 s[2:3], vcc
	s_cbranch_execz .LBB185_24
; %bb.9:
	v_mov_b32_e32 v3, v1
	v_cmp_gt_i64_e32 vcc, s[8:9], v[2:3]
	s_and_b64 exec, exec, vcc
	s_cbranch_execz .LBB185_24
; %bb.10:
	v_mad_u64_u32 v[4:5], s[10:11], s16, v0, 0
	s_lshl_b64 s[2:3], s[14:15], 3
	v_mov_b32_e32 v8, v5
	s_add_u32 s2, s18, s2
	v_mad_u64_u32 v[0:1], s[10:11], s17, v0, v[8:9]
	s_addc_u32 s3, s19, s3
	v_mov_b32_e32 v5, v0
	v_lshl_add_u64 v[0:1], v[4:5], 3, s[2:3]
	v_lshlrev_b32_e32 v4, 3, v2
	v_mov_b32_e32 v5, 0
	v_lshl_add_u64 v[0:1], v[0:1], 0, v[4:5]
	flat_load_dwordx2 v[4:5], v[0:1]
	v_cmp_gt_u64_e64 s[2:3], s[8:9], 1
	s_and_b64 vcc, exec, s[2:3]
	s_waitcnt vmcnt(0) lgkmcnt(0)
	v_pk_mul_f32 v[10:11], s[20:21], v[4:5] op_sel:[1,1] op_sel_hi:[0,1]
	v_pk_mul_f32 v[8:9], s[20:21], v[4:5]
	v_pk_fma_f32 v[4:5], s[20:21], v[4:5], v[10:11] op_sel_hi:[1,0,1]
	s_nop 0
	v_sub_f32_e32 v4, v8, v10
	s_cbranch_vccnz .LBB185_12
; %bb.11:
	s_cbranch_execz .LBB185_13
	s_branch .LBB185_23
.LBB185_12:
.LBB185_13:
	s_load_dword s0, s[0:1], 0x0
	v_lshl_add_u32 v11, v6, 3, 0
	v_mad_u64_u32 v[6:7], s[10:11], s12, v2, 0
	v_mov_b32_e32 v8, v7
	s_waitcnt lgkmcnt(0)
	s_cmpk_lg_i32 s0, 0x71
	s_cselect_b64 s[0:1], -1, 0
	s_add_u32 s2, s8, -1
	s_addc_u32 s3, s9, -1
	s_mul_hi_u32 s5, s4, s2
	s_mul_i32 s9, s4, s3
	s_mul_i32 s8, s4, s2
	s_add_i32 s9, s5, s9
	s_lshl_b64 s[8:9], s[8:9], 3
	s_add_u32 s6, s6, s8
	v_mad_u64_u32 v[8:9], s[10:11], s13, v2, v[8:9]
	s_addc_u32 s7, s7, s9
	s_lshl_b32 s4, s4, 3
	v_mov_b32_e32 v7, v8
	s_sub_u32 s4, 0, s4
	v_lshl_add_u64 v[6:7], v[6:7], 3, s[6:7]
	s_subb_u32 s5, 0, 0
	s_branch .LBB185_16
.LBB185_14:                             ;   in Loop: Header=BB185_16 Depth=1
	ds_read_b64 v[12:13], v11
	s_waitcnt lgkmcnt(0)
	v_pk_mul_f32 v[14:15], v[10:11], v[12:13] op_sel:[0,1] op_sel_hi:[0,0]
	v_pk_fma_f32 v[16:17], v[12:13], v[8:9], v[14:15] neg_lo:[0,0,1] neg_hi:[0,0,1]
	v_pk_fma_f32 v[8:9], v[12:13], v[8:9], v[14:15] op_sel_hi:[1,0,1]
	s_nop 0
	v_mov_b32_e32 v17, v9
	v_pk_add_f32 v[4:5], v[4:5], v[16:17] neg_lo:[0,1] neg_hi:[0,1]
.LBB185_15:                             ;   in Loop: Header=BB185_16 Depth=1
	s_or_b64 exec, exec, s[6:7]
	s_add_u32 s6, s2, -1
	s_addc_u32 s7, s3, -1
	s_add_u32 s2, s2, 1
	s_addc_u32 s3, s3, 0
	v_cmp_lt_u64_e64 s[2:3], s[2:3], 3
	v_lshl_add_u64 v[6:7], v[6:7], 0, s[4:5]
	s_and_b64 vcc, exec, s[2:3]
	s_mov_b64 s[2:3], s[6:7]
	s_cbranch_vccnz .LBB185_23
.LBB185_16:                             ; =>This Inner Loop Header: Depth=1
	v_cmp_eq_u64_e32 vcc, s[2:3], v[2:3]
	s_barrier
	s_and_saveexec_b64 s[6:7], vcc
; %bb.17:                               ;   in Loop: Header=BB185_16 Depth=1
	ds_write_b64 v11, v[4:5]
; %bb.18:                               ;   in Loop: Header=BB185_16 Depth=1
	s_or_b64 exec, exec, s[6:7]
	v_cmp_gt_i64_e32 vcc, s[2:3], v[2:3]
	s_waitcnt lgkmcnt(0)
	s_barrier
	s_and_saveexec_b64 s[6:7], vcc
	s_cbranch_execz .LBB185_15
; %bb.19:                               ;   in Loop: Header=BB185_16 Depth=1
	s_mov_b64 s[8:9], -1
	s_and_b64 vcc, exec, s[0:1]
                                        ; implicit-def: $vgpr8
                                        ; implicit-def: $vgpr10
	s_cbranch_vccz .LBB185_21
; %bb.20:                               ;   in Loop: Header=BB185_16 Depth=1
	flat_load_dwordx2 v[8:9], v[6:7]
	s_mov_b64 s[8:9], 0
	s_waitcnt vmcnt(0) lgkmcnt(0)
	v_mov_b32_e32 v10, v9
.LBB185_21:                             ;   in Loop: Header=BB185_16 Depth=1
	s_andn2_b64 vcc, exec, s[8:9]
	s_cbranch_vccnz .LBB185_14
; %bb.22:                               ;   in Loop: Header=BB185_16 Depth=1
	flat_load_dwordx2 v[8:9], v[6:7]
	s_waitcnt vmcnt(0) lgkmcnt(0)
	v_xor_b32_e32 v10, 0x80000000, v9
	s_branch .LBB185_14
.LBB185_23:
	flat_store_dwordx2 v[0:1], v[4:5]
.LBB185_24:
	s_endpgm
	.section	.rodata,"a",@progbits
	.p2align	6, 0x0
	.amdhsa_kernel _ZL40rocblas_trsm_block_backward_substitutionI19rocblas_complex_numIfES1_PKPKS1_PKPS1_Lb0ELb1ELb1EEv18rocblas_operation_llT0_T1_lllT2_lllib
		.amdhsa_group_segment_fixed_size 0
		.amdhsa_private_segment_fixed_size 0
		.amdhsa_kernarg_size 360
		.amdhsa_user_sgpr_count 2
		.amdhsa_user_sgpr_dispatch_ptr 0
		.amdhsa_user_sgpr_queue_ptr 0
		.amdhsa_user_sgpr_kernarg_segment_ptr 1
		.amdhsa_user_sgpr_dispatch_id 0
		.amdhsa_user_sgpr_kernarg_preload_length 0
		.amdhsa_user_sgpr_kernarg_preload_offset 0
		.amdhsa_user_sgpr_private_segment_size 0
		.amdhsa_uses_dynamic_stack 0
		.amdhsa_enable_private_segment 0
		.amdhsa_system_sgpr_workgroup_id_x 1
		.amdhsa_system_sgpr_workgroup_id_y 1
		.amdhsa_system_sgpr_workgroup_id_z 1
		.amdhsa_system_sgpr_workgroup_info 0
		.amdhsa_system_vgpr_workitem_id 1
		.amdhsa_next_free_vgpr 18
		.amdhsa_next_free_sgpr 28
		.amdhsa_accum_offset 20
		.amdhsa_reserve_vcc 1
		.amdhsa_float_round_mode_32 0
		.amdhsa_float_round_mode_16_64 0
		.amdhsa_float_denorm_mode_32 3
		.amdhsa_float_denorm_mode_16_64 3
		.amdhsa_dx10_clamp 1
		.amdhsa_ieee_mode 1
		.amdhsa_fp16_overflow 0
		.amdhsa_tg_split 0
		.amdhsa_exception_fp_ieee_invalid_op 0
		.amdhsa_exception_fp_denorm_src 0
		.amdhsa_exception_fp_ieee_div_zero 0
		.amdhsa_exception_fp_ieee_overflow 0
		.amdhsa_exception_fp_ieee_underflow 0
		.amdhsa_exception_fp_ieee_inexact 0
		.amdhsa_exception_int_div_zero 0
	.end_amdhsa_kernel
	.section	.text._ZL40rocblas_trsm_block_backward_substitutionI19rocblas_complex_numIfES1_PKPKS1_PKPS1_Lb0ELb1ELb1EEv18rocblas_operation_llT0_T1_lllT2_lllib,"axG",@progbits,_ZL40rocblas_trsm_block_backward_substitutionI19rocblas_complex_numIfES1_PKPKS1_PKPS1_Lb0ELb1ELb1EEv18rocblas_operation_llT0_T1_lllT2_lllib,comdat
.Lfunc_end185:
	.size	_ZL40rocblas_trsm_block_backward_substitutionI19rocblas_complex_numIfES1_PKPKS1_PKPS1_Lb0ELb1ELb1EEv18rocblas_operation_llT0_T1_lllT2_lllib, .Lfunc_end185-_ZL40rocblas_trsm_block_backward_substitutionI19rocblas_complex_numIfES1_PKPKS1_PKPS1_Lb0ELb1ELb1EEv18rocblas_operation_llT0_T1_lllT2_lllib
                                        ; -- End function
	.set _ZL40rocblas_trsm_block_backward_substitutionI19rocblas_complex_numIfES1_PKPKS1_PKPS1_Lb0ELb1ELb1EEv18rocblas_operation_llT0_T1_lllT2_lllib.num_vgpr, 18
	.set _ZL40rocblas_trsm_block_backward_substitutionI19rocblas_complex_numIfES1_PKPKS1_PKPS1_Lb0ELb1ELb1EEv18rocblas_operation_llT0_T1_lllT2_lllib.num_agpr, 0
	.set _ZL40rocblas_trsm_block_backward_substitutionI19rocblas_complex_numIfES1_PKPKS1_PKPS1_Lb0ELb1ELb1EEv18rocblas_operation_llT0_T1_lllT2_lllib.numbered_sgpr, 28
	.set _ZL40rocblas_trsm_block_backward_substitutionI19rocblas_complex_numIfES1_PKPKS1_PKPS1_Lb0ELb1ELb1EEv18rocblas_operation_llT0_T1_lllT2_lllib.num_named_barrier, 0
	.set _ZL40rocblas_trsm_block_backward_substitutionI19rocblas_complex_numIfES1_PKPKS1_PKPS1_Lb0ELb1ELb1EEv18rocblas_operation_llT0_T1_lllT2_lllib.private_seg_size, 0
	.set _ZL40rocblas_trsm_block_backward_substitutionI19rocblas_complex_numIfES1_PKPKS1_PKPS1_Lb0ELb1ELb1EEv18rocblas_operation_llT0_T1_lllT2_lllib.uses_vcc, 1
	.set _ZL40rocblas_trsm_block_backward_substitutionI19rocblas_complex_numIfES1_PKPKS1_PKPS1_Lb0ELb1ELb1EEv18rocblas_operation_llT0_T1_lllT2_lllib.uses_flat_scratch, 0
	.set _ZL40rocblas_trsm_block_backward_substitutionI19rocblas_complex_numIfES1_PKPKS1_PKPS1_Lb0ELb1ELb1EEv18rocblas_operation_llT0_T1_lllT2_lllib.has_dyn_sized_stack, 0
	.set _ZL40rocblas_trsm_block_backward_substitutionI19rocblas_complex_numIfES1_PKPKS1_PKPS1_Lb0ELb1ELb1EEv18rocblas_operation_llT0_T1_lllT2_lllib.has_recursion, 0
	.set _ZL40rocblas_trsm_block_backward_substitutionI19rocblas_complex_numIfES1_PKPKS1_PKPS1_Lb0ELb1ELb1EEv18rocblas_operation_llT0_T1_lllT2_lllib.has_indirect_call, 0
	.section	.AMDGPU.csdata,"",@progbits
; Kernel info:
; codeLenInByte = 932
; TotalNumSgprs: 34
; NumVgprs: 18
; NumAgprs: 0
; TotalNumVgprs: 18
; ScratchSize: 0
; MemoryBound: 0
; FloatMode: 240
; IeeeMode: 1
; LDSByteSize: 0 bytes/workgroup (compile time only)
; SGPRBlocks: 4
; VGPRBlocks: 2
; NumSGPRsForWavesPerEU: 34
; NumVGPRsForWavesPerEU: 18
; AccumOffset: 20
; Occupancy: 8
; WaveLimiterHint : 1
; COMPUTE_PGM_RSRC2:SCRATCH_EN: 0
; COMPUTE_PGM_RSRC2:USER_SGPR: 2
; COMPUTE_PGM_RSRC2:TRAP_HANDLER: 0
; COMPUTE_PGM_RSRC2:TGID_X_EN: 1
; COMPUTE_PGM_RSRC2:TGID_Y_EN: 1
; COMPUTE_PGM_RSRC2:TGID_Z_EN: 1
; COMPUTE_PGM_RSRC2:TIDIG_COMP_CNT: 1
; COMPUTE_PGM_RSRC3_GFX90A:ACCUM_OFFSET: 4
; COMPUTE_PGM_RSRC3_GFX90A:TG_SPLIT: 0
	.section	.text._ZL39rocblas_trsm_block_forward_substitutionI19rocblas_complex_numIfES1_PKPKS1_PKPS1_Lb1ELb1ELb0EEv18rocblas_operation_llT0_T1_lllT2_lllib,"axG",@progbits,_ZL39rocblas_trsm_block_forward_substitutionI19rocblas_complex_numIfES1_PKPKS1_PKPS1_Lb1ELb1ELb0EEv18rocblas_operation_llT0_T1_lllT2_lllib,comdat
	.globl	_ZL39rocblas_trsm_block_forward_substitutionI19rocblas_complex_numIfES1_PKPKS1_PKPS1_Lb1ELb1ELb0EEv18rocblas_operation_llT0_T1_lllT2_lllib ; -- Begin function _ZL39rocblas_trsm_block_forward_substitutionI19rocblas_complex_numIfES1_PKPKS1_PKPS1_Lb1ELb1ELb0EEv18rocblas_operation_llT0_T1_lllT2_lllib
	.p2align	8
	.type	_ZL39rocblas_trsm_block_forward_substitutionI19rocblas_complex_numIfES1_PKPKS1_PKPS1_Lb1ELb1ELb0EEv18rocblas_operation_llT0_T1_lllT2_lllib,@function
_ZL39rocblas_trsm_block_forward_substitutionI19rocblas_complex_numIfES1_PKPKS1_PKPS1_Lb1ELb1ELb0EEv18rocblas_operation_llT0_T1_lllT2_lllib: ; @_ZL39rocblas_trsm_block_forward_substitutionI19rocblas_complex_numIfES1_PKPKS1_PKPS1_Lb1ELb1ELb0EEv18rocblas_operation_llT0_T1_lllT2_lllib
; %bb.0:
	s_load_dword s2, s[0:1], 0x64
	s_load_dwordx4 s[8:11], s[0:1], 0x8
	s_load_dwordx4 s[20:23], s[0:1], 0x20
	s_load_dword s24, s[0:1], 0x74
	s_mov_b32 s5, 0
	s_waitcnt lgkmcnt(0)
	s_bitcmp1_b32 s2, 0
	s_cselect_b64 s[6:7], -1, 0
	s_xor_b64 s[12:13], s[6:7], -1
	s_lshl_b64 s[16:17], s[4:5], 3
	s_add_u32 s14, s20, s16
	s_addc_u32 s15, s21, s17
	s_load_dwordx2 s[20:21], s[14:15], 0x0
	s_load_dwordx2 s[26:27], s[0:1], 0x30
	s_load_dwordx4 s[4:7], s[0:1], 0x40
	s_load_dwordx2 s[18:19], s[0:1], 0x50
	s_lshl_b64 s[14:15], s[22:23], 3
	s_waitcnt lgkmcnt(0)
	s_add_u32 s14, s20, s14
	s_addc_u32 s15, s21, s15
	s_add_u32 s4, s4, s16
	s_addc_u32 s5, s5, s17
	s_load_dwordx2 s[20:21], s[4:5], 0x0
	s_add_u32 s22, s0, 0x68
	v_and_b32_e32 v2, 0x3ff, v0
	v_bfe_u32 v12, v0, 10, 10
	s_addc_u32 s23, s1, 0
	s_lshr_b32 s2, s24, 16
	s_mov_b64 s[16:17], 1
	s_and_b64 vcc, exec, s[12:13]
	s_cbranch_vccnz .LBB186_14
; %bb.1:
	s_lshl_b32 s4, s2, 3
	v_cmp_lt_i64_e64 s[16:17], s[8:9], 1
	s_add_i32 s24, s4, 0
	s_mov_b64 s[4:5], 1
	s_and_b64 vcc, exec, s[16:17]
	s_cbranch_vccnz .LBB186_15
; %bb.2:
	v_mad_u64_u32 v[0:1], s[16:17], s26, v2, 0
	v_mov_b32_e32 v6, v1
	v_mad_u64_u32 v[6:7], s[16:17], s27, v2, v[6:7]
	v_mov_b32_e32 v3, 0
	v_mov_b32_e32 v1, v6
	v_lshlrev_b32_e32 v4, 3, v2
	v_cmp_le_u64_e32 vcc, s[8:9], v[2:3]
	v_lshl_add_u64 v[0:1], v[0:1], 3, s[14:15]
	v_mov_b32_e32 v5, v3
	v_add_u32_e32 v13, s24, v4
	v_lshl_add_u64 v[4:5], v[0:1], 0, v[4:5]
	s_xor_b64 s[14:15], vcc, -1
	s_mov_b32 s25, s2
	v_mov_b32_e32 v6, v12
	s_branch .LBB186_6
.LBB186_3:                              ;   in Loop: Header=BB186_6 Depth=1
	s_or_b64 exec, exec, s[28:29]
	s_load_dword s28, s[22:23], 0xc
	s_waitcnt lgkmcnt(0)
	s_and_b32 s28, s28, 0xffff
	v_mul_u32_u24_e32 v3, s28, v2
	v_lshl_add_u32 v3, v3, 3, v13
	ds_write_b64 v3, v[10:11]
.LBB186_4:                              ;   in Loop: Header=BB186_6 Depth=1
	s_or_b64 exec, exec, s[26:27]
.LBB186_5:                              ;   in Loop: Header=BB186_6 Depth=1
	s_or_b64 exec, exec, s[16:17]
	s_ashr_i32 s16, s25, 31
	v_mov_b32_e32 v8, s25
	v_mov_b32_e32 v9, s16
	v_cmp_le_i64_e32 vcc, s[8:9], v[8:9]
	v_add_u32_e32 v6, s2, v6
	s_add_i32 s25, s25, s2
	s_cbranch_vccnz .LBB186_15
.LBB186_6:                              ; =>This Inner Loop Header: Depth=1
	v_cmp_gt_i32_e32 vcc, v2, v6
	s_and_b64 s[16:17], s[14:15], vcc
	s_and_saveexec_b64 s[26:27], s[16:17]
	s_xor_b64 s[16:17], exec, s[26:27]
	s_cbranch_execz .LBB186_8
; %bb.7:                                ;   in Loop: Header=BB186_6 Depth=1
	v_ashrrev_i32_e32 v7, 31, v6
	v_lshl_add_u64 v[8:9], v[6:7], 3, v[0:1]
	flat_load_dwordx2 v[8:9], v[8:9]
	s_load_dword s26, s[22:23], 0xc
	s_waitcnt lgkmcnt(0)
	s_and_b32 s26, s26, 0xffff
	v_mul_lo_u32 v3, v6, s26
	v_lshl_add_u32 v3, v3, 3, v13
	s_waitcnt vmcnt(0)
	ds_write_b64 v3, v[8:9]
.LBB186_8:                              ;   in Loop: Header=BB186_6 Depth=1
	s_andn2_saveexec_b64 s[16:17], s[16:17]
	s_cbranch_execz .LBB186_5
; %bb.9:                                ;   in Loop: Header=BB186_6 Depth=1
	v_cmp_eq_u32_e32 vcc, v2, v6
	s_and_b64 s[28:29], s[14:15], vcc
	s_and_saveexec_b64 s[26:27], s[28:29]
	s_cbranch_execz .LBB186_4
; %bb.10:                               ;   in Loop: Header=BB186_6 Depth=1
	flat_load_dwordx2 v[8:9], v[4:5]
                                        ; implicit-def: $vgpr10_vgpr11
	s_waitcnt vmcnt(0) lgkmcnt(0)
	v_cmp_ngt_f32_e64 s[28:29], |v8|, |v9|
	s_and_saveexec_b64 s[30:31], s[28:29]
	s_xor_b64 s[28:29], exec, s[30:31]
	s_cbranch_execz .LBB186_12
; %bb.11:                               ;   in Loop: Header=BB186_6 Depth=1
	v_div_scale_f32 v3, s[30:31], v9, v9, v8
	v_rcp_f32_e32 v7, v3
	v_div_scale_f32 v10, vcc, v8, v9, v8
	v_fma_f32 v11, -v3, v7, 1.0
	v_fmac_f32_e32 v7, v11, v7
	v_mul_f32_e32 v11, v10, v7
	v_fma_f32 v14, -v3, v11, v10
	v_fmac_f32_e32 v11, v14, v7
	v_fma_f32 v3, -v3, v11, v10
	v_div_fmas_f32 v3, v3, v7, v11
	v_div_fixup_f32 v3, v3, v9, v8
	v_fmac_f32_e32 v9, v8, v3
	v_div_scale_f32 v7, s[30:31], v9, v9, 1.0
	v_rcp_f32_e32 v8, v7
	s_nop 0
	v_fma_f32 v10, -v7, v8, 1.0
	v_fmac_f32_e32 v8, v10, v8
	v_div_scale_f32 v10, vcc, 1.0, v9, 1.0
	v_mul_f32_e32 v11, v10, v8
	v_fma_f32 v14, -v7, v11, v10
	v_fmac_f32_e32 v11, v14, v8
	v_fma_f32 v7, -v7, v11, v10
	v_div_fmas_f32 v7, v7, v8, v11
	v_div_fixup_f32 v7, v7, v9, 1.0
	v_mul_f32_e32 v10, v3, v7
	v_xor_b32_e32 v11, 0x80000000, v7
                                        ; implicit-def: $vgpr8_vgpr9
.LBB186_12:                             ;   in Loop: Header=BB186_6 Depth=1
	s_andn2_saveexec_b64 s[28:29], s[28:29]
	s_cbranch_execz .LBB186_3
; %bb.13:                               ;   in Loop: Header=BB186_6 Depth=1
	v_div_scale_f32 v3, s[30:31], v8, v8, v9
	v_rcp_f32_e32 v7, v3
	v_div_scale_f32 v10, vcc, v9, v8, v9
	v_fma_f32 v11, -v3, v7, 1.0
	v_fmac_f32_e32 v7, v11, v7
	v_mul_f32_e32 v11, v10, v7
	v_fma_f32 v14, -v3, v11, v10
	v_fmac_f32_e32 v11, v14, v7
	v_fma_f32 v3, -v3, v11, v10
	v_div_fmas_f32 v3, v3, v7, v11
	v_div_fixup_f32 v3, v3, v8, v9
	v_fmac_f32_e32 v8, v9, v3
	v_div_scale_f32 v7, s[30:31], v8, v8, 1.0
	v_rcp_f32_e32 v9, v7
	s_nop 0
	v_fma_f32 v10, -v7, v9, 1.0
	v_fmac_f32_e32 v9, v10, v9
	v_div_scale_f32 v10, vcc, 1.0, v8, 1.0
	v_mul_f32_e32 v11, v10, v9
	v_fma_f32 v14, -v7, v11, v10
	v_fmac_f32_e32 v11, v14, v9
	v_fma_f32 v7, -v7, v11, v10
	v_div_fmas_f32 v7, v7, v9, v11
	v_div_fixup_f32 v10, v7, v8, 1.0
	v_mul_f32_e64 v11, v3, -v10
	s_branch .LBB186_3
.LBB186_14:
	s_mov_b64 s[4:5], s[26:27]
	s_branch .LBB186_16
.LBB186_15:
	s_mov_b64 s[14:15], src_shared_base
	s_load_dword s14, s[22:23], 0xc
	s_mov_b32 s25, s15
	s_mov_b32 s17, 0
	s_waitcnt lgkmcnt(0)
	s_and_b32 s16, s14, 0xffff
	s_mov_b64 s[14:15], s[24:25]
.LBB186_16:
	s_load_dwordx2 s[22:23], s[0:1], 0x18
	s_mul_i32 s3, s3, s2
	v_add_u32_e32 v0, s3, v12
	v_mov_b32_e32 v1, 0
	v_cmp_gt_i64_e32 vcc, s[10:11], v[0:1]
	s_and_saveexec_b64 s[2:3], vcc
	s_cbranch_execz .LBB186_50
; %bb.17:
	v_mov_b32_e32 v3, v1
	v_cmp_gt_i64_e32 vcc, s[8:9], v[2:3]
	s_and_b64 exec, exec, vcc
	s_cbranch_execz .LBB186_50
; %bb.18:
	s_lshl_b64 s[2:3], s[6:7], 3
	v_mad_u64_u32 v[4:5], s[6:7], s18, v2, 0
	v_mov_b32_e32 v6, v5
	s_waitcnt lgkmcnt(0)
	s_add_u32 s2, s20, s2
	v_mad_u64_u32 v[6:7], s[6:7], s19, v2, v[6:7]
	s_addc_u32 s3, s21, s3
	v_mov_b32_e32 v5, v6
	v_lshl_add_u64 v[4:5], v[4:5], 3, s[2:3]
	v_lshl_add_u64 v[0:1], v[0:1], 3, v[4:5]
	flat_load_dwordx2 v[6:7], v[0:1]
	v_cmp_gt_u64_e64 s[10:11], s[8:9], 1
	s_add_u32 s2, s8, -1
	s_mov_b64 s[6:7], -1
	s_addc_u32 s3, s9, -1
	s_and_b64 vcc, exec, s[10:11]
                                        ; implicit-def: $vgpr4_vgpr5
	s_waitcnt vmcnt(0) lgkmcnt(0)
	v_pk_mul_f32 v[14:15], s[22:23], v[6:7] op_sel:[1,1] op_sel_hi:[0,1]
	v_pk_mul_f32 v[8:9], s[22:23], v[6:7]
	v_pk_fma_f32 v[10:11], s[22:23], v[6:7], v[14:15] op_sel_hi:[1,0,1]
	s_nop 0
	v_sub_f32_e32 v10, v8, v14
	s_cbranch_vccnz .LBB186_20
; %bb.19:
	s_mov_b64 s[6:7], 0
	v_mov_b64_e32 v[4:5], v[10:11]
.LBB186_20:
	s_andn2_b64 vcc, exec, s[6:7]
	s_cbranch_vccnz .LBB186_39
; %bb.21:
	s_load_dword s0, s[0:1], 0x0
	v_lshl_add_u32 v14, v12, 3, 0
	s_waitcnt lgkmcnt(0)
	s_cmpk_lg_i32 s0, 0x71
	s_cselect_b64 s[0:1], -1, 0
	s_add_u32 s6, s16, s4
	v_mad_u64_u32 v[4:5], s[6:7], s6, v2, 0
	s_addc_u32 s8, s17, s5
	v_mov_b32_e32 v6, v5
	v_mad_u64_u32 v[6:7], s[6:7], s8, v2, v[6:7]
	v_mov_b32_e32 v5, v6
	v_lshl_add_u64 v[6:7], v[4:5], 3, s[14:15]
	v_mad_u64_u32 v[4:5], s[8:9], s4, v2, 0
	v_mov_b32_e32 v8, v5
	v_mad_u64_u32 v[8:9], s[8:9], s5, v2, v[8:9]
	v_mov_b32_e32 v5, v8
	s_mov_b32 s7, 0
	v_lshl_add_u64 v[8:9], v[4:5], 3, s[14:15]
	s_lshl_b32 s6, s16, 3
	s_mov_b64 s[8:9], 0
	s_branch .LBB186_24
.LBB186_22:                             ;   in Loop: Header=BB186_24 Depth=1
	ds_read_b64 v[16:17], v14
	s_waitcnt lgkmcnt(0)
	v_pk_mul_f32 v[12:13], v[12:13], v[16:17] op_sel:[0,1] op_sel_hi:[0,0]
	v_pk_fma_f32 v[18:19], v[16:17], v[10:11], v[12:13] neg_lo:[0,0,1] neg_hi:[0,0,1]
	v_pk_fma_f32 v[10:11], v[16:17], v[10:11], v[12:13] op_sel_hi:[1,0,1]
	s_nop 0
	v_mov_b32_e32 v19, v11
	v_pk_add_f32 v[10:11], v[4:5], v[18:19] neg_lo:[0,1] neg_hi:[0,1]
	s_nop 0
	v_mov_b64_e32 v[4:5], v[10:11]
.LBB186_23:                             ;   in Loop: Header=BB186_24 Depth=1
	s_or_b64 exec, exec, s[10:11]
	s_add_u32 s8, s8, 1
	s_addc_u32 s9, s9, 0
	s_cmp_eq_u64 s[2:3], s[8:9]
	v_lshl_add_u64 v[8:9], v[8:9], 0, s[6:7]
	s_cbranch_scc1 .LBB186_39
.LBB186_24:                             ; =>This Inner Loop Header: Depth=1
	v_cmp_eq_u64_e32 vcc, s[8:9], v[2:3]
	v_mov_b64_e32 v[4:5], v[10:11]
	s_barrier
	s_and_saveexec_b64 s[10:11], vcc
	s_cbranch_execz .LBB186_34
; %bb.25:                               ;   in Loop: Header=BB186_24 Depth=1
	flat_load_dwordx2 v[4:5], v[6:7]
	s_mov_b64 s[18:19], -1
	s_and_b64 vcc, exec, s[12:13]
                                        ; implicit-def: $vgpr12_vgpr13
	s_cbranch_vccz .LBB186_31
; %bb.26:                               ;   in Loop: Header=BB186_24 Depth=1
	s_waitcnt vmcnt(0) lgkmcnt(0)
	v_cmp_ngt_f32_e64 s[18:19], |v4|, |v5|
                                        ; implicit-def: $vgpr12_vgpr13
	s_and_saveexec_b64 s[20:21], s[18:19]
	s_xor_b64 s[18:19], exec, s[20:21]
	s_cbranch_execz .LBB186_28
; %bb.27:                               ;   in Loop: Header=BB186_24 Depth=1
	v_div_scale_f32 v12, s[20:21], v5, v5, v4
	v_rcp_f32_e32 v13, v12
	v_div_scale_f32 v15, vcc, v4, v5, v4
	v_fma_f32 v16, -v12, v13, 1.0
	v_fmac_f32_e32 v13, v16, v13
	v_mul_f32_e32 v16, v15, v13
	v_fma_f32 v17, -v12, v16, v15
	v_fmac_f32_e32 v16, v17, v13
	v_fma_f32 v12, -v12, v16, v15
	v_div_fmas_f32 v12, v12, v13, v16
	v_div_fixup_f32 v12, v12, v5, v4
	v_fma_f32 v13, v4, v12, v5
	v_div_scale_f32 v15, s[20:21], v13, v13, 1.0
	v_rcp_f32_e32 v16, v15
	s_nop 0
	v_fma_f32 v17, -v15, v16, 1.0
	v_fmac_f32_e32 v16, v17, v16
	v_div_scale_f32 v17, vcc, 1.0, v13, 1.0
	v_mul_f32_e32 v18, v17, v16
	v_fma_f32 v19, -v15, v18, v17
	v_fmac_f32_e32 v18, v19, v16
	v_fma_f32 v15, -v15, v18, v17
	v_div_fmas_f32 v15, v15, v16, v18
	v_div_fixup_f32 v13, v15, v13, 1.0
	v_mul_f32_e32 v12, v12, v13
	v_xor_b32_e32 v13, 0x80000000, v13
.LBB186_28:                             ;   in Loop: Header=BB186_24 Depth=1
	s_andn2_saveexec_b64 s[18:19], s[18:19]
	s_cbranch_execz .LBB186_30
; %bb.29:                               ;   in Loop: Header=BB186_24 Depth=1
	v_div_scale_f32 v12, s[20:21], v4, v4, v5
	v_rcp_f32_e32 v13, v12
	v_div_scale_f32 v15, vcc, v5, v4, v5
	v_fma_f32 v16, -v12, v13, 1.0
	v_fmac_f32_e32 v13, v16, v13
	v_mul_f32_e32 v16, v15, v13
	v_fma_f32 v17, -v12, v16, v15
	v_fmac_f32_e32 v16, v17, v13
	v_fma_f32 v12, -v12, v16, v15
	v_div_fmas_f32 v12, v12, v13, v16
	v_div_fixup_f32 v13, v12, v4, v5
	v_fma_f32 v12, v5, v13, v4
	v_div_scale_f32 v15, s[20:21], v12, v12, 1.0
	v_rcp_f32_e32 v16, v15
	s_nop 0
	v_fma_f32 v17, -v15, v16, 1.0
	v_fmac_f32_e32 v16, v17, v16
	v_div_scale_f32 v17, vcc, 1.0, v12, 1.0
	v_mul_f32_e32 v18, v17, v16
	v_fma_f32 v19, -v15, v18, v17
	v_fmac_f32_e32 v18, v19, v16
	v_fma_f32 v15, -v15, v18, v17
	v_div_fmas_f32 v15, v15, v16, v18
	v_div_fixup_f32 v12, v15, v12, 1.0
	v_mul_f32_e64 v13, v13, -v12
.LBB186_30:                             ;   in Loop: Header=BB186_24 Depth=1
	s_or_b64 exec, exec, s[18:19]
	s_mov_b64 s[18:19], 0
.LBB186_31:                             ;   in Loop: Header=BB186_24 Depth=1
	s_andn2_b64 vcc, exec, s[18:19]
	s_cbranch_vccnz .LBB186_33
; %bb.32:                               ;   in Loop: Header=BB186_24 Depth=1
	s_waitcnt vmcnt(0) lgkmcnt(0)
	v_mov_b64_e32 v[12:13], v[4:5]
.LBB186_33:                             ;   in Loop: Header=BB186_24 Depth=1
	v_pk_mul_f32 v[16:17], v[10:11], v[12:13] op_sel:[1,1] op_sel_hi:[0,1]
	s_waitcnt vmcnt(0) lgkmcnt(0)
	v_pk_fma_f32 v[4:5], v[10:11], v[12:13], v[16:17] op_sel_hi:[1,0,1] neg_lo:[0,0,1] neg_hi:[0,0,1]
	v_pk_fma_f32 v[10:11], v[10:11], v[12:13], v[16:17] op_sel_hi:[1,0,1]
	s_nop 0
	v_mov_b32_e32 v5, v11
	v_mov_b32_e32 v10, v4
	ds_write_b64 v14, v[4:5]
.LBB186_34:                             ;   in Loop: Header=BB186_24 Depth=1
	s_or_b64 exec, exec, s[10:11]
	v_cmp_lt_u64_e32 vcc, s[8:9], v[2:3]
	s_waitcnt lgkmcnt(0)
	s_barrier
	s_and_saveexec_b64 s[10:11], vcc
	s_cbranch_execz .LBB186_23
; %bb.35:                               ;   in Loop: Header=BB186_24 Depth=1
	s_mov_b64 s[18:19], -1
	s_and_b64 vcc, exec, s[0:1]
                                        ; implicit-def: $vgpr10
                                        ; implicit-def: $vgpr12
	s_cbranch_vccz .LBB186_37
; %bb.36:                               ;   in Loop: Header=BB186_24 Depth=1
	flat_load_dwordx2 v[10:11], v[8:9]
	s_mov_b64 s[18:19], 0
	s_waitcnt vmcnt(0) lgkmcnt(0)
	v_mov_b32_e32 v12, v11
.LBB186_37:                             ;   in Loop: Header=BB186_24 Depth=1
	s_andn2_b64 vcc, exec, s[18:19]
	s_cbranch_vccnz .LBB186_22
; %bb.38:                               ;   in Loop: Header=BB186_24 Depth=1
	flat_load_dwordx2 v[10:11], v[8:9]
	s_waitcnt vmcnt(0) lgkmcnt(0)
	v_xor_b32_e32 v12, 0x80000000, v11
	s_branch .LBB186_22
.LBB186_39:
	v_cmp_eq_u64_e32 vcc, s[2:3], v[2:3]
	s_and_saveexec_b64 s[0:1], vcc
	s_cbranch_execz .LBB186_49
; %bb.40:
	s_add_u32 s2, s16, s4
	v_mad_u64_u32 v[6:7], s[2:3], s2, v2, 0
	s_addc_u32 s4, s17, s5
	v_mov_b32_e32 v8, v7
	v_mad_u64_u32 v[2:3], s[2:3], s4, v2, v[8:9]
	v_mov_b32_e32 v7, v2
	v_lshl_add_u64 v[2:3], v[6:7], 3, s[14:15]
	flat_load_dwordx2 v[2:3], v[2:3]
	s_and_b64 vcc, exec, s[12:13]
	s_cbranch_vccz .LBB186_46
; %bb.41:
	s_waitcnt vmcnt(0) lgkmcnt(0)
	v_cmp_ngt_f32_e64 s[2:3], |v2|, |v3|
                                        ; implicit-def: $vgpr6_vgpr7
	s_and_saveexec_b64 s[4:5], s[2:3]
	s_xor_b64 s[2:3], exec, s[4:5]
	s_cbranch_execz .LBB186_43
; %bb.42:
	v_div_scale_f32 v6, s[4:5], v3, v3, v2
	v_rcp_f32_e32 v7, v6
	v_div_scale_f32 v8, vcc, v2, v3, v2
	v_fma_f32 v9, -v6, v7, 1.0
	v_fmac_f32_e32 v7, v9, v7
	v_mul_f32_e32 v9, v8, v7
	v_fma_f32 v10, -v6, v9, v8
	v_fmac_f32_e32 v9, v10, v7
	v_fma_f32 v6, -v6, v9, v8
	v_div_fmas_f32 v6, v6, v7, v9
	v_div_fixup_f32 v6, v6, v3, v2
	v_fma_f32 v7, v2, v6, v3
	v_div_scale_f32 v8, s[4:5], v7, v7, 1.0
	v_rcp_f32_e32 v9, v8
	s_nop 0
	v_fma_f32 v10, -v8, v9, 1.0
	v_fmac_f32_e32 v9, v10, v9
	v_div_scale_f32 v10, vcc, 1.0, v7, 1.0
	v_mul_f32_e32 v11, v10, v9
	v_fma_f32 v12, -v8, v11, v10
	v_fmac_f32_e32 v11, v12, v9
	v_fma_f32 v8, -v8, v11, v10
	v_div_fmas_f32 v8, v8, v9, v11
	v_div_fixup_f32 v7, v8, v7, 1.0
	v_mul_f32_e32 v6, v6, v7
	v_xor_b32_e32 v7, 0x80000000, v7
.LBB186_43:
	s_andn2_saveexec_b64 s[2:3], s[2:3]
	s_cbranch_execz .LBB186_45
; %bb.44:
	v_div_scale_f32 v6, s[4:5], v2, v2, v3
	v_rcp_f32_e32 v7, v6
	v_div_scale_f32 v8, vcc, v3, v2, v3
	v_fma_f32 v9, -v6, v7, 1.0
	v_fmac_f32_e32 v7, v9, v7
	v_mul_f32_e32 v9, v8, v7
	v_fma_f32 v10, -v6, v9, v8
	v_fmac_f32_e32 v9, v10, v7
	v_fma_f32 v6, -v6, v9, v8
	v_div_fmas_f32 v6, v6, v7, v9
	v_div_fixup_f32 v7, v6, v2, v3
	v_fma_f32 v6, v3, v7, v2
	v_div_scale_f32 v8, s[4:5], v6, v6, 1.0
	v_rcp_f32_e32 v9, v8
	s_nop 0
	v_fma_f32 v10, -v8, v9, 1.0
	v_fmac_f32_e32 v9, v10, v9
	v_div_scale_f32 v10, vcc, 1.0, v6, 1.0
	v_mul_f32_e32 v11, v10, v9
	v_fma_f32 v12, -v8, v11, v10
	v_fmac_f32_e32 v11, v12, v9
	v_fma_f32 v8, -v8, v11, v10
	v_div_fmas_f32 v8, v8, v9, v11
	v_div_fixup_f32 v6, v8, v6, 1.0
	v_mul_f32_e64 v7, v7, -v6
.LBB186_45:
	s_or_b64 exec, exec, s[2:3]
	s_cbranch_execz .LBB186_47
	s_branch .LBB186_48
.LBB186_46:
                                        ; implicit-def: $vgpr6_vgpr7
.LBB186_47:
	s_waitcnt vmcnt(0) lgkmcnt(0)
	v_mov_b64_e32 v[6:7], v[2:3]
.LBB186_48:
	s_waitcnt vmcnt(0) lgkmcnt(0)
	v_pk_mul_f32 v[2:3], v[4:5], v[6:7] op_sel:[1,1] op_sel_hi:[1,0]
	s_nop 0
	v_pk_fma_f32 v[8:9], v[4:5], v[6:7], v[2:3] neg_lo:[0,0,1] neg_hi:[0,0,1]
	v_pk_fma_f32 v[2:3], v[4:5], v[6:7], v[2:3] op_sel_hi:[0,1,1]
	v_mov_b32_e32 v9, v3
	v_mov_b64_e32 v[4:5], v[8:9]
.LBB186_49:
	s_or_b64 exec, exec, s[0:1]
	flat_store_dwordx2 v[0:1], v[4:5]
.LBB186_50:
	s_endpgm
	.section	.rodata,"a",@progbits
	.p2align	6, 0x0
	.amdhsa_kernel _ZL39rocblas_trsm_block_forward_substitutionI19rocblas_complex_numIfES1_PKPKS1_PKPS1_Lb1ELb1ELb0EEv18rocblas_operation_llT0_T1_lllT2_lllib
		.amdhsa_group_segment_fixed_size 0
		.amdhsa_private_segment_fixed_size 0
		.amdhsa_kernarg_size 360
		.amdhsa_user_sgpr_count 2
		.amdhsa_user_sgpr_dispatch_ptr 0
		.amdhsa_user_sgpr_queue_ptr 0
		.amdhsa_user_sgpr_kernarg_segment_ptr 1
		.amdhsa_user_sgpr_dispatch_id 0
		.amdhsa_user_sgpr_kernarg_preload_length 0
		.amdhsa_user_sgpr_kernarg_preload_offset 0
		.amdhsa_user_sgpr_private_segment_size 0
		.amdhsa_uses_dynamic_stack 0
		.amdhsa_enable_private_segment 0
		.amdhsa_system_sgpr_workgroup_id_x 1
		.amdhsa_system_sgpr_workgroup_id_y 1
		.amdhsa_system_sgpr_workgroup_id_z 1
		.amdhsa_system_sgpr_workgroup_info 0
		.amdhsa_system_vgpr_workitem_id 1
		.amdhsa_next_free_vgpr 20
		.amdhsa_next_free_sgpr 32
		.amdhsa_accum_offset 20
		.amdhsa_reserve_vcc 1
		.amdhsa_float_round_mode_32 0
		.amdhsa_float_round_mode_16_64 0
		.amdhsa_float_denorm_mode_32 3
		.amdhsa_float_denorm_mode_16_64 3
		.amdhsa_dx10_clamp 1
		.amdhsa_ieee_mode 1
		.amdhsa_fp16_overflow 0
		.amdhsa_tg_split 0
		.amdhsa_exception_fp_ieee_invalid_op 0
		.amdhsa_exception_fp_denorm_src 0
		.amdhsa_exception_fp_ieee_div_zero 0
		.amdhsa_exception_fp_ieee_overflow 0
		.amdhsa_exception_fp_ieee_underflow 0
		.amdhsa_exception_fp_ieee_inexact 0
		.amdhsa_exception_int_div_zero 0
	.end_amdhsa_kernel
	.section	.text._ZL39rocblas_trsm_block_forward_substitutionI19rocblas_complex_numIfES1_PKPKS1_PKPS1_Lb1ELb1ELb0EEv18rocblas_operation_llT0_T1_lllT2_lllib,"axG",@progbits,_ZL39rocblas_trsm_block_forward_substitutionI19rocblas_complex_numIfES1_PKPKS1_PKPS1_Lb1ELb1ELb0EEv18rocblas_operation_llT0_T1_lllT2_lllib,comdat
.Lfunc_end186:
	.size	_ZL39rocblas_trsm_block_forward_substitutionI19rocblas_complex_numIfES1_PKPKS1_PKPS1_Lb1ELb1ELb0EEv18rocblas_operation_llT0_T1_lllT2_lllib, .Lfunc_end186-_ZL39rocblas_trsm_block_forward_substitutionI19rocblas_complex_numIfES1_PKPKS1_PKPS1_Lb1ELb1ELb0EEv18rocblas_operation_llT0_T1_lllT2_lllib
                                        ; -- End function
	.set _ZL39rocblas_trsm_block_forward_substitutionI19rocblas_complex_numIfES1_PKPKS1_PKPS1_Lb1ELb1ELb0EEv18rocblas_operation_llT0_T1_lllT2_lllib.num_vgpr, 20
	.set _ZL39rocblas_trsm_block_forward_substitutionI19rocblas_complex_numIfES1_PKPKS1_PKPS1_Lb1ELb1ELb0EEv18rocblas_operation_llT0_T1_lllT2_lllib.num_agpr, 0
	.set _ZL39rocblas_trsm_block_forward_substitutionI19rocblas_complex_numIfES1_PKPKS1_PKPS1_Lb1ELb1ELb0EEv18rocblas_operation_llT0_T1_lllT2_lllib.numbered_sgpr, 32
	.set _ZL39rocblas_trsm_block_forward_substitutionI19rocblas_complex_numIfES1_PKPKS1_PKPS1_Lb1ELb1ELb0EEv18rocblas_operation_llT0_T1_lllT2_lllib.num_named_barrier, 0
	.set _ZL39rocblas_trsm_block_forward_substitutionI19rocblas_complex_numIfES1_PKPKS1_PKPS1_Lb1ELb1ELb0EEv18rocblas_operation_llT0_T1_lllT2_lllib.private_seg_size, 0
	.set _ZL39rocblas_trsm_block_forward_substitutionI19rocblas_complex_numIfES1_PKPKS1_PKPS1_Lb1ELb1ELb0EEv18rocblas_operation_llT0_T1_lllT2_lllib.uses_vcc, 1
	.set _ZL39rocblas_trsm_block_forward_substitutionI19rocblas_complex_numIfES1_PKPKS1_PKPS1_Lb1ELb1ELb0EEv18rocblas_operation_llT0_T1_lllT2_lllib.uses_flat_scratch, 0
	.set _ZL39rocblas_trsm_block_forward_substitutionI19rocblas_complex_numIfES1_PKPKS1_PKPS1_Lb1ELb1ELb0EEv18rocblas_operation_llT0_T1_lllT2_lllib.has_dyn_sized_stack, 0
	.set _ZL39rocblas_trsm_block_forward_substitutionI19rocblas_complex_numIfES1_PKPKS1_PKPS1_Lb1ELb1ELb0EEv18rocblas_operation_llT0_T1_lllT2_lllib.has_recursion, 0
	.set _ZL39rocblas_trsm_block_forward_substitutionI19rocblas_complex_numIfES1_PKPKS1_PKPS1_Lb1ELb1ELb0EEv18rocblas_operation_llT0_T1_lllT2_lllib.has_indirect_call, 0
	.section	.AMDGPU.csdata,"",@progbits
; Kernel info:
; codeLenInByte = 2348
; TotalNumSgprs: 38
; NumVgprs: 20
; NumAgprs: 0
; TotalNumVgprs: 20
; ScratchSize: 0
; MemoryBound: 0
; FloatMode: 240
; IeeeMode: 1
; LDSByteSize: 0 bytes/workgroup (compile time only)
; SGPRBlocks: 4
; VGPRBlocks: 2
; NumSGPRsForWavesPerEU: 38
; NumVGPRsForWavesPerEU: 20
; AccumOffset: 20
; Occupancy: 8
; WaveLimiterHint : 1
; COMPUTE_PGM_RSRC2:SCRATCH_EN: 0
; COMPUTE_PGM_RSRC2:USER_SGPR: 2
; COMPUTE_PGM_RSRC2:TRAP_HANDLER: 0
; COMPUTE_PGM_RSRC2:TGID_X_EN: 1
; COMPUTE_PGM_RSRC2:TGID_Y_EN: 1
; COMPUTE_PGM_RSRC2:TGID_Z_EN: 1
; COMPUTE_PGM_RSRC2:TIDIG_COMP_CNT: 1
; COMPUTE_PGM_RSRC3_GFX90A:ACCUM_OFFSET: 4
; COMPUTE_PGM_RSRC3_GFX90A:TG_SPLIT: 0
	.section	.text._ZL40rocblas_trsm_block_backward_substitutionI19rocblas_complex_numIfES1_PKPKS1_PKPS1_Lb1ELb1ELb0EEv18rocblas_operation_llT0_T1_lllT2_lllib,"axG",@progbits,_ZL40rocblas_trsm_block_backward_substitutionI19rocblas_complex_numIfES1_PKPKS1_PKPS1_Lb1ELb1ELb0EEv18rocblas_operation_llT0_T1_lllT2_lllib,comdat
	.globl	_ZL40rocblas_trsm_block_backward_substitutionI19rocblas_complex_numIfES1_PKPKS1_PKPS1_Lb1ELb1ELb0EEv18rocblas_operation_llT0_T1_lllT2_lllib ; -- Begin function _ZL40rocblas_trsm_block_backward_substitutionI19rocblas_complex_numIfES1_PKPKS1_PKPS1_Lb1ELb1ELb0EEv18rocblas_operation_llT0_T1_lllT2_lllib
	.p2align	8
	.type	_ZL40rocblas_trsm_block_backward_substitutionI19rocblas_complex_numIfES1_PKPKS1_PKPS1_Lb1ELb1ELb0EEv18rocblas_operation_llT0_T1_lllT2_lllib,@function
_ZL40rocblas_trsm_block_backward_substitutionI19rocblas_complex_numIfES1_PKPKS1_PKPS1_Lb1ELb1ELb0EEv18rocblas_operation_llT0_T1_lllT2_lllib: ; @_ZL40rocblas_trsm_block_backward_substitutionI19rocblas_complex_numIfES1_PKPKS1_PKPS1_Lb1ELb1ELb0EEv18rocblas_operation_llT0_T1_lllT2_lllib
; %bb.0:
	s_load_dword s2, s[0:1], 0x64
	s_load_dwordx4 s[8:11], s[0:1], 0x8
	s_load_dwordx4 s[20:23], s[0:1], 0x20
	s_load_dword s26, s[0:1], 0x74
	s_mov_b32 s5, 0
	s_waitcnt lgkmcnt(0)
	s_bitcmp1_b32 s2, 0
	s_cselect_b64 s[6:7], -1, 0
	s_xor_b64 s[16:17], s[6:7], -1
	s_lshl_b64 s[4:5], s[4:5], 3
	s_add_u32 s6, s20, s4
	s_addc_u32 s7, s21, s5
	s_load_dwordx2 s[24:25], s[6:7], 0x0
	s_load_dwordx2 s[18:19], s[0:1], 0x30
	s_load_dwordx4 s[12:15], s[0:1], 0x40
	s_load_dwordx2 s[20:21], s[0:1], 0x50
	s_lshl_b64 s[6:7], s[22:23], 3
	s_waitcnt lgkmcnt(0)
	s_add_u32 s6, s24, s6
	s_addc_u32 s7, s25, s7
	s_add_u32 s4, s12, s4
	s_addc_u32 s5, s13, s5
	s_load_dwordx2 s[12:13], s[4:5], 0x0
	s_add_u32 s22, s0, 0x68
	v_and_b32_e32 v2, 0x3ff, v0
	v_bfe_u32 v12, v0, 10, 10
	s_addc_u32 s23, s1, 0
	s_lshr_b32 s2, s26, 16
	s_and_b64 vcc, exec, s[16:17]
	s_cbranch_vccnz .LBB187_16
; %bb.1:
	s_lshl_b32 s4, s2, 3
	s_add_i32 s24, s4, 0
	v_cmp_lt_i64_e64 s[4:5], s[8:9], 1
	s_and_b64 vcc, exec, s[4:5]
	s_cbranch_vccnz .LBB187_15
; %bb.2:
	v_mov_b32_e32 v3, 0
	v_lshlrev_b32_e32 v0, 3, v2
	v_mov_b32_e32 v1, v3
	v_add_u32_e32 v13, s24, v0
	v_lshl_add_u64 v[0:1], s[6:7], 0, v[0:1]
	v_mad_u64_u32 v[4:5], s[6:7], s18, v2, 0
	v_mov_b32_e32 v6, v5
	v_mad_u64_u32 v[6:7], s[6:7], s19, v2, v[6:7]
	v_cmp_le_u64_e64 s[26:27], s[8:9], v[2:3]
	v_mov_b32_e32 v5, v6
	v_cmp_gt_u64_e64 s[4:5], s[8:9], v[2:3]
	v_lshl_add_u64 v[4:5], v[4:5], 3, v[0:1]
	s_xor_b64 s[28:29], s[26:27], -1
	s_mov_b32 s25, s2
	v_mov_b32_e32 v6, v12
	s_branch .LBB187_5
.LBB187_3:                              ;   in Loop: Header=BB187_5 Depth=1
	s_or_b64 exec, exec, s[30:31]
	s_load_dword s30, s[22:23], 0xc
	s_waitcnt lgkmcnt(0)
	s_and_b32 s30, s30, 0xffff
	v_mul_u32_u24_e32 v3, s30, v2
	v_lshl_add_u32 v3, v3, 3, v13
	ds_write_b64 v3, v[10:11]
.LBB187_4:                              ;   in Loop: Header=BB187_5 Depth=1
	s_or_b64 exec, exec, s[6:7]
	s_ashr_i32 s6, s25, 31
	v_mov_b32_e32 v8, s25
	v_mov_b32_e32 v9, s6
	v_cmp_le_i64_e32 vcc, s[8:9], v[8:9]
	v_add_u32_e32 v6, s2, v6
	s_add_i32 s25, s25, s2
	s_cbranch_vccnz .LBB187_15
.LBB187_5:                              ; =>This Inner Loop Header: Depth=1
	s_mov_b64 s[34:35], s[26:27]
	s_and_saveexec_b64 s[30:31], s[4:5]
	s_cbranch_execz .LBB187_9
; %bb.6:                                ;   in Loop: Header=BB187_5 Depth=1
	v_ashrrev_i32_e32 v7, 31, v6
	v_cmp_gt_i64_e32 vcc, s[8:9], v[6:7]
	v_cmp_lt_i32_e64 s[6:7], v2, v6
	s_and_b64 s[36:37], s[6:7], vcc
	s_mov_b64 s[34:35], -1
	s_and_saveexec_b64 s[6:7], s[36:37]
	s_cbranch_execz .LBB187_8
; %bb.7:                                ;   in Loop: Header=BB187_5 Depth=1
	v_mul_lo_u32 v3, s19, v6
	v_mul_lo_u32 v7, s18, v7
	v_mad_u64_u32 v[8:9], s[34:35], s18, v6, 0
	v_add3_u32 v9, v9, v7, v3
	v_lshl_add_u64 v[8:9], v[8:9], 3, v[0:1]
	flat_load_dwordx2 v[8:9], v[8:9]
	s_load_dword s33, s[22:23], 0xc
	s_xor_b64 s[34:35], exec, -1
	s_waitcnt lgkmcnt(0)
	s_and_b32 s33, s33, 0xffff
	v_mul_lo_u32 v3, v6, s33
	v_lshl_add_u32 v3, v3, 3, v13
	s_waitcnt vmcnt(0)
	ds_write_b64 v3, v[8:9]
.LBB187_8:                              ;   in Loop: Header=BB187_5 Depth=1
	s_or_b64 exec, exec, s[6:7]
	s_andn2_b64 s[6:7], s[26:27], exec
	s_and_b64 s[34:35], s[34:35], exec
	s_or_b64 s[34:35], s[6:7], s[34:35]
.LBB187_9:                              ;   in Loop: Header=BB187_5 Depth=1
	s_or_b64 exec, exec, s[30:31]
	s_and_saveexec_b64 s[6:7], s[34:35]
	s_cbranch_execz .LBB187_4
; %bb.10:                               ;   in Loop: Header=BB187_5 Depth=1
	v_cmp_eq_u32_e32 vcc, v2, v6
	s_and_b64 s[30:31], s[28:29], vcc
	s_and_b64 exec, exec, s[30:31]
	s_cbranch_execz .LBB187_4
; %bb.11:                               ;   in Loop: Header=BB187_5 Depth=1
	flat_load_dwordx2 v[8:9], v[4:5]
                                        ; implicit-def: $vgpr10_vgpr11
	s_waitcnt vmcnt(0) lgkmcnt(0)
	v_cmp_ngt_f32_e64 s[30:31], |v8|, |v9|
	s_and_saveexec_b64 s[34:35], s[30:31]
	s_xor_b64 s[30:31], exec, s[34:35]
	s_cbranch_execz .LBB187_13
; %bb.12:                               ;   in Loop: Header=BB187_5 Depth=1
	v_div_scale_f32 v3, s[34:35], v9, v9, v8
	v_rcp_f32_e32 v7, v3
	v_div_scale_f32 v10, vcc, v8, v9, v8
	v_fma_f32 v11, -v3, v7, 1.0
	v_fmac_f32_e32 v7, v11, v7
	v_mul_f32_e32 v11, v10, v7
	v_fma_f32 v14, -v3, v11, v10
	v_fmac_f32_e32 v11, v14, v7
	v_fma_f32 v3, -v3, v11, v10
	v_div_fmas_f32 v3, v3, v7, v11
	v_div_fixup_f32 v3, v3, v9, v8
	v_fmac_f32_e32 v9, v8, v3
	v_div_scale_f32 v7, s[34:35], v9, v9, 1.0
	v_rcp_f32_e32 v8, v7
	s_nop 0
	v_fma_f32 v10, -v7, v8, 1.0
	v_fmac_f32_e32 v8, v10, v8
	v_div_scale_f32 v10, vcc, 1.0, v9, 1.0
	v_mul_f32_e32 v11, v10, v8
	v_fma_f32 v14, -v7, v11, v10
	v_fmac_f32_e32 v11, v14, v8
	v_fma_f32 v7, -v7, v11, v10
	v_div_fmas_f32 v7, v7, v8, v11
	v_div_fixup_f32 v7, v7, v9, 1.0
	v_mul_f32_e32 v10, v3, v7
	v_xor_b32_e32 v11, 0x80000000, v7
                                        ; implicit-def: $vgpr8_vgpr9
.LBB187_13:                             ;   in Loop: Header=BB187_5 Depth=1
	s_andn2_saveexec_b64 s[30:31], s[30:31]
	s_cbranch_execz .LBB187_3
; %bb.14:                               ;   in Loop: Header=BB187_5 Depth=1
	v_div_scale_f32 v3, s[34:35], v8, v8, v9
	v_rcp_f32_e32 v7, v3
	v_div_scale_f32 v10, vcc, v9, v8, v9
	v_fma_f32 v11, -v3, v7, 1.0
	v_fmac_f32_e32 v7, v11, v7
	v_mul_f32_e32 v11, v10, v7
	v_fma_f32 v14, -v3, v11, v10
	v_fmac_f32_e32 v11, v14, v7
	v_fma_f32 v3, -v3, v11, v10
	v_div_fmas_f32 v3, v3, v7, v11
	v_div_fixup_f32 v3, v3, v8, v9
	v_fmac_f32_e32 v8, v9, v3
	v_div_scale_f32 v7, s[34:35], v8, v8, 1.0
	v_rcp_f32_e32 v9, v7
	s_nop 0
	v_fma_f32 v10, -v7, v9, 1.0
	v_fmac_f32_e32 v9, v10, v9
	v_div_scale_f32 v10, vcc, 1.0, v8, 1.0
	v_mul_f32_e32 v11, v10, v9
	v_fma_f32 v14, -v7, v11, v10
	v_fmac_f32_e32 v11, v14, v9
	v_fma_f32 v7, -v7, v11, v10
	v_div_fmas_f32 v7, v7, v9, v11
	v_div_fixup_f32 v10, v7, v8, 1.0
	v_mul_f32_e64 v11, v3, -v10
	s_branch .LBB187_3
.LBB187_15:
	s_mov_b64 s[4:5], src_shared_base
	s_load_dword s4, s[22:23], 0xc
	s_mov_b32 s25, s5
	s_mov_b32 s19, 0
	s_mov_b64 s[6:7], s[24:25]
	s_waitcnt lgkmcnt(0)
	s_and_b32 s18, s4, 0xffff
.LBB187_16:
	s_load_dwordx2 s[4:5], s[0:1], 0x18
	s_mul_i32 s3, s3, s2
	v_add_u32_e32 v0, s3, v12
	v_mov_b32_e32 v1, 0
	v_cmp_gt_i64_e32 vcc, s[10:11], v[0:1]
	s_and_saveexec_b64 s[2:3], vcc
	s_cbranch_execz .LBB187_50
; %bb.17:
	v_mov_b32_e32 v3, v1
	v_cmp_gt_i64_e32 vcc, s[8:9], v[2:3]
	s_and_b64 exec, exec, vcc
	s_cbranch_execz .LBB187_50
; %bb.18:
	v_mad_u64_u32 v[4:5], s[10:11], s20, v0, 0
	s_lshl_b64 s[2:3], s[14:15], 3
	v_mov_b32_e32 v6, v5
	s_waitcnt lgkmcnt(0)
	s_add_u32 s2, s12, s2
	v_mad_u64_u32 v[0:1], s[10:11], s21, v0, v[6:7]
	s_addc_u32 s3, s13, s3
	v_mov_b32_e32 v5, v0
	v_lshl_add_u64 v[0:1], v[4:5], 3, s[2:3]
	v_lshlrev_b32_e32 v10, 3, v2
	v_mov_b32_e32 v11, 0
	v_lshl_add_u64 v[0:1], v[0:1], 0, v[10:11]
	flat_load_dwordx2 v[4:5], v[0:1]
	v_cmp_gt_u64_e64 s[2:3], s[8:9], 1
	s_and_b64 vcc, exec, s[2:3]
	s_waitcnt vmcnt(0) lgkmcnt(0)
	v_pk_mul_f32 v[14:15], s[4:5], v[4:5] op_sel:[1,1] op_sel_hi:[0,1]
	v_pk_mul_f32 v[8:9], s[4:5], v[4:5]
	v_pk_fma_f32 v[6:7], s[4:5], v[4:5], v[14:15] op_sel_hi:[1,0,1]
	s_nop 0
	v_sub_f32_e32 v6, v8, v14
	s_cbranch_vccnz .LBB187_20
; %bb.19:
	v_mov_b64_e32 v[8:9], v[6:7]
	s_cbranch_execz .LBB187_21
	s_branch .LBB187_39
.LBB187_20:
                                        ; implicit-def: $vgpr8_vgpr9
.LBB187_21:
	s_load_dword s2, s[0:1], 0x0
	v_mad_u64_u32 v[4:5], s[0:1], v2, s18, v[2:3]
	v_mov_b32_e32 v8, v5
	v_mov_b32_e32 v11, 0
	s_waitcnt lgkmcnt(0)
	s_cmpk_lg_i32 s2, 0x71
	v_mad_u64_u32 v[8:9], s[2:3], v2, s19, v[8:9]
	s_cselect_b64 s[0:1], -1, 0
	s_add_u32 s2, s8, -1
	s_addc_u32 s3, s9, -1
	s_mul_i32 s4, s18, s3
	s_mul_hi_u32 s5, s18, s2
	s_add_i32 s4, s5, s4
	s_mul_i32 s5, s19, s2
	s_add_i32 s5, s4, s5
	s_mul_i32 s4, s18, s2
	s_lshl_b64 s[4:5], s[4:5], 3
	s_add_u32 s4, s6, s4
	s_addc_u32 s5, s7, s5
	v_lshl_add_u64 v[10:11], s[4:5], 0, v[10:11]
	s_lshl_b64 s[4:5], s[18:19], 3
	v_mov_b32_e32 v5, v8
	s_sub_u32 s4, 0, s4
	v_lshl_add_u64 v[4:5], v[4:5], 3, s[6:7]
	v_lshl_add_u32 v14, v12, 3, 0
	s_subb_u32 s5, 0, s5
	s_branch .LBB187_24
.LBB187_22:                             ;   in Loop: Header=BB187_24 Depth=1
	ds_read_b64 v[16:17], v14
	s_waitcnt lgkmcnt(0)
	v_pk_mul_f32 v[12:13], v[12:13], v[16:17] op_sel:[0,1] op_sel_hi:[0,0]
	v_pk_fma_f32 v[18:19], v[16:17], v[6:7], v[12:13] neg_lo:[0,0,1] neg_hi:[0,0,1]
	v_pk_fma_f32 v[6:7], v[16:17], v[6:7], v[12:13] op_sel_hi:[1,0,1]
	s_nop 0
	v_mov_b32_e32 v19, v7
	v_pk_add_f32 v[6:7], v[8:9], v[18:19] neg_lo:[0,1] neg_hi:[0,1]
	s_nop 0
	v_mov_b64_e32 v[8:9], v[6:7]
.LBB187_23:                             ;   in Loop: Header=BB187_24 Depth=1
	s_or_b64 exec, exec, s[8:9]
	s_add_u32 s8, s2, -1
	s_addc_u32 s9, s3, -1
	s_add_u32 s2, s2, 1
	s_addc_u32 s3, s3, 0
	v_cmp_lt_u64_e64 s[2:3], s[2:3], 3
	v_lshl_add_u64 v[10:11], v[10:11], 0, s[4:5]
	s_and_b64 vcc, exec, s[2:3]
	s_mov_b64 s[2:3], s[8:9]
	s_cbranch_vccnz .LBB187_39
.LBB187_24:                             ; =>This Inner Loop Header: Depth=1
	v_cmp_eq_u64_e32 vcc, s[2:3], v[2:3]
	v_mov_b64_e32 v[8:9], v[6:7]
	s_barrier
	s_and_saveexec_b64 s[8:9], vcc
	s_cbranch_execz .LBB187_34
; %bb.25:                               ;   in Loop: Header=BB187_24 Depth=1
	flat_load_dwordx2 v[8:9], v[4:5]
	s_mov_b64 s[10:11], -1
	s_and_b64 vcc, exec, s[16:17]
                                        ; implicit-def: $vgpr12_vgpr13
	s_cbranch_vccz .LBB187_31
; %bb.26:                               ;   in Loop: Header=BB187_24 Depth=1
	s_waitcnt vmcnt(0) lgkmcnt(0)
	v_cmp_ngt_f32_e64 s[10:11], |v8|, |v9|
                                        ; implicit-def: $vgpr12_vgpr13
	s_and_saveexec_b64 s[12:13], s[10:11]
	s_xor_b64 s[10:11], exec, s[12:13]
	s_cbranch_execz .LBB187_28
; %bb.27:                               ;   in Loop: Header=BB187_24 Depth=1
	v_div_scale_f32 v12, s[12:13], v9, v9, v8
	v_rcp_f32_e32 v13, v12
	v_div_scale_f32 v15, vcc, v8, v9, v8
	v_fma_f32 v16, -v12, v13, 1.0
	v_fmac_f32_e32 v13, v16, v13
	v_mul_f32_e32 v16, v15, v13
	v_fma_f32 v17, -v12, v16, v15
	v_fmac_f32_e32 v16, v17, v13
	v_fma_f32 v12, -v12, v16, v15
	v_div_fmas_f32 v12, v12, v13, v16
	v_div_fixup_f32 v12, v12, v9, v8
	v_fma_f32 v13, v8, v12, v9
	v_div_scale_f32 v15, s[12:13], v13, v13, 1.0
	v_rcp_f32_e32 v16, v15
	s_nop 0
	v_fma_f32 v17, -v15, v16, 1.0
	v_fmac_f32_e32 v16, v17, v16
	v_div_scale_f32 v17, vcc, 1.0, v13, 1.0
	v_mul_f32_e32 v18, v17, v16
	v_fma_f32 v19, -v15, v18, v17
	v_fmac_f32_e32 v18, v19, v16
	v_fma_f32 v15, -v15, v18, v17
	v_div_fmas_f32 v15, v15, v16, v18
	v_div_fixup_f32 v13, v15, v13, 1.0
	v_mul_f32_e32 v12, v12, v13
	v_xor_b32_e32 v13, 0x80000000, v13
.LBB187_28:                             ;   in Loop: Header=BB187_24 Depth=1
	s_andn2_saveexec_b64 s[10:11], s[10:11]
	s_cbranch_execz .LBB187_30
; %bb.29:                               ;   in Loop: Header=BB187_24 Depth=1
	v_div_scale_f32 v12, s[12:13], v8, v8, v9
	v_rcp_f32_e32 v13, v12
	v_div_scale_f32 v15, vcc, v9, v8, v9
	v_fma_f32 v16, -v12, v13, 1.0
	v_fmac_f32_e32 v13, v16, v13
	v_mul_f32_e32 v16, v15, v13
	v_fma_f32 v17, -v12, v16, v15
	v_fmac_f32_e32 v16, v17, v13
	v_fma_f32 v12, -v12, v16, v15
	v_div_fmas_f32 v12, v12, v13, v16
	v_div_fixup_f32 v13, v12, v8, v9
	v_fma_f32 v12, v9, v13, v8
	v_div_scale_f32 v15, s[12:13], v12, v12, 1.0
	v_rcp_f32_e32 v16, v15
	s_nop 0
	v_fma_f32 v17, -v15, v16, 1.0
	v_fmac_f32_e32 v16, v17, v16
	v_div_scale_f32 v17, vcc, 1.0, v12, 1.0
	v_mul_f32_e32 v18, v17, v16
	v_fma_f32 v19, -v15, v18, v17
	v_fmac_f32_e32 v18, v19, v16
	v_fma_f32 v15, -v15, v18, v17
	v_div_fmas_f32 v15, v15, v16, v18
	v_div_fixup_f32 v12, v15, v12, 1.0
	v_mul_f32_e64 v13, v13, -v12
.LBB187_30:                             ;   in Loop: Header=BB187_24 Depth=1
	s_or_b64 exec, exec, s[10:11]
	s_mov_b64 s[10:11], 0
.LBB187_31:                             ;   in Loop: Header=BB187_24 Depth=1
	s_andn2_b64 vcc, exec, s[10:11]
	s_cbranch_vccnz .LBB187_33
; %bb.32:                               ;   in Loop: Header=BB187_24 Depth=1
	s_waitcnt vmcnt(0) lgkmcnt(0)
	v_mov_b64_e32 v[12:13], v[8:9]
.LBB187_33:                             ;   in Loop: Header=BB187_24 Depth=1
	v_pk_mul_f32 v[16:17], v[6:7], v[12:13] op_sel:[1,1] op_sel_hi:[0,1]
	s_waitcnt vmcnt(0) lgkmcnt(0)
	v_pk_fma_f32 v[8:9], v[6:7], v[12:13], v[16:17] op_sel_hi:[1,0,1] neg_lo:[0,0,1] neg_hi:[0,0,1]
	v_pk_fma_f32 v[6:7], v[6:7], v[12:13], v[16:17] op_sel_hi:[1,0,1]
	s_nop 0
	v_mov_b32_e32 v9, v7
	v_mov_b32_e32 v6, v8
	ds_write_b64 v14, v[8:9]
.LBB187_34:                             ;   in Loop: Header=BB187_24 Depth=1
	s_or_b64 exec, exec, s[8:9]
	v_cmp_gt_i64_e32 vcc, s[2:3], v[2:3]
	s_waitcnt lgkmcnt(0)
	s_barrier
	s_and_saveexec_b64 s[8:9], vcc
	s_cbranch_execz .LBB187_23
; %bb.35:                               ;   in Loop: Header=BB187_24 Depth=1
	s_mov_b64 s[10:11], -1
	s_and_b64 vcc, exec, s[0:1]
                                        ; implicit-def: $vgpr6
                                        ; implicit-def: $vgpr12
	s_cbranch_vccz .LBB187_37
; %bb.36:                               ;   in Loop: Header=BB187_24 Depth=1
	flat_load_dwordx2 v[6:7], v[10:11]
	s_mov_b64 s[10:11], 0
	s_waitcnt vmcnt(0) lgkmcnt(0)
	v_mov_b32_e32 v12, v7
.LBB187_37:                             ;   in Loop: Header=BB187_24 Depth=1
	s_andn2_b64 vcc, exec, s[10:11]
	s_cbranch_vccnz .LBB187_22
; %bb.38:                               ;   in Loop: Header=BB187_24 Depth=1
	flat_load_dwordx2 v[6:7], v[10:11]
	s_waitcnt vmcnt(0) lgkmcnt(0)
	v_xor_b32_e32 v12, 0x80000000, v7
	s_branch .LBB187_22
.LBB187_39:
	v_cmp_eq_u32_e32 vcc, 0, v2
	s_and_saveexec_b64 s[0:1], vcc
	s_cbranch_execz .LBB187_49
; %bb.40:
	v_mad_u64_u32 v[4:5], s[2:3], v2, s18, v[2:3]
	v_mov_b32_e32 v6, v5
	v_mad_u64_u32 v[2:3], s[2:3], v2, s19, v[6:7]
	v_mov_b32_e32 v5, v2
	v_lshl_add_u64 v[2:3], v[4:5], 3, s[6:7]
	flat_load_dwordx2 v[2:3], v[2:3]
	s_and_b64 vcc, exec, s[16:17]
	s_cbranch_vccz .LBB187_46
; %bb.41:
	s_waitcnt vmcnt(0) lgkmcnt(0)
	v_cmp_ngt_f32_e64 s[2:3], |v2|, |v3|
                                        ; implicit-def: $vgpr4_vgpr5
	s_and_saveexec_b64 s[4:5], s[2:3]
	s_xor_b64 s[2:3], exec, s[4:5]
	s_cbranch_execz .LBB187_43
; %bb.42:
	v_div_scale_f32 v4, s[4:5], v3, v3, v2
	v_rcp_f32_e32 v5, v4
	v_div_scale_f32 v6, vcc, v2, v3, v2
	v_fma_f32 v7, -v4, v5, 1.0
	v_fmac_f32_e32 v5, v7, v5
	v_mul_f32_e32 v7, v6, v5
	v_fma_f32 v10, -v4, v7, v6
	v_fmac_f32_e32 v7, v10, v5
	v_fma_f32 v4, -v4, v7, v6
	v_div_fmas_f32 v4, v4, v5, v7
	v_div_fixup_f32 v4, v4, v3, v2
	v_fma_f32 v5, v2, v4, v3
	v_div_scale_f32 v6, s[4:5], v5, v5, 1.0
	v_rcp_f32_e32 v7, v6
	s_nop 0
	v_fma_f32 v10, -v6, v7, 1.0
	v_fmac_f32_e32 v7, v10, v7
	v_div_scale_f32 v10, vcc, 1.0, v5, 1.0
	v_mul_f32_e32 v11, v10, v7
	v_fma_f32 v12, -v6, v11, v10
	v_fmac_f32_e32 v11, v12, v7
	v_fma_f32 v6, -v6, v11, v10
	v_div_fmas_f32 v6, v6, v7, v11
	v_div_fixup_f32 v5, v6, v5, 1.0
	v_mul_f32_e32 v4, v4, v5
	v_xor_b32_e32 v5, 0x80000000, v5
.LBB187_43:
	s_andn2_saveexec_b64 s[2:3], s[2:3]
	s_cbranch_execz .LBB187_45
; %bb.44:
	v_div_scale_f32 v4, s[4:5], v2, v2, v3
	v_rcp_f32_e32 v5, v4
	v_div_scale_f32 v6, vcc, v3, v2, v3
	v_fma_f32 v7, -v4, v5, 1.0
	v_fmac_f32_e32 v5, v7, v5
	v_mul_f32_e32 v7, v6, v5
	v_fma_f32 v10, -v4, v7, v6
	v_fmac_f32_e32 v7, v10, v5
	v_fma_f32 v4, -v4, v7, v6
	v_div_fmas_f32 v4, v4, v5, v7
	v_div_fixup_f32 v5, v4, v2, v3
	v_fma_f32 v4, v3, v5, v2
	v_div_scale_f32 v6, s[4:5], v4, v4, 1.0
	v_rcp_f32_e32 v7, v6
	s_nop 0
	v_fma_f32 v10, -v6, v7, 1.0
	v_fmac_f32_e32 v7, v10, v7
	v_div_scale_f32 v10, vcc, 1.0, v4, 1.0
	v_mul_f32_e32 v11, v10, v7
	v_fma_f32 v12, -v6, v11, v10
	v_fmac_f32_e32 v11, v12, v7
	v_fma_f32 v6, -v6, v11, v10
	v_div_fmas_f32 v6, v6, v7, v11
	v_div_fixup_f32 v4, v6, v4, 1.0
	v_mul_f32_e64 v5, v5, -v4
.LBB187_45:
	s_or_b64 exec, exec, s[2:3]
	s_cbranch_execz .LBB187_47
	s_branch .LBB187_48
.LBB187_46:
                                        ; implicit-def: $vgpr4_vgpr5
.LBB187_47:
	s_waitcnt vmcnt(0) lgkmcnt(0)
	v_mov_b64_e32 v[4:5], v[2:3]
.LBB187_48:
	s_waitcnt vmcnt(0) lgkmcnt(0)
	v_pk_mul_f32 v[2:3], v[8:9], v[4:5] op_sel:[1,1] op_sel_hi:[1,0]
	s_nop 0
	v_pk_fma_f32 v[6:7], v[8:9], v[4:5], v[2:3] neg_lo:[0,0,1] neg_hi:[0,0,1]
	v_pk_fma_f32 v[2:3], v[8:9], v[4:5], v[2:3] op_sel_hi:[0,1,1]
	v_mov_b32_e32 v7, v3
	v_mov_b64_e32 v[8:9], v[6:7]
.LBB187_49:
	s_or_b64 exec, exec, s[0:1]
	flat_store_dwordx2 v[0:1], v[8:9]
.LBB187_50:
	s_endpgm
	.section	.rodata,"a",@progbits
	.p2align	6, 0x0
	.amdhsa_kernel _ZL40rocblas_trsm_block_backward_substitutionI19rocblas_complex_numIfES1_PKPKS1_PKPS1_Lb1ELb1ELb0EEv18rocblas_operation_llT0_T1_lllT2_lllib
		.amdhsa_group_segment_fixed_size 0
		.amdhsa_private_segment_fixed_size 0
		.amdhsa_kernarg_size 360
		.amdhsa_user_sgpr_count 2
		.amdhsa_user_sgpr_dispatch_ptr 0
		.amdhsa_user_sgpr_queue_ptr 0
		.amdhsa_user_sgpr_kernarg_segment_ptr 1
		.amdhsa_user_sgpr_dispatch_id 0
		.amdhsa_user_sgpr_kernarg_preload_length 0
		.amdhsa_user_sgpr_kernarg_preload_offset 0
		.amdhsa_user_sgpr_private_segment_size 0
		.amdhsa_uses_dynamic_stack 0
		.amdhsa_enable_private_segment 0
		.amdhsa_system_sgpr_workgroup_id_x 1
		.amdhsa_system_sgpr_workgroup_id_y 1
		.amdhsa_system_sgpr_workgroup_id_z 1
		.amdhsa_system_sgpr_workgroup_info 0
		.amdhsa_system_vgpr_workitem_id 1
		.amdhsa_next_free_vgpr 20
		.amdhsa_next_free_sgpr 38
		.amdhsa_accum_offset 20
		.amdhsa_reserve_vcc 1
		.amdhsa_float_round_mode_32 0
		.amdhsa_float_round_mode_16_64 0
		.amdhsa_float_denorm_mode_32 3
		.amdhsa_float_denorm_mode_16_64 3
		.amdhsa_dx10_clamp 1
		.amdhsa_ieee_mode 1
		.amdhsa_fp16_overflow 0
		.amdhsa_tg_split 0
		.amdhsa_exception_fp_ieee_invalid_op 0
		.amdhsa_exception_fp_denorm_src 0
		.amdhsa_exception_fp_ieee_div_zero 0
		.amdhsa_exception_fp_ieee_overflow 0
		.amdhsa_exception_fp_ieee_underflow 0
		.amdhsa_exception_fp_ieee_inexact 0
		.amdhsa_exception_int_div_zero 0
	.end_amdhsa_kernel
	.section	.text._ZL40rocblas_trsm_block_backward_substitutionI19rocblas_complex_numIfES1_PKPKS1_PKPS1_Lb1ELb1ELb0EEv18rocblas_operation_llT0_T1_lllT2_lllib,"axG",@progbits,_ZL40rocblas_trsm_block_backward_substitutionI19rocblas_complex_numIfES1_PKPKS1_PKPS1_Lb1ELb1ELb0EEv18rocblas_operation_llT0_T1_lllT2_lllib,comdat
.Lfunc_end187:
	.size	_ZL40rocblas_trsm_block_backward_substitutionI19rocblas_complex_numIfES1_PKPKS1_PKPS1_Lb1ELb1ELb0EEv18rocblas_operation_llT0_T1_lllT2_lllib, .Lfunc_end187-_ZL40rocblas_trsm_block_backward_substitutionI19rocblas_complex_numIfES1_PKPKS1_PKPS1_Lb1ELb1ELb0EEv18rocblas_operation_llT0_T1_lllT2_lllib
                                        ; -- End function
	.set _ZL40rocblas_trsm_block_backward_substitutionI19rocblas_complex_numIfES1_PKPKS1_PKPS1_Lb1ELb1ELb0EEv18rocblas_operation_llT0_T1_lllT2_lllib.num_vgpr, 20
	.set _ZL40rocblas_trsm_block_backward_substitutionI19rocblas_complex_numIfES1_PKPKS1_PKPS1_Lb1ELb1ELb0EEv18rocblas_operation_llT0_T1_lllT2_lllib.num_agpr, 0
	.set _ZL40rocblas_trsm_block_backward_substitutionI19rocblas_complex_numIfES1_PKPKS1_PKPS1_Lb1ELb1ELb0EEv18rocblas_operation_llT0_T1_lllT2_lllib.numbered_sgpr, 38
	.set _ZL40rocblas_trsm_block_backward_substitutionI19rocblas_complex_numIfES1_PKPKS1_PKPS1_Lb1ELb1ELb0EEv18rocblas_operation_llT0_T1_lllT2_lllib.num_named_barrier, 0
	.set _ZL40rocblas_trsm_block_backward_substitutionI19rocblas_complex_numIfES1_PKPKS1_PKPS1_Lb1ELb1ELb0EEv18rocblas_operation_llT0_T1_lllT2_lllib.private_seg_size, 0
	.set _ZL40rocblas_trsm_block_backward_substitutionI19rocblas_complex_numIfES1_PKPKS1_PKPS1_Lb1ELb1ELb0EEv18rocblas_operation_llT0_T1_lllT2_lllib.uses_vcc, 1
	.set _ZL40rocblas_trsm_block_backward_substitutionI19rocblas_complex_numIfES1_PKPKS1_PKPS1_Lb1ELb1ELb0EEv18rocblas_operation_llT0_T1_lllT2_lllib.uses_flat_scratch, 0
	.set _ZL40rocblas_trsm_block_backward_substitutionI19rocblas_complex_numIfES1_PKPKS1_PKPS1_Lb1ELb1ELb0EEv18rocblas_operation_llT0_T1_lllT2_lllib.has_dyn_sized_stack, 0
	.set _ZL40rocblas_trsm_block_backward_substitutionI19rocblas_complex_numIfES1_PKPKS1_PKPS1_Lb1ELb1ELb0EEv18rocblas_operation_llT0_T1_lllT2_lllib.has_recursion, 0
	.set _ZL40rocblas_trsm_block_backward_substitutionI19rocblas_complex_numIfES1_PKPKS1_PKPS1_Lb1ELb1ELb0EEv18rocblas_operation_llT0_T1_lllT2_lllib.has_indirect_call, 0
	.section	.AMDGPU.csdata,"",@progbits
; Kernel info:
; codeLenInByte = 2436
; TotalNumSgprs: 44
; NumVgprs: 20
; NumAgprs: 0
; TotalNumVgprs: 20
; ScratchSize: 0
; MemoryBound: 0
; FloatMode: 240
; IeeeMode: 1
; LDSByteSize: 0 bytes/workgroup (compile time only)
; SGPRBlocks: 5
; VGPRBlocks: 2
; NumSGPRsForWavesPerEU: 44
; NumVGPRsForWavesPerEU: 20
; AccumOffset: 20
; Occupancy: 8
; WaveLimiterHint : 1
; COMPUTE_PGM_RSRC2:SCRATCH_EN: 0
; COMPUTE_PGM_RSRC2:USER_SGPR: 2
; COMPUTE_PGM_RSRC2:TRAP_HANDLER: 0
; COMPUTE_PGM_RSRC2:TGID_X_EN: 1
; COMPUTE_PGM_RSRC2:TGID_Y_EN: 1
; COMPUTE_PGM_RSRC2:TGID_Z_EN: 1
; COMPUTE_PGM_RSRC2:TIDIG_COMP_CNT: 1
; COMPUTE_PGM_RSRC3_GFX90A:ACCUM_OFFSET: 4
; COMPUTE_PGM_RSRC3_GFX90A:TG_SPLIT: 0
	.section	.text._ZL39rocblas_trsm_block_forward_substitutionI19rocblas_complex_numIfES1_PKPKS1_PKPS1_Lb1ELb1ELb1EEv18rocblas_operation_llT0_T1_lllT2_lllib,"axG",@progbits,_ZL39rocblas_trsm_block_forward_substitutionI19rocblas_complex_numIfES1_PKPKS1_PKPS1_Lb1ELb1ELb1EEv18rocblas_operation_llT0_T1_lllT2_lllib,comdat
	.globl	_ZL39rocblas_trsm_block_forward_substitutionI19rocblas_complex_numIfES1_PKPKS1_PKPS1_Lb1ELb1ELb1EEv18rocblas_operation_llT0_T1_lllT2_lllib ; -- Begin function _ZL39rocblas_trsm_block_forward_substitutionI19rocblas_complex_numIfES1_PKPKS1_PKPS1_Lb1ELb1ELb1EEv18rocblas_operation_llT0_T1_lllT2_lllib
	.p2align	8
	.type	_ZL39rocblas_trsm_block_forward_substitutionI19rocblas_complex_numIfES1_PKPKS1_PKPS1_Lb1ELb1ELb1EEv18rocblas_operation_llT0_T1_lllT2_lllib,@function
_ZL39rocblas_trsm_block_forward_substitutionI19rocblas_complex_numIfES1_PKPKS1_PKPS1_Lb1ELb1ELb1EEv18rocblas_operation_llT0_T1_lllT2_lllib: ; @_ZL39rocblas_trsm_block_forward_substitutionI19rocblas_complex_numIfES1_PKPKS1_PKPS1_Lb1ELb1ELb1EEv18rocblas_operation_llT0_T1_lllT2_lllib
; %bb.0:
	s_load_dwordx4 s[12:15], s[0:1], 0x20
	s_mov_b32 s5, 0
	s_lshl_b64 s[16:17], s[4:5], 3
	v_and_b32_e32 v2, 0x3ff, v0
	v_bfe_u32 v6, v0, 10, 10
	s_waitcnt lgkmcnt(0)
	s_add_u32 s12, s12, s16
	s_addc_u32 s13, s13, s17
	s_load_dwordx2 s[18:19], s[12:13], 0x0
	s_load_dwordx4 s[8:11], s[0:1], 0x8
	s_load_dwordx4 s[4:7], s[0:1], 0x40
	s_load_dwordx2 s[26:27], s[0:1], 0x30
	s_lshl_b64 s[12:13], s[14:15], 3
	s_waitcnt lgkmcnt(0)
	s_add_u32 s14, s18, s12
	s_addc_u32 s15, s19, s13
	s_add_u32 s4, s4, s16
	s_addc_u32 s5, s5, s17
	s_load_dwordx2 s[18:19], s[4:5], 0x0
	s_load_dwordx2 s[16:17], s[0:1], 0x50
	s_load_dword s12, s[0:1], 0x64
	s_load_dword s2, s[0:1], 0x74
	s_add_u32 s22, s0, 0x68
	s_addc_u32 s23, s1, 0
	s_mov_b64 s[20:21], 1
	s_waitcnt lgkmcnt(0)
	s_lshr_b32 s2, s2, 16
	s_bitcmp0_b32 s12, 0
	s_cbranch_scc1 .LBB188_6
; %bb.1:
	s_lshl_b32 s4, s2, 3
	s_add_i32 s24, s4, 0
	v_cmp_lt_i64_e64 s[4:5], s[8:9], 1
	s_mov_b64 s[12:13], 1
	s_and_b64 vcc, exec, s[4:5]
	s_cbranch_vccnz .LBB188_7
; %bb.2:
	v_mad_u64_u32 v[0:1], s[20:21], s26, v2, 0
	v_mov_b32_e32 v4, v1
	v_mad_u64_u32 v[4:5], s[20:21], s27, v2, v[4:5]
	v_mov_b32_e32 v3, 0
	v_mov_b32_e32 v1, v4
	v_lshl_add_u32 v7, v2, 3, s24
	v_cmp_gt_u64_e64 s[4:5], s[8:9], v[2:3]
	v_lshl_add_u64 v[0:1], v[0:1], 3, s[14:15]
	s_mov_b32 s20, 0
	s_branch .LBB188_4
.LBB188_3:                              ;   in Loop: Header=BB188_4 Depth=1
	s_or_b64 exec, exec, s[14:15]
	s_add_i32 s20, s20, s2
	s_ashr_i32 s14, s20, 31
	v_mov_b32_e32 v4, s20
	v_mov_b32_e32 v5, s14
	v_cmp_le_i64_e32 vcc, s[8:9], v[4:5]
	s_cbranch_vccnz .LBB188_7
.LBB188_4:                              ; =>This Inner Loop Header: Depth=1
	v_add_u32_e32 v4, s20, v6
	v_cmp_gt_i32_e32 vcc, v2, v4
	s_and_b64 s[26:27], s[4:5], vcc
	s_and_saveexec_b64 s[14:15], s[26:27]
	s_cbranch_execz .LBB188_3
; %bb.5:                                ;   in Loop: Header=BB188_4 Depth=1
	v_ashrrev_i32_e32 v5, 31, v4
	v_lshl_add_u64 v[8:9], v[4:5], 3, v[0:1]
	flat_load_dwordx2 v[8:9], v[8:9]
	s_load_dword s21, s[22:23], 0xc
	s_waitcnt lgkmcnt(0)
	s_and_b32 s21, s21, 0xffff
	v_mul_lo_u32 v3, v4, s21
	v_lshl_add_u32 v3, v3, 3, v7
	s_waitcnt vmcnt(0)
	ds_write_b64 v3, v[8:9]
	s_branch .LBB188_3
.LBB188_6:
	s_mov_b64 s[12:13], s[26:27]
	s_branch .LBB188_8
.LBB188_7:
	s_mov_b64 s[4:5], src_shared_base
	s_load_dword s4, s[22:23], 0xc
	s_mov_b32 s25, s5
	s_mov_b64 s[14:15], s[24:25]
	s_waitcnt lgkmcnt(0)
	s_and_b32 s20, s4, 0xffff
.LBB188_8:
	s_load_dwordx2 s[4:5], s[0:1], 0x18
	s_mul_i32 s3, s3, s2
	v_add_u32_e32 v0, s3, v6
	v_mov_b32_e32 v1, 0
	v_cmp_gt_i64_e32 vcc, s[10:11], v[0:1]
	s_and_saveexec_b64 s[2:3], vcc
	s_cbranch_execz .LBB188_24
; %bb.9:
	v_mov_b32_e32 v3, v1
	v_cmp_gt_i64_e32 vcc, s[8:9], v[2:3]
	s_and_b64 exec, exec, vcc
	s_cbranch_execz .LBB188_24
; %bb.10:
	s_lshl_b64 s[2:3], s[6:7], 3
	v_mad_u64_u32 v[4:5], s[6:7], s16, v2, 0
	v_mov_b32_e32 v8, v5
	s_add_u32 s2, s18, s2
	v_mad_u64_u32 v[8:9], s[6:7], s17, v2, v[8:9]
	s_addc_u32 s3, s19, s3
	v_mov_b32_e32 v5, v8
	v_lshl_add_u64 v[4:5], v[4:5], 3, s[2:3]
	v_lshl_add_u64 v[0:1], v[0:1], 3, v[4:5]
	flat_load_dwordx2 v[4:5], v[0:1]
	v_cmp_gt_u64_e64 s[2:3], s[8:9], 1
	s_and_b64 vcc, exec, s[2:3]
	s_waitcnt vmcnt(0) lgkmcnt(0)
	v_pk_mul_f32 v[10:11], s[4:5], v[4:5] op_sel:[1,1] op_sel_hi:[0,1]
	v_pk_mul_f32 v[8:9], s[4:5], v[4:5]
	v_pk_fma_f32 v[4:5], s[4:5], v[4:5], v[10:11] op_sel_hi:[1,0,1]
	s_nop 0
	v_sub_f32_e32 v4, v8, v10
	s_cbranch_vccnz .LBB188_12
; %bb.11:
	s_cbranch_execz .LBB188_13
	s_branch .LBB188_23
.LBB188_12:
.LBB188_13:
	s_load_dword s0, s[0:1], 0x0
	v_lshl_add_u32 v11, v6, 3, 0
	v_mad_u64_u32 v[6:7], s[2:3], s12, v2, 0
	v_mov_b32_e32 v8, v7
	s_waitcnt lgkmcnt(0)
	s_cmpk_lg_i32 s0, 0x71
	v_mad_u64_u32 v[8:9], s[4:5], s13, v2, v[8:9]
	s_cselect_b64 s[2:3], -1, 0
	v_mov_b32_e32 v7, v8
	s_add_u32 s4, s8, -1
	s_mov_b32 s1, 0
	v_lshl_add_u64 v[6:7], v[6:7], 3, s[14:15]
	s_addc_u32 s5, s9, -1
	s_lshl_b32 s0, s20, 3
	s_mov_b64 s[6:7], 0
	s_branch .LBB188_16
.LBB188_14:                             ;   in Loop: Header=BB188_16 Depth=1
	ds_read_b64 v[12:13], v11
	s_waitcnt lgkmcnt(0)
	v_pk_mul_f32 v[14:15], v[10:11], v[12:13] op_sel:[0,1] op_sel_hi:[0,0]
	v_pk_fma_f32 v[16:17], v[12:13], v[8:9], v[14:15] neg_lo:[0,0,1] neg_hi:[0,0,1]
	v_pk_fma_f32 v[8:9], v[12:13], v[8:9], v[14:15] op_sel_hi:[1,0,1]
	s_nop 0
	v_mov_b32_e32 v17, v9
	v_pk_add_f32 v[4:5], v[4:5], v[16:17] neg_lo:[0,1] neg_hi:[0,1]
.LBB188_15:                             ;   in Loop: Header=BB188_16 Depth=1
	s_or_b64 exec, exec, s[8:9]
	s_add_u32 s6, s6, 1
	s_addc_u32 s7, s7, 0
	s_cmp_eq_u64 s[4:5], s[6:7]
	v_lshl_add_u64 v[6:7], v[6:7], 0, s[0:1]
	s_cbranch_scc1 .LBB188_23
.LBB188_16:                             ; =>This Inner Loop Header: Depth=1
	v_cmp_eq_u64_e32 vcc, s[6:7], v[2:3]
	s_barrier
	s_and_saveexec_b64 s[8:9], vcc
; %bb.17:                               ;   in Loop: Header=BB188_16 Depth=1
	ds_write_b64 v11, v[4:5]
; %bb.18:                               ;   in Loop: Header=BB188_16 Depth=1
	s_or_b64 exec, exec, s[8:9]
	v_cmp_lt_u64_e32 vcc, s[6:7], v[2:3]
	s_waitcnt lgkmcnt(0)
	s_barrier
	s_and_saveexec_b64 s[8:9], vcc
	s_cbranch_execz .LBB188_15
; %bb.19:                               ;   in Loop: Header=BB188_16 Depth=1
	s_mov_b64 s[10:11], -1
	s_and_b64 vcc, exec, s[2:3]
                                        ; implicit-def: $vgpr8
                                        ; implicit-def: $vgpr10
	s_cbranch_vccz .LBB188_21
; %bb.20:                               ;   in Loop: Header=BB188_16 Depth=1
	flat_load_dwordx2 v[8:9], v[6:7]
	s_mov_b64 s[10:11], 0
	s_waitcnt vmcnt(0) lgkmcnt(0)
	v_mov_b32_e32 v10, v9
.LBB188_21:                             ;   in Loop: Header=BB188_16 Depth=1
	s_andn2_b64 vcc, exec, s[10:11]
	s_cbranch_vccnz .LBB188_14
; %bb.22:                               ;   in Loop: Header=BB188_16 Depth=1
	flat_load_dwordx2 v[8:9], v[6:7]
	s_waitcnt vmcnt(0) lgkmcnt(0)
	v_xor_b32_e32 v10, 0x80000000, v9
	s_branch .LBB188_14
.LBB188_23:
	flat_store_dwordx2 v[0:1], v[4:5]
.LBB188_24:
	s_endpgm
	.section	.rodata,"a",@progbits
	.p2align	6, 0x0
	.amdhsa_kernel _ZL39rocblas_trsm_block_forward_substitutionI19rocblas_complex_numIfES1_PKPKS1_PKPS1_Lb1ELb1ELb1EEv18rocblas_operation_llT0_T1_lllT2_lllib
		.amdhsa_group_segment_fixed_size 0
		.amdhsa_private_segment_fixed_size 0
		.amdhsa_kernarg_size 360
		.amdhsa_user_sgpr_count 2
		.amdhsa_user_sgpr_dispatch_ptr 0
		.amdhsa_user_sgpr_queue_ptr 0
		.amdhsa_user_sgpr_kernarg_segment_ptr 1
		.amdhsa_user_sgpr_dispatch_id 0
		.amdhsa_user_sgpr_kernarg_preload_length 0
		.amdhsa_user_sgpr_kernarg_preload_offset 0
		.amdhsa_user_sgpr_private_segment_size 0
		.amdhsa_uses_dynamic_stack 0
		.amdhsa_enable_private_segment 0
		.amdhsa_system_sgpr_workgroup_id_x 1
		.amdhsa_system_sgpr_workgroup_id_y 1
		.amdhsa_system_sgpr_workgroup_id_z 1
		.amdhsa_system_sgpr_workgroup_info 0
		.amdhsa_system_vgpr_workitem_id 1
		.amdhsa_next_free_vgpr 18
		.amdhsa_next_free_sgpr 28
		.amdhsa_accum_offset 20
		.amdhsa_reserve_vcc 1
		.amdhsa_float_round_mode_32 0
		.amdhsa_float_round_mode_16_64 0
		.amdhsa_float_denorm_mode_32 3
		.amdhsa_float_denorm_mode_16_64 3
		.amdhsa_dx10_clamp 1
		.amdhsa_ieee_mode 1
		.amdhsa_fp16_overflow 0
		.amdhsa_tg_split 0
		.amdhsa_exception_fp_ieee_invalid_op 0
		.amdhsa_exception_fp_denorm_src 0
		.amdhsa_exception_fp_ieee_div_zero 0
		.amdhsa_exception_fp_ieee_overflow 0
		.amdhsa_exception_fp_ieee_underflow 0
		.amdhsa_exception_fp_ieee_inexact 0
		.amdhsa_exception_int_div_zero 0
	.end_amdhsa_kernel
	.section	.text._ZL39rocblas_trsm_block_forward_substitutionI19rocblas_complex_numIfES1_PKPKS1_PKPS1_Lb1ELb1ELb1EEv18rocblas_operation_llT0_T1_lllT2_lllib,"axG",@progbits,_ZL39rocblas_trsm_block_forward_substitutionI19rocblas_complex_numIfES1_PKPKS1_PKPS1_Lb1ELb1ELb1EEv18rocblas_operation_llT0_T1_lllT2_lllib,comdat
.Lfunc_end188:
	.size	_ZL39rocblas_trsm_block_forward_substitutionI19rocblas_complex_numIfES1_PKPKS1_PKPS1_Lb1ELb1ELb1EEv18rocblas_operation_llT0_T1_lllT2_lllib, .Lfunc_end188-_ZL39rocblas_trsm_block_forward_substitutionI19rocblas_complex_numIfES1_PKPKS1_PKPS1_Lb1ELb1ELb1EEv18rocblas_operation_llT0_T1_lllT2_lllib
                                        ; -- End function
	.set _ZL39rocblas_trsm_block_forward_substitutionI19rocblas_complex_numIfES1_PKPKS1_PKPS1_Lb1ELb1ELb1EEv18rocblas_operation_llT0_T1_lllT2_lllib.num_vgpr, 18
	.set _ZL39rocblas_trsm_block_forward_substitutionI19rocblas_complex_numIfES1_PKPKS1_PKPS1_Lb1ELb1ELb1EEv18rocblas_operation_llT0_T1_lllT2_lllib.num_agpr, 0
	.set _ZL39rocblas_trsm_block_forward_substitutionI19rocblas_complex_numIfES1_PKPKS1_PKPS1_Lb1ELb1ELb1EEv18rocblas_operation_llT0_T1_lllT2_lllib.numbered_sgpr, 28
	.set _ZL39rocblas_trsm_block_forward_substitutionI19rocblas_complex_numIfES1_PKPKS1_PKPS1_Lb1ELb1ELb1EEv18rocblas_operation_llT0_T1_lllT2_lllib.num_named_barrier, 0
	.set _ZL39rocblas_trsm_block_forward_substitutionI19rocblas_complex_numIfES1_PKPKS1_PKPS1_Lb1ELb1ELb1EEv18rocblas_operation_llT0_T1_lllT2_lllib.private_seg_size, 0
	.set _ZL39rocblas_trsm_block_forward_substitutionI19rocblas_complex_numIfES1_PKPKS1_PKPS1_Lb1ELb1ELb1EEv18rocblas_operation_llT0_T1_lllT2_lllib.uses_vcc, 1
	.set _ZL39rocblas_trsm_block_forward_substitutionI19rocblas_complex_numIfES1_PKPKS1_PKPS1_Lb1ELb1ELb1EEv18rocblas_operation_llT0_T1_lllT2_lllib.uses_flat_scratch, 0
	.set _ZL39rocblas_trsm_block_forward_substitutionI19rocblas_complex_numIfES1_PKPKS1_PKPS1_Lb1ELb1ELb1EEv18rocblas_operation_llT0_T1_lllT2_lllib.has_dyn_sized_stack, 0
	.set _ZL39rocblas_trsm_block_forward_substitutionI19rocblas_complex_numIfES1_PKPKS1_PKPS1_Lb1ELb1ELb1EEv18rocblas_operation_llT0_T1_lllT2_lllib.has_recursion, 0
	.set _ZL39rocblas_trsm_block_forward_substitutionI19rocblas_complex_numIfES1_PKPKS1_PKPS1_Lb1ELb1ELb1EEv18rocblas_operation_llT0_T1_lllT2_lllib.has_indirect_call, 0
	.section	.AMDGPU.csdata,"",@progbits
; Kernel info:
; codeLenInByte = 864
; TotalNumSgprs: 34
; NumVgprs: 18
; NumAgprs: 0
; TotalNumVgprs: 18
; ScratchSize: 0
; MemoryBound: 0
; FloatMode: 240
; IeeeMode: 1
; LDSByteSize: 0 bytes/workgroup (compile time only)
; SGPRBlocks: 4
; VGPRBlocks: 2
; NumSGPRsForWavesPerEU: 34
; NumVGPRsForWavesPerEU: 18
; AccumOffset: 20
; Occupancy: 8
; WaveLimiterHint : 1
; COMPUTE_PGM_RSRC2:SCRATCH_EN: 0
; COMPUTE_PGM_RSRC2:USER_SGPR: 2
; COMPUTE_PGM_RSRC2:TRAP_HANDLER: 0
; COMPUTE_PGM_RSRC2:TGID_X_EN: 1
; COMPUTE_PGM_RSRC2:TGID_Y_EN: 1
; COMPUTE_PGM_RSRC2:TGID_Z_EN: 1
; COMPUTE_PGM_RSRC2:TIDIG_COMP_CNT: 1
; COMPUTE_PGM_RSRC3_GFX90A:ACCUM_OFFSET: 4
; COMPUTE_PGM_RSRC3_GFX90A:TG_SPLIT: 0
	.section	.text._ZL40rocblas_trsm_block_backward_substitutionI19rocblas_complex_numIfES1_PKPKS1_PKPS1_Lb1ELb1ELb1EEv18rocblas_operation_llT0_T1_lllT2_lllib,"axG",@progbits,_ZL40rocblas_trsm_block_backward_substitutionI19rocblas_complex_numIfES1_PKPKS1_PKPS1_Lb1ELb1ELb1EEv18rocblas_operation_llT0_T1_lllT2_lllib,comdat
	.globl	_ZL40rocblas_trsm_block_backward_substitutionI19rocblas_complex_numIfES1_PKPKS1_PKPS1_Lb1ELb1ELb1EEv18rocblas_operation_llT0_T1_lllT2_lllib ; -- Begin function _ZL40rocblas_trsm_block_backward_substitutionI19rocblas_complex_numIfES1_PKPKS1_PKPS1_Lb1ELb1ELb1EEv18rocblas_operation_llT0_T1_lllT2_lllib
	.p2align	8
	.type	_ZL40rocblas_trsm_block_backward_substitutionI19rocblas_complex_numIfES1_PKPKS1_PKPS1_Lb1ELb1ELb1EEv18rocblas_operation_llT0_T1_lllT2_lllib,@function
_ZL40rocblas_trsm_block_backward_substitutionI19rocblas_complex_numIfES1_PKPKS1_PKPS1_Lb1ELb1ELb1EEv18rocblas_operation_llT0_T1_lllT2_lllib: ; @_ZL40rocblas_trsm_block_backward_substitutionI19rocblas_complex_numIfES1_PKPKS1_PKPS1_Lb1ELb1ELb1EEv18rocblas_operation_llT0_T1_lllT2_lllib
; %bb.0:
	s_load_dwordx4 s[16:19], s[0:1], 0x20
	s_mov_b32 s5, 0
	s_lshl_b64 s[4:5], s[4:5], 3
	v_and_b32_e32 v2, 0x3ff, v0
	v_bfe_u32 v8, v0, 10, 10
	s_waitcnt lgkmcnt(0)
	s_add_u32 s6, s16, s4
	s_addc_u32 s7, s17, s5
	s_load_dwordx2 s[20:21], s[6:7], 0x0
	s_load_dwordx4 s[8:11], s[0:1], 0x8
	s_load_dwordx4 s[12:15], s[0:1], 0x40
	s_load_dwordx2 s[16:17], s[0:1], 0x30
	s_lshl_b64 s[6:7], s[18:19], 3
	s_waitcnt lgkmcnt(0)
	s_add_u32 s6, s20, s6
	s_addc_u32 s7, s21, s7
	s_add_u32 s4, s12, s4
	s_addc_u32 s5, s13, s5
	s_load_dwordx2 s[12:13], s[0:1], 0x50
	s_load_dword s22, s[0:1], 0x64
	s_load_dword s2, s[0:1], 0x74
	s_load_dwordx2 s[18:19], s[4:5], 0x0
	s_add_u32 s20, s0, 0x68
	s_addc_u32 s21, s1, 0
	s_waitcnt lgkmcnt(0)
	s_lshr_b32 s2, s2, 16
	s_bitcmp0_b32 s22, 0
	s_cbranch_scc1 .LBB189_7
; %bb.1:
	s_lshl_b32 s4, s2, 3
	s_add_i32 s22, s4, 0
	v_cmp_lt_i64_e64 s[4:5], s[8:9], 1
	s_and_b64 vcc, exec, s[4:5]
	s_cbranch_vccnz .LBB189_6
; %bb.2:
	v_mov_b32_e32 v3, 0
	v_lshlrev_b32_e32 v0, 3, v2
	v_mov_b32_e32 v1, v3
	v_add_u32_e32 v6, s22, v0
	v_cmp_gt_u64_e64 s[4:5], s[8:9], v[2:3]
	v_lshl_add_u64 v[0:1], s[6:7], 0, v[0:1]
	s_mov_b32 s23, 0
	s_branch .LBB189_4
.LBB189_3:                              ;   in Loop: Header=BB189_4 Depth=1
	s_or_b64 exec, exec, s[6:7]
	s_add_i32 s23, s23, s2
	s_ashr_i32 s6, s23, 31
	v_mov_b32_e32 v4, s23
	v_mov_b32_e32 v5, s6
	v_cmp_le_i64_e32 vcc, s[8:9], v[4:5]
	s_cbranch_vccnz .LBB189_6
.LBB189_4:                              ; =>This Inner Loop Header: Depth=1
	v_add_u32_e32 v4, s23, v8
	v_ashrrev_i32_e32 v5, 31, v4
	v_cmp_gt_i64_e32 vcc, s[8:9], v[4:5]
	v_cmp_lt_i32_e64 s[6:7], v2, v4
	s_and_b64 s[6:7], s[6:7], vcc
	s_and_b64 s[24:25], s[4:5], s[6:7]
	s_and_saveexec_b64 s[6:7], s[24:25]
	s_cbranch_execz .LBB189_3
; %bb.5:                                ;   in Loop: Header=BB189_4 Depth=1
	v_mul_lo_u32 v3, s17, v4
	v_mul_lo_u32 v5, s16, v5
	v_mad_u64_u32 v[10:11], s[24:25], s16, v4, 0
	v_add3_u32 v11, v11, v5, v3
	v_lshl_add_u64 v[10:11], v[10:11], 3, v[0:1]
	flat_load_dwordx2 v[10:11], v[10:11]
	s_load_dword s24, s[20:21], 0xc
	s_waitcnt lgkmcnt(0)
	s_and_b32 s24, s24, 0xffff
	v_mul_lo_u32 v3, v4, s24
	v_lshl_add_u32 v3, v3, 3, v6
	s_waitcnt vmcnt(0)
	ds_write_b64 v3, v[10:11]
	s_branch .LBB189_3
.LBB189_6:
	s_mov_b64 s[4:5], src_shared_base
	s_load_dword s4, s[20:21], 0xc
	s_mov_b32 s23, s5
	s_mov_b32 s17, 0
	s_mov_b64 s[6:7], s[22:23]
	s_waitcnt lgkmcnt(0)
	s_and_b32 s16, s4, 0xffff
.LBB189_7:
	s_load_dwordx2 s[4:5], s[0:1], 0x18
	s_mul_i32 s3, s3, s2
	v_add_u32_e32 v0, s3, v8
	v_mov_b32_e32 v1, 0
	v_cmp_gt_i64_e32 vcc, s[10:11], v[0:1]
	s_and_saveexec_b64 s[2:3], vcc
	s_cbranch_execz .LBB189_23
; %bb.8:
	v_mov_b32_e32 v3, v1
	v_cmp_gt_i64_e32 vcc, s[8:9], v[2:3]
	s_and_b64 exec, exec, vcc
	s_cbranch_execz .LBB189_23
; %bb.9:
	v_mad_u64_u32 v[4:5], s[10:11], s12, v0, 0
	s_lshl_b64 s[2:3], s[14:15], 3
	v_mov_b32_e32 v6, v5
	s_add_u32 s2, s18, s2
	v_mad_u64_u32 v[0:1], s[10:11], s13, v0, v[6:7]
	s_addc_u32 s3, s19, s3
	v_mov_b32_e32 v5, v0
	v_lshl_add_u64 v[0:1], v[4:5], 3, s[2:3]
	v_lshlrev_b32_e32 v6, 3, v2
	v_mov_b32_e32 v7, 0
	v_lshl_add_u64 v[0:1], v[0:1], 0, v[6:7]
	flat_load_dwordx2 v[4:5], v[0:1]
	v_cmp_gt_u64_e64 s[2:3], s[8:9], 1
	s_and_b64 vcc, exec, s[2:3]
	s_waitcnt vmcnt(0) lgkmcnt(0)
	v_pk_mul_f32 v[12:13], s[4:5], v[4:5] op_sel:[1,1] op_sel_hi:[0,1]
	v_pk_mul_f32 v[10:11], s[4:5], v[4:5]
	v_pk_fma_f32 v[4:5], s[4:5], v[4:5], v[12:13] op_sel_hi:[1,0,1]
	s_nop 0
	v_sub_f32_e32 v4, v10, v12
	s_cbranch_vccnz .LBB189_11
; %bb.10:
	s_cbranch_execz .LBB189_12
	s_branch .LBB189_22
.LBB189_11:
.LBB189_12:
	s_load_dword s0, s[0:1], 0x0
	v_mov_b32_e32 v7, 0
	v_lshl_add_u32 v11, v8, 3, 0
	s_waitcnt lgkmcnt(0)
	s_cmpk_lg_i32 s0, 0x71
	s_cselect_b64 s[0:1], -1, 0
	s_add_u32 s2, s8, -1
	s_addc_u32 s3, s9, -1
	s_mul_hi_u32 s4, s16, s2
	s_mul_i32 s8, s16, s3
	s_mul_i32 s5, s17, s2
	s_add_i32 s4, s4, s8
	s_add_i32 s5, s4, s5
	s_mul_i32 s4, s16, s2
	s_lshl_b64 s[4:5], s[4:5], 3
	s_add_u32 s4, s6, s4
	s_addc_u32 s5, s7, s5
	v_lshl_add_u64 v[6:7], s[4:5], 0, v[6:7]
	s_lshl_b64 s[4:5], s[16:17], 3
	s_sub_u32 s4, 0, s4
	s_subb_u32 s5, 0, s5
	s_branch .LBB189_15
.LBB189_13:                             ;   in Loop: Header=BB189_15 Depth=1
	ds_read_b64 v[12:13], v11
	s_waitcnt lgkmcnt(0)
	v_pk_mul_f32 v[14:15], v[10:11], v[12:13] op_sel:[0,1] op_sel_hi:[0,0]
	v_pk_fma_f32 v[16:17], v[12:13], v[8:9], v[14:15] neg_lo:[0,0,1] neg_hi:[0,0,1]
	v_pk_fma_f32 v[8:9], v[12:13], v[8:9], v[14:15] op_sel_hi:[1,0,1]
	s_nop 0
	v_mov_b32_e32 v17, v9
	v_pk_add_f32 v[4:5], v[4:5], v[16:17] neg_lo:[0,1] neg_hi:[0,1]
.LBB189_14:                             ;   in Loop: Header=BB189_15 Depth=1
	s_or_b64 exec, exec, s[6:7]
	s_add_u32 s6, s2, -1
	s_addc_u32 s7, s3, -1
	s_add_u32 s2, s2, 1
	s_addc_u32 s3, s3, 0
	v_cmp_lt_u64_e64 s[2:3], s[2:3], 3
	v_lshl_add_u64 v[6:7], v[6:7], 0, s[4:5]
	s_and_b64 vcc, exec, s[2:3]
	s_mov_b64 s[2:3], s[6:7]
	s_cbranch_vccnz .LBB189_22
.LBB189_15:                             ; =>This Inner Loop Header: Depth=1
	v_cmp_eq_u64_e32 vcc, s[2:3], v[2:3]
	s_barrier
	s_and_saveexec_b64 s[6:7], vcc
; %bb.16:                               ;   in Loop: Header=BB189_15 Depth=1
	ds_write_b64 v11, v[4:5]
; %bb.17:                               ;   in Loop: Header=BB189_15 Depth=1
	s_or_b64 exec, exec, s[6:7]
	v_cmp_gt_i64_e32 vcc, s[2:3], v[2:3]
	s_waitcnt lgkmcnt(0)
	s_barrier
	s_and_saveexec_b64 s[6:7], vcc
	s_cbranch_execz .LBB189_14
; %bb.18:                               ;   in Loop: Header=BB189_15 Depth=1
	s_mov_b64 s[8:9], -1
	s_and_b64 vcc, exec, s[0:1]
                                        ; implicit-def: $vgpr8
                                        ; implicit-def: $vgpr10
	s_cbranch_vccz .LBB189_20
; %bb.19:                               ;   in Loop: Header=BB189_15 Depth=1
	flat_load_dwordx2 v[8:9], v[6:7]
	s_mov_b64 s[8:9], 0
	s_waitcnt vmcnt(0) lgkmcnt(0)
	v_mov_b32_e32 v10, v9
.LBB189_20:                             ;   in Loop: Header=BB189_15 Depth=1
	s_andn2_b64 vcc, exec, s[8:9]
	s_cbranch_vccnz .LBB189_13
; %bb.21:                               ;   in Loop: Header=BB189_15 Depth=1
	flat_load_dwordx2 v[8:9], v[6:7]
	s_waitcnt vmcnt(0) lgkmcnt(0)
	v_xor_b32_e32 v10, 0x80000000, v9
	s_branch .LBB189_13
.LBB189_22:
	flat_store_dwordx2 v[0:1], v[4:5]
.LBB189_23:
	s_endpgm
	.section	.rodata,"a",@progbits
	.p2align	6, 0x0
	.amdhsa_kernel _ZL40rocblas_trsm_block_backward_substitutionI19rocblas_complex_numIfES1_PKPKS1_PKPS1_Lb1ELb1ELb1EEv18rocblas_operation_llT0_T1_lllT2_lllib
		.amdhsa_group_segment_fixed_size 0
		.amdhsa_private_segment_fixed_size 0
		.amdhsa_kernarg_size 360
		.amdhsa_user_sgpr_count 2
		.amdhsa_user_sgpr_dispatch_ptr 0
		.amdhsa_user_sgpr_queue_ptr 0
		.amdhsa_user_sgpr_kernarg_segment_ptr 1
		.amdhsa_user_sgpr_dispatch_id 0
		.amdhsa_user_sgpr_kernarg_preload_length 0
		.amdhsa_user_sgpr_kernarg_preload_offset 0
		.amdhsa_user_sgpr_private_segment_size 0
		.amdhsa_uses_dynamic_stack 0
		.amdhsa_enable_private_segment 0
		.amdhsa_system_sgpr_workgroup_id_x 1
		.amdhsa_system_sgpr_workgroup_id_y 1
		.amdhsa_system_sgpr_workgroup_id_z 1
		.amdhsa_system_sgpr_workgroup_info 0
		.amdhsa_system_vgpr_workitem_id 1
		.amdhsa_next_free_vgpr 18
		.amdhsa_next_free_sgpr 26
		.amdhsa_accum_offset 20
		.amdhsa_reserve_vcc 1
		.amdhsa_float_round_mode_32 0
		.amdhsa_float_round_mode_16_64 0
		.amdhsa_float_denorm_mode_32 3
		.amdhsa_float_denorm_mode_16_64 3
		.amdhsa_dx10_clamp 1
		.amdhsa_ieee_mode 1
		.amdhsa_fp16_overflow 0
		.amdhsa_tg_split 0
		.amdhsa_exception_fp_ieee_invalid_op 0
		.amdhsa_exception_fp_denorm_src 0
		.amdhsa_exception_fp_ieee_div_zero 0
		.amdhsa_exception_fp_ieee_overflow 0
		.amdhsa_exception_fp_ieee_underflow 0
		.amdhsa_exception_fp_ieee_inexact 0
		.amdhsa_exception_int_div_zero 0
	.end_amdhsa_kernel
	.section	.text._ZL40rocblas_trsm_block_backward_substitutionI19rocblas_complex_numIfES1_PKPKS1_PKPS1_Lb1ELb1ELb1EEv18rocblas_operation_llT0_T1_lllT2_lllib,"axG",@progbits,_ZL40rocblas_trsm_block_backward_substitutionI19rocblas_complex_numIfES1_PKPKS1_PKPS1_Lb1ELb1ELb1EEv18rocblas_operation_llT0_T1_lllT2_lllib,comdat
.Lfunc_end189:
	.size	_ZL40rocblas_trsm_block_backward_substitutionI19rocblas_complex_numIfES1_PKPKS1_PKPS1_Lb1ELb1ELb1EEv18rocblas_operation_llT0_T1_lllT2_lllib, .Lfunc_end189-_ZL40rocblas_trsm_block_backward_substitutionI19rocblas_complex_numIfES1_PKPKS1_PKPS1_Lb1ELb1ELb1EEv18rocblas_operation_llT0_T1_lllT2_lllib
                                        ; -- End function
	.set _ZL40rocblas_trsm_block_backward_substitutionI19rocblas_complex_numIfES1_PKPKS1_PKPS1_Lb1ELb1ELb1EEv18rocblas_operation_llT0_T1_lllT2_lllib.num_vgpr, 18
	.set _ZL40rocblas_trsm_block_backward_substitutionI19rocblas_complex_numIfES1_PKPKS1_PKPS1_Lb1ELb1ELb1EEv18rocblas_operation_llT0_T1_lllT2_lllib.num_agpr, 0
	.set _ZL40rocblas_trsm_block_backward_substitutionI19rocblas_complex_numIfES1_PKPKS1_PKPS1_Lb1ELb1ELb1EEv18rocblas_operation_llT0_T1_lllT2_lllib.numbered_sgpr, 26
	.set _ZL40rocblas_trsm_block_backward_substitutionI19rocblas_complex_numIfES1_PKPKS1_PKPS1_Lb1ELb1ELb1EEv18rocblas_operation_llT0_T1_lllT2_lllib.num_named_barrier, 0
	.set _ZL40rocblas_trsm_block_backward_substitutionI19rocblas_complex_numIfES1_PKPKS1_PKPS1_Lb1ELb1ELb1EEv18rocblas_operation_llT0_T1_lllT2_lllib.private_seg_size, 0
	.set _ZL40rocblas_trsm_block_backward_substitutionI19rocblas_complex_numIfES1_PKPKS1_PKPS1_Lb1ELb1ELb1EEv18rocblas_operation_llT0_T1_lllT2_lllib.uses_vcc, 1
	.set _ZL40rocblas_trsm_block_backward_substitutionI19rocblas_complex_numIfES1_PKPKS1_PKPS1_Lb1ELb1ELb1EEv18rocblas_operation_llT0_T1_lllT2_lllib.uses_flat_scratch, 0
	.set _ZL40rocblas_trsm_block_backward_substitutionI19rocblas_complex_numIfES1_PKPKS1_PKPS1_Lb1ELb1ELb1EEv18rocblas_operation_llT0_T1_lllT2_lllib.has_dyn_sized_stack, 0
	.set _ZL40rocblas_trsm_block_backward_substitutionI19rocblas_complex_numIfES1_PKPKS1_PKPS1_Lb1ELb1ELb1EEv18rocblas_operation_llT0_T1_lllT2_lllib.has_recursion, 0
	.set _ZL40rocblas_trsm_block_backward_substitutionI19rocblas_complex_numIfES1_PKPKS1_PKPS1_Lb1ELb1ELb1EEv18rocblas_operation_llT0_T1_lllT2_lllib.has_indirect_call, 0
	.section	.AMDGPU.csdata,"",@progbits
; Kernel info:
; codeLenInByte = 920
; TotalNumSgprs: 32
; NumVgprs: 18
; NumAgprs: 0
; TotalNumVgprs: 18
; ScratchSize: 0
; MemoryBound: 0
; FloatMode: 240
; IeeeMode: 1
; LDSByteSize: 0 bytes/workgroup (compile time only)
; SGPRBlocks: 3
; VGPRBlocks: 2
; NumSGPRsForWavesPerEU: 32
; NumVGPRsForWavesPerEU: 18
; AccumOffset: 20
; Occupancy: 8
; WaveLimiterHint : 1
; COMPUTE_PGM_RSRC2:SCRATCH_EN: 0
; COMPUTE_PGM_RSRC2:USER_SGPR: 2
; COMPUTE_PGM_RSRC2:TRAP_HANDLER: 0
; COMPUTE_PGM_RSRC2:TGID_X_EN: 1
; COMPUTE_PGM_RSRC2:TGID_Y_EN: 1
; COMPUTE_PGM_RSRC2:TGID_Z_EN: 1
; COMPUTE_PGM_RSRC2:TIDIG_COMP_CNT: 1
; COMPUTE_PGM_RSRC3_GFX90A:ACCUM_OFFSET: 4
; COMPUTE_PGM_RSRC3_GFX90A:TG_SPLIT: 0
	.section	.text._ZL39rocblas_trsm_block_forward_substitutionI19rocblas_complex_numIfES1_PKPKS1_PKPS1_Lb1ELb0ELb0EEv18rocblas_operation_llT0_T1_lllT2_lllib,"axG",@progbits,_ZL39rocblas_trsm_block_forward_substitutionI19rocblas_complex_numIfES1_PKPKS1_PKPS1_Lb1ELb0ELb0EEv18rocblas_operation_llT0_T1_lllT2_lllib,comdat
	.globl	_ZL39rocblas_trsm_block_forward_substitutionI19rocblas_complex_numIfES1_PKPKS1_PKPS1_Lb1ELb0ELb0EEv18rocblas_operation_llT0_T1_lllT2_lllib ; -- Begin function _ZL39rocblas_trsm_block_forward_substitutionI19rocblas_complex_numIfES1_PKPKS1_PKPS1_Lb1ELb0ELb0EEv18rocblas_operation_llT0_T1_lllT2_lllib
	.p2align	8
	.type	_ZL39rocblas_trsm_block_forward_substitutionI19rocblas_complex_numIfES1_PKPKS1_PKPS1_Lb1ELb0ELb0EEv18rocblas_operation_llT0_T1_lllT2_lllib,@function
_ZL39rocblas_trsm_block_forward_substitutionI19rocblas_complex_numIfES1_PKPKS1_PKPS1_Lb1ELb0ELb0EEv18rocblas_operation_llT0_T1_lllT2_lllib: ; @_ZL39rocblas_trsm_block_forward_substitutionI19rocblas_complex_numIfES1_PKPKS1_PKPS1_Lb1ELb0ELb0EEv18rocblas_operation_llT0_T1_lllT2_lllib
; %bb.0:
	s_load_dword s2, s[0:1], 0x64
	s_load_dwordx4 s[8:11], s[0:1], 0x8
	s_load_dwordx4 s[20:23], s[0:1], 0x20
	s_load_dword s24, s[0:1], 0x74
	s_mov_b32 s5, 0
	s_waitcnt lgkmcnt(0)
	s_bitcmp1_b32 s2, 0
	s_cselect_b64 s[6:7], -1, 0
	s_xor_b64 s[12:13], s[6:7], -1
	s_lshl_b64 s[16:17], s[4:5], 3
	s_add_u32 s14, s20, s16
	s_addc_u32 s15, s21, s17
	s_load_dwordx2 s[20:21], s[14:15], 0x0
	s_load_dwordx2 s[26:27], s[0:1], 0x30
	s_load_dwordx4 s[4:7], s[0:1], 0x40
	s_load_dwordx2 s[18:19], s[0:1], 0x50
	s_lshl_b64 s[14:15], s[22:23], 3
	s_waitcnt lgkmcnt(0)
	s_add_u32 s14, s20, s14
	s_addc_u32 s15, s21, s15
	s_add_u32 s4, s4, s16
	s_addc_u32 s5, s5, s17
	s_load_dwordx2 s[20:21], s[4:5], 0x0
	s_add_u32 s22, s0, 0x68
	v_and_b32_e32 v2, 0x3ff, v0
	v_bfe_u32 v12, v0, 10, 10
	s_addc_u32 s23, s1, 0
	s_lshr_b32 s2, s24, 16
	s_mov_b64 s[16:17], 1
	s_and_b64 vcc, exec, s[12:13]
	s_cbranch_vccnz .LBB190_14
; %bb.1:
	s_lshl_b32 s4, s2, 3
	v_cmp_lt_i64_e64 s[16:17], s[8:9], 1
	s_add_i32 s24, s4, 0
	s_mov_b64 s[4:5], 1
	s_and_b64 vcc, exec, s[16:17]
	s_cbranch_vccnz .LBB190_15
; %bb.2:
	v_mad_u64_u32 v[0:1], s[16:17], s26, v2, 0
	v_mov_b32_e32 v6, v1
	v_mad_u64_u32 v[6:7], s[16:17], s27, v2, v[6:7]
	v_mov_b32_e32 v3, 0
	v_mov_b32_e32 v1, v6
	v_lshlrev_b32_e32 v4, 3, v2
	v_cmp_le_u64_e32 vcc, s[8:9], v[2:3]
	v_lshl_add_u64 v[0:1], v[0:1], 3, s[14:15]
	v_mov_b32_e32 v5, v3
	v_add_u32_e32 v13, s24, v4
	v_lshl_add_u64 v[4:5], v[0:1], 0, v[4:5]
	s_xor_b64 s[14:15], vcc, -1
	s_mov_b32 s25, s2
	v_mov_b32_e32 v6, v12
	s_branch .LBB190_6
.LBB190_3:                              ;   in Loop: Header=BB190_6 Depth=1
	s_or_b64 exec, exec, s[28:29]
	s_load_dword s28, s[22:23], 0xc
	s_waitcnt lgkmcnt(0)
	s_and_b32 s28, s28, 0xffff
	v_mul_u32_u24_e32 v3, s28, v2
	v_lshl_add_u32 v3, v3, 3, v13
	ds_write_b64 v3, v[10:11]
.LBB190_4:                              ;   in Loop: Header=BB190_6 Depth=1
	s_or_b64 exec, exec, s[26:27]
.LBB190_5:                              ;   in Loop: Header=BB190_6 Depth=1
	s_or_b64 exec, exec, s[16:17]
	s_ashr_i32 s16, s25, 31
	v_mov_b32_e32 v8, s25
	v_mov_b32_e32 v9, s16
	v_cmp_le_i64_e32 vcc, s[8:9], v[8:9]
	v_add_u32_e32 v6, s2, v6
	s_add_i32 s25, s25, s2
	s_cbranch_vccnz .LBB190_15
.LBB190_6:                              ; =>This Inner Loop Header: Depth=1
	v_cmp_gt_i32_e32 vcc, v2, v6
	s_and_b64 s[16:17], s[14:15], vcc
	s_and_saveexec_b64 s[26:27], s[16:17]
	s_xor_b64 s[16:17], exec, s[26:27]
	s_cbranch_execz .LBB190_8
; %bb.7:                                ;   in Loop: Header=BB190_6 Depth=1
	v_ashrrev_i32_e32 v7, 31, v6
	v_lshl_add_u64 v[8:9], v[6:7], 3, v[0:1]
	flat_load_dwordx2 v[8:9], v[8:9]
	s_load_dword s26, s[22:23], 0xc
	s_waitcnt lgkmcnt(0)
	s_and_b32 s26, s26, 0xffff
	v_mul_lo_u32 v3, v6, s26
	v_lshl_add_u32 v3, v3, 3, v13
	s_waitcnt vmcnt(0)
	ds_write_b64 v3, v[8:9]
.LBB190_8:                              ;   in Loop: Header=BB190_6 Depth=1
	s_andn2_saveexec_b64 s[16:17], s[16:17]
	s_cbranch_execz .LBB190_5
; %bb.9:                                ;   in Loop: Header=BB190_6 Depth=1
	v_cmp_eq_u32_e32 vcc, v2, v6
	s_and_b64 s[28:29], s[14:15], vcc
	s_and_saveexec_b64 s[26:27], s[28:29]
	s_cbranch_execz .LBB190_4
; %bb.10:                               ;   in Loop: Header=BB190_6 Depth=1
	flat_load_dwordx2 v[8:9], v[4:5]
                                        ; implicit-def: $vgpr10_vgpr11
	s_waitcnt vmcnt(0) lgkmcnt(0)
	v_cmp_ngt_f32_e64 s[28:29], |v8|, |v9|
	s_and_saveexec_b64 s[30:31], s[28:29]
	s_xor_b64 s[28:29], exec, s[30:31]
	s_cbranch_execz .LBB190_12
; %bb.11:                               ;   in Loop: Header=BB190_6 Depth=1
	v_div_scale_f32 v3, s[30:31], v9, v9, v8
	v_rcp_f32_e32 v7, v3
	v_div_scale_f32 v10, vcc, v8, v9, v8
	v_fma_f32 v11, -v3, v7, 1.0
	v_fmac_f32_e32 v7, v11, v7
	v_mul_f32_e32 v11, v10, v7
	v_fma_f32 v14, -v3, v11, v10
	v_fmac_f32_e32 v11, v14, v7
	v_fma_f32 v3, -v3, v11, v10
	v_div_fmas_f32 v3, v3, v7, v11
	v_div_fixup_f32 v3, v3, v9, v8
	v_fmac_f32_e32 v9, v8, v3
	v_div_scale_f32 v7, s[30:31], v9, v9, 1.0
	v_rcp_f32_e32 v8, v7
	s_nop 0
	v_fma_f32 v10, -v7, v8, 1.0
	v_fmac_f32_e32 v8, v10, v8
	v_div_scale_f32 v10, vcc, 1.0, v9, 1.0
	v_mul_f32_e32 v11, v10, v8
	v_fma_f32 v14, -v7, v11, v10
	v_fmac_f32_e32 v11, v14, v8
	v_fma_f32 v7, -v7, v11, v10
	v_div_fmas_f32 v7, v7, v8, v11
	v_div_fixup_f32 v7, v7, v9, 1.0
	v_mul_f32_e32 v10, v3, v7
	v_xor_b32_e32 v11, 0x80000000, v7
                                        ; implicit-def: $vgpr8_vgpr9
.LBB190_12:                             ;   in Loop: Header=BB190_6 Depth=1
	s_andn2_saveexec_b64 s[28:29], s[28:29]
	s_cbranch_execz .LBB190_3
; %bb.13:                               ;   in Loop: Header=BB190_6 Depth=1
	v_div_scale_f32 v3, s[30:31], v8, v8, v9
	v_rcp_f32_e32 v7, v3
	v_div_scale_f32 v10, vcc, v9, v8, v9
	v_fma_f32 v11, -v3, v7, 1.0
	v_fmac_f32_e32 v7, v11, v7
	v_mul_f32_e32 v11, v10, v7
	v_fma_f32 v14, -v3, v11, v10
	v_fmac_f32_e32 v11, v14, v7
	v_fma_f32 v3, -v3, v11, v10
	v_div_fmas_f32 v3, v3, v7, v11
	v_div_fixup_f32 v3, v3, v8, v9
	v_fmac_f32_e32 v8, v9, v3
	v_div_scale_f32 v7, s[30:31], v8, v8, 1.0
	v_rcp_f32_e32 v9, v7
	s_nop 0
	v_fma_f32 v10, -v7, v9, 1.0
	v_fmac_f32_e32 v9, v10, v9
	v_div_scale_f32 v10, vcc, 1.0, v8, 1.0
	v_mul_f32_e32 v11, v10, v9
	v_fma_f32 v14, -v7, v11, v10
	v_fmac_f32_e32 v11, v14, v9
	v_fma_f32 v7, -v7, v11, v10
	v_div_fmas_f32 v7, v7, v9, v11
	v_div_fixup_f32 v10, v7, v8, 1.0
	v_mul_f32_e64 v11, v3, -v10
	s_branch .LBB190_3
.LBB190_14:
	s_mov_b64 s[4:5], s[26:27]
	s_branch .LBB190_16
.LBB190_15:
	s_mov_b64 s[14:15], src_shared_base
	s_load_dword s14, s[22:23], 0xc
	s_mov_b32 s25, s15
	s_mov_b32 s17, 0
	s_waitcnt lgkmcnt(0)
	s_and_b32 s16, s14, 0xffff
	s_mov_b64 s[14:15], s[24:25]
.LBB190_16:
	s_load_dwordx2 s[22:23], s[0:1], 0x18
	s_mul_i32 s3, s3, s2
	v_add_u32_e32 v0, s3, v12
	v_mov_b32_e32 v1, 0
	v_cmp_gt_i64_e32 vcc, s[10:11], v[0:1]
	s_and_saveexec_b64 s[2:3], vcc
	s_cbranch_execz .LBB190_50
; %bb.17:
	v_mov_b32_e32 v3, v1
	v_cmp_gt_i64_e32 vcc, s[8:9], v[2:3]
	s_and_b64 exec, exec, vcc
	s_cbranch_execz .LBB190_50
; %bb.18:
	s_lshl_b64 s[2:3], s[6:7], 3
	v_mad_u64_u32 v[4:5], s[6:7], s18, v0, 0
	v_mov_b32_e32 v6, v5
	s_waitcnt lgkmcnt(0)
	s_add_u32 s2, s20, s2
	v_mad_u64_u32 v[0:1], s[6:7], s19, v0, v[6:7]
	s_addc_u32 s3, s21, s3
	v_mov_b32_e32 v5, v0
	v_lshl_add_u64 v[0:1], v[4:5], 3, s[2:3]
	v_lshlrev_b32_e32 v4, 3, v2
	v_mov_b32_e32 v5, 0
	v_lshl_add_u64 v[0:1], v[0:1], 0, v[4:5]
	flat_load_dwordx2 v[6:7], v[0:1]
	v_cmp_gt_u64_e64 s[10:11], s[8:9], 1
	s_add_u32 s2, s8, -1
	s_mov_b64 s[6:7], -1
	s_addc_u32 s3, s9, -1
	s_and_b64 vcc, exec, s[10:11]
                                        ; implicit-def: $vgpr4_vgpr5
	s_waitcnt vmcnt(0) lgkmcnt(0)
	v_pk_mul_f32 v[14:15], s[22:23], v[6:7] op_sel:[1,1] op_sel_hi:[0,1]
	v_pk_mul_f32 v[8:9], s[22:23], v[6:7]
	v_pk_fma_f32 v[10:11], s[22:23], v[6:7], v[14:15] op_sel_hi:[1,0,1]
	s_nop 0
	v_sub_f32_e32 v10, v8, v14
	s_cbranch_vccnz .LBB190_20
; %bb.19:
	s_mov_b64 s[6:7], 0
	v_mov_b64_e32 v[4:5], v[10:11]
.LBB190_20:
	s_andn2_b64 vcc, exec, s[6:7]
	s_cbranch_vccnz .LBB190_39
; %bb.21:
	s_load_dword s0, s[0:1], 0x0
	v_lshl_add_u32 v14, v12, 3, 0
	s_waitcnt lgkmcnt(0)
	s_cmpk_lg_i32 s0, 0x71
	s_cselect_b64 s[0:1], -1, 0
	s_add_u32 s6, s16, s4
	v_mad_u64_u32 v[4:5], s[6:7], s6, v2, 0
	s_addc_u32 s8, s17, s5
	v_mov_b32_e32 v6, v5
	v_mad_u64_u32 v[6:7], s[6:7], s8, v2, v[6:7]
	v_mov_b32_e32 v5, v6
	v_lshl_add_u64 v[6:7], v[4:5], 3, s[14:15]
	v_mad_u64_u32 v[4:5], s[8:9], s4, v2, 0
	v_mov_b32_e32 v8, v5
	v_mad_u64_u32 v[8:9], s[8:9], s5, v2, v[8:9]
	v_mov_b32_e32 v5, v8
	s_mov_b32 s7, 0
	v_lshl_add_u64 v[8:9], v[4:5], 3, s[14:15]
	s_lshl_b32 s6, s16, 3
	s_mov_b64 s[8:9], 0
	s_branch .LBB190_24
.LBB190_22:                             ;   in Loop: Header=BB190_24 Depth=1
	ds_read_b64 v[16:17], v14
	s_waitcnt lgkmcnt(0)
	v_pk_mul_f32 v[12:13], v[12:13], v[16:17] op_sel:[0,1] op_sel_hi:[0,0]
	v_pk_fma_f32 v[18:19], v[16:17], v[10:11], v[12:13] neg_lo:[0,0,1] neg_hi:[0,0,1]
	v_pk_fma_f32 v[10:11], v[16:17], v[10:11], v[12:13] op_sel_hi:[1,0,1]
	s_nop 0
	v_mov_b32_e32 v19, v11
	v_pk_add_f32 v[10:11], v[4:5], v[18:19] neg_lo:[0,1] neg_hi:[0,1]
	s_nop 0
	v_mov_b64_e32 v[4:5], v[10:11]
.LBB190_23:                             ;   in Loop: Header=BB190_24 Depth=1
	s_or_b64 exec, exec, s[10:11]
	s_add_u32 s8, s8, 1
	s_addc_u32 s9, s9, 0
	s_cmp_eq_u64 s[2:3], s[8:9]
	v_lshl_add_u64 v[8:9], v[8:9], 0, s[6:7]
	s_cbranch_scc1 .LBB190_39
.LBB190_24:                             ; =>This Inner Loop Header: Depth=1
	v_cmp_eq_u64_e32 vcc, s[8:9], v[2:3]
	v_mov_b64_e32 v[4:5], v[10:11]
	s_barrier
	s_and_saveexec_b64 s[10:11], vcc
	s_cbranch_execz .LBB190_34
; %bb.25:                               ;   in Loop: Header=BB190_24 Depth=1
	flat_load_dwordx2 v[4:5], v[6:7]
	s_mov_b64 s[18:19], -1
	s_and_b64 vcc, exec, s[12:13]
                                        ; implicit-def: $vgpr12_vgpr13
	s_cbranch_vccz .LBB190_31
; %bb.26:                               ;   in Loop: Header=BB190_24 Depth=1
	s_waitcnt vmcnt(0) lgkmcnt(0)
	v_cmp_ngt_f32_e64 s[18:19], |v4|, |v5|
                                        ; implicit-def: $vgpr12_vgpr13
	s_and_saveexec_b64 s[20:21], s[18:19]
	s_xor_b64 s[18:19], exec, s[20:21]
	s_cbranch_execz .LBB190_28
; %bb.27:                               ;   in Loop: Header=BB190_24 Depth=1
	v_div_scale_f32 v12, s[20:21], v5, v5, v4
	v_rcp_f32_e32 v13, v12
	v_div_scale_f32 v15, vcc, v4, v5, v4
	v_fma_f32 v16, -v12, v13, 1.0
	v_fmac_f32_e32 v13, v16, v13
	v_mul_f32_e32 v16, v15, v13
	v_fma_f32 v17, -v12, v16, v15
	v_fmac_f32_e32 v16, v17, v13
	v_fma_f32 v12, -v12, v16, v15
	v_div_fmas_f32 v12, v12, v13, v16
	v_div_fixup_f32 v12, v12, v5, v4
	v_fma_f32 v13, v4, v12, v5
	v_div_scale_f32 v15, s[20:21], v13, v13, 1.0
	v_rcp_f32_e32 v16, v15
	s_nop 0
	v_fma_f32 v17, -v15, v16, 1.0
	v_fmac_f32_e32 v16, v17, v16
	v_div_scale_f32 v17, vcc, 1.0, v13, 1.0
	v_mul_f32_e32 v18, v17, v16
	v_fma_f32 v19, -v15, v18, v17
	v_fmac_f32_e32 v18, v19, v16
	v_fma_f32 v15, -v15, v18, v17
	v_div_fmas_f32 v15, v15, v16, v18
	v_div_fixup_f32 v13, v15, v13, 1.0
	v_mul_f32_e32 v12, v12, v13
	v_xor_b32_e32 v13, 0x80000000, v13
.LBB190_28:                             ;   in Loop: Header=BB190_24 Depth=1
	s_andn2_saveexec_b64 s[18:19], s[18:19]
	s_cbranch_execz .LBB190_30
; %bb.29:                               ;   in Loop: Header=BB190_24 Depth=1
	v_div_scale_f32 v12, s[20:21], v4, v4, v5
	v_rcp_f32_e32 v13, v12
	v_div_scale_f32 v15, vcc, v5, v4, v5
	v_fma_f32 v16, -v12, v13, 1.0
	v_fmac_f32_e32 v13, v16, v13
	v_mul_f32_e32 v16, v15, v13
	v_fma_f32 v17, -v12, v16, v15
	v_fmac_f32_e32 v16, v17, v13
	v_fma_f32 v12, -v12, v16, v15
	v_div_fmas_f32 v12, v12, v13, v16
	v_div_fixup_f32 v13, v12, v4, v5
	v_fma_f32 v12, v5, v13, v4
	v_div_scale_f32 v15, s[20:21], v12, v12, 1.0
	v_rcp_f32_e32 v16, v15
	s_nop 0
	v_fma_f32 v17, -v15, v16, 1.0
	v_fmac_f32_e32 v16, v17, v16
	v_div_scale_f32 v17, vcc, 1.0, v12, 1.0
	v_mul_f32_e32 v18, v17, v16
	v_fma_f32 v19, -v15, v18, v17
	v_fmac_f32_e32 v18, v19, v16
	v_fma_f32 v15, -v15, v18, v17
	v_div_fmas_f32 v15, v15, v16, v18
	v_div_fixup_f32 v12, v15, v12, 1.0
	v_mul_f32_e64 v13, v13, -v12
.LBB190_30:                             ;   in Loop: Header=BB190_24 Depth=1
	s_or_b64 exec, exec, s[18:19]
	s_mov_b64 s[18:19], 0
.LBB190_31:                             ;   in Loop: Header=BB190_24 Depth=1
	s_andn2_b64 vcc, exec, s[18:19]
	s_cbranch_vccnz .LBB190_33
; %bb.32:                               ;   in Loop: Header=BB190_24 Depth=1
	s_waitcnt vmcnt(0) lgkmcnt(0)
	v_mov_b64_e32 v[12:13], v[4:5]
.LBB190_33:                             ;   in Loop: Header=BB190_24 Depth=1
	v_pk_mul_f32 v[16:17], v[10:11], v[12:13] op_sel:[1,1] op_sel_hi:[0,1]
	s_waitcnt vmcnt(0) lgkmcnt(0)
	v_pk_fma_f32 v[4:5], v[10:11], v[12:13], v[16:17] op_sel_hi:[1,0,1] neg_lo:[0,0,1] neg_hi:[0,0,1]
	v_pk_fma_f32 v[10:11], v[10:11], v[12:13], v[16:17] op_sel_hi:[1,0,1]
	s_nop 0
	v_mov_b32_e32 v5, v11
	v_mov_b32_e32 v10, v4
	ds_write_b64 v14, v[4:5]
.LBB190_34:                             ;   in Loop: Header=BB190_24 Depth=1
	s_or_b64 exec, exec, s[10:11]
	v_cmp_lt_u64_e32 vcc, s[8:9], v[2:3]
	s_waitcnt lgkmcnt(0)
	s_barrier
	s_and_saveexec_b64 s[10:11], vcc
	s_cbranch_execz .LBB190_23
; %bb.35:                               ;   in Loop: Header=BB190_24 Depth=1
	s_mov_b64 s[18:19], -1
	s_and_b64 vcc, exec, s[0:1]
                                        ; implicit-def: $vgpr10
                                        ; implicit-def: $vgpr12
	s_cbranch_vccz .LBB190_37
; %bb.36:                               ;   in Loop: Header=BB190_24 Depth=1
	flat_load_dwordx2 v[10:11], v[8:9]
	s_mov_b64 s[18:19], 0
	s_waitcnt vmcnt(0) lgkmcnt(0)
	v_mov_b32_e32 v12, v11
.LBB190_37:                             ;   in Loop: Header=BB190_24 Depth=1
	s_andn2_b64 vcc, exec, s[18:19]
	s_cbranch_vccnz .LBB190_22
; %bb.38:                               ;   in Loop: Header=BB190_24 Depth=1
	flat_load_dwordx2 v[10:11], v[8:9]
	s_waitcnt vmcnt(0) lgkmcnt(0)
	v_xor_b32_e32 v12, 0x80000000, v11
	s_branch .LBB190_22
.LBB190_39:
	v_cmp_eq_u64_e32 vcc, s[2:3], v[2:3]
	s_and_saveexec_b64 s[0:1], vcc
	s_cbranch_execz .LBB190_49
; %bb.40:
	s_add_u32 s2, s16, s4
	v_mad_u64_u32 v[6:7], s[2:3], s2, v2, 0
	s_addc_u32 s4, s17, s5
	v_mov_b32_e32 v8, v7
	v_mad_u64_u32 v[2:3], s[2:3], s4, v2, v[8:9]
	v_mov_b32_e32 v7, v2
	v_lshl_add_u64 v[2:3], v[6:7], 3, s[14:15]
	flat_load_dwordx2 v[2:3], v[2:3]
	s_and_b64 vcc, exec, s[12:13]
	s_cbranch_vccz .LBB190_46
; %bb.41:
	s_waitcnt vmcnt(0) lgkmcnt(0)
	v_cmp_ngt_f32_e64 s[2:3], |v2|, |v3|
                                        ; implicit-def: $vgpr6_vgpr7
	s_and_saveexec_b64 s[4:5], s[2:3]
	s_xor_b64 s[2:3], exec, s[4:5]
	s_cbranch_execz .LBB190_43
; %bb.42:
	v_div_scale_f32 v6, s[4:5], v3, v3, v2
	v_rcp_f32_e32 v7, v6
	v_div_scale_f32 v8, vcc, v2, v3, v2
	v_fma_f32 v9, -v6, v7, 1.0
	v_fmac_f32_e32 v7, v9, v7
	v_mul_f32_e32 v9, v8, v7
	v_fma_f32 v10, -v6, v9, v8
	v_fmac_f32_e32 v9, v10, v7
	v_fma_f32 v6, -v6, v9, v8
	v_div_fmas_f32 v6, v6, v7, v9
	v_div_fixup_f32 v6, v6, v3, v2
	v_fma_f32 v7, v2, v6, v3
	v_div_scale_f32 v8, s[4:5], v7, v7, 1.0
	v_rcp_f32_e32 v9, v8
	s_nop 0
	v_fma_f32 v10, -v8, v9, 1.0
	v_fmac_f32_e32 v9, v10, v9
	v_div_scale_f32 v10, vcc, 1.0, v7, 1.0
	v_mul_f32_e32 v11, v10, v9
	v_fma_f32 v12, -v8, v11, v10
	v_fmac_f32_e32 v11, v12, v9
	v_fma_f32 v8, -v8, v11, v10
	v_div_fmas_f32 v8, v8, v9, v11
	v_div_fixup_f32 v7, v8, v7, 1.0
	v_mul_f32_e32 v6, v6, v7
	v_xor_b32_e32 v7, 0x80000000, v7
.LBB190_43:
	s_andn2_saveexec_b64 s[2:3], s[2:3]
	s_cbranch_execz .LBB190_45
; %bb.44:
	v_div_scale_f32 v6, s[4:5], v2, v2, v3
	v_rcp_f32_e32 v7, v6
	v_div_scale_f32 v8, vcc, v3, v2, v3
	v_fma_f32 v9, -v6, v7, 1.0
	v_fmac_f32_e32 v7, v9, v7
	v_mul_f32_e32 v9, v8, v7
	v_fma_f32 v10, -v6, v9, v8
	v_fmac_f32_e32 v9, v10, v7
	v_fma_f32 v6, -v6, v9, v8
	v_div_fmas_f32 v6, v6, v7, v9
	v_div_fixup_f32 v7, v6, v2, v3
	v_fma_f32 v6, v3, v7, v2
	v_div_scale_f32 v8, s[4:5], v6, v6, 1.0
	v_rcp_f32_e32 v9, v8
	s_nop 0
	v_fma_f32 v10, -v8, v9, 1.0
	v_fmac_f32_e32 v9, v10, v9
	v_div_scale_f32 v10, vcc, 1.0, v6, 1.0
	v_mul_f32_e32 v11, v10, v9
	v_fma_f32 v12, -v8, v11, v10
	v_fmac_f32_e32 v11, v12, v9
	v_fma_f32 v8, -v8, v11, v10
	v_div_fmas_f32 v8, v8, v9, v11
	v_div_fixup_f32 v6, v8, v6, 1.0
	v_mul_f32_e64 v7, v7, -v6
.LBB190_45:
	s_or_b64 exec, exec, s[2:3]
	s_cbranch_execz .LBB190_47
	s_branch .LBB190_48
.LBB190_46:
                                        ; implicit-def: $vgpr6_vgpr7
.LBB190_47:
	s_waitcnt vmcnt(0) lgkmcnt(0)
	v_mov_b64_e32 v[6:7], v[2:3]
.LBB190_48:
	s_waitcnt vmcnt(0) lgkmcnt(0)
	v_pk_mul_f32 v[2:3], v[4:5], v[6:7] op_sel:[1,1] op_sel_hi:[1,0]
	s_nop 0
	v_pk_fma_f32 v[8:9], v[4:5], v[6:7], v[2:3] neg_lo:[0,0,1] neg_hi:[0,0,1]
	v_pk_fma_f32 v[2:3], v[4:5], v[6:7], v[2:3] op_sel_hi:[0,1,1]
	v_mov_b32_e32 v9, v3
	v_mov_b64_e32 v[4:5], v[8:9]
.LBB190_49:
	s_or_b64 exec, exec, s[0:1]
	flat_store_dwordx2 v[0:1], v[4:5]
.LBB190_50:
	s_endpgm
	.section	.rodata,"a",@progbits
	.p2align	6, 0x0
	.amdhsa_kernel _ZL39rocblas_trsm_block_forward_substitutionI19rocblas_complex_numIfES1_PKPKS1_PKPS1_Lb1ELb0ELb0EEv18rocblas_operation_llT0_T1_lllT2_lllib
		.amdhsa_group_segment_fixed_size 0
		.amdhsa_private_segment_fixed_size 0
		.amdhsa_kernarg_size 360
		.amdhsa_user_sgpr_count 2
		.amdhsa_user_sgpr_dispatch_ptr 0
		.amdhsa_user_sgpr_queue_ptr 0
		.amdhsa_user_sgpr_kernarg_segment_ptr 1
		.amdhsa_user_sgpr_dispatch_id 0
		.amdhsa_user_sgpr_kernarg_preload_length 0
		.amdhsa_user_sgpr_kernarg_preload_offset 0
		.amdhsa_user_sgpr_private_segment_size 0
		.amdhsa_uses_dynamic_stack 0
		.amdhsa_enable_private_segment 0
		.amdhsa_system_sgpr_workgroup_id_x 1
		.amdhsa_system_sgpr_workgroup_id_y 1
		.amdhsa_system_sgpr_workgroup_id_z 1
		.amdhsa_system_sgpr_workgroup_info 0
		.amdhsa_system_vgpr_workitem_id 1
		.amdhsa_next_free_vgpr 20
		.amdhsa_next_free_sgpr 32
		.amdhsa_accum_offset 20
		.amdhsa_reserve_vcc 1
		.amdhsa_float_round_mode_32 0
		.amdhsa_float_round_mode_16_64 0
		.amdhsa_float_denorm_mode_32 3
		.amdhsa_float_denorm_mode_16_64 3
		.amdhsa_dx10_clamp 1
		.amdhsa_ieee_mode 1
		.amdhsa_fp16_overflow 0
		.amdhsa_tg_split 0
		.amdhsa_exception_fp_ieee_invalid_op 0
		.amdhsa_exception_fp_denorm_src 0
		.amdhsa_exception_fp_ieee_div_zero 0
		.amdhsa_exception_fp_ieee_overflow 0
		.amdhsa_exception_fp_ieee_underflow 0
		.amdhsa_exception_fp_ieee_inexact 0
		.amdhsa_exception_int_div_zero 0
	.end_amdhsa_kernel
	.section	.text._ZL39rocblas_trsm_block_forward_substitutionI19rocblas_complex_numIfES1_PKPKS1_PKPS1_Lb1ELb0ELb0EEv18rocblas_operation_llT0_T1_lllT2_lllib,"axG",@progbits,_ZL39rocblas_trsm_block_forward_substitutionI19rocblas_complex_numIfES1_PKPKS1_PKPS1_Lb1ELb0ELb0EEv18rocblas_operation_llT0_T1_lllT2_lllib,comdat
.Lfunc_end190:
	.size	_ZL39rocblas_trsm_block_forward_substitutionI19rocblas_complex_numIfES1_PKPKS1_PKPS1_Lb1ELb0ELb0EEv18rocblas_operation_llT0_T1_lllT2_lllib, .Lfunc_end190-_ZL39rocblas_trsm_block_forward_substitutionI19rocblas_complex_numIfES1_PKPKS1_PKPS1_Lb1ELb0ELb0EEv18rocblas_operation_llT0_T1_lllT2_lllib
                                        ; -- End function
	.set _ZL39rocblas_trsm_block_forward_substitutionI19rocblas_complex_numIfES1_PKPKS1_PKPS1_Lb1ELb0ELb0EEv18rocblas_operation_llT0_T1_lllT2_lllib.num_vgpr, 20
	.set _ZL39rocblas_trsm_block_forward_substitutionI19rocblas_complex_numIfES1_PKPKS1_PKPS1_Lb1ELb0ELb0EEv18rocblas_operation_llT0_T1_lllT2_lllib.num_agpr, 0
	.set _ZL39rocblas_trsm_block_forward_substitutionI19rocblas_complex_numIfES1_PKPKS1_PKPS1_Lb1ELb0ELb0EEv18rocblas_operation_llT0_T1_lllT2_lllib.numbered_sgpr, 32
	.set _ZL39rocblas_trsm_block_forward_substitutionI19rocblas_complex_numIfES1_PKPKS1_PKPS1_Lb1ELb0ELb0EEv18rocblas_operation_llT0_T1_lllT2_lllib.num_named_barrier, 0
	.set _ZL39rocblas_trsm_block_forward_substitutionI19rocblas_complex_numIfES1_PKPKS1_PKPS1_Lb1ELb0ELb0EEv18rocblas_operation_llT0_T1_lllT2_lllib.private_seg_size, 0
	.set _ZL39rocblas_trsm_block_forward_substitutionI19rocblas_complex_numIfES1_PKPKS1_PKPS1_Lb1ELb0ELb0EEv18rocblas_operation_llT0_T1_lllT2_lllib.uses_vcc, 1
	.set _ZL39rocblas_trsm_block_forward_substitutionI19rocblas_complex_numIfES1_PKPKS1_PKPS1_Lb1ELb0ELb0EEv18rocblas_operation_llT0_T1_lllT2_lllib.uses_flat_scratch, 0
	.set _ZL39rocblas_trsm_block_forward_substitutionI19rocblas_complex_numIfES1_PKPKS1_PKPS1_Lb1ELb0ELb0EEv18rocblas_operation_llT0_T1_lllT2_lllib.has_dyn_sized_stack, 0
	.set _ZL39rocblas_trsm_block_forward_substitutionI19rocblas_complex_numIfES1_PKPKS1_PKPS1_Lb1ELb0ELb0EEv18rocblas_operation_llT0_T1_lllT2_lllib.has_recursion, 0
	.set _ZL39rocblas_trsm_block_forward_substitutionI19rocblas_complex_numIfES1_PKPKS1_PKPS1_Lb1ELb0ELb0EEv18rocblas_operation_llT0_T1_lllT2_lllib.has_indirect_call, 0
	.section	.AMDGPU.csdata,"",@progbits
; Kernel info:
; codeLenInByte = 2356
; TotalNumSgprs: 38
; NumVgprs: 20
; NumAgprs: 0
; TotalNumVgprs: 20
; ScratchSize: 0
; MemoryBound: 0
; FloatMode: 240
; IeeeMode: 1
; LDSByteSize: 0 bytes/workgroup (compile time only)
; SGPRBlocks: 4
; VGPRBlocks: 2
; NumSGPRsForWavesPerEU: 38
; NumVGPRsForWavesPerEU: 20
; AccumOffset: 20
; Occupancy: 8
; WaveLimiterHint : 1
; COMPUTE_PGM_RSRC2:SCRATCH_EN: 0
; COMPUTE_PGM_RSRC2:USER_SGPR: 2
; COMPUTE_PGM_RSRC2:TRAP_HANDLER: 0
; COMPUTE_PGM_RSRC2:TGID_X_EN: 1
; COMPUTE_PGM_RSRC2:TGID_Y_EN: 1
; COMPUTE_PGM_RSRC2:TGID_Z_EN: 1
; COMPUTE_PGM_RSRC2:TIDIG_COMP_CNT: 1
; COMPUTE_PGM_RSRC3_GFX90A:ACCUM_OFFSET: 4
; COMPUTE_PGM_RSRC3_GFX90A:TG_SPLIT: 0
	.section	.text._ZL40rocblas_trsm_block_backward_substitutionI19rocblas_complex_numIfES1_PKPKS1_PKPS1_Lb1ELb0ELb0EEv18rocblas_operation_llT0_T1_lllT2_lllib,"axG",@progbits,_ZL40rocblas_trsm_block_backward_substitutionI19rocblas_complex_numIfES1_PKPKS1_PKPS1_Lb1ELb0ELb0EEv18rocblas_operation_llT0_T1_lllT2_lllib,comdat
	.globl	_ZL40rocblas_trsm_block_backward_substitutionI19rocblas_complex_numIfES1_PKPKS1_PKPS1_Lb1ELb0ELb0EEv18rocblas_operation_llT0_T1_lllT2_lllib ; -- Begin function _ZL40rocblas_trsm_block_backward_substitutionI19rocblas_complex_numIfES1_PKPKS1_PKPS1_Lb1ELb0ELb0EEv18rocblas_operation_llT0_T1_lllT2_lllib
	.p2align	8
	.type	_ZL40rocblas_trsm_block_backward_substitutionI19rocblas_complex_numIfES1_PKPKS1_PKPS1_Lb1ELb0ELb0EEv18rocblas_operation_llT0_T1_lllT2_lllib,@function
_ZL40rocblas_trsm_block_backward_substitutionI19rocblas_complex_numIfES1_PKPKS1_PKPS1_Lb1ELb0ELb0EEv18rocblas_operation_llT0_T1_lllT2_lllib: ; @_ZL40rocblas_trsm_block_backward_substitutionI19rocblas_complex_numIfES1_PKPKS1_PKPS1_Lb1ELb0ELb0EEv18rocblas_operation_llT0_T1_lllT2_lllib
; %bb.0:
	s_load_dword s2, s[0:1], 0x64
	s_load_dwordx4 s[8:11], s[0:1], 0x8
	s_load_dwordx4 s[20:23], s[0:1], 0x20
	s_load_dword s26, s[0:1], 0x74
	s_mov_b32 s5, 0
	s_waitcnt lgkmcnt(0)
	s_bitcmp1_b32 s2, 0
	s_cselect_b64 s[6:7], -1, 0
	s_xor_b64 s[16:17], s[6:7], -1
	s_lshl_b64 s[4:5], s[4:5], 3
	s_add_u32 s6, s20, s4
	s_addc_u32 s7, s21, s5
	s_load_dwordx2 s[24:25], s[6:7], 0x0
	s_load_dwordx2 s[18:19], s[0:1], 0x30
	s_load_dwordx4 s[12:15], s[0:1], 0x40
	s_load_dwordx2 s[20:21], s[0:1], 0x50
	s_lshl_b64 s[6:7], s[22:23], 3
	s_waitcnt lgkmcnt(0)
	s_add_u32 s6, s24, s6
	s_addc_u32 s7, s25, s7
	s_add_u32 s4, s12, s4
	s_addc_u32 s5, s13, s5
	s_load_dwordx2 s[12:13], s[4:5], 0x0
	s_add_u32 s22, s0, 0x68
	v_and_b32_e32 v2, 0x3ff, v0
	v_bfe_u32 v12, v0, 10, 10
	s_addc_u32 s23, s1, 0
	s_lshr_b32 s2, s26, 16
	s_and_b64 vcc, exec, s[16:17]
	s_cbranch_vccnz .LBB191_16
; %bb.1:
	s_lshl_b32 s4, s2, 3
	s_add_i32 s24, s4, 0
	v_cmp_lt_i64_e64 s[4:5], s[8:9], 1
	s_and_b64 vcc, exec, s[4:5]
	s_cbranch_vccnz .LBB191_15
; %bb.2:
	v_mov_b32_e32 v3, 0
	v_lshlrev_b32_e32 v0, 3, v2
	v_mov_b32_e32 v1, v3
	v_add_u32_e32 v13, s24, v0
	v_lshl_add_u64 v[0:1], s[6:7], 0, v[0:1]
	v_mad_u64_u32 v[4:5], s[6:7], s18, v2, 0
	v_mov_b32_e32 v6, v5
	v_mad_u64_u32 v[6:7], s[6:7], s19, v2, v[6:7]
	v_cmp_le_u64_e64 s[26:27], s[8:9], v[2:3]
	v_mov_b32_e32 v5, v6
	v_cmp_gt_u64_e64 s[4:5], s[8:9], v[2:3]
	v_lshl_add_u64 v[4:5], v[4:5], 3, v[0:1]
	s_xor_b64 s[28:29], s[26:27], -1
	s_mov_b32 s25, s2
	v_mov_b32_e32 v6, v12
	s_branch .LBB191_5
.LBB191_3:                              ;   in Loop: Header=BB191_5 Depth=1
	s_or_b64 exec, exec, s[30:31]
	s_load_dword s30, s[22:23], 0xc
	s_waitcnt lgkmcnt(0)
	s_and_b32 s30, s30, 0xffff
	v_mul_u32_u24_e32 v3, s30, v2
	v_lshl_add_u32 v3, v3, 3, v13
	ds_write_b64 v3, v[10:11]
.LBB191_4:                              ;   in Loop: Header=BB191_5 Depth=1
	s_or_b64 exec, exec, s[6:7]
	s_ashr_i32 s6, s25, 31
	v_mov_b32_e32 v8, s25
	v_mov_b32_e32 v9, s6
	v_cmp_le_i64_e32 vcc, s[8:9], v[8:9]
	v_add_u32_e32 v6, s2, v6
	s_add_i32 s25, s25, s2
	s_cbranch_vccnz .LBB191_15
.LBB191_5:                              ; =>This Inner Loop Header: Depth=1
	s_mov_b64 s[34:35], s[26:27]
	s_and_saveexec_b64 s[30:31], s[4:5]
	s_cbranch_execz .LBB191_9
; %bb.6:                                ;   in Loop: Header=BB191_5 Depth=1
	v_ashrrev_i32_e32 v7, 31, v6
	v_cmp_gt_i64_e32 vcc, s[8:9], v[6:7]
	v_cmp_lt_i32_e64 s[6:7], v2, v6
	s_and_b64 s[36:37], s[6:7], vcc
	s_mov_b64 s[34:35], -1
	s_and_saveexec_b64 s[6:7], s[36:37]
	s_cbranch_execz .LBB191_8
; %bb.7:                                ;   in Loop: Header=BB191_5 Depth=1
	v_mul_lo_u32 v3, s19, v6
	v_mul_lo_u32 v7, s18, v7
	v_mad_u64_u32 v[8:9], s[34:35], s18, v6, 0
	v_add3_u32 v9, v9, v7, v3
	v_lshl_add_u64 v[8:9], v[8:9], 3, v[0:1]
	flat_load_dwordx2 v[8:9], v[8:9]
	s_load_dword s33, s[22:23], 0xc
	s_xor_b64 s[34:35], exec, -1
	s_waitcnt lgkmcnt(0)
	s_and_b32 s33, s33, 0xffff
	v_mul_lo_u32 v3, v6, s33
	v_lshl_add_u32 v3, v3, 3, v13
	s_waitcnt vmcnt(0)
	ds_write_b64 v3, v[8:9]
.LBB191_8:                              ;   in Loop: Header=BB191_5 Depth=1
	s_or_b64 exec, exec, s[6:7]
	s_andn2_b64 s[6:7], s[26:27], exec
	s_and_b64 s[34:35], s[34:35], exec
	s_or_b64 s[34:35], s[6:7], s[34:35]
.LBB191_9:                              ;   in Loop: Header=BB191_5 Depth=1
	s_or_b64 exec, exec, s[30:31]
	s_and_saveexec_b64 s[6:7], s[34:35]
	s_cbranch_execz .LBB191_4
; %bb.10:                               ;   in Loop: Header=BB191_5 Depth=1
	v_cmp_eq_u32_e32 vcc, v2, v6
	s_and_b64 s[30:31], s[28:29], vcc
	s_and_b64 exec, exec, s[30:31]
	s_cbranch_execz .LBB191_4
; %bb.11:                               ;   in Loop: Header=BB191_5 Depth=1
	flat_load_dwordx2 v[8:9], v[4:5]
                                        ; implicit-def: $vgpr10_vgpr11
	s_waitcnt vmcnt(0) lgkmcnt(0)
	v_cmp_ngt_f32_e64 s[30:31], |v8|, |v9|
	s_and_saveexec_b64 s[34:35], s[30:31]
	s_xor_b64 s[30:31], exec, s[34:35]
	s_cbranch_execz .LBB191_13
; %bb.12:                               ;   in Loop: Header=BB191_5 Depth=1
	v_div_scale_f32 v3, s[34:35], v9, v9, v8
	v_rcp_f32_e32 v7, v3
	v_div_scale_f32 v10, vcc, v8, v9, v8
	v_fma_f32 v11, -v3, v7, 1.0
	v_fmac_f32_e32 v7, v11, v7
	v_mul_f32_e32 v11, v10, v7
	v_fma_f32 v14, -v3, v11, v10
	v_fmac_f32_e32 v11, v14, v7
	v_fma_f32 v3, -v3, v11, v10
	v_div_fmas_f32 v3, v3, v7, v11
	v_div_fixup_f32 v3, v3, v9, v8
	v_fmac_f32_e32 v9, v8, v3
	v_div_scale_f32 v7, s[34:35], v9, v9, 1.0
	v_rcp_f32_e32 v8, v7
	s_nop 0
	v_fma_f32 v10, -v7, v8, 1.0
	v_fmac_f32_e32 v8, v10, v8
	v_div_scale_f32 v10, vcc, 1.0, v9, 1.0
	v_mul_f32_e32 v11, v10, v8
	v_fma_f32 v14, -v7, v11, v10
	v_fmac_f32_e32 v11, v14, v8
	v_fma_f32 v7, -v7, v11, v10
	v_div_fmas_f32 v7, v7, v8, v11
	v_div_fixup_f32 v7, v7, v9, 1.0
	v_mul_f32_e32 v10, v3, v7
	v_xor_b32_e32 v11, 0x80000000, v7
                                        ; implicit-def: $vgpr8_vgpr9
.LBB191_13:                             ;   in Loop: Header=BB191_5 Depth=1
	s_andn2_saveexec_b64 s[30:31], s[30:31]
	s_cbranch_execz .LBB191_3
; %bb.14:                               ;   in Loop: Header=BB191_5 Depth=1
	v_div_scale_f32 v3, s[34:35], v8, v8, v9
	v_rcp_f32_e32 v7, v3
	v_div_scale_f32 v10, vcc, v9, v8, v9
	v_fma_f32 v11, -v3, v7, 1.0
	v_fmac_f32_e32 v7, v11, v7
	v_mul_f32_e32 v11, v10, v7
	v_fma_f32 v14, -v3, v11, v10
	v_fmac_f32_e32 v11, v14, v7
	v_fma_f32 v3, -v3, v11, v10
	v_div_fmas_f32 v3, v3, v7, v11
	v_div_fixup_f32 v3, v3, v8, v9
	v_fmac_f32_e32 v8, v9, v3
	v_div_scale_f32 v7, s[34:35], v8, v8, 1.0
	v_rcp_f32_e32 v9, v7
	s_nop 0
	v_fma_f32 v10, -v7, v9, 1.0
	v_fmac_f32_e32 v9, v10, v9
	v_div_scale_f32 v10, vcc, 1.0, v8, 1.0
	v_mul_f32_e32 v11, v10, v9
	v_fma_f32 v14, -v7, v11, v10
	v_fmac_f32_e32 v11, v14, v9
	v_fma_f32 v7, -v7, v11, v10
	v_div_fmas_f32 v7, v7, v9, v11
	v_div_fixup_f32 v10, v7, v8, 1.0
	v_mul_f32_e64 v11, v3, -v10
	s_branch .LBB191_3
.LBB191_15:
	s_mov_b64 s[4:5], src_shared_base
	s_load_dword s4, s[22:23], 0xc
	s_mov_b32 s25, s5
	s_mov_b32 s19, 0
	s_mov_b64 s[6:7], s[24:25]
	s_waitcnt lgkmcnt(0)
	s_and_b32 s18, s4, 0xffff
.LBB191_16:
	s_load_dwordx2 s[4:5], s[0:1], 0x18
	s_mul_i32 s3, s3, s2
	v_add_u32_e32 v0, s3, v12
	v_mov_b32_e32 v1, 0
	v_cmp_gt_i64_e32 vcc, s[10:11], v[0:1]
	s_and_saveexec_b64 s[2:3], vcc
	s_cbranch_execz .LBB191_50
; %bb.17:
	v_mov_b32_e32 v3, v1
	v_cmp_gt_i64_e32 vcc, s[8:9], v[2:3]
	s_and_b64 exec, exec, vcc
	s_cbranch_execz .LBB191_50
; %bb.18:
	v_mad_u64_u32 v[4:5], s[10:11], s20, v2, 0
	s_lshl_b64 s[2:3], s[14:15], 3
	v_mov_b32_e32 v6, v5
	s_waitcnt lgkmcnt(0)
	s_add_u32 s2, s12, s2
	v_mad_u64_u32 v[6:7], s[10:11], s21, v2, v[6:7]
	s_addc_u32 s3, s13, s3
	v_mov_b32_e32 v5, v6
	v_lshl_add_u64 v[4:5], v[4:5], 3, s[2:3]
	v_lshl_add_u64 v[0:1], v[0:1], 3, v[4:5]
	flat_load_dwordx2 v[4:5], v[0:1]
	v_cmp_gt_u64_e64 s[2:3], s[8:9], 1
	s_and_b64 vcc, exec, s[2:3]
	s_waitcnt vmcnt(0) lgkmcnt(0)
	v_pk_mul_f32 v[10:11], s[4:5], v[4:5] op_sel:[1,1] op_sel_hi:[0,1]
	v_pk_mul_f32 v[8:9], s[4:5], v[4:5]
	v_pk_fma_f32 v[6:7], s[4:5], v[4:5], v[10:11] op_sel_hi:[1,0,1]
	s_nop 0
	v_sub_f32_e32 v6, v8, v10
	s_cbranch_vccnz .LBB191_20
; %bb.19:
	v_mov_b64_e32 v[8:9], v[6:7]
	s_cbranch_execz .LBB191_21
	s_branch .LBB191_39
.LBB191_20:
                                        ; implicit-def: $vgpr8_vgpr9
.LBB191_21:
	s_load_dword s2, s[0:1], 0x0
	v_mad_u64_u32 v[4:5], s[0:1], v2, s18, v[2:3]
	v_mov_b32_e32 v8, v5
	v_lshl_add_u32 v14, v12, 3, 0
	s_waitcnt lgkmcnt(0)
	s_cmpk_lg_i32 s2, 0x71
	v_mad_u64_u32 v[8:9], s[2:3], v2, s19, v[8:9]
	s_cselect_b64 s[0:1], -1, 0
	s_add_u32 s2, s8, -1
	s_addc_u32 s3, s9, -1
	s_mul_i32 s4, s18, s3
	s_mul_hi_u32 s5, s18, s2
	s_add_i32 s4, s5, s4
	s_mul_i32 s5, s19, s2
	s_add_i32 s5, s4, s5
	s_mul_i32 s4, s18, s2
	s_lshl_b64 s[4:5], s[4:5], 3
	s_add_u32 s4, s6, s4
	v_mov_b32_e32 v5, v8
	v_lshlrev_b32_e32 v8, 3, v2
	v_mov_b32_e32 v9, 0
	s_addc_u32 s5, s7, s5
	v_lshl_add_u64 v[10:11], s[4:5], 0, v[8:9]
	s_lshl_b64 s[4:5], s[18:19], 3
	s_sub_u32 s4, 0, s4
	v_lshl_add_u64 v[4:5], v[4:5], 3, s[6:7]
	s_subb_u32 s5, 0, s5
	s_branch .LBB191_24
.LBB191_22:                             ;   in Loop: Header=BB191_24 Depth=1
	ds_read_b64 v[16:17], v14
	s_waitcnt lgkmcnt(0)
	v_pk_mul_f32 v[12:13], v[12:13], v[16:17] op_sel:[0,1] op_sel_hi:[0,0]
	v_pk_fma_f32 v[18:19], v[16:17], v[6:7], v[12:13] neg_lo:[0,0,1] neg_hi:[0,0,1]
	v_pk_fma_f32 v[6:7], v[16:17], v[6:7], v[12:13] op_sel_hi:[1,0,1]
	s_nop 0
	v_mov_b32_e32 v19, v7
	v_pk_add_f32 v[6:7], v[8:9], v[18:19] neg_lo:[0,1] neg_hi:[0,1]
	s_nop 0
	v_mov_b64_e32 v[8:9], v[6:7]
.LBB191_23:                             ;   in Loop: Header=BB191_24 Depth=1
	s_or_b64 exec, exec, s[8:9]
	s_add_u32 s8, s2, -1
	s_addc_u32 s9, s3, -1
	s_add_u32 s2, s2, 1
	s_addc_u32 s3, s3, 0
	v_cmp_lt_u64_e64 s[2:3], s[2:3], 3
	v_lshl_add_u64 v[10:11], v[10:11], 0, s[4:5]
	s_and_b64 vcc, exec, s[2:3]
	s_mov_b64 s[2:3], s[8:9]
	s_cbranch_vccnz .LBB191_39
.LBB191_24:                             ; =>This Inner Loop Header: Depth=1
	v_cmp_eq_u64_e32 vcc, s[2:3], v[2:3]
	v_mov_b64_e32 v[8:9], v[6:7]
	s_barrier
	s_and_saveexec_b64 s[8:9], vcc
	s_cbranch_execz .LBB191_34
; %bb.25:                               ;   in Loop: Header=BB191_24 Depth=1
	flat_load_dwordx2 v[8:9], v[4:5]
	s_mov_b64 s[10:11], -1
	s_and_b64 vcc, exec, s[16:17]
                                        ; implicit-def: $vgpr12_vgpr13
	s_cbranch_vccz .LBB191_31
; %bb.26:                               ;   in Loop: Header=BB191_24 Depth=1
	s_waitcnt vmcnt(0) lgkmcnt(0)
	v_cmp_ngt_f32_e64 s[10:11], |v8|, |v9|
                                        ; implicit-def: $vgpr12_vgpr13
	s_and_saveexec_b64 s[12:13], s[10:11]
	s_xor_b64 s[10:11], exec, s[12:13]
	s_cbranch_execz .LBB191_28
; %bb.27:                               ;   in Loop: Header=BB191_24 Depth=1
	v_div_scale_f32 v12, s[12:13], v9, v9, v8
	v_rcp_f32_e32 v13, v12
	v_div_scale_f32 v15, vcc, v8, v9, v8
	v_fma_f32 v16, -v12, v13, 1.0
	v_fmac_f32_e32 v13, v16, v13
	v_mul_f32_e32 v16, v15, v13
	v_fma_f32 v17, -v12, v16, v15
	v_fmac_f32_e32 v16, v17, v13
	v_fma_f32 v12, -v12, v16, v15
	v_div_fmas_f32 v12, v12, v13, v16
	v_div_fixup_f32 v12, v12, v9, v8
	v_fma_f32 v13, v8, v12, v9
	v_div_scale_f32 v15, s[12:13], v13, v13, 1.0
	v_rcp_f32_e32 v16, v15
	s_nop 0
	v_fma_f32 v17, -v15, v16, 1.0
	v_fmac_f32_e32 v16, v17, v16
	v_div_scale_f32 v17, vcc, 1.0, v13, 1.0
	v_mul_f32_e32 v18, v17, v16
	v_fma_f32 v19, -v15, v18, v17
	v_fmac_f32_e32 v18, v19, v16
	v_fma_f32 v15, -v15, v18, v17
	v_div_fmas_f32 v15, v15, v16, v18
	v_div_fixup_f32 v13, v15, v13, 1.0
	v_mul_f32_e32 v12, v12, v13
	v_xor_b32_e32 v13, 0x80000000, v13
.LBB191_28:                             ;   in Loop: Header=BB191_24 Depth=1
	s_andn2_saveexec_b64 s[10:11], s[10:11]
	s_cbranch_execz .LBB191_30
; %bb.29:                               ;   in Loop: Header=BB191_24 Depth=1
	v_div_scale_f32 v12, s[12:13], v8, v8, v9
	v_rcp_f32_e32 v13, v12
	v_div_scale_f32 v15, vcc, v9, v8, v9
	v_fma_f32 v16, -v12, v13, 1.0
	v_fmac_f32_e32 v13, v16, v13
	v_mul_f32_e32 v16, v15, v13
	v_fma_f32 v17, -v12, v16, v15
	v_fmac_f32_e32 v16, v17, v13
	v_fma_f32 v12, -v12, v16, v15
	v_div_fmas_f32 v12, v12, v13, v16
	v_div_fixup_f32 v13, v12, v8, v9
	v_fma_f32 v12, v9, v13, v8
	v_div_scale_f32 v15, s[12:13], v12, v12, 1.0
	v_rcp_f32_e32 v16, v15
	s_nop 0
	v_fma_f32 v17, -v15, v16, 1.0
	v_fmac_f32_e32 v16, v17, v16
	v_div_scale_f32 v17, vcc, 1.0, v12, 1.0
	v_mul_f32_e32 v18, v17, v16
	v_fma_f32 v19, -v15, v18, v17
	v_fmac_f32_e32 v18, v19, v16
	v_fma_f32 v15, -v15, v18, v17
	v_div_fmas_f32 v15, v15, v16, v18
	v_div_fixup_f32 v12, v15, v12, 1.0
	v_mul_f32_e64 v13, v13, -v12
.LBB191_30:                             ;   in Loop: Header=BB191_24 Depth=1
	s_or_b64 exec, exec, s[10:11]
	s_mov_b64 s[10:11], 0
.LBB191_31:                             ;   in Loop: Header=BB191_24 Depth=1
	s_andn2_b64 vcc, exec, s[10:11]
	s_cbranch_vccnz .LBB191_33
; %bb.32:                               ;   in Loop: Header=BB191_24 Depth=1
	s_waitcnt vmcnt(0) lgkmcnt(0)
	v_mov_b64_e32 v[12:13], v[8:9]
.LBB191_33:                             ;   in Loop: Header=BB191_24 Depth=1
	v_pk_mul_f32 v[16:17], v[6:7], v[12:13] op_sel:[1,1] op_sel_hi:[0,1]
	s_waitcnt vmcnt(0) lgkmcnt(0)
	v_pk_fma_f32 v[8:9], v[6:7], v[12:13], v[16:17] op_sel_hi:[1,0,1] neg_lo:[0,0,1] neg_hi:[0,0,1]
	v_pk_fma_f32 v[6:7], v[6:7], v[12:13], v[16:17] op_sel_hi:[1,0,1]
	s_nop 0
	v_mov_b32_e32 v9, v7
	v_mov_b32_e32 v6, v8
	ds_write_b64 v14, v[8:9]
.LBB191_34:                             ;   in Loop: Header=BB191_24 Depth=1
	s_or_b64 exec, exec, s[8:9]
	v_cmp_gt_i64_e32 vcc, s[2:3], v[2:3]
	s_waitcnt lgkmcnt(0)
	s_barrier
	s_and_saveexec_b64 s[8:9], vcc
	s_cbranch_execz .LBB191_23
; %bb.35:                               ;   in Loop: Header=BB191_24 Depth=1
	s_mov_b64 s[10:11], -1
	s_and_b64 vcc, exec, s[0:1]
                                        ; implicit-def: $vgpr6
                                        ; implicit-def: $vgpr12
	s_cbranch_vccz .LBB191_37
; %bb.36:                               ;   in Loop: Header=BB191_24 Depth=1
	flat_load_dwordx2 v[6:7], v[10:11]
	s_mov_b64 s[10:11], 0
	s_waitcnt vmcnt(0) lgkmcnt(0)
	v_mov_b32_e32 v12, v7
.LBB191_37:                             ;   in Loop: Header=BB191_24 Depth=1
	s_andn2_b64 vcc, exec, s[10:11]
	s_cbranch_vccnz .LBB191_22
; %bb.38:                               ;   in Loop: Header=BB191_24 Depth=1
	flat_load_dwordx2 v[6:7], v[10:11]
	s_waitcnt vmcnt(0) lgkmcnt(0)
	v_xor_b32_e32 v12, 0x80000000, v7
	s_branch .LBB191_22
.LBB191_39:
	v_cmp_eq_u32_e32 vcc, 0, v2
	s_and_saveexec_b64 s[0:1], vcc
	s_cbranch_execz .LBB191_49
; %bb.40:
	v_mad_u64_u32 v[4:5], s[2:3], v2, s18, v[2:3]
	v_mov_b32_e32 v6, v5
	v_mad_u64_u32 v[2:3], s[2:3], v2, s19, v[6:7]
	v_mov_b32_e32 v5, v2
	v_lshl_add_u64 v[2:3], v[4:5], 3, s[6:7]
	flat_load_dwordx2 v[2:3], v[2:3]
	s_and_b64 vcc, exec, s[16:17]
	s_cbranch_vccz .LBB191_46
; %bb.41:
	s_waitcnt vmcnt(0) lgkmcnt(0)
	v_cmp_ngt_f32_e64 s[2:3], |v2|, |v3|
                                        ; implicit-def: $vgpr4_vgpr5
	s_and_saveexec_b64 s[4:5], s[2:3]
	s_xor_b64 s[2:3], exec, s[4:5]
	s_cbranch_execz .LBB191_43
; %bb.42:
	v_div_scale_f32 v4, s[4:5], v3, v3, v2
	v_rcp_f32_e32 v5, v4
	v_div_scale_f32 v6, vcc, v2, v3, v2
	v_fma_f32 v7, -v4, v5, 1.0
	v_fmac_f32_e32 v5, v7, v5
	v_mul_f32_e32 v7, v6, v5
	v_fma_f32 v10, -v4, v7, v6
	v_fmac_f32_e32 v7, v10, v5
	v_fma_f32 v4, -v4, v7, v6
	v_div_fmas_f32 v4, v4, v5, v7
	v_div_fixup_f32 v4, v4, v3, v2
	v_fma_f32 v5, v2, v4, v3
	v_div_scale_f32 v6, s[4:5], v5, v5, 1.0
	v_rcp_f32_e32 v7, v6
	s_nop 0
	v_fma_f32 v10, -v6, v7, 1.0
	v_fmac_f32_e32 v7, v10, v7
	v_div_scale_f32 v10, vcc, 1.0, v5, 1.0
	v_mul_f32_e32 v11, v10, v7
	v_fma_f32 v12, -v6, v11, v10
	v_fmac_f32_e32 v11, v12, v7
	v_fma_f32 v6, -v6, v11, v10
	v_div_fmas_f32 v6, v6, v7, v11
	v_div_fixup_f32 v5, v6, v5, 1.0
	v_mul_f32_e32 v4, v4, v5
	v_xor_b32_e32 v5, 0x80000000, v5
.LBB191_43:
	s_andn2_saveexec_b64 s[2:3], s[2:3]
	s_cbranch_execz .LBB191_45
; %bb.44:
	v_div_scale_f32 v4, s[4:5], v2, v2, v3
	v_rcp_f32_e32 v5, v4
	v_div_scale_f32 v6, vcc, v3, v2, v3
	v_fma_f32 v7, -v4, v5, 1.0
	v_fmac_f32_e32 v5, v7, v5
	v_mul_f32_e32 v7, v6, v5
	v_fma_f32 v10, -v4, v7, v6
	v_fmac_f32_e32 v7, v10, v5
	v_fma_f32 v4, -v4, v7, v6
	v_div_fmas_f32 v4, v4, v5, v7
	v_div_fixup_f32 v5, v4, v2, v3
	v_fma_f32 v4, v3, v5, v2
	v_div_scale_f32 v6, s[4:5], v4, v4, 1.0
	v_rcp_f32_e32 v7, v6
	s_nop 0
	v_fma_f32 v10, -v6, v7, 1.0
	v_fmac_f32_e32 v7, v10, v7
	v_div_scale_f32 v10, vcc, 1.0, v4, 1.0
	v_mul_f32_e32 v11, v10, v7
	v_fma_f32 v12, -v6, v11, v10
	v_fmac_f32_e32 v11, v12, v7
	v_fma_f32 v6, -v6, v11, v10
	v_div_fmas_f32 v6, v6, v7, v11
	v_div_fixup_f32 v4, v6, v4, 1.0
	v_mul_f32_e64 v5, v5, -v4
.LBB191_45:
	s_or_b64 exec, exec, s[2:3]
	s_cbranch_execz .LBB191_47
	s_branch .LBB191_48
.LBB191_46:
                                        ; implicit-def: $vgpr4_vgpr5
.LBB191_47:
	s_waitcnt vmcnt(0) lgkmcnt(0)
	v_mov_b64_e32 v[4:5], v[2:3]
.LBB191_48:
	s_waitcnt vmcnt(0) lgkmcnt(0)
	v_pk_mul_f32 v[2:3], v[8:9], v[4:5] op_sel:[1,1] op_sel_hi:[1,0]
	s_nop 0
	v_pk_fma_f32 v[6:7], v[8:9], v[4:5], v[2:3] neg_lo:[0,0,1] neg_hi:[0,0,1]
	v_pk_fma_f32 v[2:3], v[8:9], v[4:5], v[2:3] op_sel_hi:[0,1,1]
	v_mov_b32_e32 v7, v3
	v_mov_b64_e32 v[8:9], v[6:7]
.LBB191_49:
	s_or_b64 exec, exec, s[0:1]
	flat_store_dwordx2 v[0:1], v[8:9]
.LBB191_50:
	s_endpgm
	.section	.rodata,"a",@progbits
	.p2align	6, 0x0
	.amdhsa_kernel _ZL40rocblas_trsm_block_backward_substitutionI19rocblas_complex_numIfES1_PKPKS1_PKPS1_Lb1ELb0ELb0EEv18rocblas_operation_llT0_T1_lllT2_lllib
		.amdhsa_group_segment_fixed_size 0
		.amdhsa_private_segment_fixed_size 0
		.amdhsa_kernarg_size 360
		.amdhsa_user_sgpr_count 2
		.amdhsa_user_sgpr_dispatch_ptr 0
		.amdhsa_user_sgpr_queue_ptr 0
		.amdhsa_user_sgpr_kernarg_segment_ptr 1
		.amdhsa_user_sgpr_dispatch_id 0
		.amdhsa_user_sgpr_kernarg_preload_length 0
		.amdhsa_user_sgpr_kernarg_preload_offset 0
		.amdhsa_user_sgpr_private_segment_size 0
		.amdhsa_uses_dynamic_stack 0
		.amdhsa_enable_private_segment 0
		.amdhsa_system_sgpr_workgroup_id_x 1
		.amdhsa_system_sgpr_workgroup_id_y 1
		.amdhsa_system_sgpr_workgroup_id_z 1
		.amdhsa_system_sgpr_workgroup_info 0
		.amdhsa_system_vgpr_workitem_id 1
		.amdhsa_next_free_vgpr 20
		.amdhsa_next_free_sgpr 38
		.amdhsa_accum_offset 20
		.amdhsa_reserve_vcc 1
		.amdhsa_float_round_mode_32 0
		.amdhsa_float_round_mode_16_64 0
		.amdhsa_float_denorm_mode_32 3
		.amdhsa_float_denorm_mode_16_64 3
		.amdhsa_dx10_clamp 1
		.amdhsa_ieee_mode 1
		.amdhsa_fp16_overflow 0
		.amdhsa_tg_split 0
		.amdhsa_exception_fp_ieee_invalid_op 0
		.amdhsa_exception_fp_denorm_src 0
		.amdhsa_exception_fp_ieee_div_zero 0
		.amdhsa_exception_fp_ieee_overflow 0
		.amdhsa_exception_fp_ieee_underflow 0
		.amdhsa_exception_fp_ieee_inexact 0
		.amdhsa_exception_int_div_zero 0
	.end_amdhsa_kernel
	.section	.text._ZL40rocblas_trsm_block_backward_substitutionI19rocblas_complex_numIfES1_PKPKS1_PKPS1_Lb1ELb0ELb0EEv18rocblas_operation_llT0_T1_lllT2_lllib,"axG",@progbits,_ZL40rocblas_trsm_block_backward_substitutionI19rocblas_complex_numIfES1_PKPKS1_PKPS1_Lb1ELb0ELb0EEv18rocblas_operation_llT0_T1_lllT2_lllib,comdat
.Lfunc_end191:
	.size	_ZL40rocblas_trsm_block_backward_substitutionI19rocblas_complex_numIfES1_PKPKS1_PKPS1_Lb1ELb0ELb0EEv18rocblas_operation_llT0_T1_lllT2_lllib, .Lfunc_end191-_ZL40rocblas_trsm_block_backward_substitutionI19rocblas_complex_numIfES1_PKPKS1_PKPS1_Lb1ELb0ELb0EEv18rocblas_operation_llT0_T1_lllT2_lllib
                                        ; -- End function
	.set _ZL40rocblas_trsm_block_backward_substitutionI19rocblas_complex_numIfES1_PKPKS1_PKPS1_Lb1ELb0ELb0EEv18rocblas_operation_llT0_T1_lllT2_lllib.num_vgpr, 20
	.set _ZL40rocblas_trsm_block_backward_substitutionI19rocblas_complex_numIfES1_PKPKS1_PKPS1_Lb1ELb0ELb0EEv18rocblas_operation_llT0_T1_lllT2_lllib.num_agpr, 0
	.set _ZL40rocblas_trsm_block_backward_substitutionI19rocblas_complex_numIfES1_PKPKS1_PKPS1_Lb1ELb0ELb0EEv18rocblas_operation_llT0_T1_lllT2_lllib.numbered_sgpr, 38
	.set _ZL40rocblas_trsm_block_backward_substitutionI19rocblas_complex_numIfES1_PKPKS1_PKPS1_Lb1ELb0ELb0EEv18rocblas_operation_llT0_T1_lllT2_lllib.num_named_barrier, 0
	.set _ZL40rocblas_trsm_block_backward_substitutionI19rocblas_complex_numIfES1_PKPKS1_PKPS1_Lb1ELb0ELb0EEv18rocblas_operation_llT0_T1_lllT2_lllib.private_seg_size, 0
	.set _ZL40rocblas_trsm_block_backward_substitutionI19rocblas_complex_numIfES1_PKPKS1_PKPS1_Lb1ELb0ELb0EEv18rocblas_operation_llT0_T1_lllT2_lllib.uses_vcc, 1
	.set _ZL40rocblas_trsm_block_backward_substitutionI19rocblas_complex_numIfES1_PKPKS1_PKPS1_Lb1ELb0ELb0EEv18rocblas_operation_llT0_T1_lllT2_lllib.uses_flat_scratch, 0
	.set _ZL40rocblas_trsm_block_backward_substitutionI19rocblas_complex_numIfES1_PKPKS1_PKPS1_Lb1ELb0ELb0EEv18rocblas_operation_llT0_T1_lllT2_lllib.has_dyn_sized_stack, 0
	.set _ZL40rocblas_trsm_block_backward_substitutionI19rocblas_complex_numIfES1_PKPKS1_PKPS1_Lb1ELb0ELb0EEv18rocblas_operation_llT0_T1_lllT2_lllib.has_recursion, 0
	.set _ZL40rocblas_trsm_block_backward_substitutionI19rocblas_complex_numIfES1_PKPKS1_PKPS1_Lb1ELb0ELb0EEv18rocblas_operation_llT0_T1_lllT2_lllib.has_indirect_call, 0
	.section	.AMDGPU.csdata,"",@progbits
; Kernel info:
; codeLenInByte = 2432
; TotalNumSgprs: 44
; NumVgprs: 20
; NumAgprs: 0
; TotalNumVgprs: 20
; ScratchSize: 0
; MemoryBound: 0
; FloatMode: 240
; IeeeMode: 1
; LDSByteSize: 0 bytes/workgroup (compile time only)
; SGPRBlocks: 5
; VGPRBlocks: 2
; NumSGPRsForWavesPerEU: 44
; NumVGPRsForWavesPerEU: 20
; AccumOffset: 20
; Occupancy: 8
; WaveLimiterHint : 1
; COMPUTE_PGM_RSRC2:SCRATCH_EN: 0
; COMPUTE_PGM_RSRC2:USER_SGPR: 2
; COMPUTE_PGM_RSRC2:TRAP_HANDLER: 0
; COMPUTE_PGM_RSRC2:TGID_X_EN: 1
; COMPUTE_PGM_RSRC2:TGID_Y_EN: 1
; COMPUTE_PGM_RSRC2:TGID_Z_EN: 1
; COMPUTE_PGM_RSRC2:TIDIG_COMP_CNT: 1
; COMPUTE_PGM_RSRC3_GFX90A:ACCUM_OFFSET: 4
; COMPUTE_PGM_RSRC3_GFX90A:TG_SPLIT: 0
	.section	.text._ZL39rocblas_trsm_block_forward_substitutionI19rocblas_complex_numIfES1_PKPKS1_PKPS1_Lb1ELb0ELb1EEv18rocblas_operation_llT0_T1_lllT2_lllib,"axG",@progbits,_ZL39rocblas_trsm_block_forward_substitutionI19rocblas_complex_numIfES1_PKPKS1_PKPS1_Lb1ELb0ELb1EEv18rocblas_operation_llT0_T1_lllT2_lllib,comdat
	.globl	_ZL39rocblas_trsm_block_forward_substitutionI19rocblas_complex_numIfES1_PKPKS1_PKPS1_Lb1ELb0ELb1EEv18rocblas_operation_llT0_T1_lllT2_lllib ; -- Begin function _ZL39rocblas_trsm_block_forward_substitutionI19rocblas_complex_numIfES1_PKPKS1_PKPS1_Lb1ELb0ELb1EEv18rocblas_operation_llT0_T1_lllT2_lllib
	.p2align	8
	.type	_ZL39rocblas_trsm_block_forward_substitutionI19rocblas_complex_numIfES1_PKPKS1_PKPS1_Lb1ELb0ELb1EEv18rocblas_operation_llT0_T1_lllT2_lllib,@function
_ZL39rocblas_trsm_block_forward_substitutionI19rocblas_complex_numIfES1_PKPKS1_PKPS1_Lb1ELb0ELb1EEv18rocblas_operation_llT0_T1_lllT2_lllib: ; @_ZL39rocblas_trsm_block_forward_substitutionI19rocblas_complex_numIfES1_PKPKS1_PKPS1_Lb1ELb0ELb1EEv18rocblas_operation_llT0_T1_lllT2_lllib
; %bb.0:
	s_load_dwordx4 s[12:15], s[0:1], 0x20
	s_mov_b32 s5, 0
	s_lshl_b64 s[16:17], s[4:5], 3
	v_and_b32_e32 v2, 0x3ff, v0
	v_bfe_u32 v6, v0, 10, 10
	s_waitcnt lgkmcnt(0)
	s_add_u32 s12, s12, s16
	s_addc_u32 s13, s13, s17
	s_load_dwordx2 s[18:19], s[12:13], 0x0
	s_load_dwordx4 s[8:11], s[0:1], 0x8
	s_load_dwordx4 s[4:7], s[0:1], 0x40
	s_load_dwordx2 s[26:27], s[0:1], 0x30
	s_lshl_b64 s[12:13], s[14:15], 3
	s_waitcnt lgkmcnt(0)
	s_add_u32 s14, s18, s12
	s_addc_u32 s15, s19, s13
	s_add_u32 s4, s4, s16
	s_addc_u32 s5, s5, s17
	s_load_dwordx2 s[18:19], s[4:5], 0x0
	s_load_dwordx2 s[16:17], s[0:1], 0x50
	s_load_dword s12, s[0:1], 0x64
	s_load_dword s2, s[0:1], 0x74
	s_add_u32 s22, s0, 0x68
	s_addc_u32 s23, s1, 0
	s_mov_b64 s[20:21], 1
	s_waitcnt lgkmcnt(0)
	s_lshr_b32 s2, s2, 16
	s_bitcmp0_b32 s12, 0
	s_cbranch_scc1 .LBB192_6
; %bb.1:
	s_lshl_b32 s4, s2, 3
	s_add_i32 s24, s4, 0
	v_cmp_lt_i64_e64 s[4:5], s[8:9], 1
	s_mov_b64 s[12:13], 1
	s_and_b64 vcc, exec, s[4:5]
	s_cbranch_vccnz .LBB192_7
; %bb.2:
	v_mad_u64_u32 v[0:1], s[20:21], s26, v2, 0
	v_mov_b32_e32 v4, v1
	v_mad_u64_u32 v[4:5], s[20:21], s27, v2, v[4:5]
	v_mov_b32_e32 v3, 0
	v_mov_b32_e32 v1, v4
	v_lshl_add_u32 v7, v2, 3, s24
	v_cmp_gt_u64_e64 s[4:5], s[8:9], v[2:3]
	v_lshl_add_u64 v[0:1], v[0:1], 3, s[14:15]
	s_mov_b32 s20, 0
	s_branch .LBB192_4
.LBB192_3:                              ;   in Loop: Header=BB192_4 Depth=1
	s_or_b64 exec, exec, s[14:15]
	s_add_i32 s20, s20, s2
	s_ashr_i32 s14, s20, 31
	v_mov_b32_e32 v4, s20
	v_mov_b32_e32 v5, s14
	v_cmp_le_i64_e32 vcc, s[8:9], v[4:5]
	s_cbranch_vccnz .LBB192_7
.LBB192_4:                              ; =>This Inner Loop Header: Depth=1
	v_add_u32_e32 v4, s20, v6
	v_cmp_gt_i32_e32 vcc, v2, v4
	s_and_b64 s[26:27], s[4:5], vcc
	s_and_saveexec_b64 s[14:15], s[26:27]
	s_cbranch_execz .LBB192_3
; %bb.5:                                ;   in Loop: Header=BB192_4 Depth=1
	v_ashrrev_i32_e32 v5, 31, v4
	v_lshl_add_u64 v[8:9], v[4:5], 3, v[0:1]
	flat_load_dwordx2 v[8:9], v[8:9]
	s_load_dword s21, s[22:23], 0xc
	s_waitcnt lgkmcnt(0)
	s_and_b32 s21, s21, 0xffff
	v_mul_lo_u32 v3, v4, s21
	v_lshl_add_u32 v3, v3, 3, v7
	s_waitcnt vmcnt(0)
	ds_write_b64 v3, v[8:9]
	s_branch .LBB192_3
.LBB192_6:
	s_mov_b64 s[12:13], s[26:27]
	s_branch .LBB192_8
.LBB192_7:
	s_mov_b64 s[4:5], src_shared_base
	s_load_dword s4, s[22:23], 0xc
	s_mov_b32 s25, s5
	s_mov_b64 s[14:15], s[24:25]
	s_waitcnt lgkmcnt(0)
	s_and_b32 s20, s4, 0xffff
.LBB192_8:
	s_load_dwordx2 s[4:5], s[0:1], 0x18
	s_mul_i32 s3, s3, s2
	v_add_u32_e32 v0, s3, v6
	v_mov_b32_e32 v1, 0
	v_cmp_gt_i64_e32 vcc, s[10:11], v[0:1]
	s_and_saveexec_b64 s[2:3], vcc
	s_cbranch_execz .LBB192_24
; %bb.9:
	v_mov_b32_e32 v3, v1
	v_cmp_gt_i64_e32 vcc, s[8:9], v[2:3]
	s_and_b64 exec, exec, vcc
	s_cbranch_execz .LBB192_24
; %bb.10:
	s_lshl_b64 s[2:3], s[6:7], 3
	v_mad_u64_u32 v[4:5], s[6:7], s16, v0, 0
	v_mov_b32_e32 v8, v5
	s_add_u32 s2, s18, s2
	v_mad_u64_u32 v[0:1], s[6:7], s17, v0, v[8:9]
	s_addc_u32 s3, s19, s3
	v_mov_b32_e32 v5, v0
	v_lshl_add_u64 v[0:1], v[4:5], 3, s[2:3]
	v_lshlrev_b32_e32 v4, 3, v2
	v_mov_b32_e32 v5, 0
	v_lshl_add_u64 v[0:1], v[0:1], 0, v[4:5]
	flat_load_dwordx2 v[4:5], v[0:1]
	v_cmp_gt_u64_e64 s[2:3], s[8:9], 1
	s_and_b64 vcc, exec, s[2:3]
	s_waitcnt vmcnt(0) lgkmcnt(0)
	v_pk_mul_f32 v[10:11], s[4:5], v[4:5] op_sel:[1,1] op_sel_hi:[0,1]
	v_pk_mul_f32 v[8:9], s[4:5], v[4:5]
	v_pk_fma_f32 v[4:5], s[4:5], v[4:5], v[10:11] op_sel_hi:[1,0,1]
	s_nop 0
	v_sub_f32_e32 v4, v8, v10
	s_cbranch_vccnz .LBB192_12
; %bb.11:
	s_cbranch_execz .LBB192_13
	s_branch .LBB192_23
.LBB192_12:
.LBB192_13:
	s_load_dword s0, s[0:1], 0x0
	v_lshl_add_u32 v11, v6, 3, 0
	v_mad_u64_u32 v[6:7], s[2:3], s12, v2, 0
	v_mov_b32_e32 v8, v7
	s_waitcnt lgkmcnt(0)
	s_cmpk_lg_i32 s0, 0x71
	v_mad_u64_u32 v[8:9], s[4:5], s13, v2, v[8:9]
	s_cselect_b64 s[2:3], -1, 0
	v_mov_b32_e32 v7, v8
	s_add_u32 s4, s8, -1
	s_mov_b32 s1, 0
	v_lshl_add_u64 v[6:7], v[6:7], 3, s[14:15]
	s_addc_u32 s5, s9, -1
	s_lshl_b32 s0, s20, 3
	s_mov_b64 s[6:7], 0
	s_branch .LBB192_16
.LBB192_14:                             ;   in Loop: Header=BB192_16 Depth=1
	ds_read_b64 v[12:13], v11
	s_waitcnt lgkmcnt(0)
	v_pk_mul_f32 v[14:15], v[10:11], v[12:13] op_sel:[0,1] op_sel_hi:[0,0]
	v_pk_fma_f32 v[16:17], v[12:13], v[8:9], v[14:15] neg_lo:[0,0,1] neg_hi:[0,0,1]
	v_pk_fma_f32 v[8:9], v[12:13], v[8:9], v[14:15] op_sel_hi:[1,0,1]
	s_nop 0
	v_mov_b32_e32 v17, v9
	v_pk_add_f32 v[4:5], v[4:5], v[16:17] neg_lo:[0,1] neg_hi:[0,1]
.LBB192_15:                             ;   in Loop: Header=BB192_16 Depth=1
	s_or_b64 exec, exec, s[8:9]
	s_add_u32 s6, s6, 1
	s_addc_u32 s7, s7, 0
	s_cmp_eq_u64 s[4:5], s[6:7]
	v_lshl_add_u64 v[6:7], v[6:7], 0, s[0:1]
	s_cbranch_scc1 .LBB192_23
.LBB192_16:                             ; =>This Inner Loop Header: Depth=1
	v_cmp_eq_u64_e32 vcc, s[6:7], v[2:3]
	s_barrier
	s_and_saveexec_b64 s[8:9], vcc
; %bb.17:                               ;   in Loop: Header=BB192_16 Depth=1
	ds_write_b64 v11, v[4:5]
; %bb.18:                               ;   in Loop: Header=BB192_16 Depth=1
	s_or_b64 exec, exec, s[8:9]
	v_cmp_lt_u64_e32 vcc, s[6:7], v[2:3]
	s_waitcnt lgkmcnt(0)
	s_barrier
	s_and_saveexec_b64 s[8:9], vcc
	s_cbranch_execz .LBB192_15
; %bb.19:                               ;   in Loop: Header=BB192_16 Depth=1
	s_mov_b64 s[10:11], -1
	s_and_b64 vcc, exec, s[2:3]
                                        ; implicit-def: $vgpr8
                                        ; implicit-def: $vgpr10
	s_cbranch_vccz .LBB192_21
; %bb.20:                               ;   in Loop: Header=BB192_16 Depth=1
	flat_load_dwordx2 v[8:9], v[6:7]
	s_mov_b64 s[10:11], 0
	s_waitcnt vmcnt(0) lgkmcnt(0)
	v_mov_b32_e32 v10, v9
.LBB192_21:                             ;   in Loop: Header=BB192_16 Depth=1
	s_andn2_b64 vcc, exec, s[10:11]
	s_cbranch_vccnz .LBB192_14
; %bb.22:                               ;   in Loop: Header=BB192_16 Depth=1
	flat_load_dwordx2 v[8:9], v[6:7]
	s_waitcnt vmcnt(0) lgkmcnt(0)
	v_xor_b32_e32 v10, 0x80000000, v9
	s_branch .LBB192_14
.LBB192_23:
	flat_store_dwordx2 v[0:1], v[4:5]
.LBB192_24:
	s_endpgm
	.section	.rodata,"a",@progbits
	.p2align	6, 0x0
	.amdhsa_kernel _ZL39rocblas_trsm_block_forward_substitutionI19rocblas_complex_numIfES1_PKPKS1_PKPS1_Lb1ELb0ELb1EEv18rocblas_operation_llT0_T1_lllT2_lllib
		.amdhsa_group_segment_fixed_size 0
		.amdhsa_private_segment_fixed_size 0
		.amdhsa_kernarg_size 360
		.amdhsa_user_sgpr_count 2
		.amdhsa_user_sgpr_dispatch_ptr 0
		.amdhsa_user_sgpr_queue_ptr 0
		.amdhsa_user_sgpr_kernarg_segment_ptr 1
		.amdhsa_user_sgpr_dispatch_id 0
		.amdhsa_user_sgpr_kernarg_preload_length 0
		.amdhsa_user_sgpr_kernarg_preload_offset 0
		.amdhsa_user_sgpr_private_segment_size 0
		.amdhsa_uses_dynamic_stack 0
		.amdhsa_enable_private_segment 0
		.amdhsa_system_sgpr_workgroup_id_x 1
		.amdhsa_system_sgpr_workgroup_id_y 1
		.amdhsa_system_sgpr_workgroup_id_z 1
		.amdhsa_system_sgpr_workgroup_info 0
		.amdhsa_system_vgpr_workitem_id 1
		.amdhsa_next_free_vgpr 18
		.amdhsa_next_free_sgpr 28
		.amdhsa_accum_offset 20
		.amdhsa_reserve_vcc 1
		.amdhsa_float_round_mode_32 0
		.amdhsa_float_round_mode_16_64 0
		.amdhsa_float_denorm_mode_32 3
		.amdhsa_float_denorm_mode_16_64 3
		.amdhsa_dx10_clamp 1
		.amdhsa_ieee_mode 1
		.amdhsa_fp16_overflow 0
		.amdhsa_tg_split 0
		.amdhsa_exception_fp_ieee_invalid_op 0
		.amdhsa_exception_fp_denorm_src 0
		.amdhsa_exception_fp_ieee_div_zero 0
		.amdhsa_exception_fp_ieee_overflow 0
		.amdhsa_exception_fp_ieee_underflow 0
		.amdhsa_exception_fp_ieee_inexact 0
		.amdhsa_exception_int_div_zero 0
	.end_amdhsa_kernel
	.section	.text._ZL39rocblas_trsm_block_forward_substitutionI19rocblas_complex_numIfES1_PKPKS1_PKPS1_Lb1ELb0ELb1EEv18rocblas_operation_llT0_T1_lllT2_lllib,"axG",@progbits,_ZL39rocblas_trsm_block_forward_substitutionI19rocblas_complex_numIfES1_PKPKS1_PKPS1_Lb1ELb0ELb1EEv18rocblas_operation_llT0_T1_lllT2_lllib,comdat
.Lfunc_end192:
	.size	_ZL39rocblas_trsm_block_forward_substitutionI19rocblas_complex_numIfES1_PKPKS1_PKPS1_Lb1ELb0ELb1EEv18rocblas_operation_llT0_T1_lllT2_lllib, .Lfunc_end192-_ZL39rocblas_trsm_block_forward_substitutionI19rocblas_complex_numIfES1_PKPKS1_PKPS1_Lb1ELb0ELb1EEv18rocblas_operation_llT0_T1_lllT2_lllib
                                        ; -- End function
	.set _ZL39rocblas_trsm_block_forward_substitutionI19rocblas_complex_numIfES1_PKPKS1_PKPS1_Lb1ELb0ELb1EEv18rocblas_operation_llT0_T1_lllT2_lllib.num_vgpr, 18
	.set _ZL39rocblas_trsm_block_forward_substitutionI19rocblas_complex_numIfES1_PKPKS1_PKPS1_Lb1ELb0ELb1EEv18rocblas_operation_llT0_T1_lllT2_lllib.num_agpr, 0
	.set _ZL39rocblas_trsm_block_forward_substitutionI19rocblas_complex_numIfES1_PKPKS1_PKPS1_Lb1ELb0ELb1EEv18rocblas_operation_llT0_T1_lllT2_lllib.numbered_sgpr, 28
	.set _ZL39rocblas_trsm_block_forward_substitutionI19rocblas_complex_numIfES1_PKPKS1_PKPS1_Lb1ELb0ELb1EEv18rocblas_operation_llT0_T1_lllT2_lllib.num_named_barrier, 0
	.set _ZL39rocblas_trsm_block_forward_substitutionI19rocblas_complex_numIfES1_PKPKS1_PKPS1_Lb1ELb0ELb1EEv18rocblas_operation_llT0_T1_lllT2_lllib.private_seg_size, 0
	.set _ZL39rocblas_trsm_block_forward_substitutionI19rocblas_complex_numIfES1_PKPKS1_PKPS1_Lb1ELb0ELb1EEv18rocblas_operation_llT0_T1_lllT2_lllib.uses_vcc, 1
	.set _ZL39rocblas_trsm_block_forward_substitutionI19rocblas_complex_numIfES1_PKPKS1_PKPS1_Lb1ELb0ELb1EEv18rocblas_operation_llT0_T1_lllT2_lllib.uses_flat_scratch, 0
	.set _ZL39rocblas_trsm_block_forward_substitutionI19rocblas_complex_numIfES1_PKPKS1_PKPS1_Lb1ELb0ELb1EEv18rocblas_operation_llT0_T1_lllT2_lllib.has_dyn_sized_stack, 0
	.set _ZL39rocblas_trsm_block_forward_substitutionI19rocblas_complex_numIfES1_PKPKS1_PKPS1_Lb1ELb0ELb1EEv18rocblas_operation_llT0_T1_lllT2_lllib.has_recursion, 0
	.set _ZL39rocblas_trsm_block_forward_substitutionI19rocblas_complex_numIfES1_PKPKS1_PKPS1_Lb1ELb0ELb1EEv18rocblas_operation_llT0_T1_lllT2_lllib.has_indirect_call, 0
	.section	.AMDGPU.csdata,"",@progbits
; Kernel info:
; codeLenInByte = 872
; TotalNumSgprs: 34
; NumVgprs: 18
; NumAgprs: 0
; TotalNumVgprs: 18
; ScratchSize: 0
; MemoryBound: 0
; FloatMode: 240
; IeeeMode: 1
; LDSByteSize: 0 bytes/workgroup (compile time only)
; SGPRBlocks: 4
; VGPRBlocks: 2
; NumSGPRsForWavesPerEU: 34
; NumVGPRsForWavesPerEU: 18
; AccumOffset: 20
; Occupancy: 8
; WaveLimiterHint : 1
; COMPUTE_PGM_RSRC2:SCRATCH_EN: 0
; COMPUTE_PGM_RSRC2:USER_SGPR: 2
; COMPUTE_PGM_RSRC2:TRAP_HANDLER: 0
; COMPUTE_PGM_RSRC2:TGID_X_EN: 1
; COMPUTE_PGM_RSRC2:TGID_Y_EN: 1
; COMPUTE_PGM_RSRC2:TGID_Z_EN: 1
; COMPUTE_PGM_RSRC2:TIDIG_COMP_CNT: 1
; COMPUTE_PGM_RSRC3_GFX90A:ACCUM_OFFSET: 4
; COMPUTE_PGM_RSRC3_GFX90A:TG_SPLIT: 0
	.section	.text._ZL40rocblas_trsm_block_backward_substitutionI19rocblas_complex_numIfES1_PKPKS1_PKPS1_Lb1ELb0ELb1EEv18rocblas_operation_llT0_T1_lllT2_lllib,"axG",@progbits,_ZL40rocblas_trsm_block_backward_substitutionI19rocblas_complex_numIfES1_PKPKS1_PKPS1_Lb1ELb0ELb1EEv18rocblas_operation_llT0_T1_lllT2_lllib,comdat
	.globl	_ZL40rocblas_trsm_block_backward_substitutionI19rocblas_complex_numIfES1_PKPKS1_PKPS1_Lb1ELb0ELb1EEv18rocblas_operation_llT0_T1_lllT2_lllib ; -- Begin function _ZL40rocblas_trsm_block_backward_substitutionI19rocblas_complex_numIfES1_PKPKS1_PKPS1_Lb1ELb0ELb1EEv18rocblas_operation_llT0_T1_lllT2_lllib
	.p2align	8
	.type	_ZL40rocblas_trsm_block_backward_substitutionI19rocblas_complex_numIfES1_PKPKS1_PKPS1_Lb1ELb0ELb1EEv18rocblas_operation_llT0_T1_lllT2_lllib,@function
_ZL40rocblas_trsm_block_backward_substitutionI19rocblas_complex_numIfES1_PKPKS1_PKPS1_Lb1ELb0ELb1EEv18rocblas_operation_llT0_T1_lllT2_lllib: ; @_ZL40rocblas_trsm_block_backward_substitutionI19rocblas_complex_numIfES1_PKPKS1_PKPS1_Lb1ELb0ELb1EEv18rocblas_operation_llT0_T1_lllT2_lllib
; %bb.0:
	s_load_dwordx4 s[16:19], s[0:1], 0x20
	s_mov_b32 s5, 0
	s_lshl_b64 s[4:5], s[4:5], 3
	v_and_b32_e32 v2, 0x3ff, v0
	v_bfe_u32 v6, v0, 10, 10
	s_waitcnt lgkmcnt(0)
	s_add_u32 s6, s16, s4
	s_addc_u32 s7, s17, s5
	s_load_dwordx2 s[20:21], s[6:7], 0x0
	s_load_dwordx4 s[8:11], s[0:1], 0x8
	s_load_dwordx4 s[12:15], s[0:1], 0x40
	s_load_dwordx2 s[16:17], s[0:1], 0x30
	s_lshl_b64 s[6:7], s[18:19], 3
	s_waitcnt lgkmcnt(0)
	s_add_u32 s6, s20, s6
	s_addc_u32 s7, s21, s7
	s_add_u32 s4, s12, s4
	s_addc_u32 s5, s13, s5
	s_load_dwordx2 s[12:13], s[0:1], 0x50
	s_load_dword s22, s[0:1], 0x64
	s_load_dword s2, s[0:1], 0x74
	s_load_dwordx2 s[18:19], s[4:5], 0x0
	s_add_u32 s20, s0, 0x68
	s_addc_u32 s21, s1, 0
	s_waitcnt lgkmcnt(0)
	s_lshr_b32 s2, s2, 16
	s_bitcmp0_b32 s22, 0
	s_cbranch_scc1 .LBB193_7
; %bb.1:
	s_lshl_b32 s4, s2, 3
	s_add_i32 s22, s4, 0
	v_cmp_lt_i64_e64 s[4:5], s[8:9], 1
	s_and_b64 vcc, exec, s[4:5]
	s_cbranch_vccnz .LBB193_6
; %bb.2:
	v_mov_b32_e32 v3, 0
	v_lshlrev_b32_e32 v0, 3, v2
	v_mov_b32_e32 v1, v3
	v_add_u32_e32 v7, s22, v0
	v_cmp_gt_u64_e64 s[4:5], s[8:9], v[2:3]
	v_lshl_add_u64 v[0:1], s[6:7], 0, v[0:1]
	s_mov_b32 s23, 0
	s_branch .LBB193_4
.LBB193_3:                              ;   in Loop: Header=BB193_4 Depth=1
	s_or_b64 exec, exec, s[6:7]
	s_add_i32 s23, s23, s2
	s_ashr_i32 s6, s23, 31
	v_mov_b32_e32 v4, s23
	v_mov_b32_e32 v5, s6
	v_cmp_le_i64_e32 vcc, s[8:9], v[4:5]
	s_cbranch_vccnz .LBB193_6
.LBB193_4:                              ; =>This Inner Loop Header: Depth=1
	v_add_u32_e32 v4, s23, v6
	v_ashrrev_i32_e32 v5, 31, v4
	v_cmp_gt_i64_e32 vcc, s[8:9], v[4:5]
	v_cmp_lt_i32_e64 s[6:7], v2, v4
	s_and_b64 s[6:7], s[6:7], vcc
	s_and_b64 s[24:25], s[4:5], s[6:7]
	s_and_saveexec_b64 s[6:7], s[24:25]
	s_cbranch_execz .LBB193_3
; %bb.5:                                ;   in Loop: Header=BB193_4 Depth=1
	v_mul_lo_u32 v3, s17, v4
	v_mul_lo_u32 v5, s16, v5
	v_mad_u64_u32 v[8:9], s[24:25], s16, v4, 0
	v_add3_u32 v9, v9, v5, v3
	v_lshl_add_u64 v[8:9], v[8:9], 3, v[0:1]
	flat_load_dwordx2 v[8:9], v[8:9]
	s_load_dword s24, s[20:21], 0xc
	s_waitcnt lgkmcnt(0)
	s_and_b32 s24, s24, 0xffff
	v_mul_lo_u32 v3, v4, s24
	v_lshl_add_u32 v3, v3, 3, v7
	s_waitcnt vmcnt(0)
	ds_write_b64 v3, v[8:9]
	s_branch .LBB193_3
.LBB193_6:
	s_mov_b64 s[4:5], src_shared_base
	s_load_dword s4, s[20:21], 0xc
	s_mov_b32 s23, s5
	s_mov_b32 s17, 0
	s_mov_b64 s[6:7], s[22:23]
	s_waitcnt lgkmcnt(0)
	s_and_b32 s16, s4, 0xffff
.LBB193_7:
	s_load_dwordx2 s[4:5], s[0:1], 0x18
	s_mul_i32 s3, s3, s2
	v_add_u32_e32 v0, s3, v6
	v_mov_b32_e32 v1, 0
	v_cmp_gt_i64_e32 vcc, s[10:11], v[0:1]
	s_and_saveexec_b64 s[2:3], vcc
	s_cbranch_execz .LBB193_23
; %bb.8:
	v_mov_b32_e32 v3, v1
	v_cmp_gt_i64_e32 vcc, s[8:9], v[2:3]
	s_and_b64 exec, exec, vcc
	s_cbranch_execz .LBB193_23
; %bb.9:
	v_mad_u64_u32 v[4:5], s[10:11], s12, v2, 0
	s_lshl_b64 s[2:3], s[14:15], 3
	v_mov_b32_e32 v8, v5
	s_add_u32 s2, s18, s2
	v_mad_u64_u32 v[8:9], s[10:11], s13, v2, v[8:9]
	s_addc_u32 s3, s19, s3
	v_mov_b32_e32 v5, v8
	v_lshl_add_u64 v[4:5], v[4:5], 3, s[2:3]
	v_lshl_add_u64 v[0:1], v[0:1], 3, v[4:5]
	flat_load_dwordx2 v[4:5], v[0:1]
	v_cmp_gt_u64_e64 s[2:3], s[8:9], 1
	s_and_b64 vcc, exec, s[2:3]
	s_waitcnt vmcnt(0) lgkmcnt(0)
	v_pk_mul_f32 v[10:11], s[4:5], v[4:5] op_sel:[1,1] op_sel_hi:[0,1]
	v_pk_mul_f32 v[8:9], s[4:5], v[4:5]
	v_pk_fma_f32 v[4:5], s[4:5], v[4:5], v[10:11] op_sel_hi:[1,0,1]
	s_nop 0
	v_sub_f32_e32 v4, v8, v10
	s_cbranch_vccnz .LBB193_11
; %bb.10:
	s_cbranch_execz .LBB193_12
	s_branch .LBB193_22
.LBB193_11:
.LBB193_12:
	s_load_dword s0, s[0:1], 0x0
	v_lshl_add_u32 v11, v6, 3, 0
	v_lshlrev_b32_e32 v6, 3, v2
	v_mov_b32_e32 v7, 0
	s_waitcnt lgkmcnt(0)
	s_cmpk_lg_i32 s0, 0x71
	s_cselect_b64 s[0:1], -1, 0
	s_add_u32 s2, s8, -1
	s_addc_u32 s3, s9, -1
	s_mul_hi_u32 s4, s16, s2
	s_mul_i32 s8, s16, s3
	s_mul_i32 s5, s17, s2
	s_add_i32 s4, s4, s8
	s_add_i32 s5, s4, s5
	s_mul_i32 s4, s16, s2
	s_lshl_b64 s[4:5], s[4:5], 3
	s_add_u32 s4, s6, s4
	s_addc_u32 s5, s7, s5
	v_lshl_add_u64 v[6:7], s[4:5], 0, v[6:7]
	s_lshl_b64 s[4:5], s[16:17], 3
	s_sub_u32 s4, 0, s4
	s_subb_u32 s5, 0, s5
	s_branch .LBB193_15
.LBB193_13:                             ;   in Loop: Header=BB193_15 Depth=1
	ds_read_b64 v[12:13], v11
	s_waitcnt lgkmcnt(0)
	v_pk_mul_f32 v[14:15], v[10:11], v[12:13] op_sel:[0,1] op_sel_hi:[0,0]
	v_pk_fma_f32 v[16:17], v[12:13], v[8:9], v[14:15] neg_lo:[0,0,1] neg_hi:[0,0,1]
	v_pk_fma_f32 v[8:9], v[12:13], v[8:9], v[14:15] op_sel_hi:[1,0,1]
	s_nop 0
	v_mov_b32_e32 v17, v9
	v_pk_add_f32 v[4:5], v[4:5], v[16:17] neg_lo:[0,1] neg_hi:[0,1]
.LBB193_14:                             ;   in Loop: Header=BB193_15 Depth=1
	s_or_b64 exec, exec, s[6:7]
	s_add_u32 s6, s2, -1
	s_addc_u32 s7, s3, -1
	s_add_u32 s2, s2, 1
	s_addc_u32 s3, s3, 0
	v_cmp_lt_u64_e64 s[2:3], s[2:3], 3
	v_lshl_add_u64 v[6:7], v[6:7], 0, s[4:5]
	s_and_b64 vcc, exec, s[2:3]
	s_mov_b64 s[2:3], s[6:7]
	s_cbranch_vccnz .LBB193_22
.LBB193_15:                             ; =>This Inner Loop Header: Depth=1
	v_cmp_eq_u64_e32 vcc, s[2:3], v[2:3]
	s_barrier
	s_and_saveexec_b64 s[6:7], vcc
; %bb.16:                               ;   in Loop: Header=BB193_15 Depth=1
	ds_write_b64 v11, v[4:5]
; %bb.17:                               ;   in Loop: Header=BB193_15 Depth=1
	s_or_b64 exec, exec, s[6:7]
	v_cmp_gt_i64_e32 vcc, s[2:3], v[2:3]
	s_waitcnt lgkmcnt(0)
	s_barrier
	s_and_saveexec_b64 s[6:7], vcc
	s_cbranch_execz .LBB193_14
; %bb.18:                               ;   in Loop: Header=BB193_15 Depth=1
	s_mov_b64 s[8:9], -1
	s_and_b64 vcc, exec, s[0:1]
                                        ; implicit-def: $vgpr8
                                        ; implicit-def: $vgpr10
	s_cbranch_vccz .LBB193_20
; %bb.19:                               ;   in Loop: Header=BB193_15 Depth=1
	flat_load_dwordx2 v[8:9], v[6:7]
	s_mov_b64 s[8:9], 0
	s_waitcnt vmcnt(0) lgkmcnt(0)
	v_mov_b32_e32 v10, v9
.LBB193_20:                             ;   in Loop: Header=BB193_15 Depth=1
	s_andn2_b64 vcc, exec, s[8:9]
	s_cbranch_vccnz .LBB193_13
; %bb.21:                               ;   in Loop: Header=BB193_15 Depth=1
	flat_load_dwordx2 v[8:9], v[6:7]
	s_waitcnt vmcnt(0) lgkmcnt(0)
	v_xor_b32_e32 v10, 0x80000000, v9
	s_branch .LBB193_13
.LBB193_22:
	flat_store_dwordx2 v[0:1], v[4:5]
.LBB193_23:
	s_endpgm
	.section	.rodata,"a",@progbits
	.p2align	6, 0x0
	.amdhsa_kernel _ZL40rocblas_trsm_block_backward_substitutionI19rocblas_complex_numIfES1_PKPKS1_PKPS1_Lb1ELb0ELb1EEv18rocblas_operation_llT0_T1_lllT2_lllib
		.amdhsa_group_segment_fixed_size 0
		.amdhsa_private_segment_fixed_size 0
		.amdhsa_kernarg_size 360
		.amdhsa_user_sgpr_count 2
		.amdhsa_user_sgpr_dispatch_ptr 0
		.amdhsa_user_sgpr_queue_ptr 0
		.amdhsa_user_sgpr_kernarg_segment_ptr 1
		.amdhsa_user_sgpr_dispatch_id 0
		.amdhsa_user_sgpr_kernarg_preload_length 0
		.amdhsa_user_sgpr_kernarg_preload_offset 0
		.amdhsa_user_sgpr_private_segment_size 0
		.amdhsa_uses_dynamic_stack 0
		.amdhsa_enable_private_segment 0
		.amdhsa_system_sgpr_workgroup_id_x 1
		.amdhsa_system_sgpr_workgroup_id_y 1
		.amdhsa_system_sgpr_workgroup_id_z 1
		.amdhsa_system_sgpr_workgroup_info 0
		.amdhsa_system_vgpr_workitem_id 1
		.amdhsa_next_free_vgpr 18
		.amdhsa_next_free_sgpr 26
		.amdhsa_accum_offset 20
		.amdhsa_reserve_vcc 1
		.amdhsa_float_round_mode_32 0
		.amdhsa_float_round_mode_16_64 0
		.amdhsa_float_denorm_mode_32 3
		.amdhsa_float_denorm_mode_16_64 3
		.amdhsa_dx10_clamp 1
		.amdhsa_ieee_mode 1
		.amdhsa_fp16_overflow 0
		.amdhsa_tg_split 0
		.amdhsa_exception_fp_ieee_invalid_op 0
		.amdhsa_exception_fp_denorm_src 0
		.amdhsa_exception_fp_ieee_div_zero 0
		.amdhsa_exception_fp_ieee_overflow 0
		.amdhsa_exception_fp_ieee_underflow 0
		.amdhsa_exception_fp_ieee_inexact 0
		.amdhsa_exception_int_div_zero 0
	.end_amdhsa_kernel
	.section	.text._ZL40rocblas_trsm_block_backward_substitutionI19rocblas_complex_numIfES1_PKPKS1_PKPS1_Lb1ELb0ELb1EEv18rocblas_operation_llT0_T1_lllT2_lllib,"axG",@progbits,_ZL40rocblas_trsm_block_backward_substitutionI19rocblas_complex_numIfES1_PKPKS1_PKPS1_Lb1ELb0ELb1EEv18rocblas_operation_llT0_T1_lllT2_lllib,comdat
.Lfunc_end193:
	.size	_ZL40rocblas_trsm_block_backward_substitutionI19rocblas_complex_numIfES1_PKPKS1_PKPS1_Lb1ELb0ELb1EEv18rocblas_operation_llT0_T1_lllT2_lllib, .Lfunc_end193-_ZL40rocblas_trsm_block_backward_substitutionI19rocblas_complex_numIfES1_PKPKS1_PKPS1_Lb1ELb0ELb1EEv18rocblas_operation_llT0_T1_lllT2_lllib
                                        ; -- End function
	.set _ZL40rocblas_trsm_block_backward_substitutionI19rocblas_complex_numIfES1_PKPKS1_PKPS1_Lb1ELb0ELb1EEv18rocblas_operation_llT0_T1_lllT2_lllib.num_vgpr, 18
	.set _ZL40rocblas_trsm_block_backward_substitutionI19rocblas_complex_numIfES1_PKPKS1_PKPS1_Lb1ELb0ELb1EEv18rocblas_operation_llT0_T1_lllT2_lllib.num_agpr, 0
	.set _ZL40rocblas_trsm_block_backward_substitutionI19rocblas_complex_numIfES1_PKPKS1_PKPS1_Lb1ELb0ELb1EEv18rocblas_operation_llT0_T1_lllT2_lllib.numbered_sgpr, 26
	.set _ZL40rocblas_trsm_block_backward_substitutionI19rocblas_complex_numIfES1_PKPKS1_PKPS1_Lb1ELb0ELb1EEv18rocblas_operation_llT0_T1_lllT2_lllib.num_named_barrier, 0
	.set _ZL40rocblas_trsm_block_backward_substitutionI19rocblas_complex_numIfES1_PKPKS1_PKPS1_Lb1ELb0ELb1EEv18rocblas_operation_llT0_T1_lllT2_lllib.private_seg_size, 0
	.set _ZL40rocblas_trsm_block_backward_substitutionI19rocblas_complex_numIfES1_PKPKS1_PKPS1_Lb1ELb0ELb1EEv18rocblas_operation_llT0_T1_lllT2_lllib.uses_vcc, 1
	.set _ZL40rocblas_trsm_block_backward_substitutionI19rocblas_complex_numIfES1_PKPKS1_PKPS1_Lb1ELb0ELb1EEv18rocblas_operation_llT0_T1_lllT2_lllib.uses_flat_scratch, 0
	.set _ZL40rocblas_trsm_block_backward_substitutionI19rocblas_complex_numIfES1_PKPKS1_PKPS1_Lb1ELb0ELb1EEv18rocblas_operation_llT0_T1_lllT2_lllib.has_dyn_sized_stack, 0
	.set _ZL40rocblas_trsm_block_backward_substitutionI19rocblas_complex_numIfES1_PKPKS1_PKPS1_Lb1ELb0ELb1EEv18rocblas_operation_llT0_T1_lllT2_lllib.has_recursion, 0
	.set _ZL40rocblas_trsm_block_backward_substitutionI19rocblas_complex_numIfES1_PKPKS1_PKPS1_Lb1ELb0ELb1EEv18rocblas_operation_llT0_T1_lllT2_lllib.has_indirect_call, 0
	.section	.AMDGPU.csdata,"",@progbits
; Kernel info:
; codeLenInByte = 916
; TotalNumSgprs: 32
; NumVgprs: 18
; NumAgprs: 0
; TotalNumVgprs: 18
; ScratchSize: 0
; MemoryBound: 0
; FloatMode: 240
; IeeeMode: 1
; LDSByteSize: 0 bytes/workgroup (compile time only)
; SGPRBlocks: 3
; VGPRBlocks: 2
; NumSGPRsForWavesPerEU: 32
; NumVGPRsForWavesPerEU: 18
; AccumOffset: 20
; Occupancy: 8
; WaveLimiterHint : 1
; COMPUTE_PGM_RSRC2:SCRATCH_EN: 0
; COMPUTE_PGM_RSRC2:USER_SGPR: 2
; COMPUTE_PGM_RSRC2:TRAP_HANDLER: 0
; COMPUTE_PGM_RSRC2:TGID_X_EN: 1
; COMPUTE_PGM_RSRC2:TGID_Y_EN: 1
; COMPUTE_PGM_RSRC2:TGID_Z_EN: 1
; COMPUTE_PGM_RSRC2:TIDIG_COMP_CNT: 1
; COMPUTE_PGM_RSRC3_GFX90A:ACCUM_OFFSET: 4
; COMPUTE_PGM_RSRC3_GFX90A:TG_SPLIT: 0
	.section	.text._ZL26setup_batched_array_kernelILi128E19rocblas_complex_numIfEEvPT0_lPS3_,"axG",@progbits,_ZL26setup_batched_array_kernelILi128E19rocblas_complex_numIfEEvPT0_lPS3_,comdat
	.globl	_ZL26setup_batched_array_kernelILi128E19rocblas_complex_numIfEEvPT0_lPS3_ ; -- Begin function _ZL26setup_batched_array_kernelILi128E19rocblas_complex_numIfEEvPT0_lPS3_
	.p2align	8
	.type	_ZL26setup_batched_array_kernelILi128E19rocblas_complex_numIfEEvPT0_lPS3_,@function
_ZL26setup_batched_array_kernelILi128E19rocblas_complex_numIfEEvPT0_lPS3_: ; @_ZL26setup_batched_array_kernelILi128E19rocblas_complex_numIfEEvPT0_lPS3_
; %bb.0:
	s_load_dwordx4 s[4:7], s[0:1], 0x0
	s_mov_b32 s3, 0
	s_load_dwordx2 s[0:1], s[0:1], 0x10
	v_mov_b32_e32 v0, 0
	s_waitcnt lgkmcnt(0)
	s_mul_i32 s7, s7, s2
	s_mul_hi_u32 s8, s6, s2
	s_add_i32 s7, s8, s7
	s_mul_i32 s6, s6, s2
	s_lshl_b64 s[6:7], s[6:7], 3
	s_add_u32 s4, s4, s6
	s_addc_u32 s5, s5, s7
	s_lshl_b64 s[2:3], s[2:3], 3
	s_add_u32 s0, s0, s2
	s_addc_u32 s1, s1, s3
	v_mov_b64_e32 v[2:3], s[4:5]
	global_store_dwordx2 v0, v[2:3], s[0:1]
	s_endpgm
	.section	.rodata,"a",@progbits
	.p2align	6, 0x0
	.amdhsa_kernel _ZL26setup_batched_array_kernelILi128E19rocblas_complex_numIfEEvPT0_lPS3_
		.amdhsa_group_segment_fixed_size 0
		.amdhsa_private_segment_fixed_size 0
		.amdhsa_kernarg_size 24
		.amdhsa_user_sgpr_count 2
		.amdhsa_user_sgpr_dispatch_ptr 0
		.amdhsa_user_sgpr_queue_ptr 0
		.amdhsa_user_sgpr_kernarg_segment_ptr 1
		.amdhsa_user_sgpr_dispatch_id 0
		.amdhsa_user_sgpr_kernarg_preload_length 0
		.amdhsa_user_sgpr_kernarg_preload_offset 0
		.amdhsa_user_sgpr_private_segment_size 0
		.amdhsa_uses_dynamic_stack 0
		.amdhsa_enable_private_segment 0
		.amdhsa_system_sgpr_workgroup_id_x 1
		.amdhsa_system_sgpr_workgroup_id_y 0
		.amdhsa_system_sgpr_workgroup_id_z 0
		.amdhsa_system_sgpr_workgroup_info 0
		.amdhsa_system_vgpr_workitem_id 0
		.amdhsa_next_free_vgpr 4
		.amdhsa_next_free_sgpr 9
		.amdhsa_accum_offset 4
		.amdhsa_reserve_vcc 0
		.amdhsa_float_round_mode_32 0
		.amdhsa_float_round_mode_16_64 0
		.amdhsa_float_denorm_mode_32 3
		.amdhsa_float_denorm_mode_16_64 3
		.amdhsa_dx10_clamp 1
		.amdhsa_ieee_mode 1
		.amdhsa_fp16_overflow 0
		.amdhsa_tg_split 0
		.amdhsa_exception_fp_ieee_invalid_op 0
		.amdhsa_exception_fp_denorm_src 0
		.amdhsa_exception_fp_ieee_div_zero 0
		.amdhsa_exception_fp_ieee_overflow 0
		.amdhsa_exception_fp_ieee_underflow 0
		.amdhsa_exception_fp_ieee_inexact 0
		.amdhsa_exception_int_div_zero 0
	.end_amdhsa_kernel
	.section	.text._ZL26setup_batched_array_kernelILi128E19rocblas_complex_numIfEEvPT0_lPS3_,"axG",@progbits,_ZL26setup_batched_array_kernelILi128E19rocblas_complex_numIfEEvPT0_lPS3_,comdat
.Lfunc_end194:
	.size	_ZL26setup_batched_array_kernelILi128E19rocblas_complex_numIfEEvPT0_lPS3_, .Lfunc_end194-_ZL26setup_batched_array_kernelILi128E19rocblas_complex_numIfEEvPT0_lPS3_
                                        ; -- End function
	.set _ZL26setup_batched_array_kernelILi128E19rocblas_complex_numIfEEvPT0_lPS3_.num_vgpr, 4
	.set _ZL26setup_batched_array_kernelILi128E19rocblas_complex_numIfEEvPT0_lPS3_.num_agpr, 0
	.set _ZL26setup_batched_array_kernelILi128E19rocblas_complex_numIfEEvPT0_lPS3_.numbered_sgpr, 9
	.set _ZL26setup_batched_array_kernelILi128E19rocblas_complex_numIfEEvPT0_lPS3_.num_named_barrier, 0
	.set _ZL26setup_batched_array_kernelILi128E19rocblas_complex_numIfEEvPT0_lPS3_.private_seg_size, 0
	.set _ZL26setup_batched_array_kernelILi128E19rocblas_complex_numIfEEvPT0_lPS3_.uses_vcc, 0
	.set _ZL26setup_batched_array_kernelILi128E19rocblas_complex_numIfEEvPT0_lPS3_.uses_flat_scratch, 0
	.set _ZL26setup_batched_array_kernelILi128E19rocblas_complex_numIfEEvPT0_lPS3_.has_dyn_sized_stack, 0
	.set _ZL26setup_batched_array_kernelILi128E19rocblas_complex_numIfEEvPT0_lPS3_.has_recursion, 0
	.set _ZL26setup_batched_array_kernelILi128E19rocblas_complex_numIfEEvPT0_lPS3_.has_indirect_call, 0
	.section	.AMDGPU.csdata,"",@progbits
; Kernel info:
; codeLenInByte = 84
; TotalNumSgprs: 15
; NumVgprs: 4
; NumAgprs: 0
; TotalNumVgprs: 4
; ScratchSize: 0
; MemoryBound: 0
; FloatMode: 240
; IeeeMode: 1
; LDSByteSize: 0 bytes/workgroup (compile time only)
; SGPRBlocks: 1
; VGPRBlocks: 0
; NumSGPRsForWavesPerEU: 15
; NumVGPRsForWavesPerEU: 4
; AccumOffset: 4
; Occupancy: 8
; WaveLimiterHint : 0
; COMPUTE_PGM_RSRC2:SCRATCH_EN: 0
; COMPUTE_PGM_RSRC2:USER_SGPR: 2
; COMPUTE_PGM_RSRC2:TRAP_HANDLER: 0
; COMPUTE_PGM_RSRC2:TGID_X_EN: 1
; COMPUTE_PGM_RSRC2:TGID_Y_EN: 0
; COMPUTE_PGM_RSRC2:TGID_Z_EN: 0
; COMPUTE_PGM_RSRC2:TIDIG_COMP_CNT: 0
; COMPUTE_PGM_RSRC3_GFX90A:ACCUM_OFFSET: 0
; COMPUTE_PGM_RSRC3_GFX90A:TG_SPLIT: 0
	.section	.text._ZL25rocblas_trtri_trsm_kernelILi128ELi16ELi8E19rocblas_complex_numIfEPKPKS1_PKPS1_Ev13rocblas_fill_17rocblas_diagonal_T3_lilT4_lli,"axG",@progbits,_ZL25rocblas_trtri_trsm_kernelILi128ELi16ELi8E19rocblas_complex_numIfEPKPKS1_PKPS1_Ev13rocblas_fill_17rocblas_diagonal_T3_lilT4_lli,comdat
	.globl	_ZL25rocblas_trtri_trsm_kernelILi128ELi16ELi8E19rocblas_complex_numIfEPKPKS1_PKPS1_Ev13rocblas_fill_17rocblas_diagonal_T3_lilT4_lli ; -- Begin function _ZL25rocblas_trtri_trsm_kernelILi128ELi16ELi8E19rocblas_complex_numIfEPKPKS1_PKPS1_Ev13rocblas_fill_17rocblas_diagonal_T3_lilT4_lli
	.p2align	8
	.type	_ZL25rocblas_trtri_trsm_kernelILi128ELi16ELi8E19rocblas_complex_numIfEPKPKS1_PKPS1_Ev13rocblas_fill_17rocblas_diagonal_T3_lilT4_lli,@function
_ZL25rocblas_trtri_trsm_kernelILi128ELi16ELi8E19rocblas_complex_numIfEPKPKS1_PKPS1_Ev13rocblas_fill_17rocblas_diagonal_T3_lilT4_lli: ; @_ZL25rocblas_trtri_trsm_kernelILi128ELi16ELi8E19rocblas_complex_numIfEPKPKS1_PKPS1_Ev13rocblas_fill_17rocblas_diagonal_T3_lilT4_lli
; %bb.0:
	s_load_dwordx4 s[12:15], s[0:1], 0x8
	s_load_dwordx4 s[8:11], s[0:1], 0x28
	s_mov_b32 s4, s3
	s_mov_b32 s5, 0
	s_lshl_b64 s[4:5], s[4:5], 3
	s_waitcnt lgkmcnt(0)
	s_add_u32 s6, s12, s4
	s_addc_u32 s7, s13, s5
	s_add_u32 s4, s8, s4
	s_addc_u32 s5, s9, s5
	s_load_dwordx2 s[20:21], s[6:7], 0x0
	s_load_dwordx2 s[12:13], s[4:5], 0x0
	v_cmp_gt_u32_e64 s[6:7], 16, v0
	v_cmp_lt_u32_e64 s[4:5], 15, v0
	v_cmp_gt_u32_e64 s[8:9], 32, v0
	v_cmp_lt_u32_e32 vcc, 31, v0
	v_mov_b32_e32 v2, v0
	s_and_saveexec_b64 s[16:17], s[4:5]
	s_cbranch_execz .LBB195_6
; %bb.1:
                                        ; implicit-def: $vgpr2
	s_and_saveexec_b64 s[4:5], vcc
	s_xor_b64 s[4:5], exec, s[4:5]
; %bb.2:
	v_subrev_u32_e32 v2, 32, v0
; %bb.3:
	s_andn2_saveexec_b64 s[4:5], s[4:5]
; %bb.4:
	v_add_u32_e32 v2, -16, v0
; %bb.5:
	s_or_b64 exec, exec, s[4:5]
.LBB195_6:
	s_or_b64 exec, exec, s[16:17]
	s_load_dword s16, s[0:1], 0x18
	s_load_dwordx2 s[4:5], s[0:1], 0x0
	s_lshl_b32 s3, s2, 1
	v_mov_b32_e32 v1, 0x1800
	v_cndmask_b32_e64 v1, 0, v1, s[8:9]
	s_waitcnt lgkmcnt(0)
	s_ashr_i32 s17, s16, 31
	s_lshl_b64 s[18:19], s[16:17], 4
	s_add_u32 s24, s18, 16
	s_addc_u32 s25, s19, 0
	s_mul_hi_u32 s1, s24, s3
	s_mul_i32 s22, s25, s3
	s_mul_i32 s0, s24, s3
	s_add_i32 s1, s1, s22
	s_lshl_b64 s[0:1], s[0:1], 3
	s_add_u32 s20, s20, s0
	s_addc_u32 s21, s21, s1
	s_lshl_b64 s[0:1], s[14:15], 3
	s_add_u32 s14, s20, s0
	s_addc_u32 s15, s21, s1
	v_mov_b32_e32 v4, 0x1000
	s_and_saveexec_b64 s[0:1], vcc
	s_xor_b64 s[0:1], exec, s[0:1]
	s_cbranch_execz .LBB195_13
; %bb.7:
	v_cmp_gt_u32_e32 vcc, 48, v0
	s_and_saveexec_b64 s[20:21], vcc
	s_cbranch_execz .LBB195_12
; %bb.8:
	s_cmpk_eq_i32 s4, 0x7a
	v_mov_b32_e32 v3, 0
	s_mov_b64 s[22:23], -1
	s_cbranch_scc1 .LBB195_10
; %bb.9:
	s_lshl_b64 s[22:23], s[16:17], 7
	s_add_u32 s22, s14, s22
	s_addc_u32 s23, s15, s23
	v_lshl_add_u64 v[6:7], v[2:3], 3, s[22:23]
	v_mov_b32_e32 v5, 0x78
	v_mad_i64_i32 v[8:9], s[22:23], s16, v5, v[6:7]
	flat_load_dwordx2 v[10:11], v[8:9]
	s_lshl_b64 s[22:23], s[16:17], 3
	s_sub_u32 s22, 0, s22
	v_lshlrev_b32_e32 v5, 3, v2
	s_subb_u32 s23, 0, s23
	v_lshl_add_u64 v[8:9], v[8:9], 0, s[22:23]
	s_waitcnt vmcnt(0) lgkmcnt(0)
	ds_write_b64 v5, v[10:11] offset:1920
	flat_load_dwordx2 v[10:11], v[8:9]
	v_lshl_add_u64 v[8:9], v[8:9], 0, s[22:23]
	s_waitcnt vmcnt(0) lgkmcnt(0)
	ds_write_b64 v5, v[10:11] offset:1792
	flat_load_dwordx2 v[10:11], v[8:9]
	;; [unrolled: 4-line block ×13, first 2 shown]
	v_lshl_add_u64 v[8:9], v[8:9], 0, s[22:23]
	s_mov_b64 s[22:23], 0
	s_waitcnt vmcnt(0) lgkmcnt(0)
	ds_write_b64 v5, v[10:11] offset:256
	flat_load_dwordx2 v[8:9], v[8:9]
	s_waitcnt vmcnt(0) lgkmcnt(0)
	ds_write_b64 v5, v[8:9] offset:128
	flat_load_dwordx2 v[6:7], v[6:7]
	s_waitcnt vmcnt(0) lgkmcnt(0)
	ds_write_b64 v5, v[6:7]
.LBB195_10:
	s_andn2_b64 vcc, exec, s[22:23]
	s_cbranch_vccnz .LBB195_12
; %bb.11:
	v_lshl_add_u64 v[6:7], v[2:3], 3, s[14:15]
	flat_load_dwordx2 v[8:9], v[6:7] offset:128
	v_lshlrev_b32_e32 v3, 3, v2
	s_lshl_b64 s[22:23], s[16:17], 3
	v_lshl_add_u64 v[6:7], v[6:7], 0, s[22:23]
	s_waitcnt vmcnt(0) lgkmcnt(0)
	ds_write_b64 v3, v[8:9]
	flat_load_dwordx2 v[8:9], v[6:7] offset:128
	v_lshl_add_u64 v[6:7], v[6:7], 0, s[22:23]
	s_waitcnt vmcnt(0) lgkmcnt(0)
	ds_write_b64 v3, v[8:9] offset:128
	flat_load_dwordx2 v[8:9], v[6:7] offset:128
	v_lshl_add_u64 v[6:7], v[6:7], 0, s[22:23]
	s_waitcnt vmcnt(0) lgkmcnt(0)
	ds_write_b64 v3, v[8:9] offset:256
	;; [unrolled: 4-line block ×14, first 2 shown]
	flat_load_dwordx2 v[6:7], v[6:7] offset:128
	s_waitcnt vmcnt(0) lgkmcnt(0)
	ds_write_b64 v3, v[6:7] offset:1920
.LBB195_12:
	s_or_b64 exec, exec, s[20:21]
.LBB195_13:
	s_or_saveexec_b64 s[0:1], s[0:1]
	v_cndmask_b32_e64 v8, v1, v4, s[6:7]
	s_xor_b64 exec, exec, s[0:1]
	s_cbranch_execz .LBB195_80
; %bb.14:
	v_mov_b32_e32 v1, s25
	v_cndmask_b32_e64 v5, v1, 0, s[6:7]
	v_mov_b32_e32 v1, s24
	v_cndmask_b32_e64 v4, v1, 0, s[6:7]
	s_mov_b64 s[20:21], -1
	s_cmpk_eq_i32 s4, 0x7a
	v_lshl_add_u64 v[4:5], v[4:5], 3, s[14:15]
	s_cbranch_scc1 .LBB195_48
; %bb.15:
	v_mov_b32_e32 v10, 0
	v_mov_b32_e32 v3, v10
	v_lshl_add_u64 v[6:7], v[2:3], 3, v[4:5]
	v_cmp_gt_u32_e32 vcc, 16, v2
	v_mov_b32_e32 v12, 0
	v_mov_b32_e32 v13, 0
	s_and_saveexec_b64 s[14:15], vcc
	s_cbranch_execz .LBB195_17
; %bb.16:
	v_mov_b32_e32 v1, 0x78
	v_mad_i64_i32 v[12:13], s[20:21], s16, v1, v[6:7]
	flat_load_dwordx2 v[12:13], v[12:13]
.LBB195_17:
	s_or_b64 exec, exec, s[14:15]
	v_sub_u32_e32 v1, 0xffffff10, v2
	v_lshl_add_u32 v1, v1, 3, v8
	v_cmp_gt_u32_e32 vcc, 15, v2
	v_mov_b32_e32 v11, 0
	s_waitcnt vmcnt(0) lgkmcnt(0)
	ds_write_b64 v1, v[12:13] offset:2040
	s_and_saveexec_b64 s[14:15], vcc
	s_cbranch_execz .LBB195_19
; %bb.18:
	v_mov_b32_e32 v1, 0x70
	v_mad_i64_i32 v[10:11], s[20:21], s16, v1, v[6:7]
	flat_load_dwordx2 v[10:11], v[10:11]
.LBB195_19:
	s_or_b64 exec, exec, s[14:15]
	v_sub_u32_e32 v1, 0xffffff20, v2
	v_lshl_add_u32 v1, v1, 3, v8
	s_waitcnt vmcnt(0) lgkmcnt(0)
	ds_write_b64 v1, v[10:11] offset:2040
	v_cmp_gt_u32_e32 vcc, 14, v2
	v_mov_b32_e32 v10, 0
	v_mov_b32_e32 v12, 0
	v_mov_b32_e32 v13, 0
	s_and_saveexec_b64 s[14:15], vcc
	s_cbranch_execz .LBB195_21
; %bb.20:
	v_mov_b32_e32 v1, 0x68
	v_mad_i64_i32 v[12:13], s[20:21], s16, v1, v[6:7]
	flat_load_dwordx2 v[12:13], v[12:13]
.LBB195_21:
	s_or_b64 exec, exec, s[14:15]
	v_sub_u32_e32 v1, 0xffffff30, v2
	v_lshl_add_u32 v1, v1, 3, v8
	v_cmp_gt_u32_e32 vcc, 13, v2
	v_mov_b32_e32 v11, 0
	s_waitcnt vmcnt(0) lgkmcnt(0)
	ds_write_b64 v1, v[12:13] offset:2040
	s_and_saveexec_b64 s[14:15], vcc
	s_cbranch_execz .LBB195_23
; %bb.22:
	v_mov_b32_e32 v1, 0x60
	v_mad_i64_i32 v[10:11], s[20:21], s16, v1, v[6:7]
	flat_load_dwordx2 v[10:11], v[10:11]
.LBB195_23:
	s_or_b64 exec, exec, s[14:15]
	v_sub_u32_e32 v1, 0xffffff40, v2
	v_lshl_add_u32 v1, v1, 3, v8
	s_waitcnt vmcnt(0) lgkmcnt(0)
	ds_write_b64 v1, v[10:11] offset:2040
	v_cmp_gt_u32_e32 vcc, 12, v2
	v_mov_b32_e32 v10, 0
	;; [unrolled: 30-line block ×3, first 2 shown]
	v_mov_b32_e32 v12, 0
	v_mov_b32_e32 v13, 0
	s_and_saveexec_b64 s[14:15], vcc
	s_cbranch_execz .LBB195_29
; %bb.28:
	v_mov_b32_e32 v1, 0x48
	v_mad_i64_i32 v[12:13], s[20:21], s16, v1, v[6:7]
	flat_load_dwordx2 v[12:13], v[12:13]
.LBB195_29:
	s_or_b64 exec, exec, s[14:15]
	v_sub_u32_e32 v1, 0xffffff70, v2
	v_lshl_add_u32 v1, v1, 3, v8
	v_cmp_gt_u32_e32 vcc, 9, v2
	v_mov_b32_e32 v11, 0
	s_waitcnt vmcnt(0) lgkmcnt(0)
	ds_write_b64 v1, v[12:13] offset:2040
	s_and_saveexec_b64 s[14:15], vcc
	s_cbranch_execz .LBB195_31
; %bb.30:
	s_lshl_b64 s[20:21], s[16:17], 6
	v_lshl_add_u64 v[10:11], v[6:7], 0, s[20:21]
	flat_load_dwordx2 v[10:11], v[10:11]
.LBB195_31:
	s_or_b64 exec, exec, s[14:15]
	v_sub_u32_e32 v1, 0xffffff80, v2
	v_lshl_add_u32 v1, v1, 3, v8
	s_waitcnt vmcnt(0) lgkmcnt(0)
	ds_write_b64 v1, v[10:11] offset:2040
	v_cmp_gt_u32_e32 vcc, 8, v2
	v_mov_b32_e32 v10, 0
	v_mov_b32_e32 v12, 0
	;; [unrolled: 1-line block ×3, first 2 shown]
	s_and_saveexec_b64 s[14:15], vcc
	s_cbranch_execz .LBB195_33
; %bb.32:
	v_mad_i64_i32 v[12:13], s[20:21], s16, 56, v[6:7]
	flat_load_dwordx2 v[12:13], v[12:13]
.LBB195_33:
	s_or_b64 exec, exec, s[14:15]
	v_sub_u32_e32 v1, 0xffffff90, v2
	v_lshl_add_u32 v1, v1, 3, v8
	v_cmp_gt_u32_e32 vcc, 7, v2
	v_mov_b32_e32 v11, 0
	s_waitcnt vmcnt(0) lgkmcnt(0)
	ds_write_b64 v1, v[12:13] offset:2040
	s_and_saveexec_b64 s[14:15], vcc
	s_cbranch_execz .LBB195_35
; %bb.34:
	v_mad_i64_i32 v[10:11], s[20:21], s16, 48, v[6:7]
	flat_load_dwordx2 v[10:11], v[10:11]
.LBB195_35:
	s_or_b64 exec, exec, s[14:15]
	v_sub_u32_e32 v1, 0xffffffa0, v2
	v_lshl_add_u32 v1, v1, 3, v8
	s_waitcnt vmcnt(0) lgkmcnt(0)
	ds_write_b64 v1, v[10:11] offset:2040
	v_cmp_gt_u32_e32 vcc, 6, v2
	v_mov_b32_e32 v10, 0
	v_mov_b32_e32 v12, 0
	;; [unrolled: 1-line block ×3, first 2 shown]
	s_and_saveexec_b64 s[14:15], vcc
	s_cbranch_execz .LBB195_37
; %bb.36:
	v_mad_i64_i32 v[12:13], s[20:21], s16, 40, v[6:7]
	flat_load_dwordx2 v[12:13], v[12:13]
.LBB195_37:
	s_or_b64 exec, exec, s[14:15]
	v_sub_u32_e32 v1, 0xffffffb0, v2
	v_lshl_add_u32 v1, v1, 3, v8
	v_cmp_gt_u32_e32 vcc, 5, v2
	v_mov_b32_e32 v11, 0
	s_waitcnt vmcnt(0) lgkmcnt(0)
	ds_write_b64 v1, v[12:13] offset:2040
	s_and_saveexec_b64 s[14:15], vcc
	s_cbranch_execz .LBB195_39
; %bb.38:
	s_lshl_b64 s[20:21], s[16:17], 5
	v_lshl_add_u64 v[10:11], v[6:7], 0, s[20:21]
	flat_load_dwordx2 v[10:11], v[10:11]
.LBB195_39:
	s_or_b64 exec, exec, s[14:15]
	v_sub_u32_e32 v1, 0xffffffc0, v2
	v_lshl_add_u32 v1, v1, 3, v8
	s_waitcnt vmcnt(0) lgkmcnt(0)
	ds_write_b64 v1, v[10:11] offset:2040
	v_cmp_gt_u32_e32 vcc, 4, v2
	v_mov_b32_e32 v10, 0
	v_mov_b32_e32 v12, 0
	;; [unrolled: 1-line block ×3, first 2 shown]
	s_and_saveexec_b64 s[14:15], vcc
	s_cbranch_execz .LBB195_41
; %bb.40:
	v_mad_i64_i32 v[12:13], s[20:21], s16, 24, v[6:7]
	flat_load_dwordx2 v[12:13], v[12:13]
.LBB195_41:
	s_or_b64 exec, exec, s[14:15]
	v_sub_u32_e32 v1, 0xffffffd0, v2
	v_lshl_add_u32 v1, v1, 3, v8
	v_cmp_gt_u32_e32 vcc, 3, v2
	v_mov_b32_e32 v11, 0
	s_waitcnt vmcnt(0) lgkmcnt(0)
	ds_write_b64 v1, v[12:13] offset:2040
	s_and_saveexec_b64 s[14:15], vcc
	s_cbranch_execz .LBB195_43
; %bb.42:
	v_lshl_add_u64 v[10:11], v[6:7], 0, s[18:19]
	flat_load_dwordx2 v[10:11], v[10:11]
.LBB195_43:
	s_or_b64 exec, exec, s[14:15]
	v_sub_u32_e32 v1, 0xffffffe0, v2
	v_lshl_add_u32 v1, v1, 3, v8
	s_waitcnt vmcnt(0) lgkmcnt(0)
	ds_write_b64 v1, v[10:11] offset:2040
	v_cmp_gt_u32_e32 vcc, 2, v2
	v_mov_b32_e32 v10, 0
	v_mov_b32_e32 v12, 0
	;; [unrolled: 1-line block ×3, first 2 shown]
	s_and_saveexec_b64 s[14:15], vcc
	s_cbranch_execz .LBB195_45
; %bb.44:
	v_lshl_add_u64 v[12:13], s[16:17], 3, v[6:7]
	flat_load_dwordx2 v[12:13], v[12:13]
.LBB195_45:
	s_or_b64 exec, exec, s[14:15]
	v_sub_u32_e32 v1, -16, v2
	v_lshl_add_u32 v1, v1, 3, v8
	v_cmp_eq_u32_e32 vcc, 0, v2
	v_mov_b32_e32 v11, 0
	s_waitcnt vmcnt(0) lgkmcnt(0)
	ds_write_b64 v1, v[12:13] offset:2040
	s_and_saveexec_b64 s[14:15], vcc
	s_cbranch_execz .LBB195_47
; %bb.46:
	flat_load_dwordx2 v[10:11], v[6:7]
.LBB195_47:
	s_or_b64 exec, exec, s[14:15]
	v_lshlrev_b32_e32 v1, 3, v2
	v_sub_u32_e32 v1, v8, v1
	s_mov_b64 s[20:21], 0
	s_waitcnt vmcnt(0) lgkmcnt(0)
	ds_write_b64 v1, v[10:11] offset:2040
.LBB195_48:
	s_and_b64 vcc, exec, s[20:21]
	s_cbranch_vccz .LBB195_80
; %bb.49:
	v_mov_b32_e32 v6, 0
	v_mov_b32_e32 v3, v6
	v_lshl_add_u64 v[4:5], v[2:3], 3, v[4:5]
	flat_load_dwordx2 v[12:13], v[4:5]
	v_lshl_add_u32 v1, v2, 3, v8
	v_cmp_ne_u32_e32 vcc, 0, v2
	v_mov_b32_e32 v10, 0
	v_mov_b32_e32 v11, 0
	s_waitcnt vmcnt(0) lgkmcnt(0)
	ds_write_b64 v1, v[12:13]
	s_and_saveexec_b64 s[14:15], vcc
	s_cbranch_execz .LBB195_51
; %bb.50:
	v_lshl_add_u64 v[10:11], s[16:17], 3, v[4:5]
	flat_load_dwordx2 v[10:11], v[10:11]
.LBB195_51:
	s_or_b64 exec, exec, s[14:15]
	v_cmp_lt_u32_e32 vcc, 1, v2
	v_mov_b32_e32 v7, 0
	s_waitcnt vmcnt(0) lgkmcnt(0)
	ds_write_b64 v1, v[10:11] offset:128
	s_and_saveexec_b64 s[14:15], vcc
	s_cbranch_execz .LBB195_53
; %bb.52:
	v_lshl_add_u64 v[6:7], v[4:5], 0, s[18:19]
	flat_load_dwordx2 v[6:7], v[6:7]
.LBB195_53:
	s_or_b64 exec, exec, s[14:15]
	s_waitcnt vmcnt(0) lgkmcnt(0)
	ds_write_b64 v1, v[6:7] offset:256
	v_cmp_lt_u32_e32 vcc, 2, v2
	v_mov_b32_e32 v6, 0
	v_mov_b32_e32 v10, 0
	;; [unrolled: 1-line block ×3, first 2 shown]
	s_and_saveexec_b64 s[14:15], vcc
	s_cbranch_execz .LBB195_55
; %bb.54:
	v_mad_i64_i32 v[10:11], s[18:19], s16, 24, v[4:5]
	flat_load_dwordx2 v[10:11], v[10:11]
.LBB195_55:
	s_or_b64 exec, exec, s[14:15]
	v_cmp_lt_u32_e32 vcc, 3, v2
	v_mov_b32_e32 v7, 0
	s_waitcnt vmcnt(0) lgkmcnt(0)
	ds_write_b64 v1, v[10:11] offset:384
	s_and_saveexec_b64 s[14:15], vcc
	s_cbranch_execz .LBB195_57
; %bb.56:
	s_lshl_b64 s[18:19], s[16:17], 5
	v_lshl_add_u64 v[6:7], v[4:5], 0, s[18:19]
	flat_load_dwordx2 v[6:7], v[6:7]
.LBB195_57:
	s_or_b64 exec, exec, s[14:15]
	s_waitcnt vmcnt(0) lgkmcnt(0)
	ds_write_b64 v1, v[6:7] offset:512
	v_cmp_lt_u32_e32 vcc, 4, v2
	v_mov_b32_e32 v6, 0
	v_mov_b32_e32 v10, 0
	;; [unrolled: 1-line block ×3, first 2 shown]
	s_and_saveexec_b64 s[14:15], vcc
	s_cbranch_execz .LBB195_59
; %bb.58:
	v_mad_i64_i32 v[10:11], s[18:19], s16, 40, v[4:5]
	flat_load_dwordx2 v[10:11], v[10:11]
.LBB195_59:
	s_or_b64 exec, exec, s[14:15]
	v_cmp_lt_u32_e32 vcc, 5, v2
	v_mov_b32_e32 v7, 0
	s_waitcnt vmcnt(0) lgkmcnt(0)
	ds_write_b64 v1, v[10:11] offset:640
	s_and_saveexec_b64 s[14:15], vcc
	s_cbranch_execz .LBB195_61
; %bb.60:
	v_mad_i64_i32 v[6:7], s[18:19], s16, 48, v[4:5]
	flat_load_dwordx2 v[6:7], v[6:7]
.LBB195_61:
	s_or_b64 exec, exec, s[14:15]
	s_waitcnt vmcnt(0) lgkmcnt(0)
	ds_write_b64 v1, v[6:7] offset:768
	v_cmp_lt_u32_e32 vcc, 6, v2
	v_mov_b32_e32 v6, 0
	v_mov_b32_e32 v10, 0
	;; [unrolled: 1-line block ×3, first 2 shown]
	s_and_saveexec_b64 s[14:15], vcc
	s_cbranch_execz .LBB195_63
; %bb.62:
	v_mad_i64_i32 v[10:11], s[18:19], s16, 56, v[4:5]
	flat_load_dwordx2 v[10:11], v[10:11]
.LBB195_63:
	s_or_b64 exec, exec, s[14:15]
	v_cmp_lt_u32_e32 vcc, 7, v2
	v_mov_b32_e32 v7, 0
	s_waitcnt vmcnt(0) lgkmcnt(0)
	ds_write_b64 v1, v[10:11] offset:896
	s_and_saveexec_b64 s[14:15], vcc
	s_cbranch_execz .LBB195_65
; %bb.64:
	s_lshl_b64 s[18:19], s[16:17], 6
	v_lshl_add_u64 v[6:7], v[4:5], 0, s[18:19]
	flat_load_dwordx2 v[6:7], v[6:7]
.LBB195_65:
	s_or_b64 exec, exec, s[14:15]
	s_waitcnt vmcnt(0) lgkmcnt(0)
	ds_write_b64 v1, v[6:7] offset:1024
	v_cmp_lt_u32_e32 vcc, 8, v2
	v_mov_b32_e32 v6, 0
	v_mov_b32_e32 v10, 0
	v_mov_b32_e32 v11, 0
	s_and_saveexec_b64 s[14:15], vcc
	s_cbranch_execz .LBB195_67
; %bb.66:
	v_mov_b32_e32 v3, 0x48
	v_mad_i64_i32 v[10:11], s[18:19], s16, v3, v[4:5]
	flat_load_dwordx2 v[10:11], v[10:11]
.LBB195_67:
	s_or_b64 exec, exec, s[14:15]
	v_cmp_lt_u32_e32 vcc, 9, v2
	v_mov_b32_e32 v7, 0
	s_waitcnt vmcnt(0) lgkmcnt(0)
	ds_write_b64 v1, v[10:11] offset:1152
	s_and_saveexec_b64 s[14:15], vcc
	s_cbranch_execz .LBB195_69
; %bb.68:
	v_mov_b32_e32 v3, 0x50
	v_mad_i64_i32 v[6:7], s[18:19], s16, v3, v[4:5]
	flat_load_dwordx2 v[6:7], v[6:7]
.LBB195_69:
	s_or_b64 exec, exec, s[14:15]
	s_waitcnt vmcnt(0) lgkmcnt(0)
	ds_write_b64 v1, v[6:7] offset:1280
	v_cmp_lt_u32_e32 vcc, 10, v2
	v_mov_b32_e32 v6, 0
	v_mov_b32_e32 v10, 0
	v_mov_b32_e32 v11, 0
	s_and_saveexec_b64 s[14:15], vcc
	s_cbranch_execz .LBB195_71
; %bb.70:
	v_mov_b32_e32 v3, 0x58
	v_mad_i64_i32 v[10:11], s[18:19], s16, v3, v[4:5]
	flat_load_dwordx2 v[10:11], v[10:11]
.LBB195_71:
	s_or_b64 exec, exec, s[14:15]
	v_cmp_lt_u32_e32 vcc, 11, v2
	v_mov_b32_e32 v7, 0
	s_waitcnt vmcnt(0) lgkmcnt(0)
	ds_write_b64 v1, v[10:11] offset:1408
	s_and_saveexec_b64 s[14:15], vcc
	s_cbranch_execz .LBB195_73
; %bb.72:
	v_mov_b32_e32 v3, 0x60
	v_mad_i64_i32 v[6:7], s[18:19], s16, v3, v[4:5]
	flat_load_dwordx2 v[6:7], v[6:7]
.LBB195_73:
	;; [unrolled: 26-line block ×3, first 2 shown]
	s_or_b64 exec, exec, s[14:15]
	s_waitcnt vmcnt(0) lgkmcnt(0)
	ds_write_b64 v1, v[6:7] offset:1792
	v_cmp_lt_u32_e32 vcc, 14, v2
	v_mov_b32_e32 v6, 0
	v_mov_b32_e32 v7, 0
	s_and_saveexec_b64 s[14:15], vcc
	s_cbranch_execz .LBB195_79
; %bb.78:
	v_mov_b32_e32 v3, 0x78
	v_mad_i64_i32 v[4:5], s[16:17], s16, v3, v[4:5]
	flat_load_dwordx2 v[6:7], v[4:5]
.LBB195_79:
	s_or_b64 exec, exec, s[14:15]
	s_waitcnt vmcnt(0) lgkmcnt(0)
	ds_write_b64 v1, v[6:7] offset:1920
.LBB195_80:
	s_or_b64 exec, exec, s[0:1]
	s_waitcnt lgkmcnt(0)
	s_barrier
	s_and_saveexec_b64 s[14:15], s[8:9]
	s_cbranch_execz .LBB195_93
; %bb.81:
	v_mul_i32_i24_e32 v1, 0x88, v2
	s_cmpk_lg_i32 s5, 0x84
	s_mov_b64 s[0:1], -1
	v_add_u32_e32 v1, v8, v1
	s_cbranch_scc0 .LBB195_91
; %bb.82:
	ds_read_b64 v[4:5], v1
	s_waitcnt lgkmcnt(0)
	v_cmp_neq_f32_e32 vcc, 0, v4
	v_cmp_neq_f32_e64 s[0:1], 0, v5
	s_or_b64 s[0:1], vcc, s[0:1]
	s_and_saveexec_b64 s[16:17], s[0:1]
	s_xor_b64 s[0:1], exec, s[16:17]
	s_cbranch_execz .LBB195_88
; %bb.83:
	v_cmp_ngt_f32_e64 s[16:17], |v4|, |v5|
                                        ; implicit-def: $vgpr6_vgpr7
	s_and_saveexec_b64 s[18:19], s[16:17]
	s_xor_b64 s[16:17], exec, s[18:19]
	s_cbranch_execz .LBB195_85
; %bb.84:
	v_div_scale_f32 v3, s[18:19], v5, v5, v4
	v_rcp_f32_e32 v6, v3
	v_div_scale_f32 v7, vcc, v4, v5, v4
	v_fma_f32 v9, -v3, v6, 1.0
	v_fmac_f32_e32 v6, v9, v6
	v_mul_f32_e32 v9, v7, v6
	v_fma_f32 v10, -v3, v9, v7
	v_fmac_f32_e32 v9, v10, v6
	v_fma_f32 v3, -v3, v9, v7
	v_div_fmas_f32 v3, v3, v6, v9
	v_div_fixup_f32 v3, v3, v5, v4
	v_fmac_f32_e32 v5, v4, v3
	v_div_scale_f32 v4, s[18:19], v5, v5, 1.0
	v_rcp_f32_e32 v6, v4
	s_nop 0
	v_fma_f32 v7, -v4, v6, 1.0
	v_fmac_f32_e32 v6, v7, v6
	v_div_scale_f32 v7, vcc, 1.0, v5, 1.0
	v_mul_f32_e32 v9, v7, v6
	v_fma_f32 v10, -v4, v9, v7
	v_fmac_f32_e32 v9, v10, v6
	v_fma_f32 v4, -v4, v9, v7
	v_div_fmas_f32 v4, v4, v6, v9
	v_div_fixup_f32 v4, v4, v5, 1.0
	v_mul_f32_e32 v6, v3, v4
	v_xor_b32_e32 v7, 0x80000000, v4
                                        ; implicit-def: $vgpr4_vgpr5
.LBB195_85:
	s_andn2_saveexec_b64 s[16:17], s[16:17]
	s_cbranch_execz .LBB195_87
; %bb.86:
	v_div_scale_f32 v3, s[18:19], v4, v4, v5
	v_rcp_f32_e32 v6, v3
	v_div_scale_f32 v7, vcc, v5, v4, v5
	v_fma_f32 v9, -v3, v6, 1.0
	v_fmac_f32_e32 v6, v9, v6
	v_mul_f32_e32 v9, v7, v6
	v_fma_f32 v10, -v3, v9, v7
	v_fmac_f32_e32 v9, v10, v6
	v_fma_f32 v3, -v3, v9, v7
	v_div_fmas_f32 v3, v3, v6, v9
	v_div_fixup_f32 v3, v3, v4, v5
	v_fmac_f32_e32 v4, v5, v3
	v_div_scale_f32 v5, s[18:19], v4, v4, 1.0
	v_rcp_f32_e32 v6, v5
	s_nop 0
	v_fma_f32 v7, -v5, v6, 1.0
	v_fmac_f32_e32 v6, v7, v6
	v_div_scale_f32 v7, vcc, 1.0, v4, 1.0
	v_mul_f32_e32 v9, v7, v6
	v_fma_f32 v10, -v5, v9, v7
	v_fmac_f32_e32 v9, v10, v6
	v_fma_f32 v5, -v5, v9, v7
	v_div_fmas_f32 v5, v5, v6, v9
	v_div_fixup_f32 v6, v5, v4, 1.0
	v_mul_f32_e64 v7, v3, -v6
.LBB195_87:
	s_or_b64 exec, exec, s[16:17]
	ds_write_b64 v1, v[6:7]
.LBB195_88:
	s_andn2_saveexec_b64 s[0:1], s[0:1]
; %bb.89:
	v_mov_b32_e32 v4, 1.0
	v_mov_b32_e32 v5, 0
	ds_write_b64 v1, v[4:5]
; %bb.90:
	s_or_b64 exec, exec, s[0:1]
	s_mov_b64 s[0:1], 0
.LBB195_91:
	s_andn2_b64 vcc, exec, s[0:1]
	s_cbranch_vccnz .LBB195_93
; %bb.92:
	v_mov_b32_e32 v4, 1.0
	v_mov_b32_e32 v5, 0
	ds_write_b64 v1, v[4:5]
.LBB195_93:
	s_or_b64 exec, exec, s[14:15]
	s_waitcnt lgkmcnt(0)
	s_barrier
	s_and_saveexec_b64 s[0:1], s[8:9]
	s_cbranch_execz .LBB195_115
; %bb.94:
	v_lshl_add_u32 v1, v2, 3, v8
	v_mul_i32_i24_e32 v4, 0x88, v2
	v_add_u32_e32 v3, 0x80, v1
	v_add_u32_e32 v5, 8, v8
	v_add_u32_e32 v6, 0x90, v8
	v_add_u32_e32 v7, 0x100, v1
	s_mov_b32 s5, 0
	v_add_u32_e32 v9, v8, v4
	s_branch .LBB195_96
.LBB195_95:                             ;   in Loop: Header=BB195_96 Depth=1
	v_add_u32_e32 v3, 0x100, v3
	v_add_u32_e32 v5, 0x110, v5
	;; [unrolled: 1-line block ×3, first 2 shown]
	s_cmp_eq_u32 s5, 16
	v_add_u32_e32 v7, 0x100, v7
	s_cbranch_scc1 .LBB195_115
.LBB195_96:                             ; =>This Loop Header: Depth=1
                                        ;     Child Loop BB195_102 Depth 2
                                        ;     Child Loop BB195_111 Depth 2
	v_cmp_ge_i32_e32 vcc, s5, v2
                                        ; implicit-def: $sgpr16
	s_and_saveexec_b64 s[14:15], vcc
	s_xor_b64 s[14:15], exec, s[14:15]
; %bb.97:                               ;   in Loop: Header=BB195_96 Depth=1
	s_lshl_b32 s16, s5, 7
; %bb.98:                               ;   in Loop: Header=BB195_96 Depth=1
	s_or_saveexec_b64 s[14:15], s[14:15]
	v_mov_b32_e32 v10, 0
	v_mov_b32_e32 v11, s16
	;; [unrolled: 1-line block ×3, first 2 shown]
	s_xor_b64 exec, exec, s[14:15]
	s_cbranch_execz .LBB195_100
; %bb.99:                               ;   in Loop: Header=BB195_96 Depth=1
	s_lshl_b32 s16, s5, 7
	s_mul_i32 s17, s5, 0x88
	v_add_u32_e32 v4, s16, v1
	v_add_u32_e32 v12, s17, v8
	ds_read_b64 v[10:11], v4
	ds_read_b64 v[12:13], v12
	s_waitcnt lgkmcnt(0)
	v_mul_f32_e32 v4, v13, v11
	v_mul_f32_e32 v11, v12, v11
	v_fma_f32 v4, v12, v10, -v4
	v_fmac_f32_e32 v11, v13, v10
	v_add_f32_e32 v10, 0, v4
	v_add_f32_e32 v4, 0, v11
	v_mov_b32_e32 v11, s16
.LBB195_100:                            ;   in Loop: Header=BB195_96 Depth=1
	s_or_b64 exec, exec, s[14:15]
	s_or_b32 s16, s5, 1
	v_add_u32_e32 v11, v1, v11
	v_mov_b32_e32 v12, v5
	v_mov_b32_e32 v13, v3
	s_mov_b32 s17, s16
	s_branch .LBB195_102
.LBB195_101:                            ;   in Loop: Header=BB195_102 Depth=2
	s_or_b64 exec, exec, s[14:15]
	s_add_i32 s17, s17, 1
	v_add_u32_e32 v13, 0x80, v13
	s_cmp_eq_u32 s17, 16
	v_add_u32_e32 v12, 8, v12
	s_cbranch_scc1 .LBB195_106
.LBB195_102:                            ;   Parent Loop BB195_96 Depth=1
                                        ; =>  This Inner Loop Header: Depth=2
	v_cmp_eq_u32_e32 vcc, s17, v2
	s_and_saveexec_b64 s[14:15], vcc
	s_cbranch_execz .LBB195_104
; %bb.103:                              ;   in Loop: Header=BB195_102 Depth=2
	ds_read_b64 v[14:15], v9
	v_sub_f32_e32 v16, 0, v10
	s_waitcnt lgkmcnt(0)
	v_pk_mul_f32 v[18:19], v[4:5], v[14:15] op_sel:[0,1] op_sel_hi:[0,0]
	v_pk_fma_f32 v[20:21], v[16:17], v[14:15], v[18:19]
	v_pk_fma_f32 v[14:15], v[16:17], v[14:15], v[18:19] op_sel_hi:[0,1,1] neg_lo:[0,0,1] neg_hi:[0,0,1]
	v_mov_b32_e32 v21, v15
	ds_write_b64 v11, v[20:21]
.LBB195_104:                            ;   in Loop: Header=BB195_102 Depth=2
	s_or_b64 exec, exec, s[14:15]
	v_cmp_lt_i32_e32 vcc, s17, v2
	s_and_saveexec_b64 s[14:15], vcc
	s_cbranch_execz .LBB195_101
; %bb.105:                              ;   in Loop: Header=BB195_102 Depth=2
	ds_read_b64 v[14:15], v13
	ds_read_b64 v[16:17], v12
	s_waitcnt lgkmcnt(0)
	v_mul_f32_e32 v18, v17, v15
	v_mul_f32_e32 v15, v16, v15
	v_fma_f32 v16, v16, v14, -v18
	v_fmac_f32_e32 v15, v17, v14
	v_add_f32_e32 v10, v10, v16
	v_add_f32_e32 v4, v4, v15
	s_branch .LBB195_101
.LBB195_106:                            ;   in Loop: Header=BB195_96 Depth=1
	v_cmp_lt_i32_e32 vcc, s16, v2
	v_mov_b32_e32 v10, 0
	v_mov_b32_e32 v4, 0
	s_and_saveexec_b64 s[14:15], vcc
	s_cbranch_execz .LBB195_108
; %bb.107:                              ;   in Loop: Header=BB195_96 Depth=1
	s_mul_i32 s17, s16, 0x88
	v_lshl_add_u32 v4, s16, 7, v1
	v_add_u32_e32 v12, s17, v8
	ds_read_b64 v[10:11], v4
	ds_read_b64 v[12:13], v12
	s_waitcnt lgkmcnt(0)
	v_mul_f32_e32 v4, v13, v11
	v_mul_f32_e32 v11, v12, v11
	v_fma_f32 v4, v12, v10, -v4
	v_fmac_f32_e32 v11, v13, v10
	v_add_f32_e32 v10, 0, v4
	v_add_f32_e32 v4, 0, v11
.LBB195_108:                            ;   in Loop: Header=BB195_96 Depth=1
	s_or_b64 exec, exec, s[14:15]
	s_add_i32 s5, s5, 2
	s_cmp_gt_u32 s16, 14
	s_cbranch_scc1 .LBB195_95
; %bb.109:                              ;   in Loop: Header=BB195_96 Depth=1
	s_lshl_b32 s14, s16, 7
	v_add_u32_e32 v11, s14, v1
	v_mov_b32_e32 v12, v7
	v_mov_b32_e32 v13, v6
	s_mov_b32 s16, s5
	s_branch .LBB195_111
.LBB195_110:                            ;   in Loop: Header=BB195_111 Depth=2
	s_or_b64 exec, exec, s[14:15]
	s_add_i32 s16, s16, 1
	v_add_u32_e32 v13, 8, v13
	s_cmp_lg_u32 s16, 16
	v_add_u32_e32 v12, 0x80, v12
	s_cbranch_scc0 .LBB195_95
.LBB195_111:                            ;   Parent Loop BB195_96 Depth=1
                                        ; =>  This Inner Loop Header: Depth=2
	v_cmp_eq_u32_e32 vcc, s16, v2
	s_and_saveexec_b64 s[14:15], vcc
	s_cbranch_execz .LBB195_113
; %bb.112:                              ;   in Loop: Header=BB195_111 Depth=2
	ds_read_b64 v[14:15], v9
	v_sub_f32_e32 v16, 0, v10
	s_waitcnt lgkmcnt(0)
	v_pk_mul_f32 v[18:19], v[4:5], v[14:15] op_sel:[0,1] op_sel_hi:[0,0]
	v_pk_fma_f32 v[20:21], v[16:17], v[14:15], v[18:19]
	v_pk_fma_f32 v[14:15], v[16:17], v[14:15], v[18:19] op_sel_hi:[0,1,1] neg_lo:[0,0,1] neg_hi:[0,0,1]
	v_mov_b32_e32 v21, v15
	ds_write_b64 v11, v[20:21]
.LBB195_113:                            ;   in Loop: Header=BB195_111 Depth=2
	s_or_b64 exec, exec, s[14:15]
	v_cmp_lt_i32_e32 vcc, s16, v2
	s_and_saveexec_b64 s[14:15], vcc
	s_cbranch_execz .LBB195_110
; %bb.114:                              ;   in Loop: Header=BB195_111 Depth=2
	ds_read_b64 v[14:15], v12
	ds_read_b64 v[16:17], v13
	s_waitcnt lgkmcnt(0)
	v_mul_f32_e32 v18, v17, v15
	v_mul_f32_e32 v15, v16, v15
	v_fma_f32 v16, v16, v14, -v18
	v_fmac_f32_e32 v15, v17, v14
	v_add_f32_e32 v10, v10, v16
	v_add_f32_e32 v4, v4, v15
	s_branch .LBB195_110
.LBB195_115:
	s_or_b64 exec, exec, s[0:1]
	s_cmpk_lg_i32 s4, 0x7a
	s_cselect_b64 s[0:1], -1, 0
	s_movk_i32 s4, 0x100
	v_and_b32_e32 v1, 15, v0
	v_lshrrev_b32_e32 v3, 4, v0
	v_cmp_gt_u32_e64 s[4:5], s4, v0
	s_and_b64 vcc, exec, s[0:1]
	s_waitcnt lgkmcnt(0)
	s_barrier
	s_cbranch_vccz .LBB195_120
; %bb.116:
	s_mov_b64 s[16:17], 0
	s_mov_b64 s[14:15], 0
                                        ; implicit-def: $vgpr4_vgpr5
	s_and_saveexec_b64 s[18:19], s[4:5]
	s_cbranch_execz .LBB195_121
; %bb.117:
	s_movk_i32 s14, 0xf0
	v_bitop3_b32 v4, v0, s14, v0 bitop3:0xc
	v_mov_b32_e32 v5, 0x1878
	v_lshl_or_b32 v9, v4, 3, v5
	v_mov_b32_e32 v4, 0
	v_lshlrev_b32_e32 v6, 3, v1
	v_add_u32_e32 v7, 1, v3
	s_mov_b64 s[14:15], 0
	v_mov_b32_e32 v5, v4
.LBB195_118:                            ; =>This Inner Loop Header: Depth=1
	ds_read_b64 v[10:11], v6
	ds_read_b64 v[12:13], v9
	v_add_u32_e32 v7, -1, v7
	v_cmp_eq_u32_e32 vcc, 0, v7
	v_add_u32_e32 v9, -8, v9
	v_add_u32_e32 v6, 0x80, v6
	s_waitcnt lgkmcnt(0)
	v_pk_mul_f32 v[14:15], v[12:13], v[10:11] op_sel:[1,1] op_sel_hi:[0,1]
	v_pk_fma_f32 v[16:17], v[12:13], v[10:11], v[14:15] neg_lo:[0,0,1] neg_hi:[0,0,1]
	v_pk_fma_f32 v[10:11], v[12:13], v[10:11], v[14:15] op_sel_hi:[1,0,1]
	s_or_b64 s[14:15], vcc, s[14:15]
	v_mov_b32_e32 v17, v11
	v_pk_add_f32 v[4:5], v[4:5], v[16:17]
	s_andn2_b64 exec, exec, s[14:15]
	s_cbranch_execnz .LBB195_118
; %bb.119:
	s_or_b64 exec, exec, s[14:15]
	s_mov_b64 s[14:15], exec
	s_or_b64 exec, exec, s[18:19]
	s_and_b64 vcc, exec, s[16:17]
	s_cbranch_vccnz .LBB195_122
	s_branch .LBB195_127
.LBB195_120:
	s_mov_b64 s[14:15], 0
                                        ; implicit-def: $vgpr4_vgpr5
	s_cbranch_execnz .LBB195_122
	s_branch .LBB195_127
.LBB195_121:
	s_or_b64 exec, exec, s[18:19]
	s_and_b64 vcc, exec, s[16:17]
	s_cbranch_vccz .LBB195_127
.LBB195_122:
                                        ; implicit-def: $vgpr4_vgpr5
	s_and_saveexec_b64 s[16:17], s[4:5]
	s_cbranch_execz .LBB195_126
; %bb.123:
	v_lshlrev_b32_e32 v4, 3, v0
	v_and_b32_e32 v4, 0x780, v4
	v_lshlrev_b32_e32 v5, 3, v3
	s_movk_i32 s18, 0x1000
	v_or3_b32 v7, v4, v5, s18
	v_lshlrev_b32_e32 v4, 3, v1
	v_lshl_or_b32 v9, v3, 7, v4
	v_mov_b32_e32 v4, 0
	v_add_u32_e32 v6, -1, v3
	s_mov_b64 s[18:19], 0
	v_mov_b32_e32 v5, v4
.LBB195_124:                            ; =>This Inner Loop Header: Depth=1
	ds_read_b64 v[10:11], v9
	ds_read_b64 v[12:13], v7
	v_add_u32_e32 v6, 1, v6
	v_cmp_lt_u32_e32 vcc, 14, v6
	v_add_u32_e32 v7, 8, v7
	v_add_u32_e32 v9, 0x80, v9
	s_waitcnt lgkmcnt(0)
	v_pk_mul_f32 v[14:15], v[12:13], v[10:11] op_sel:[1,1] op_sel_hi:[0,1]
	v_pk_fma_f32 v[16:17], v[12:13], v[10:11], v[14:15] neg_lo:[0,0,1] neg_hi:[0,0,1]
	v_pk_fma_f32 v[10:11], v[12:13], v[10:11], v[14:15] op_sel_hi:[1,0,1]
	s_or_b64 s[18:19], vcc, s[18:19]
	v_mov_b32_e32 v17, v11
	v_pk_add_f32 v[4:5], v[4:5], v[16:17]
	s_andn2_b64 exec, exec, s[18:19]
	s_cbranch_execnz .LBB195_124
; %bb.125:
	s_or_b64 exec, exec, s[18:19]
	s_or_b64 s[14:15], s[14:15], exec
.LBB195_126:
	s_or_b64 exec, exec, s[16:17]
.LBB195_127:
	s_and_saveexec_b64 s[16:17], s[14:15]
; %bb.128:
	v_lshlrev_b32_e32 v6, 3, v0
	ds_write_b64 v6, v[4:5] offset:2048
; %bb.129:
	s_or_b64 exec, exec, s[16:17]
	s_bfe_u32 s14, s2, 0x1d0002
	s_mov_b32 s15, 0
	s_and_b32 s16, s3, 6
	s_lshl_b64 s[2:3], s[14:15], 17
	s_add_u32 s2, s12, s2
	s_addc_u32 s3, s13, s3
	s_mulk_i32 s16, 0x4080
	s_add_u32 s12, s2, s16
	s_addc_u32 s13, s3, 0
	s_lshl_b64 s[2:3], s[10:11], 3
	s_add_u32 s2, s12, s2
	s_addc_u32 s3, s13, s3
	s_and_b64 vcc, exec, s[0:1]
	s_waitcnt lgkmcnt(0)
	s_barrier
	s_cbranch_vccz .LBB195_134
; %bb.130:
	s_mov_b64 s[12:13], 0
	s_mov_b64 s[10:11], 0
                                        ; implicit-def: $vgpr4
	s_and_saveexec_b64 s[14:15], s[4:5]
	s_cbranch_execz .LBB195_140
; %bb.131:
	v_lshlrev_b32_e32 v5, 3, v0
	v_xor_b32_e32 v4, 15, v1
	v_and_b32_e32 v5, 0x780, v5
	v_lshlrev_b32_e32 v7, 3, v1
	s_movk_i32 s10, 0x800
	v_or3_b32 v7, v5, v7, s10
	v_lshlrev_b32_e32 v4, 3, v4
	v_lshlrev_b32_e32 v5, 7, v1
	v_sub_u32_e32 v4, v4, v5
	v_add_u32_e32 v9, 0x1780, v4
	v_mov_b32_e32 v4, 0
	v_add_u32_e32 v6, -1, v1
	s_mov_b64 s[10:11], 0
	v_mov_b32_e32 v5, v4
.LBB195_132:                            ; =>This Inner Loop Header: Depth=1
	ds_read_b64 v[10:11], v9
	ds_read_b64 v[12:13], v7
	v_add_u32_e32 v6, 1, v6
	v_cmp_lt_u32_e32 vcc, 14, v6
	v_add_u32_e32 v7, 8, v7
	v_add_u32_e32 v9, 0xffffff80, v9
	s_waitcnt lgkmcnt(0)
	v_pk_mul_f32 v[14:15], v[12:13], v[10:11] op_sel:[0,1] neg_lo:[0,1]
	s_or_b64 s[10:11], vcc, s[10:11]
	v_pk_fma_f32 v[10:11], v[10:11], v[12:13], v[14:15] op_sel:[0,0,1] op_sel_hi:[0,1,0] neg_lo:[1,0,0] neg_hi:[1,0,0]
	v_pk_add_f32 v[4:5], v[4:5], v[10:11]
	s_andn2_b64 exec, exec, s[10:11]
	s_cbranch_execnz .LBB195_132
; %bb.133:
	s_or_b64 exec, exec, s[10:11]
	s_mov_b64 s[10:11], exec
	s_or_b64 exec, exec, s[14:15]
	s_and_b64 vcc, exec, s[12:13]
	s_cbranch_vccnz .LBB195_135
	s_branch .LBB195_141
.LBB195_134:
	s_mov_b64 s[10:11], 0
                                        ; implicit-def: $vgpr4
	s_cbranch_execz .LBB195_141
.LBB195_135:
                                        ; implicit-def: $vgpr4
	s_and_saveexec_b64 s[12:13], s[4:5]
	s_cbranch_execz .LBB195_139
; %bb.136:
	v_mov_b32_e32 v4, 0x1800
	v_lshl_or_b32 v6, v1, 3, v4
	v_and_b32_e32 v0, 0xf0, v0
	v_mov_b32_e32 v4, 0x800
	v_lshl_or_b32 v0, v0, 3, v4
	v_mov_b32_e32 v4, 0
	v_add_u32_e32 v7, 1, v1
	s_mov_b64 s[4:5], 0
	v_mov_b32_e32 v5, v4
.LBB195_137:                            ; =>This Inner Loop Header: Depth=1
	ds_read_b64 v[10:11], v6
	ds_read_b64 v[12:13], v0
	v_add_u32_e32 v7, -1, v7
	v_cmp_eq_u32_e32 vcc, 0, v7
	v_add_u32_e32 v0, 8, v0
	v_add_u32_e32 v6, 0x80, v6
	s_waitcnt lgkmcnt(0)
	v_pk_mul_f32 v[14:15], v[12:13], v[10:11] op_sel:[0,1] neg_lo:[0,1]
	s_or_b64 s[4:5], vcc, s[4:5]
	v_pk_fma_f32 v[10:11], v[10:11], v[12:13], v[14:15] op_sel:[0,0,1] op_sel_hi:[0,1,0] neg_lo:[1,0,0] neg_hi:[1,0,0]
	v_pk_add_f32 v[4:5], v[4:5], v[10:11]
	s_andn2_b64 exec, exec, s[4:5]
	s_cbranch_execnz .LBB195_137
; %bb.138:
	s_or_b64 exec, exec, s[4:5]
	s_or_b64 s[10:11], s[10:11], exec
.LBB195_139:
	s_or_b64 exec, exec, s[12:13]
	s_mov_b64 s[12:13], 0x80
	s_mov_b64 s[4:5], 0x84
	s_and_saveexec_b64 s[14:15], s[10:11]
	s_cbranch_execnz .LBB195_142
	s_branch .LBB195_143
.LBB195_140:
	s_or_b64 exec, exec, s[14:15]
	s_and_b64 vcc, exec, s[12:13]
	s_cbranch_vccnz .LBB195_135
.LBB195_141:
	s_mov_b64 s[12:13], 0x4000
	s_mov_b64 s[4:5], 0x4004
	s_and_saveexec_b64 s[14:15], s[10:11]
	s_cbranch_execz .LBB195_143
.LBB195_142:
	v_lshlrev_b32_e32 v0, 3, v1
	v_lshl_or_b32 v0, v3, 10, v0
	v_mov_b32_e32 v1, 0
	v_lshl_add_u64 v[0:1], s[2:3], 0, v[0:1]
	v_lshl_add_u64 v[6:7], v[0:1], 0, s[12:13]
	v_lshl_add_u64 v[0:1], v[0:1], 0, s[4:5]
	flat_store_dword v[6:7], v4
	flat_store_dword v[0:1], v5
.LBB195_143:
	s_or_b64 exec, exec, s[14:15]
	s_and_saveexec_b64 s[4:5], s[8:9]
	s_cbranch_execz .LBB195_153
; %bb.144:
	v_mov_b32_e32 v0, 0x810
	v_cndmask_b32_e64 v4, v0, 0, s[6:7]
	s_andn2_b64 vcc, exec, s[0:1]
	s_mov_b64 s[0:1], -1
	s_cbranch_vccnz .LBB195_149
; %bb.145:
	s_mov_b32 s0, 16
	v_cmp_gt_i32_e32 vcc, 16, v2
	s_and_saveexec_b64 s[4:5], vcc
	s_cbranch_execz .LBB195_148
; %bb.146:
	v_mov_b32_e32 v3, 0
	v_lshlrev_b32_e32 v0, 3, v4
	v_mov_b32_e32 v1, v3
	v_lshl_add_u64 v[0:1], s[2:3], 0, v[0:1]
	v_lshl_add_u64 v[0:1], v[2:3], 3, v[0:1]
	v_lshlrev_b32_e32 v3, 3, v2
	v_sub_u32_e32 v3, v8, v3
	v_add_u32_e32 v3, 0x78, v3
	s_mov_b64 s[6:7], 0
	s_mov_b32 s1, 0
.LBB195_147:                            ; =>This Inner Loop Header: Depth=1
	ds_read_b64 v[6:7], v3
	s_add_i32 s0, s0, -1
	s_lshl_b64 s[8:9], s[0:1], 10
	v_cmp_le_i32_e32 vcc, s0, v2
	v_add_u32_e32 v3, 0x80, v3
	v_lshl_add_u64 v[10:11], v[0:1], 0, s[8:9]
	s_or_b64 s[6:7], vcc, s[6:7]
	s_waitcnt lgkmcnt(0)
	flat_store_dwordx2 v[10:11], v[6:7]
	s_andn2_b64 exec, exec, s[6:7]
	s_cbranch_execnz .LBB195_147
.LBB195_148:
	s_or_b64 exec, exec, s[4:5]
	s_mov_b64 s[0:1], 0
.LBB195_149:
	s_andn2_b64 vcc, exec, s[0:1]
	s_cbranch_vccnz .LBB195_153
; %bb.150:
	v_cmp_lt_i32_e32 vcc, -1, v2
	s_and_b64 exec, exec, vcc
	s_cbranch_execz .LBB195_153
; %bb.151:
	v_mov_b32_e32 v3, 0
	v_lshlrev_b32_e32 v0, 3, v4
	v_mov_b32_e32 v1, v3
	v_lshl_add_u64 v[0:1], s[2:3], 0, v[0:1]
	v_lshl_add_u32 v5, v2, 3, v8
	v_lshl_add_u64 v[0:1], v[2:3], 3, v[0:1]
	v_add_u32_e32 v2, 1, v2
	s_mov_b64 s[0:1], 0
	s_mov_b64 s[2:3], 0x400
.LBB195_152:                            ; =>This Inner Loop Header: Depth=1
	ds_read_b64 v[6:7], v5
	v_add_u32_e32 v2, -1, v2
	v_cmp_eq_u32_e32 vcc, 0, v2
	v_add_u32_e32 v5, 0x80, v5
	s_or_b64 s[0:1], vcc, s[0:1]
	s_waitcnt lgkmcnt(0)
	flat_store_dwordx2 v[0:1], v[6:7]
	v_lshl_add_u64 v[0:1], v[0:1], 0, s[2:3]
	s_andn2_b64 exec, exec, s[0:1]
	s_cbranch_execnz .LBB195_152
.LBB195_153:
	s_endpgm
	.section	.rodata,"a",@progbits
	.p2align	6, 0x0
	.amdhsa_kernel _ZL25rocblas_trtri_trsm_kernelILi128ELi16ELi8E19rocblas_complex_numIfEPKPKS1_PKPS1_Ev13rocblas_fill_17rocblas_diagonal_T3_lilT4_lli
		.amdhsa_group_segment_fixed_size 8192
		.amdhsa_private_segment_fixed_size 0
		.amdhsa_kernarg_size 68
		.amdhsa_user_sgpr_count 2
		.amdhsa_user_sgpr_dispatch_ptr 0
		.amdhsa_user_sgpr_queue_ptr 0
		.amdhsa_user_sgpr_kernarg_segment_ptr 1
		.amdhsa_user_sgpr_dispatch_id 0
		.amdhsa_user_sgpr_kernarg_preload_length 0
		.amdhsa_user_sgpr_kernarg_preload_offset 0
		.amdhsa_user_sgpr_private_segment_size 0
		.amdhsa_uses_dynamic_stack 0
		.amdhsa_enable_private_segment 0
		.amdhsa_system_sgpr_workgroup_id_x 1
		.amdhsa_system_sgpr_workgroup_id_y 0
		.amdhsa_system_sgpr_workgroup_id_z 1
		.amdhsa_system_sgpr_workgroup_info 0
		.amdhsa_system_vgpr_workitem_id 0
		.amdhsa_next_free_vgpr 22
		.amdhsa_next_free_sgpr 26
		.amdhsa_accum_offset 24
		.amdhsa_reserve_vcc 1
		.amdhsa_float_round_mode_32 0
		.amdhsa_float_round_mode_16_64 0
		.amdhsa_float_denorm_mode_32 3
		.amdhsa_float_denorm_mode_16_64 3
		.amdhsa_dx10_clamp 1
		.amdhsa_ieee_mode 1
		.amdhsa_fp16_overflow 0
		.amdhsa_tg_split 0
		.amdhsa_exception_fp_ieee_invalid_op 0
		.amdhsa_exception_fp_denorm_src 0
		.amdhsa_exception_fp_ieee_div_zero 0
		.amdhsa_exception_fp_ieee_overflow 0
		.amdhsa_exception_fp_ieee_underflow 0
		.amdhsa_exception_fp_ieee_inexact 0
		.amdhsa_exception_int_div_zero 0
	.end_amdhsa_kernel
	.section	.text._ZL25rocblas_trtri_trsm_kernelILi128ELi16ELi8E19rocblas_complex_numIfEPKPKS1_PKPS1_Ev13rocblas_fill_17rocblas_diagonal_T3_lilT4_lli,"axG",@progbits,_ZL25rocblas_trtri_trsm_kernelILi128ELi16ELi8E19rocblas_complex_numIfEPKPKS1_PKPS1_Ev13rocblas_fill_17rocblas_diagonal_T3_lilT4_lli,comdat
.Lfunc_end195:
	.size	_ZL25rocblas_trtri_trsm_kernelILi128ELi16ELi8E19rocblas_complex_numIfEPKPKS1_PKPS1_Ev13rocblas_fill_17rocblas_diagonal_T3_lilT4_lli, .Lfunc_end195-_ZL25rocblas_trtri_trsm_kernelILi128ELi16ELi8E19rocblas_complex_numIfEPKPKS1_PKPS1_Ev13rocblas_fill_17rocblas_diagonal_T3_lilT4_lli
                                        ; -- End function
	.set _ZL25rocblas_trtri_trsm_kernelILi128ELi16ELi8E19rocblas_complex_numIfEPKPKS1_PKPS1_Ev13rocblas_fill_17rocblas_diagonal_T3_lilT4_lli.num_vgpr, 22
	.set _ZL25rocblas_trtri_trsm_kernelILi128ELi16ELi8E19rocblas_complex_numIfEPKPKS1_PKPS1_Ev13rocblas_fill_17rocblas_diagonal_T3_lilT4_lli.num_agpr, 0
	.set _ZL25rocblas_trtri_trsm_kernelILi128ELi16ELi8E19rocblas_complex_numIfEPKPKS1_PKPS1_Ev13rocblas_fill_17rocblas_diagonal_T3_lilT4_lli.numbered_sgpr, 26
	.set _ZL25rocblas_trtri_trsm_kernelILi128ELi16ELi8E19rocblas_complex_numIfEPKPKS1_PKPS1_Ev13rocblas_fill_17rocblas_diagonal_T3_lilT4_lli.num_named_barrier, 0
	.set _ZL25rocblas_trtri_trsm_kernelILi128ELi16ELi8E19rocblas_complex_numIfEPKPKS1_PKPS1_Ev13rocblas_fill_17rocblas_diagonal_T3_lilT4_lli.private_seg_size, 0
	.set _ZL25rocblas_trtri_trsm_kernelILi128ELi16ELi8E19rocblas_complex_numIfEPKPKS1_PKPS1_Ev13rocblas_fill_17rocblas_diagonal_T3_lilT4_lli.uses_vcc, 1
	.set _ZL25rocblas_trtri_trsm_kernelILi128ELi16ELi8E19rocblas_complex_numIfEPKPKS1_PKPS1_Ev13rocblas_fill_17rocblas_diagonal_T3_lilT4_lli.uses_flat_scratch, 0
	.set _ZL25rocblas_trtri_trsm_kernelILi128ELi16ELi8E19rocblas_complex_numIfEPKPKS1_PKPS1_Ev13rocblas_fill_17rocblas_diagonal_T3_lilT4_lli.has_dyn_sized_stack, 0
	.set _ZL25rocblas_trtri_trsm_kernelILi128ELi16ELi8E19rocblas_complex_numIfEPKPKS1_PKPS1_Ev13rocblas_fill_17rocblas_diagonal_T3_lilT4_lli.has_recursion, 0
	.set _ZL25rocblas_trtri_trsm_kernelILi128ELi16ELi8E19rocblas_complex_numIfEPKPKS1_PKPS1_Ev13rocblas_fill_17rocblas_diagonal_T3_lilT4_lli.has_indirect_call, 0
	.section	.AMDGPU.csdata,"",@progbits
; Kernel info:
; codeLenInByte = 5812
; TotalNumSgprs: 32
; NumVgprs: 22
; NumAgprs: 0
; TotalNumVgprs: 22
; ScratchSize: 0
; MemoryBound: 0
; FloatMode: 240
; IeeeMode: 1
; LDSByteSize: 8192 bytes/workgroup (compile time only)
; SGPRBlocks: 3
; VGPRBlocks: 2
; NumSGPRsForWavesPerEU: 32
; NumVGPRsForWavesPerEU: 22
; AccumOffset: 24
; Occupancy: 8
; WaveLimiterHint : 1
; COMPUTE_PGM_RSRC2:SCRATCH_EN: 0
; COMPUTE_PGM_RSRC2:USER_SGPR: 2
; COMPUTE_PGM_RSRC2:TRAP_HANDLER: 0
; COMPUTE_PGM_RSRC2:TGID_X_EN: 1
; COMPUTE_PGM_RSRC2:TGID_Y_EN: 0
; COMPUTE_PGM_RSRC2:TGID_Z_EN: 1
; COMPUTE_PGM_RSRC2:TIDIG_COMP_CNT: 0
; COMPUTE_PGM_RSRC3_GFX90A:ACCUM_OFFSET: 5
; COMPUTE_PGM_RSRC3_GFX90A:TG_SPLIT: 0
	.section	.text._ZL18rocblas_trtri_fillILi128E19rocblas_complex_numIfEPKPS1_EvP15_rocblas_handle13rocblas_fill_ililT1_llii,"axG",@progbits,_ZL18rocblas_trtri_fillILi128E19rocblas_complex_numIfEPKPS1_EvP15_rocblas_handle13rocblas_fill_ililT1_llii,comdat
	.globl	_ZL18rocblas_trtri_fillILi128E19rocblas_complex_numIfEPKPS1_EvP15_rocblas_handle13rocblas_fill_ililT1_llii ; -- Begin function _ZL18rocblas_trtri_fillILi128E19rocblas_complex_numIfEPKPS1_EvP15_rocblas_handle13rocblas_fill_ililT1_llii
	.p2align	8
	.type	_ZL18rocblas_trtri_fillILi128E19rocblas_complex_numIfEPKPS1_EvP15_rocblas_handle13rocblas_fill_ililT1_llii,@function
_ZL18rocblas_trtri_fillILi128E19rocblas_complex_numIfEPKPS1_EvP15_rocblas_handle13rocblas_fill_ililT1_llii: ; @_ZL18rocblas_trtri_fillILi128E19rocblas_complex_numIfEPKPS1_EvP15_rocblas_handle13rocblas_fill_ililT1_llii
; %bb.0:
	s_mov_b32 s12, s3
	s_load_dword s3, s[0:1], 0x40
	s_load_dwordx2 s[8:9], s[0:1], 0x10
	s_waitcnt lgkmcnt(0)
	s_ashr_i32 s4, s3, 31
	s_mul_hi_u32 s5, s8, s3
	s_mul_i32 s4, s8, s4
	s_add_i32 s4, s5, s4
	s_mul_i32 s5, s9, s3
	s_mul_i32 s10, s8, s3
	s_mov_b32 s3, 0
	s_add_i32 s11, s4, s5
	s_lshl_b64 s[4:5], s[2:3], 7
	v_or_b32_e32 v0, s4, v0
	v_mov_b32_e32 v1, s5
	v_cmp_gt_u64_e32 vcc, s[10:11], v[0:1]
	s_and_saveexec_b64 s[4:5], vcc
	s_cbranch_execz .LBB196_16
; %bb.1:
	s_load_dword s2, s[0:1], 0x18
	s_load_dwordx4 s[4:7], s[0:1], 0x20
	s_load_dwordx2 s[14:15], s[0:1], 0x30
	s_mov_b32 s13, s3
	s_lshl_b64 s[12:13], s[12:13], 3
	s_waitcnt lgkmcnt(0)
	s_ashr_i32 s3, s2, 31
	s_add_u32 s12, s6, s12
	v_cvt_f32_u32_e32 v4, s8
	v_cvt_f32_u32_e32 v5, s9
	s_addc_u32 s13, s7, s13
	s_load_dwordx2 s[16:17], s[12:13], 0x0
	s_load_dwordx2 s[6:7], s[0:1], 0x8
	s_lshl_b64 s[12:13], s[14:15], 3
	v_fmamk_f32 v4, v5, 0x4f800000, v4
	v_rcp_f32_e32 v5, v4
	v_cvt_f32_u32_e32 v6, s8
	s_waitcnt lgkmcnt(0)
	s_add_u32 s12, s16, s12
	s_addc_u32 s13, s17, s13
	s_add_i32 s14, s7, -2
	v_cvt_f64_i32_e32 v[2:3], s14
	s_add_i32 s14, s7, -1
	s_mul_hi_i32 s15, s14, s7
	s_mul_i32 s14, s14, s7
	v_mul_f32_e32 v5, 0x5f7ffffc, v5
	v_rcp_iflag_f32_e32 v6, v6
	s_ashr_i32 s24, s7, 31
	s_lshl_b64 s[16:17], s[14:15], 2
	v_mul_f32_e32 v7, 0x2f800000, v5
	s_mov_b32 s25, s7
	s_add_u32 s7, s16, -7
	s_load_dword s16, s[0:1], 0x48
	s_load_dword s18, s[0:1], 0x54
	v_trunc_f32_e32 v7, v7
	v_fmamk_f32 v5, v7, 0xcf800000, v5
	v_cvt_u32_f32_e32 v12, v5
	v_mul_f32_e32 v5, 0x4f7ffffe, v6
	v_cvt_u32_f32_e32 v13, v7
	v_cvt_u32_f32_e32 v14, v5
	s_addc_u32 s26, s17, -1
	s_waitcnt lgkmcnt(0)
	s_and_b32 s0, s18, 0xffff
	s_mov_b32 s20, 0
	s_lshr_b64 s[14:15], s[14:15], 1
	s_mul_hi_u32 s17, s0, s16
	s_mul_i32 s16, s0, s16
	s_mov_b64 s[18:19], 0
	v_mov_b32_e32 v4, 0
	s_brev_b32 s21, 8
	v_mov_b32_e32 v15, 0x260
	s_movk_i32 s27, 0xffe0
	v_mov_b32_e32 v16, 0x100
	v_mov_b32_e32 v17, 0xffffff80
	s_branch .LBB196_3
.LBB196_2:                              ;   in Loop: Header=BB196_3 Depth=1
	v_lshl_add_u64 v[0:1], v[0:1], 0, s[16:17]
	v_cmp_le_u64_e32 vcc, s[10:11], v[0:1]
	s_or_b64 s[18:19], vcc, s[18:19]
	s_andn2_b64 exec, exec, s[18:19]
	s_cbranch_execz .LBB196_16
.LBB196_3:                              ; =>This Inner Loop Header: Depth=1
	v_or_b32_e32 v5, s9, v1
	v_cmp_ne_u64_e32 vcc, 0, v[4:5]
                                        ; implicit-def: $vgpr6_vgpr7
	s_and_saveexec_b64 s[0:1], vcc
	s_xor_b64 s[22:23], exec, s[0:1]
	s_cbranch_execz .LBB196_5
; %bb.4:                                ;   in Loop: Header=BB196_3 Depth=1
	s_sub_u32 s28, 0, s8
	v_readfirstlane_b32 s0, v12
	v_readfirstlane_b32 s31, v13
	s_subb_u32 s29, 0, s9
	s_mul_hi_u32 s30, s28, s0
	s_mul_i32 s33, s28, s31
	s_mul_i32 s1, s29, s0
	s_add_i32 s30, s30, s33
	s_add_i32 s30, s30, s1
	s_mul_i32 s34, s28, s0
	s_mul_i32 s33, s0, s30
	s_mul_hi_u32 s35, s0, s34
	s_mul_hi_u32 s1, s0, s30
	s_add_u32 s33, s35, s33
	s_addc_u32 s1, 0, s1
	s_mul_hi_u32 s36, s31, s34
	s_mul_i32 s34, s31, s34
	s_add_u32 s33, s33, s34
	s_mul_hi_u32 s35, s31, s30
	s_addc_u32 s1, s1, s36
	s_addc_u32 s33, s35, 0
	s_mul_i32 s30, s31, s30
	s_add_u32 s1, s1, s30
	s_addc_u32 s30, 0, s33
	s_add_u32 s33, s0, s1
	s_cselect_b64 s[0:1], -1, 0
	s_cmp_lg_u64 s[0:1], 0
	s_addc_u32 s30, s31, s30
	s_mul_i32 s0, s28, s30
	s_mul_hi_u32 s1, s28, s33
	s_add_i32 s0, s1, s0
	s_mul_i32 s29, s29, s33
	s_add_i32 s0, s0, s29
	s_mul_i32 s28, s28, s33
	s_mul_hi_u32 s29, s30, s28
	s_mul_i32 s31, s30, s28
	s_mul_i32 s35, s33, s0
	s_mul_hi_u32 s28, s33, s28
	s_mul_hi_u32 s34, s33, s0
	s_add_u32 s28, s28, s35
	s_addc_u32 s34, 0, s34
	s_add_u32 s28, s28, s31
	s_mul_hi_u32 s1, s30, s0
	s_addc_u32 s28, s34, s29
	s_addc_u32 s1, s1, 0
	s_mul_i32 s0, s30, s0
	s_add_u32 s0, s28, s0
	s_addc_u32 s28, 0, s1
	s_add_u32 s29, s33, s0
	s_cselect_b64 s[0:1], -1, 0
	s_cmp_lg_u64 s[0:1], 0
	s_addc_u32 s28, s30, s28
	v_mad_u64_u32 v[6:7], s[0:1], v0, s28, 0
	v_mul_hi_u32 v8, v0, s29
	v_mov_b32_e32 v9, v4
	v_lshl_add_u64 v[6:7], v[8:9], 0, v[6:7]
	v_mad_u64_u32 v[10:11], s[0:1], v1, s29, 0
	v_add_co_u32_e32 v5, vcc, v6, v10
	v_mad_u64_u32 v[8:9], s[0:1], v1, s28, 0
	s_nop 0
	v_addc_co_u32_e32 v6, vcc, v7, v11, vcc
	v_mov_b32_e32 v7, v4
	s_nop 0
	v_addc_co_u32_e32 v9, vcc, 0, v9, vcc
	v_lshl_add_u64 v[6:7], v[6:7], 0, v[8:9]
	v_mul_lo_u32 v5, s9, v6
	v_mul_lo_u32 v10, s8, v7
	v_mad_u64_u32 v[8:9], s[0:1], s8, v6, 0
	v_add3_u32 v5, v9, v10, v5
	v_sub_u32_e32 v9, v1, v5
	v_mov_b32_e32 v10, s9
	v_sub_co_u32_e32 v18, vcc, v0, v8
	s_nop 1
	v_subb_co_u32_e64 v8, s[0:1], v9, v10, vcc
	v_subrev_co_u32_e64 v9, s[0:1], s8, v18
	v_subb_co_u32_e32 v5, vcc, v1, v5, vcc
	s_nop 0
	v_subbrev_co_u32_e64 v8, s[0:1], 0, v8, s[0:1]
	v_cmp_le_u32_e64 s[0:1], s9, v8
	v_cmp_le_u32_e32 vcc, s9, v5
	s_nop 0
	v_cndmask_b32_e64 v10, 0, -1, s[0:1]
	v_cmp_le_u32_e64 s[0:1], s8, v9
	s_nop 1
	v_cndmask_b32_e64 v9, 0, -1, s[0:1]
	v_cmp_eq_u32_e64 s[0:1], s9, v8
	s_nop 1
	v_cndmask_b32_e64 v19, v10, v9, s[0:1]
	v_lshl_add_u64 v[8:9], v[6:7], 0, 2
	v_lshl_add_u64 v[10:11], v[6:7], 0, 1
	v_cmp_ne_u32_e64 s[0:1], 0, v19
	s_nop 1
	v_cndmask_b32_e64 v9, v11, v9, s[0:1]
	v_cndmask_b32_e64 v11, 0, -1, vcc
	v_cmp_le_u32_e32 vcc, s8, v18
	s_nop 1
	v_cndmask_b32_e64 v18, 0, -1, vcc
	v_cmp_eq_u32_e32 vcc, s9, v5
	s_nop 1
	v_cndmask_b32_e32 v5, v11, v18, vcc
	v_cmp_ne_u32_e32 vcc, 0, v5
	v_cndmask_b32_e64 v5, v10, v8, s[0:1]
	s_nop 0
	v_cndmask_b32_e32 v7, v7, v9, vcc
	v_cndmask_b32_e32 v6, v6, v5, vcc
.LBB196_5:                              ;   in Loop: Header=BB196_3 Depth=1
	s_andn2_saveexec_b64 s[0:1], s[22:23]
	s_cbranch_execz .LBB196_7
; %bb.6:                                ;   in Loop: Header=BB196_3 Depth=1
	s_sub_i32 s22, 0, s8
	v_mul_lo_u32 v5, s22, v14
	v_mul_hi_u32 v5, v14, v5
	v_add_u32_e32 v5, v14, v5
	v_mul_hi_u32 v5, v0, v5
	v_mul_lo_u32 v6, v5, s8
	v_sub_u32_e32 v6, v0, v6
	v_subrev_u32_e32 v7, s8, v6
	v_cmp_le_u32_e32 vcc, s8, v6
	s_nop 1
	v_cndmask_b32_e32 v6, v6, v7, vcc
	v_add_u32_e32 v7, 1, v5
	v_cndmask_b32_e32 v5, v5, v7, vcc
	v_add_u32_e32 v7, 1, v5
	v_cmp_le_u32_e32 vcc, s8, v6
	s_nop 1
	v_cndmask_b32_e32 v6, v5, v7, vcc
	v_mov_b32_e32 v7, v4
.LBB196_7:                              ;   in Loop: Header=BB196_3 Depth=1
	s_or_b64 exec, exec, s[0:1]
	v_mul_lo_u32 v5, v7, s8
	v_mul_lo_u32 v10, v6, s9
	v_mad_u64_u32 v[8:9], s[0:1], v6, s8, 0
	v_add3_u32 v5, v9, v10, v5
	v_sub_co_u32_e32 v8, vcc, v0, v8
	s_cmpk_lt_i32 s6, 0x7a
	s_nop 0
	v_subb_co_u32_e32 v9, vcc, v1, v5, vcc
	s_cbranch_scc1 .LBB196_10
; %bb.8:                                ;   in Loop: Header=BB196_3 Depth=1
	s_mov_b64 s[0:1], 0
	s_cmpk_eq_i32 s6, 0x7a
	s_mov_b64 s[22:23], 0
                                        ; implicit-def: $vgpr10_vgpr11
	s_cbranch_scc0 .LBB196_11
; %bb.9:                                ;   in Loop: Header=BB196_3 Depth=1
	v_lshlrev_b64 v[10:11], 3, v[8:9]
	v_mov_b32_e32 v5, s26
	v_sub_co_u32_e32 v18, vcc, s7, v10
	v_cvt_f64_u32_e32 v[18:19], v18
	s_nop 0
	v_subb_co_u32_e32 v5, vcc, v5, v11, vcc
	v_cvt_f64_u32_e32 v[10:11], v5
	v_ldexp_f64 v[10:11], v[10:11], 32
	v_add_f64 v[10:11], v[10:11], v[18:19]
	v_cmp_gt_f64_e32 vcc, s[20:21], v[10:11]
	s_nop 1
	v_cndmask_b32_e32 v5, 0, v16, vcc
	v_ldexp_f64 v[10:11], v[10:11], v5
	v_rsq_f64_e32 v[18:19], v[10:11]
	v_cndmask_b32_e32 v5, 0, v17, vcc
	v_cmp_class_f64_e32 vcc, v[10:11], v15
	v_mul_f64 v[20:21], v[10:11], v[18:19]
	v_mul_f64 v[18:19], v[18:19], 0.5
	v_fma_f64 v[22:23], -v[18:19], v[20:21], 0.5
	v_fmac_f64_e32 v[20:21], v[20:21], v[22:23]
	v_fma_f64 v[24:25], -v[20:21], v[20:21], v[10:11]
	v_fmac_f64_e32 v[18:19], v[18:19], v[22:23]
	v_fmac_f64_e32 v[20:21], v[24:25], v[18:19]
	v_fma_f64 v[22:23], -v[20:21], v[20:21], v[10:11]
	v_fmac_f64_e32 v[20:21], v[22:23], v[18:19]
	v_ldexp_f64 v[18:19], v[20:21], v5
	v_cndmask_b32_e32 v11, v19, v11, vcc
	v_cndmask_b32_e32 v10, v18, v10, vcc
	v_fma_f64 v[10:11], v[10:11], 0.5, -0.5
	v_floor_f64_e32 v[10:11], v[10:11]
	v_add_f64 v[10:11], v[2:3], -v[10:11]
	v_trunc_f64_e32 v[10:11], v[10:11]
	v_ldexp_f64 v[18:19], v[10:11], s27
	v_floor_f64_e32 v[18:19], v[18:19]
	v_fmac_f64_e32 v[10:11], 0xc1f00000, v[18:19]
	v_cvt_u32_f64_e32 v10, v[10:11]
	v_cvt_u32_f64_e32 v11, v[18:19]
	v_mov_b32_e32 v5, s15
	v_subrev_co_u32_e32 v18, vcc, s14, v8
	v_mul_lo_u32 v24, v6, s5
	s_nop 0
	v_subb_co_u32_e32 v19, vcc, v9, v5, vcc
	v_mov_b32_e32 v5, s24
	v_sub_co_u32_e32 v20, vcc, s25, v10
	v_mul_lo_u32 v26, v11, s2
	s_nop 0
	v_subb_co_u32_e32 v21, vcc, v5, v11, vcc
	v_lshl_add_u64 v[22:23], v[20:21], 0, -1
	v_mul_lo_u32 v5, v23, v20
	v_mul_lo_u32 v23, v22, v21
	v_mad_u64_u32 v[20:21], s[22:23], v22, v20, 0
	v_add3_u32 v21, v21, v23, v5
	v_mul_lo_u32 v5, v7, s4
	v_mad_u64_u32 v[22:23], s[22:23], v6, s4, 0
	v_add3_u32 v23, v23, v24, v5
	;; [unrolled: 3-line block ×3, first 2 shown]
	v_lshl_add_u64 v[22:23], v[22:23], 3, s[12:13]
	v_lshl_add_u64 v[22:23], v[24:25], 3, v[22:23]
	;; [unrolled: 1-line block ×4, first 2 shown]
	v_lshlrev_b64 v[18:19], 2, v[20:21]
	v_and_b32_e32 v18, -8, v18
	v_lshl_add_u64 v[18:19], v[10:11], 0, v[18:19]
	v_lshl_add_u64 v[10:11], v[18:19], 0, 8
	flat_store_dword v[18:19], v4 offset:8
	s_mov_b64 s[22:23], -1
	s_branch .LBB196_11
.LBB196_10:                             ;   in Loop: Header=BB196_3 Depth=1
	s_mov_b64 s[0:1], -1
	s_mov_b64 s[22:23], 0
                                        ; implicit-def: $vgpr10_vgpr11
.LBB196_11:                             ;   in Loop: Header=BB196_3 Depth=1
	s_and_b64 vcc, exec, s[0:1]
	s_cbranch_vccz .LBB196_14
; %bb.12:                               ;   in Loop: Header=BB196_3 Depth=1
	s_cmpk_eq_i32 s6, 0x79
                                        ; implicit-def: $vgpr10_vgpr11
	s_cbranch_scc0 .LBB196_14
; %bb.13:                               ;   in Loop: Header=BB196_3 Depth=1
	v_lshlrev_b64 v[10:11], 3, v[8:9]
	v_or_b32_e32 v5, 1, v10
	v_cvt_f64_u32_e32 v[10:11], v11
	v_ldexp_f64 v[10:11], v[10:11], 32
	v_cvt_f64_u32_e32 v[18:19], v5
	v_add_f64 v[10:11], v[10:11], v[18:19]
	v_cmp_gt_f64_e32 vcc, s[20:21], v[10:11]
	s_mov_b64 s[22:23], -1
	s_nop 0
	v_cndmask_b32_e32 v5, 0, v16, vcc
	v_ldexp_f64 v[10:11], v[10:11], v5
	v_rsq_f64_e32 v[18:19], v[10:11]
	v_cndmask_b32_e32 v5, 0, v17, vcc
	v_cmp_class_f64_e32 vcc, v[10:11], v15
	v_mul_f64 v[20:21], v[10:11], v[18:19]
	v_mul_f64 v[18:19], v[18:19], 0.5
	v_fma_f64 v[22:23], -v[18:19], v[20:21], 0.5
	v_fmac_f64_e32 v[20:21], v[20:21], v[22:23]
	v_fma_f64 v[24:25], -v[20:21], v[20:21], v[10:11]
	v_fmac_f64_e32 v[18:19], v[18:19], v[22:23]
	v_fmac_f64_e32 v[20:21], v[24:25], v[18:19]
	v_fma_f64 v[22:23], -v[20:21], v[20:21], v[10:11]
	v_fmac_f64_e32 v[20:21], v[22:23], v[18:19]
	v_ldexp_f64 v[18:19], v[20:21], v5
	v_cndmask_b32_e32 v11, v19, v11, vcc
	v_cndmask_b32_e32 v10, v18, v10, vcc
	v_add_f64 v[10:11], v[10:11], -1.0
	v_mul_f64 v[10:11], v[10:11], 0.5
	v_trunc_f64_e32 v[10:11], v[10:11]
	v_ldexp_f64 v[18:19], v[10:11], s27
	v_floor_f64_e32 v[18:19], v[18:19]
	v_fmac_f64_e32 v[10:11], 0xc1f00000, v[18:19]
	v_cvt_u32_f64_e32 v10, v[10:11]
	v_cvt_u32_f64_e32 v11, v[18:19]
	v_mad_u64_u32 v[18:19], s[0:1], v10, v10, v[10:11]
	v_mul_lo_u32 v5, v10, v11
	v_add3_u32 v19, v5, v19, v5
	v_lshrrev_b64 v[18:19], 1, v[18:19]
	v_sub_co_u32_e32 v8, vcc, v8, v18
	v_mul_lo_u32 v5, v7, s4
	v_mul_lo_u32 v18, v6, s5
	v_mad_u64_u32 v[6:7], s[0:1], v6, s4, 0
	v_subb_co_u32_e32 v9, vcc, v9, v19, vcc
	v_add3_u32 v7, v7, v18, v5
	v_mov_b64_e32 v[18:19], s[2:3]
	v_mul_lo_u32 v5, s3, v10
	v_mad_u64_u32 v[18:19], s[0:1], s2, v10, v[18:19]
	v_mul_lo_u32 v10, s2, v11
	v_add3_u32 v19, v5, v19, v10
	v_lshl_add_u64 v[6:7], v[6:7], 3, s[12:13]
	v_lshl_add_u64 v[6:7], v[18:19], 3, v[6:7]
	;; [unrolled: 1-line block ×3, first 2 shown]
	flat_store_dword v[10:11], v4
.LBB196_14:                             ;   in Loop: Header=BB196_3 Depth=1
	s_and_b64 vcc, exec, s[22:23]
	s_cbranch_vccz .LBB196_2
; %bb.15:                               ;   in Loop: Header=BB196_3 Depth=1
	flat_store_dword v[10:11], v4 offset:4
	s_branch .LBB196_2
.LBB196_16:
	s_endpgm
	.section	.rodata,"a",@progbits
	.p2align	6, 0x0
	.amdhsa_kernel _ZL18rocblas_trtri_fillILi128E19rocblas_complex_numIfEPKPS1_EvP15_rocblas_handle13rocblas_fill_ililT1_llii
		.amdhsa_group_segment_fixed_size 0
		.amdhsa_private_segment_fixed_size 0
		.amdhsa_kernarg_size 328
		.amdhsa_user_sgpr_count 2
		.amdhsa_user_sgpr_dispatch_ptr 0
		.amdhsa_user_sgpr_queue_ptr 0
		.amdhsa_user_sgpr_kernarg_segment_ptr 1
		.amdhsa_user_sgpr_dispatch_id 0
		.amdhsa_user_sgpr_kernarg_preload_length 0
		.amdhsa_user_sgpr_kernarg_preload_offset 0
		.amdhsa_user_sgpr_private_segment_size 0
		.amdhsa_uses_dynamic_stack 0
		.amdhsa_enable_private_segment 0
		.amdhsa_system_sgpr_workgroup_id_x 1
		.amdhsa_system_sgpr_workgroup_id_y 0
		.amdhsa_system_sgpr_workgroup_id_z 1
		.amdhsa_system_sgpr_workgroup_info 0
		.amdhsa_system_vgpr_workitem_id 0
		.amdhsa_next_free_vgpr 27
		.amdhsa_next_free_sgpr 37
		.amdhsa_accum_offset 28
		.amdhsa_reserve_vcc 1
		.amdhsa_float_round_mode_32 0
		.amdhsa_float_round_mode_16_64 0
		.amdhsa_float_denorm_mode_32 3
		.amdhsa_float_denorm_mode_16_64 3
		.amdhsa_dx10_clamp 1
		.amdhsa_ieee_mode 1
		.amdhsa_fp16_overflow 0
		.amdhsa_tg_split 0
		.amdhsa_exception_fp_ieee_invalid_op 0
		.amdhsa_exception_fp_denorm_src 0
		.amdhsa_exception_fp_ieee_div_zero 0
		.amdhsa_exception_fp_ieee_overflow 0
		.amdhsa_exception_fp_ieee_underflow 0
		.amdhsa_exception_fp_ieee_inexact 0
		.amdhsa_exception_int_div_zero 0
	.end_amdhsa_kernel
	.section	.text._ZL18rocblas_trtri_fillILi128E19rocblas_complex_numIfEPKPS1_EvP15_rocblas_handle13rocblas_fill_ililT1_llii,"axG",@progbits,_ZL18rocblas_trtri_fillILi128E19rocblas_complex_numIfEPKPS1_EvP15_rocblas_handle13rocblas_fill_ililT1_llii,comdat
.Lfunc_end196:
	.size	_ZL18rocblas_trtri_fillILi128E19rocblas_complex_numIfEPKPS1_EvP15_rocblas_handle13rocblas_fill_ililT1_llii, .Lfunc_end196-_ZL18rocblas_trtri_fillILi128E19rocblas_complex_numIfEPKPS1_EvP15_rocblas_handle13rocblas_fill_ililT1_llii
                                        ; -- End function
	.set _ZL18rocblas_trtri_fillILi128E19rocblas_complex_numIfEPKPS1_EvP15_rocblas_handle13rocblas_fill_ililT1_llii.num_vgpr, 27
	.set _ZL18rocblas_trtri_fillILi128E19rocblas_complex_numIfEPKPS1_EvP15_rocblas_handle13rocblas_fill_ililT1_llii.num_agpr, 0
	.set _ZL18rocblas_trtri_fillILi128E19rocblas_complex_numIfEPKPS1_EvP15_rocblas_handle13rocblas_fill_ililT1_llii.numbered_sgpr, 37
	.set _ZL18rocblas_trtri_fillILi128E19rocblas_complex_numIfEPKPS1_EvP15_rocblas_handle13rocblas_fill_ililT1_llii.num_named_barrier, 0
	.set _ZL18rocblas_trtri_fillILi128E19rocblas_complex_numIfEPKPS1_EvP15_rocblas_handle13rocblas_fill_ililT1_llii.private_seg_size, 0
	.set _ZL18rocblas_trtri_fillILi128E19rocblas_complex_numIfEPKPS1_EvP15_rocblas_handle13rocblas_fill_ililT1_llii.uses_vcc, 1
	.set _ZL18rocblas_trtri_fillILi128E19rocblas_complex_numIfEPKPS1_EvP15_rocblas_handle13rocblas_fill_ililT1_llii.uses_flat_scratch, 0
	.set _ZL18rocblas_trtri_fillILi128E19rocblas_complex_numIfEPKPS1_EvP15_rocblas_handle13rocblas_fill_ililT1_llii.has_dyn_sized_stack, 0
	.set _ZL18rocblas_trtri_fillILi128E19rocblas_complex_numIfEPKPS1_EvP15_rocblas_handle13rocblas_fill_ililT1_llii.has_recursion, 0
	.set _ZL18rocblas_trtri_fillILi128E19rocblas_complex_numIfEPKPS1_EvP15_rocblas_handle13rocblas_fill_ililT1_llii.has_indirect_call, 0
	.section	.AMDGPU.csdata,"",@progbits
; Kernel info:
; codeLenInByte = 1896
; TotalNumSgprs: 43
; NumVgprs: 27
; NumAgprs: 0
; TotalNumVgprs: 27
; ScratchSize: 0
; MemoryBound: 0
; FloatMode: 240
; IeeeMode: 1
; LDSByteSize: 0 bytes/workgroup (compile time only)
; SGPRBlocks: 5
; VGPRBlocks: 3
; NumSGPRsForWavesPerEU: 43
; NumVGPRsForWavesPerEU: 27
; AccumOffset: 28
; Occupancy: 8
; WaveLimiterHint : 1
; COMPUTE_PGM_RSRC2:SCRATCH_EN: 0
; COMPUTE_PGM_RSRC2:USER_SGPR: 2
; COMPUTE_PGM_RSRC2:TRAP_HANDLER: 0
; COMPUTE_PGM_RSRC2:TGID_X_EN: 1
; COMPUTE_PGM_RSRC2:TGID_Y_EN: 0
; COMPUTE_PGM_RSRC2:TGID_Z_EN: 1
; COMPUTE_PGM_RSRC2:TIDIG_COMP_CNT: 0
; COMPUTE_PGM_RSRC3_GFX90A:ACCUM_OFFSET: 6
; COMPUTE_PGM_RSRC3_GFX90A:TG_SPLIT: 0
	.section	.text._ZL24rocblas_copy_matrix_trsmILi128ELi8E19rocblas_complex_numIfEPKPKS1_PKPS1_EviiiT2_ilT3_illli,"axG",@progbits,_ZL24rocblas_copy_matrix_trsmILi128ELi8E19rocblas_complex_numIfEPKPKS1_PKPS1_EviiiT2_ilT3_illli,comdat
	.globl	_ZL24rocblas_copy_matrix_trsmILi128ELi8E19rocblas_complex_numIfEPKPKS1_PKPS1_EviiiT2_ilT3_illli ; -- Begin function _ZL24rocblas_copy_matrix_trsmILi128ELi8E19rocblas_complex_numIfEPKPKS1_PKPS1_EviiiT2_ilT3_illli
	.p2align	8
	.type	_ZL24rocblas_copy_matrix_trsmILi128ELi8E19rocblas_complex_numIfEPKPKS1_PKPS1_EviiiT2_ilT3_illli,@function
_ZL24rocblas_copy_matrix_trsmILi128ELi8E19rocblas_complex_numIfEPKPKS1_PKPS1_EviiiT2_ilT3_illli: ; @_ZL24rocblas_copy_matrix_trsmILi128ELi8E19rocblas_complex_numIfEPKPKS1_PKPS1_EviiiT2_ilT3_illli
; %bb.0:
	s_load_dwordx2 s[8:9], s[0:1], 0x0
	v_and_b32_e32 v1, 0x3ff, v0
	v_mov_b32_e32 v3, 0
	v_bfe_u32 v0, v0, 10, 10
	v_lshl_add_u32 v2, s2, 7, v1
	v_lshl_add_u32 v0, s3, 3, v0
	v_mov_b32_e32 v1, v3
	s_waitcnt lgkmcnt(0)
	s_ashr_i32 s7, s9, 31
	s_mov_b32 s6, s9
	s_ashr_i32 s9, s8, 31
	v_cmp_gt_u64_e32 vcc, s[8:9], v[2:3]
	v_cmp_gt_u64_e64 s[2:3], s[6:7], v[0:1]
	s_and_b64 s[2:3], vcc, s[2:3]
	s_and_saveexec_b64 s[8:9], s[2:3]
	s_cbranch_execz .LBB197_3
; %bb.1:
	s_load_dword s18, s[0:1], 0x18
	s_load_dword s19, s[0:1], 0x30
	s_load_dwordx2 s[2:3], s[0:1], 0x10
	s_load_dwordx2 s[12:13], s[0:1], 0x28
	s_mov_b32 s5, 0
	s_waitcnt lgkmcnt(0)
	s_ashr_i32 s20, s18, 31
	s_ashr_i32 s21, s19, 31
	s_lshl_b64 s[14:15], s[4:5], 3
	s_add_u32 s2, s2, s14
	s_addc_u32 s3, s3, s15
	s_load_dwordx4 s[8:11], s[0:1], 0x40
	s_load_dword s4, s[0:1], 0x5c
	s_load_dwordx2 s[16:17], s[2:3], 0x0
	v_mad_u64_u32 v[4:5], s[2:3], s19, v0, 0
	v_mov_b32_e32 v6, v5
	s_add_u32 s0, s12, s14
	v_mad_u64_u32 v[6:7], s[2:3], s21, v0, v[6:7]
	s_addc_u32 s1, s13, s15
	v_mov_b32_e32 v5, v6
	s_waitcnt lgkmcnt(0)
	s_lshl_b64 s[2:3], s[10:11], 3
	s_load_dwordx2 s[0:1], s[0:1], 0x0
	v_lshl_add_u64 v[4:5], v[4:5], 3, s[2:3]
	v_lshlrev_b64 v[6:7], 3, v[2:3]
	v_lshl_add_u64 v[2:3], v[4:5], 0, v[6:7]
	v_mad_u64_u32 v[4:5], s[2:3], s18, v0, 0
	v_mov_b32_e32 v8, v5
	v_mad_u64_u32 v[8:9], s[2:3], s20, v0, v[8:9]
	s_lshl_b32 s4, s4, 3
	v_mov_b32_e32 v5, v8
	s_lshl_b64 s[2:3], s[8:9], 3
	s_waitcnt lgkmcnt(0)
	v_lshl_add_u64 v[2:3], s[0:1], 0, v[2:3]
	s_mul_i32 s21, s21, s4
	s_mul_hi_u32 s0, s19, s4
	v_lshl_add_u64 v[4:5], v[4:5], 3, s[2:3]
	s_mul_i32 s20, s20, s4
	s_mul_hi_u32 s2, s18, s4
	s_add_i32 s1, s0, s21
	s_mul_i32 s0, s19, s4
	v_lshl_add_u64 v[4:5], v[4:5], 0, v[6:7]
	s_add_i32 s3, s2, s20
	s_mul_i32 s2, s18, s4
	s_lshl_b64 s[0:1], s[0:1], 3
	v_lshl_add_u64 v[4:5], s[16:17], 0, v[4:5]
	s_lshl_b64 s[2:3], s[2:3], 3
	s_mov_b64 s[8:9], 0
.LBB197_2:                              ; =>This Inner Loop Header: Depth=1
	flat_load_dwordx2 v[6:7], v[4:5]
	v_lshl_add_u64 v[0:1], v[0:1], 0, s[4:5]
	v_cmp_le_u64_e32 vcc, s[6:7], v[0:1]
	v_lshl_add_u64 v[4:5], v[4:5], 0, s[2:3]
	s_or_b64 s[8:9], vcc, s[8:9]
	s_waitcnt vmcnt(0) lgkmcnt(0)
	flat_store_dwordx2 v[2:3], v[6:7]
	v_lshl_add_u64 v[2:3], v[2:3], 0, s[0:1]
	s_andn2_b64 exec, exec, s[8:9]
	s_cbranch_execnz .LBB197_2
.LBB197_3:
	s_endpgm
	.section	.rodata,"a",@progbits
	.p2align	6, 0x0
	.amdhsa_kernel _ZL24rocblas_copy_matrix_trsmILi128ELi8E19rocblas_complex_numIfEPKPKS1_PKPS1_EviiiT2_ilT3_illli
		.amdhsa_group_segment_fixed_size 0
		.amdhsa_private_segment_fixed_size 0
		.amdhsa_kernarg_size 344
		.amdhsa_user_sgpr_count 2
		.amdhsa_user_sgpr_dispatch_ptr 0
		.amdhsa_user_sgpr_queue_ptr 0
		.amdhsa_user_sgpr_kernarg_segment_ptr 1
		.amdhsa_user_sgpr_dispatch_id 0
		.amdhsa_user_sgpr_kernarg_preload_length 0
		.amdhsa_user_sgpr_kernarg_preload_offset 0
		.amdhsa_user_sgpr_private_segment_size 0
		.amdhsa_uses_dynamic_stack 0
		.amdhsa_enable_private_segment 0
		.amdhsa_system_sgpr_workgroup_id_x 1
		.amdhsa_system_sgpr_workgroup_id_y 1
		.amdhsa_system_sgpr_workgroup_id_z 1
		.amdhsa_system_sgpr_workgroup_info 0
		.amdhsa_system_vgpr_workitem_id 1
		.amdhsa_next_free_vgpr 10
		.amdhsa_next_free_sgpr 22
		.amdhsa_accum_offset 12
		.amdhsa_reserve_vcc 1
		.amdhsa_float_round_mode_32 0
		.amdhsa_float_round_mode_16_64 0
		.amdhsa_float_denorm_mode_32 3
		.amdhsa_float_denorm_mode_16_64 3
		.amdhsa_dx10_clamp 1
		.amdhsa_ieee_mode 1
		.amdhsa_fp16_overflow 0
		.amdhsa_tg_split 0
		.amdhsa_exception_fp_ieee_invalid_op 0
		.amdhsa_exception_fp_denorm_src 0
		.amdhsa_exception_fp_ieee_div_zero 0
		.amdhsa_exception_fp_ieee_overflow 0
		.amdhsa_exception_fp_ieee_underflow 0
		.amdhsa_exception_fp_ieee_inexact 0
		.amdhsa_exception_int_div_zero 0
	.end_amdhsa_kernel
	.section	.text._ZL24rocblas_copy_matrix_trsmILi128ELi8E19rocblas_complex_numIfEPKPKS1_PKPS1_EviiiT2_ilT3_illli,"axG",@progbits,_ZL24rocblas_copy_matrix_trsmILi128ELi8E19rocblas_complex_numIfEPKPKS1_PKPS1_EviiiT2_ilT3_illli,comdat
.Lfunc_end197:
	.size	_ZL24rocblas_copy_matrix_trsmILi128ELi8E19rocblas_complex_numIfEPKPKS1_PKPS1_EviiiT2_ilT3_illli, .Lfunc_end197-_ZL24rocblas_copy_matrix_trsmILi128ELi8E19rocblas_complex_numIfEPKPKS1_PKPS1_EviiiT2_ilT3_illli
                                        ; -- End function
	.set _ZL24rocblas_copy_matrix_trsmILi128ELi8E19rocblas_complex_numIfEPKPKS1_PKPS1_EviiiT2_ilT3_illli.num_vgpr, 10
	.set _ZL24rocblas_copy_matrix_trsmILi128ELi8E19rocblas_complex_numIfEPKPKS1_PKPS1_EviiiT2_ilT3_illli.num_agpr, 0
	.set _ZL24rocblas_copy_matrix_trsmILi128ELi8E19rocblas_complex_numIfEPKPKS1_PKPS1_EviiiT2_ilT3_illli.numbered_sgpr, 22
	.set _ZL24rocblas_copy_matrix_trsmILi128ELi8E19rocblas_complex_numIfEPKPKS1_PKPS1_EviiiT2_ilT3_illli.num_named_barrier, 0
	.set _ZL24rocblas_copy_matrix_trsmILi128ELi8E19rocblas_complex_numIfEPKPKS1_PKPS1_EviiiT2_ilT3_illli.private_seg_size, 0
	.set _ZL24rocblas_copy_matrix_trsmILi128ELi8E19rocblas_complex_numIfEPKPKS1_PKPS1_EviiiT2_ilT3_illli.uses_vcc, 1
	.set _ZL24rocblas_copy_matrix_trsmILi128ELi8E19rocblas_complex_numIfEPKPKS1_PKPS1_EviiiT2_ilT3_illli.uses_flat_scratch, 0
	.set _ZL24rocblas_copy_matrix_trsmILi128ELi8E19rocblas_complex_numIfEPKPKS1_PKPS1_EviiiT2_ilT3_illli.has_dyn_sized_stack, 0
	.set _ZL24rocblas_copy_matrix_trsmILi128ELi8E19rocblas_complex_numIfEPKPKS1_PKPS1_EviiiT2_ilT3_illli.has_recursion, 0
	.set _ZL24rocblas_copy_matrix_trsmILi128ELi8E19rocblas_complex_numIfEPKPKS1_PKPS1_EviiiT2_ilT3_illli.has_indirect_call, 0
	.section	.AMDGPU.csdata,"",@progbits
; Kernel info:
; codeLenInByte = 420
; TotalNumSgprs: 28
; NumVgprs: 10
; NumAgprs: 0
; TotalNumVgprs: 10
; ScratchSize: 0
; MemoryBound: 0
; FloatMode: 240
; IeeeMode: 1
; LDSByteSize: 0 bytes/workgroup (compile time only)
; SGPRBlocks: 3
; VGPRBlocks: 1
; NumSGPRsForWavesPerEU: 28
; NumVGPRsForWavesPerEU: 10
; AccumOffset: 12
; Occupancy: 8
; WaveLimiterHint : 0
; COMPUTE_PGM_RSRC2:SCRATCH_EN: 0
; COMPUTE_PGM_RSRC2:USER_SGPR: 2
; COMPUTE_PGM_RSRC2:TRAP_HANDLER: 0
; COMPUTE_PGM_RSRC2:TGID_X_EN: 1
; COMPUTE_PGM_RSRC2:TGID_Y_EN: 1
; COMPUTE_PGM_RSRC2:TGID_Z_EN: 1
; COMPUTE_PGM_RSRC2:TIDIG_COMP_CNT: 1
; COMPUTE_PGM_RSRC3_GFX90A:ACCUM_OFFSET: 2
; COMPUTE_PGM_RSRC3_GFX90A:TG_SPLIT: 0
	.section	.text._ZL23rocblas_set_matrix_trsmILi128ELi8E19rocblas_complex_numIdEPKPS1_EvlliT2_llT1_li,"axG",@progbits,_ZL23rocblas_set_matrix_trsmILi128ELi8E19rocblas_complex_numIdEPKPS1_EvlliT2_llT1_li,comdat
	.globl	_ZL23rocblas_set_matrix_trsmILi128ELi8E19rocblas_complex_numIdEPKPS1_EvlliT2_llT1_li ; -- Begin function _ZL23rocblas_set_matrix_trsmILi128ELi8E19rocblas_complex_numIdEPKPS1_EvlliT2_llT1_li
	.p2align	8
	.type	_ZL23rocblas_set_matrix_trsmILi128ELi8E19rocblas_complex_numIdEPKPS1_EvlliT2_llT1_li,@function
_ZL23rocblas_set_matrix_trsmILi128ELi8E19rocblas_complex_numIdEPKPS1_EvlliT2_llT1_li: ; @_ZL23rocblas_set_matrix_trsmILi128ELi8E19rocblas_complex_numIdEPKPS1_EvlliT2_llT1_li
; %bb.0:
	s_load_dwordx4 s[8:11], s[0:1], 0x0
	v_and_b32_e32 v1, 0x3ff, v0
	v_mov_b32_e32 v3, 0
	v_bfe_u32 v0, v0, 10, 10
	v_lshl_add_u32 v2, s2, 7, v1
	v_lshl_add_u32 v0, s3, 3, v0
	v_mov_b32_e32 v1, v3
	s_waitcnt lgkmcnt(0)
	v_cmp_gt_u64_e32 vcc, s[8:9], v[2:3]
	v_cmp_gt_u64_e64 s[2:3], s[10:11], v[0:1]
	s_and_b64 s[2:3], vcc, s[2:3]
	s_and_saveexec_b64 s[6:7], s[2:3]
	s_cbranch_execz .LBB198_2
; %bb.1:
	s_load_dwordx4 s[8:11], s[0:1], 0x18
	s_load_dwordx2 s[2:3], s[0:1], 0x40
	s_mov_b32 s5, 0
	s_lshl_b64 s[0:1], s[4:5], 3
	s_waitcnt lgkmcnt(0)
	s_add_u32 s0, s8, s0
	s_addc_u32 s1, s9, s1
	s_load_dwordx2 s[0:1], s[0:1], 0x0
	v_mad_u64_u32 v[4:5], s[4:5], s10, v0, 0
	s_lshl_b64 s[2:3], s[2:3], 4
	v_mov_b32_e32 v6, v5
	s_waitcnt lgkmcnt(0)
	s_add_u32 s0, s0, s2
	s_addc_u32 s1, s1, s3
	v_mad_u64_u32 v[0:1], s[2:3], s11, v0, v[6:7]
	v_mov_b32_e32 v5, v0
	v_lshl_add_u64 v[0:1], v[4:5], 4, s[0:1]
	v_lshl_add_u64 v[0:1], v[2:3], 4, v[0:1]
	v_mov_b32_e32 v2, v3
	v_mov_b32_e32 v4, v3
	;; [unrolled: 1-line block ×3, first 2 shown]
	flat_store_dwordx4 v[0:1], v[2:5]
.LBB198_2:
	s_endpgm
	.section	.rodata,"a",@progbits
	.p2align	6, 0x0
	.amdhsa_kernel _ZL23rocblas_set_matrix_trsmILi128ELi8E19rocblas_complex_numIdEPKPS1_EvlliT2_llT1_li
		.amdhsa_group_segment_fixed_size 0
		.amdhsa_private_segment_fixed_size 0
		.amdhsa_kernarg_size 76
		.amdhsa_user_sgpr_count 2
		.amdhsa_user_sgpr_dispatch_ptr 0
		.amdhsa_user_sgpr_queue_ptr 0
		.amdhsa_user_sgpr_kernarg_segment_ptr 1
		.amdhsa_user_sgpr_dispatch_id 0
		.amdhsa_user_sgpr_kernarg_preload_length 0
		.amdhsa_user_sgpr_kernarg_preload_offset 0
		.amdhsa_user_sgpr_private_segment_size 0
		.amdhsa_uses_dynamic_stack 0
		.amdhsa_enable_private_segment 0
		.amdhsa_system_sgpr_workgroup_id_x 1
		.amdhsa_system_sgpr_workgroup_id_y 1
		.amdhsa_system_sgpr_workgroup_id_z 1
		.amdhsa_system_sgpr_workgroup_info 0
		.amdhsa_system_vgpr_workitem_id 1
		.amdhsa_next_free_vgpr 8
		.amdhsa_next_free_sgpr 12
		.amdhsa_accum_offset 8
		.amdhsa_reserve_vcc 1
		.amdhsa_float_round_mode_32 0
		.amdhsa_float_round_mode_16_64 0
		.amdhsa_float_denorm_mode_32 3
		.amdhsa_float_denorm_mode_16_64 3
		.amdhsa_dx10_clamp 1
		.amdhsa_ieee_mode 1
		.amdhsa_fp16_overflow 0
		.amdhsa_tg_split 0
		.amdhsa_exception_fp_ieee_invalid_op 0
		.amdhsa_exception_fp_denorm_src 0
		.amdhsa_exception_fp_ieee_div_zero 0
		.amdhsa_exception_fp_ieee_overflow 0
		.amdhsa_exception_fp_ieee_underflow 0
		.amdhsa_exception_fp_ieee_inexact 0
		.amdhsa_exception_int_div_zero 0
	.end_amdhsa_kernel
	.section	.text._ZL23rocblas_set_matrix_trsmILi128ELi8E19rocblas_complex_numIdEPKPS1_EvlliT2_llT1_li,"axG",@progbits,_ZL23rocblas_set_matrix_trsmILi128ELi8E19rocblas_complex_numIdEPKPS1_EvlliT2_llT1_li,comdat
.Lfunc_end198:
	.size	_ZL23rocblas_set_matrix_trsmILi128ELi8E19rocblas_complex_numIdEPKPS1_EvlliT2_llT1_li, .Lfunc_end198-_ZL23rocblas_set_matrix_trsmILi128ELi8E19rocblas_complex_numIdEPKPS1_EvlliT2_llT1_li
                                        ; -- End function
	.set _ZL23rocblas_set_matrix_trsmILi128ELi8E19rocblas_complex_numIdEPKPS1_EvlliT2_llT1_li.num_vgpr, 8
	.set _ZL23rocblas_set_matrix_trsmILi128ELi8E19rocblas_complex_numIdEPKPS1_EvlliT2_llT1_li.num_agpr, 0
	.set _ZL23rocblas_set_matrix_trsmILi128ELi8E19rocblas_complex_numIdEPKPS1_EvlliT2_llT1_li.numbered_sgpr, 12
	.set _ZL23rocblas_set_matrix_trsmILi128ELi8E19rocblas_complex_numIdEPKPS1_EvlliT2_llT1_li.num_named_barrier, 0
	.set _ZL23rocblas_set_matrix_trsmILi128ELi8E19rocblas_complex_numIdEPKPS1_EvlliT2_llT1_li.private_seg_size, 0
	.set _ZL23rocblas_set_matrix_trsmILi128ELi8E19rocblas_complex_numIdEPKPS1_EvlliT2_llT1_li.uses_vcc, 1
	.set _ZL23rocblas_set_matrix_trsmILi128ELi8E19rocblas_complex_numIdEPKPS1_EvlliT2_llT1_li.uses_flat_scratch, 0
	.set _ZL23rocblas_set_matrix_trsmILi128ELi8E19rocblas_complex_numIdEPKPS1_EvlliT2_llT1_li.has_dyn_sized_stack, 0
	.set _ZL23rocblas_set_matrix_trsmILi128ELi8E19rocblas_complex_numIdEPKPS1_EvlliT2_llT1_li.has_recursion, 0
	.set _ZL23rocblas_set_matrix_trsmILi128ELi8E19rocblas_complex_numIdEPKPS1_EvlliT2_llT1_li.has_indirect_call, 0
	.section	.AMDGPU.csdata,"",@progbits
; Kernel info:
; codeLenInByte = 200
; TotalNumSgprs: 18
; NumVgprs: 8
; NumAgprs: 0
; TotalNumVgprs: 8
; ScratchSize: 0
; MemoryBound: 0
; FloatMode: 240
; IeeeMode: 1
; LDSByteSize: 0 bytes/workgroup (compile time only)
; SGPRBlocks: 2
; VGPRBlocks: 0
; NumSGPRsForWavesPerEU: 18
; NumVGPRsForWavesPerEU: 8
; AccumOffset: 8
; Occupancy: 8
; WaveLimiterHint : 1
; COMPUTE_PGM_RSRC2:SCRATCH_EN: 0
; COMPUTE_PGM_RSRC2:USER_SGPR: 2
; COMPUTE_PGM_RSRC2:TRAP_HANDLER: 0
; COMPUTE_PGM_RSRC2:TGID_X_EN: 1
; COMPUTE_PGM_RSRC2:TGID_Y_EN: 1
; COMPUTE_PGM_RSRC2:TGID_Z_EN: 1
; COMPUTE_PGM_RSRC2:TIDIG_COMP_CNT: 1
; COMPUTE_PGM_RSRC3_GFX90A:ACCUM_OFFSET: 1
; COMPUTE_PGM_RSRC3_GFX90A:TG_SPLIT: 0
	.section	.text._ZL38rocblas_trsm_small_left_device_sharedBILi4ELi4ELb0E19rocblas_complex_numIdES1_PKPKS1_PKPS1_Ev13rocblas_fill_18rocblas_operation_17rocblas_diagonal_iiT3_T4_lilT5_lili,"axG",@progbits,_ZL38rocblas_trsm_small_left_device_sharedBILi4ELi4ELb0E19rocblas_complex_numIdES1_PKPKS1_PKPS1_Ev13rocblas_fill_18rocblas_operation_17rocblas_diagonal_iiT3_T4_lilT5_lili,comdat
	.globl	_ZL38rocblas_trsm_small_left_device_sharedBILi4ELi4ELb0E19rocblas_complex_numIdES1_PKPKS1_PKPS1_Ev13rocblas_fill_18rocblas_operation_17rocblas_diagonal_iiT3_T4_lilT5_lili ; -- Begin function _ZL38rocblas_trsm_small_left_device_sharedBILi4ELi4ELb0E19rocblas_complex_numIdES1_PKPKS1_PKPS1_Ev13rocblas_fill_18rocblas_operation_17rocblas_diagonal_iiT3_T4_lilT5_lili
	.p2align	8
	.type	_ZL38rocblas_trsm_small_left_device_sharedBILi4ELi4ELb0E19rocblas_complex_numIdES1_PKPKS1_PKPS1_Ev13rocblas_fill_18rocblas_operation_17rocblas_diagonal_iiT3_T4_lilT5_lili,@function
_ZL38rocblas_trsm_small_left_device_sharedBILi4ELi4ELb0E19rocblas_complex_numIdES1_PKPKS1_PKPS1_Ev13rocblas_fill_18rocblas_operation_17rocblas_diagonal_iiT3_T4_lilT5_lili: ; @_ZL38rocblas_trsm_small_left_device_sharedBILi4ELi4ELb0E19rocblas_complex_numIdES1_PKPKS1_PKPS1_Ev13rocblas_fill_18rocblas_operation_17rocblas_diagonal_iiT3_T4_lilT5_lili
; %bb.0:
	s_load_dwordx4 s[12:15], s[0:1], 0x4
	s_load_dwordx4 s[16:19], s[0:1], 0x48
	s_load_dwordx8 s[4:11], s[0:1], 0x18
	s_mov_b32 s20, s3
	s_mov_b32 s21, 0
	s_lshl_b64 s[22:23], s[20:21], 3
	s_waitcnt lgkmcnt(0)
	s_add_u32 s16, s16, s22
	s_addc_u32 s17, s17, s23
	s_load_dword s3, s[0:1], 0x70
	s_min_i32 s24, s14, 4
	s_load_dwordx2 s[16:17], s[16:17], 0x0
	v_cmp_gt_i32_e32 vcc, s24, v0
	s_and_saveexec_b64 s[20:21], vcc
	s_cbranch_execz .LBB199_11
; %bb.1:
	s_load_dword s26, s[0:1], 0x38
	v_lshlrev_b32_e32 v2, 4, v0
	v_mov_b32_e32 v3, 0
	v_mov_b32_e32 v1, v2
	s_waitcnt lgkmcnt(0)
	s_ashr_i32 s27, s26, 31
	s_cmpk_eq_i32 s12, 0x71
	s_cselect_b64 vcc, -1, 0
	s_add_u32 s8, s8, s22
	s_addc_u32 s9, s9, s23
	s_load_dwordx2 s[8:9], s[8:9], 0x0
	s_lshl_b64 s[10:11], s[10:11], 4
	s_waitcnt lgkmcnt(0)
	s_add_u32 s10, s8, s10
	s_addc_u32 s11, s9, s11
	s_lshl_b64 s[8:9], s[26:27], 4
	v_lshl_add_u64 v[4:5], s[10:11], 0, v[2:3]
	s_mov_b32 s10, s24
.LBB199_2:                              ; =>This Inner Loop Header: Depth=1
	flat_load_dwordx4 v[6:9], v[4:5]
	s_add_i32 s10, s10, -1
	v_lshl_add_u64 v[4:5], v[4:5], 0, s[8:9]
	s_cmp_eq_u32 s10, 0
	s_waitcnt vmcnt(0) lgkmcnt(0)
	v_xor_b32_e32 v3, 0x80000000, v9
	v_cndmask_b32_e32 v9, v9, v3, vcc
	ds_write_b128 v1, v[6:9]
	v_add_u32_e32 v1, 64, v1
	s_cbranch_scc0 .LBB199_2
; %bb.3:
	v_lshlrev_b32_e32 v1, 6, v0
	s_cmpk_lg_i32 s13, 0x84
	v_add_u32_e32 v1, v2, v1
	s_cbranch_scc0 .LBB199_9
; %bb.4:
	ds_read_b128 v[2:5], v1
                                        ; implicit-def: $vgpr8_vgpr9
	s_waitcnt lgkmcnt(0)
	v_cmp_ngt_f64_e64 s[8:9], |v[2:3]|, |v[4:5]|
	s_and_saveexec_b64 s[10:11], s[8:9]
	s_xor_b64 s[8:9], exec, s[10:11]
	s_cbranch_execz .LBB199_6
; %bb.5:
	v_div_scale_f64 v[6:7], s[10:11], v[4:5], v[4:5], v[2:3]
	v_rcp_f64_e32 v[8:9], v[6:7]
	v_div_scale_f64 v[10:11], vcc, v[2:3], v[4:5], v[2:3]
	v_fma_f64 v[12:13], -v[6:7], v[8:9], 1.0
	v_fmac_f64_e32 v[8:9], v[8:9], v[12:13]
	v_fma_f64 v[12:13], -v[6:7], v[8:9], 1.0
	v_fmac_f64_e32 v[8:9], v[8:9], v[12:13]
	v_mul_f64 v[12:13], v[10:11], v[8:9]
	v_fma_f64 v[6:7], -v[6:7], v[12:13], v[10:11]
	v_div_fmas_f64 v[6:7], v[6:7], v[8:9], v[12:13]
	v_div_fixup_f64 v[8:9], v[6:7], v[4:5], v[2:3]
	v_fmac_f64_e32 v[4:5], v[2:3], v[8:9]
	v_div_scale_f64 v[2:3], s[10:11], v[4:5], v[4:5], 1.0
	v_rcp_f64_e32 v[6:7], v[2:3]
	s_nop 0
	v_fma_f64 v[10:11], -v[2:3], v[6:7], 1.0
	v_fmac_f64_e32 v[6:7], v[6:7], v[10:11]
	v_fma_f64 v[10:11], -v[2:3], v[6:7], 1.0
	v_fmac_f64_e32 v[6:7], v[6:7], v[10:11]
	v_div_scale_f64 v[10:11], vcc, 1.0, v[4:5], 1.0
	v_mul_f64 v[12:13], v[10:11], v[6:7]
	v_fma_f64 v[2:3], -v[2:3], v[12:13], v[10:11]
	s_nop 1
	v_div_fmas_f64 v[2:3], v[2:3], v[6:7], v[12:13]
	v_div_fixup_f64 v[2:3], v[2:3], v[4:5], 1.0
	v_add_f64 v[4:5], v[8:9], 0
	v_mul_f64 v[6:7], v[4:5], v[2:3]
	v_fma_f64 v[4:5], v[8:9], 0, -1.0
	v_mul_f64 v[8:9], v[4:5], v[2:3]
                                        ; implicit-def: $vgpr2_vgpr3
.LBB199_6:
	s_andn2_saveexec_b64 s[8:9], s[8:9]
	s_cbranch_execz .LBB199_8
; %bb.7:
	v_div_scale_f64 v[6:7], s[10:11], v[2:3], v[2:3], v[4:5]
	v_rcp_f64_e32 v[8:9], v[6:7]
	v_div_scale_f64 v[10:11], vcc, v[4:5], v[2:3], v[4:5]
	v_fma_f64 v[12:13], -v[6:7], v[8:9], 1.0
	v_fmac_f64_e32 v[8:9], v[8:9], v[12:13]
	v_fma_f64 v[12:13], -v[6:7], v[8:9], 1.0
	v_fmac_f64_e32 v[8:9], v[8:9], v[12:13]
	v_mul_f64 v[12:13], v[10:11], v[8:9]
	v_fma_f64 v[6:7], -v[6:7], v[12:13], v[10:11]
	v_div_fmas_f64 v[6:7], v[6:7], v[8:9], v[12:13]
	v_div_fixup_f64 v[8:9], v[6:7], v[2:3], v[4:5]
	v_fmac_f64_e32 v[2:3], v[4:5], v[8:9]
	v_div_scale_f64 v[4:5], s[10:11], v[2:3], v[2:3], 1.0
	v_rcp_f64_e32 v[6:7], v[4:5]
	s_nop 0
	v_fma_f64 v[10:11], -v[4:5], v[6:7], 1.0
	v_fmac_f64_e32 v[6:7], v[6:7], v[10:11]
	v_fma_f64 v[10:11], -v[4:5], v[6:7], 1.0
	v_fmac_f64_e32 v[6:7], v[6:7], v[10:11]
	v_div_scale_f64 v[10:11], vcc, 1.0, v[2:3], 1.0
	v_mul_f64 v[12:13], v[10:11], v[6:7]
	v_fma_f64 v[4:5], -v[4:5], v[12:13], v[10:11]
	s_nop 1
	v_div_fmas_f64 v[4:5], v[4:5], v[6:7], v[12:13]
	v_div_fixup_f64 v[2:3], v[4:5], v[2:3], 1.0
	v_fma_f64 v[4:5], v[8:9], 0, 1.0
	v_mul_f64 v[6:7], v[4:5], v[2:3]
	v_add_f64 v[4:5], -v[8:9], 0
	v_mul_f64 v[8:9], v[4:5], v[2:3]
.LBB199_8:
	s_or_b64 exec, exec, s[8:9]
	s_branch .LBB199_10
.LBB199_9:
	v_mov_b64_e32 v[8:9], 0
	v_mov_b64_e32 v[6:7], 1.0
.LBB199_10:
	ds_write_b128 v1, v[6:9]
.LBB199_11:
	s_or_b64 exec, exec, s[20:21]
	s_load_dword s13, s[0:1], 0x58
	s_lshl_b64 s[0:1], s[18:19], 4
	s_waitcnt lgkmcnt(0)
	s_add_u32 s8, s16, s0
	s_addc_u32 s9, s17, s1
	s_lshl_b32 s0, s2, 2
	s_add_i32 s3, s3, -1
	s_sub_i32 s1, s15, s0
	s_cmp_ge_u32 s2, s3
	s_cselect_b32 s10, s1, 4
	s_mul_hi_i32 s1, s13, s0
	s_mul_i32 s0, s13, s0
	s_lshl_b64 s[0:1], s[0:1], 4
	s_add_u32 s2, s8, s0
	s_addc_u32 s3, s9, s1
	s_cmp_gt_i32 s14, 0
	v_cmp_gt_i32_e64 s[0:1], s10, v0
	s_cselect_b64 s[8:9], -1, 0
	s_and_b64 s[16:17], s[0:1], s[8:9]
	s_and_saveexec_b64 s[10:11], s[16:17]
	s_cbranch_execz .LBB199_14
; %bb.12:
	v_mad_i64_i32 v[2:3], s[16:17], s13, v0, 0
	v_mov_b32_e32 v1, 0x100
	v_lshl_add_u64 v[2:3], v[2:3], 4, s[2:3]
	v_lshl_or_b32 v1, v0, 4, v1
	s_mov_b32 s15, s24
.LBB199_13:                             ; =>This Inner Loop Header: Depth=1
	flat_load_dwordx4 v[4:7], v[2:3]
	s_add_i32 s15, s15, -1
	v_lshl_add_u64 v[2:3], v[2:3], 0, 16
	s_cmp_lg_u32 s15, 0
	s_waitcnt vmcnt(0) lgkmcnt(0)
	v_mul_f64 v[10:11], s[6:7], v[6:7]
	v_mul_f64 v[8:9], s[4:5], v[6:7]
	v_fma_f64 v[6:7], s[4:5], v[4:5], -v[10:11]
	v_fmac_f64_e32 v[8:9], s[6:7], v[4:5]
	ds_write_b128 v1, v[6:9]
	v_add_u32_e32 v1, 64, v1
	s_cbranch_scc1 .LBB199_13
.LBB199_14:
	s_or_b64 exec, exec, s[10:11]
	v_mov_b32_e32 v1, 0x100
	s_cmpk_eq_i32 s12, 0x6f
	v_lshl_or_b32 v1, v0, 4, v1
	s_mov_b64 s[4:5], -1
	s_waitcnt lgkmcnt(0)
	; wave barrier
	s_cbranch_scc1 .LBB199_23
; %bb.15:
	s_cmp_gt_i32 s14, 3
	s_mov_b32 s4, 0
	s_cbranch_scc0 .LBB199_17
; %bb.16:
	v_mov_b32_e32 v30, 0
	ds_read_b128 v[2:5], v30
	ds_read_b128 v[6:9], v1
	ds_read_b128 v[10:13], v1 offset:64
	ds_read_b128 v[14:17], v1 offset:128
	;; [unrolled: 1-line block ×4, first 2 shown]
	s_waitcnt lgkmcnt(4)
	v_mul_f64 v[28:29], v[2:3], v[8:9]
	v_mul_f64 v[26:27], v[4:5], v[8:9]
	v_fmac_f64_e32 v[28:29], v[4:5], v[6:7]
	v_fma_f64 v[26:27], v[2:3], v[6:7], -v[26:27]
	s_waitcnt lgkmcnt(0)
	v_mul_f64 v[2:3], v[24:25], v[28:29]
	v_mul_f64 v[8:9], v[22:23], v[28:29]
	v_fma_f64 v[6:7], v[22:23], v[26:27], -v[2:3]
	ds_read_b128 v[2:5], v30 offset:80
	v_fmac_f64_e32 v[8:9], v[24:25], v[26:27]
	v_add_f64 v[22:23], v[10:11], -v[6:7]
	v_add_f64 v[12:13], v[12:13], -v[8:9]
	ds_read_b128 v[6:9], v30 offset:128
	s_waitcnt lgkmcnt(1)
	v_mul_f64 v[10:11], v[4:5], v[12:13]
	v_fma_f64 v[10:11], v[2:3], v[22:23], -v[10:11]
	v_mul_f64 v[12:13], v[2:3], v[12:13]
	v_fmac_f64_e32 v[12:13], v[4:5], v[22:23]
	s_waitcnt lgkmcnt(0)
	v_mul_f64 v[2:3], v[8:9], v[28:29]
	v_fma_f64 v[22:23], v[6:7], v[26:27], -v[2:3]
	ds_read_b128 v[2:5], v30 offset:144
	v_mul_f64 v[6:7], v[6:7], v[28:29]
	v_fmac_f64_e32 v[6:7], v[8:9], v[26:27]
	v_add_f64 v[14:15], v[14:15], -v[22:23]
	v_add_f64 v[16:17], v[16:17], -v[6:7]
	ds_read_b128 v[6:9], v30 offset:160
	s_waitcnt lgkmcnt(1)
	v_mul_f64 v[22:23], v[4:5], v[12:13]
	v_fma_f64 v[22:23], v[2:3], v[10:11], -v[22:23]
	v_mul_f64 v[2:3], v[2:3], v[12:13]
	v_fmac_f64_e32 v[2:3], v[4:5], v[10:11]
	v_add_f64 v[22:23], v[14:15], -v[22:23]
	v_add_f64 v[4:5], v[16:17], -v[2:3]
	ds_read_b128 v[14:17], v30 offset:192
	s_waitcnt lgkmcnt(1)
	v_mul_f64 v[2:3], v[8:9], v[4:5]
	v_mul_f64 v[4:5], v[6:7], v[4:5]
	v_fma_f64 v[2:3], v[6:7], v[22:23], -v[2:3]
	v_fmac_f64_e32 v[4:5], v[8:9], v[22:23]
	ds_read_b128 v[6:9], v30 offset:208
	s_waitcnt lgkmcnt(1)
	v_mul_f64 v[22:23], v[16:17], v[28:29]
	v_fma_f64 v[22:23], v[14:15], v[26:27], -v[22:23]
	v_mul_f64 v[14:15], v[14:15], v[28:29]
	v_fmac_f64_e32 v[14:15], v[16:17], v[26:27]
	v_add_f64 v[16:17], v[18:19], -v[22:23]
	v_add_f64 v[18:19], v[20:21], -v[14:15]
	s_waitcnt lgkmcnt(0)
	v_mul_f64 v[14:15], v[8:9], v[12:13]
	ds_write_b128 v1, v[10:13] offset:64
	v_fma_f64 v[20:21], v[6:7], v[10:11], -v[14:15]
	v_mul_f64 v[6:7], v[6:7], v[12:13]
	ds_read_b128 v[12:15], v30 offset:224
	v_fmac_f64_e32 v[6:7], v[8:9], v[10:11]
	v_add_f64 v[10:11], v[16:17], -v[20:21]
	v_add_f64 v[16:17], v[18:19], -v[6:7]
	ds_read_b128 v[6:9], v30 offset:240
	ds_write_b128 v1, v[2:5] offset:128
	s_waitcnt lgkmcnt(2)
	v_mul_f64 v[18:19], v[14:15], v[4:5]
	v_mul_f64 v[4:5], v[12:13], v[4:5]
	v_fmac_f64_e32 v[4:5], v[14:15], v[2:3]
	v_fma_f64 v[18:19], v[12:13], v[2:3], -v[18:19]
	v_add_f64 v[4:5], v[16:17], -v[4:5]
	v_add_f64 v[10:11], v[10:11], -v[18:19]
	s_waitcnt lgkmcnt(1)
	v_mul_f64 v[2:3], v[8:9], v[4:5]
	v_mul_f64 v[4:5], v[6:7], v[4:5]
	v_fma_f64 v[2:3], v[6:7], v[10:11], -v[2:3]
	v_fmac_f64_e32 v[4:5], v[8:9], v[10:11]
	s_mov_b32 s4, 4
	ds_write_b128 v1, v[26:29]
	ds_write_b128 v1, v[2:5] offset:192
.LBB199_17:
	s_cmp_ge_i32 s4, s24
	s_cbranch_scc1 .LBB199_22
; %bb.18:
	v_mov_b32_e32 v2, 0x100
	s_lshl_b32 s5, s4, 6
	v_lshl_or_b32 v6, v0, 4, v2
	s_branch .LBB199_20
.LBB199_19:                             ;   in Loop: Header=BB199_20 Depth=1
	s_mul_i32 s6, s4, 0x50
	v_mov_b32_e32 v8, s6
	ds_read_b128 v[8:11], v8
	s_add_i32 s4, s4, 1
	s_add_i32 s5, s5, 64
	s_cmp_ge_i32 s4, s24
	s_waitcnt lgkmcnt(0)
	v_mul_f64 v[12:13], v[10:11], v[4:5]
	v_mul_f64 v[14:15], v[8:9], v[4:5]
	v_fma_f64 v[12:13], v[8:9], v[2:3], -v[12:13]
	v_fmac_f64_e32 v[14:15], v[10:11], v[2:3]
	ds_write_b128 v7, v[12:15]
	s_cbranch_scc1 .LBB199_22
.LBB199_20:                             ; =>This Loop Header: Depth=1
                                        ;     Child Loop BB199_21 Depth 2
	s_lshl_b32 s6, s4, 6
	v_add_u32_e32 v7, s6, v1
	ds_read_b128 v[2:5], v7
	s_cmp_eq_u32 s4, 0
	v_mov_b32_e32 v8, v6
	s_mov_b32 s6, s4
	s_mov_b32 s7, s5
	s_cbranch_scc1 .LBB199_19
.LBB199_21:                             ;   Parent Loop BB199_20 Depth=1
                                        ; =>  This Inner Loop Header: Depth=2
	v_mov_b32_e32 v9, s7
	ds_read_b128 v[10:13], v8
	ds_read_b128 v[14:17], v9
	s_add_i32 s7, s7, 16
	s_add_i32 s6, s6, -1
	v_add_u32_e32 v8, 64, v8
	s_cmp_lg_u32 s6, 0
	s_waitcnt lgkmcnt(0)
	v_mul_f64 v[18:19], v[12:13], v[16:17]
	v_mul_f64 v[16:17], v[10:11], v[16:17]
	v_fma_f64 v[10:11], v[10:11], v[14:15], -v[18:19]
	v_fmac_f64_e32 v[16:17], v[12:13], v[14:15]
	v_add_f64 v[2:3], v[2:3], -v[10:11]
	v_add_f64 v[4:5], v[4:5], -v[16:17]
	s_cbranch_scc1 .LBB199_21
	s_branch .LBB199_19
.LBB199_22:
	s_mov_b64 s[4:5], 0
.LBB199_23:
	s_and_b64 vcc, exec, s[4:5]
	s_cbranch_vccz .LBB199_39
; %bb.24:
	s_add_i32 s4, s24, -1
	s_cmp_gt_i32 s14, 3
	s_mov_b32 s6, s4
	s_cbranch_scc0 .LBB199_26
; %bb.25:
	v_mov_b32_e32 v32, 0
	ds_read_b128 v[2:5], v32 offset:240
	ds_read_b128 v[6:9], v1 offset:192
	;; [unrolled: 1-line block ×4, first 2 shown]
	ds_read_b128 v[18:21], v1
	ds_read_b128 v[22:25], v32 offset:224
	s_waitcnt lgkmcnt(4)
	v_mul_f64 v[28:29], v[2:3], v[8:9]
	v_mul_f64 v[26:27], v[4:5], v[8:9]
	v_fmac_f64_e32 v[28:29], v[4:5], v[6:7]
	v_fma_f64 v[26:27], v[2:3], v[6:7], -v[26:27]
	s_waitcnt lgkmcnt(0)
	v_mul_f64 v[2:3], v[24:25], v[28:29]
	v_fma_f64 v[6:7], v[22:23], v[26:27], -v[2:3]
	v_mul_f64 v[8:9], v[22:23], v[28:29]
	ds_read_b128 v[2:5], v32 offset:160
	v_fmac_f64_e32 v[8:9], v[24:25], v[26:27]
	ds_read_b128 v[22:25], v32 offset:208
	v_add_f64 v[30:31], v[10:11], -v[6:7]
	v_add_f64 v[12:13], v[12:13], -v[8:9]
	ds_read_b128 v[6:9], v32 offset:144
	s_waitcnt lgkmcnt(2)
	v_mul_f64 v[10:11], v[4:5], v[12:13]
	v_mul_f64 v[12:13], v[2:3], v[12:13]
	v_fma_f64 v[10:11], v[2:3], v[30:31], -v[10:11]
	v_fmac_f64_e32 v[12:13], v[4:5], v[30:31]
	ds_read_b128 v[2:5], v32 offset:192
	s_waitcnt lgkmcnt(2)
	v_mul_f64 v[30:31], v[24:25], v[28:29]
	v_fma_f64 v[30:31], v[22:23], v[26:27], -v[30:31]
	v_mul_f64 v[22:23], v[22:23], v[28:29]
	v_fmac_f64_e32 v[22:23], v[24:25], v[26:27]
	v_add_f64 v[24:25], v[14:15], -v[30:31]
	s_waitcnt lgkmcnt(1)
	v_mul_f64 v[14:15], v[8:9], v[12:13]
	v_add_f64 v[22:23], v[16:17], -v[22:23]
	v_fma_f64 v[30:31], v[6:7], v[10:11], -v[14:15]
	ds_read_b128 v[14:17], v32 offset:80
	v_mul_f64 v[6:7], v[6:7], v[12:13]
	v_fmac_f64_e32 v[6:7], v[8:9], v[10:11]
	v_add_f64 v[30:31], v[24:25], -v[30:31]
	v_add_f64 v[24:25], v[22:23], -v[6:7]
	ds_read_b128 v[6:9], v32 offset:128
	s_waitcnt lgkmcnt(1)
	v_mul_f64 v[22:23], v[16:17], v[24:25]
	v_fma_f64 v[22:23], v[14:15], v[30:31], -v[22:23]
	v_mul_f64 v[24:25], v[14:15], v[24:25]
	v_mul_f64 v[14:15], v[4:5], v[28:29]
	v_fma_f64 v[14:15], v[2:3], v[26:27], -v[14:15]
	v_mul_f64 v[2:3], v[2:3], v[28:29]
	v_fmac_f64_e32 v[2:3], v[4:5], v[26:27]
	v_fmac_f64_e32 v[24:25], v[16:17], v[30:31]
	v_add_f64 v[16:17], v[20:21], -v[2:3]
	s_waitcnt lgkmcnt(0)
	v_mul_f64 v[2:3], v[8:9], v[12:13]
	v_add_f64 v[14:15], v[18:19], -v[14:15]
	v_fma_f64 v[18:19], v[6:7], v[10:11], -v[2:3]
	ds_read_b128 v[2:5], v32 offset:64
	v_mul_f64 v[6:7], v[6:7], v[12:13]
	v_fmac_f64_e32 v[6:7], v[8:9], v[10:11]
	ds_write_b128 v1, v[10:13] offset:128
	v_add_f64 v[12:13], v[16:17], -v[6:7]
	ds_read_b128 v[6:9], v32
	v_add_f64 v[10:11], v[14:15], -v[18:19]
	s_waitcnt lgkmcnt(2)
	v_mul_f64 v[14:15], v[4:5], v[24:25]
	v_fma_f64 v[14:15], v[2:3], v[22:23], -v[14:15]
	v_mul_f64 v[2:3], v[2:3], v[24:25]
	v_fmac_f64_e32 v[2:3], v[4:5], v[22:23]
	v_add_f64 v[4:5], v[12:13], -v[2:3]
	v_add_f64 v[10:11], v[10:11], -v[14:15]
	s_waitcnt lgkmcnt(0)
	v_mul_f64 v[2:3], v[8:9], v[4:5]
	v_mul_f64 v[4:5], v[6:7], v[4:5]
	v_fma_f64 v[2:3], v[6:7], v[10:11], -v[2:3]
	v_fmac_f64_e32 v[4:5], v[8:9], v[10:11]
	s_mov_b32 s6, -1
	ds_write_b128 v1, v[26:29] offset:192
	ds_write_b128 v1, v[22:25] offset:64
	ds_write_b128 v1, v[2:5]
.LBB199_26:
	s_cmp_gt_i32 s6, -1
	s_cbranch_scc0 .LBB199_39
; %bb.27:
	s_bitcmp1_b32 s6, 0
	s_cselect_b64 s[10:11], -1, 0
	s_and_b64 vcc, exec, s[10:11]
	s_mov_b32 s5, s6
	s_cbranch_vccnz .LBB199_32
; %bb.28:
	s_lshl_b32 s5, s6, 6
	v_add_u32_e32 v6, s5, v1
	ds_read_b128 v[2:5], v6
	s_cmp_le_i32 s4, s6
	s_cbranch_scc1 .LBB199_31
; %bb.29:
	s_lshl_b32 s7, s24, 6
	s_lshl_b32 s5, s6, 4
	s_add_i32 s5, s7, s5
	v_lshl_or_b32 v7, v0, 4, s7
	s_sub_i32 s5, s5, 64
	v_add_u32_e32 v7, 0xc0, v7
	s_mov_b32 s7, s4
.LBB199_30:                             ; =>This Inner Loop Header: Depth=1
	v_mov_b32_e32 v12, s5
	ds_read_b128 v[8:11], v7
	ds_read_b128 v[12:15], v12
	s_add_i32 s7, s7, -1
	s_sub_i32 s5, s5, 64
	v_subrev_u32_e32 v7, 64, v7
	s_cmp_gt_i32 s7, s6
	s_waitcnt lgkmcnt(0)
	v_mul_f64 v[16:17], v[10:11], v[14:15]
	v_mul_f64 v[14:15], v[8:9], v[14:15]
	v_fma_f64 v[8:9], v[8:9], v[12:13], -v[16:17]
	v_fmac_f64_e32 v[14:15], v[10:11], v[12:13]
	v_add_f64 v[2:3], v[2:3], -v[8:9]
	v_add_f64 v[4:5], v[4:5], -v[14:15]
	s_cbranch_scc1 .LBB199_30
.LBB199_31:
	s_mul_i32 s5, s6, 0x50
	v_mov_b32_e32 v7, s5
	ds_read_b128 v[8:11], v7
	s_add_i32 s5, s6, -1
	s_waitcnt lgkmcnt(0)
	v_mul_f64 v[12:13], v[10:11], v[4:5]
	v_mul_f64 v[14:15], v[8:9], v[4:5]
	v_fma_f64 v[12:13], v[8:9], v[2:3], -v[12:13]
	v_fmac_f64_e32 v[14:15], v[10:11], v[2:3]
	ds_write_b128 v6, v[12:15]
.LBB199_32:
	s_cmp_eq_u32 s6, 0
	s_cbranch_scc1 .LBB199_39
; %bb.33:
	s_lshl_b32 s7, s24, 6
	s_lshl_b32 s6, s5, 4
	s_add_i32 s10, s7, s6
	v_lshl_or_b32 v2, v0, 4, s7
	s_sub_i32 s6, s10, 64
	v_add_u32_e32 v10, 0xc0, v2
	s_add_i32 s7, s10, 0xffffffb0
	s_branch .LBB199_35
.LBB199_34:                             ;   in Loop: Header=BB199_35 Depth=1
	s_addk_i32 s10, 0xffb0
	v_mov_b32_e32 v6, s10
	ds_read_b128 v[6:9], v6
	s_add_i32 s10, s5, -2
	s_sub_i32 s6, s6, 32
	s_sub_i32 s7, s7, 32
	s_cmp_lt_i32 s5, 2
	s_waitcnt lgkmcnt(0)
	v_mul_f64 v[12:13], v[8:9], v[4:5]
	v_mul_f64 v[14:15], v[6:7], v[4:5]
	v_fma_f64 v[12:13], v[6:7], v[2:3], -v[12:13]
	v_fmac_f64_e32 v[14:15], v[8:9], v[2:3]
	s_mov_b32 s5, s10
	ds_write_b128 v11, v[12:15]
	s_cbranch_scc1 .LBB199_39
.LBB199_35:                             ; =>This Loop Header: Depth=1
                                        ;     Child Loop BB199_36 Depth 2
                                        ;     Child Loop BB199_38 Depth 2
	s_lshl_b32 s11, s5, 6
	v_add_u32_e32 v12, s11, v1
	ds_read_b128 v[6:9], v12
	s_cmp_le_i32 s4, s5
	v_mov_b32_e32 v2, v10
	s_mov_b32 s10, s6
	s_mov_b32 s12, s4
	s_cbranch_scc1 .LBB199_37
.LBB199_36:                             ;   Parent Loop BB199_35 Depth=1
                                        ; =>  This Inner Loop Header: Depth=2
	v_mov_b32_e32 v3, s10
	ds_read_b128 v[14:17], v2
	ds_read_b128 v[18:21], v3
	s_add_i32 s12, s12, -1
	s_sub_i32 s10, s10, 64
	v_subrev_u32_e32 v2, 64, v2
	s_cmp_gt_i32 s12, s5
	s_waitcnt lgkmcnt(0)
	v_mul_f64 v[4:5], v[16:17], v[20:21]
	v_mul_f64 v[20:21], v[14:15], v[20:21]
	v_fma_f64 v[4:5], v[14:15], v[18:19], -v[4:5]
	v_fmac_f64_e32 v[20:21], v[16:17], v[18:19]
	v_add_f64 v[6:7], v[6:7], -v[4:5]
	v_add_f64 v[8:9], v[8:9], -v[20:21]
	s_cbranch_scc1 .LBB199_36
.LBB199_37:                             ;   in Loop: Header=BB199_35 Depth=1
	s_mul_i32 s10, s5, 0x50
	v_mov_b32_e32 v2, s10
	ds_read_b128 v[14:17], v2
	s_sub_i32 s11, s11, 64
	v_add_u32_e32 v11, s11, v1
	ds_read_b128 v[2:5], v11
	s_cmp_le_i32 s24, s5
	s_waitcnt lgkmcnt(1)
	v_mul_f64 v[18:19], v[16:17], v[8:9]
	v_mul_f64 v[20:21], v[14:15], v[8:9]
	v_fma_f64 v[18:19], v[14:15], v[6:7], -v[18:19]
	v_fmac_f64_e32 v[20:21], v[16:17], v[6:7]
	s_mov_b32 s11, s7
	v_mov_b32_e32 v6, v10
	s_mov_b32 s12, s24
	ds_write_b128 v12, v[18:21]
	s_cbranch_scc1 .LBB199_34
.LBB199_38:                             ;   Parent Loop BB199_35 Depth=1
                                        ; =>  This Inner Loop Header: Depth=2
	v_mov_b32_e32 v7, s11
	ds_read_b128 v[12:15], v6
	ds_read_b128 v[16:19], v7
	s_add_i32 s12, s12, -1
	s_sub_i32 s11, s11, 64
	v_subrev_u32_e32 v6, 64, v6
	s_cmp_gt_i32 s12, s5
	s_waitcnt lgkmcnt(0)
	v_mul_f64 v[8:9], v[14:15], v[18:19]
	v_mul_f64 v[18:19], v[12:13], v[18:19]
	v_fma_f64 v[8:9], v[12:13], v[16:17], -v[8:9]
	v_fmac_f64_e32 v[18:19], v[14:15], v[16:17]
	v_add_f64 v[2:3], v[2:3], -v[8:9]
	v_add_f64 v[4:5], v[4:5], -v[18:19]
	s_cbranch_scc1 .LBB199_38
	s_branch .LBB199_34
.LBB199_39:
	s_waitcnt lgkmcnt(0)
	; wave barrier
	s_and_saveexec_b64 s[4:5], s[0:1]
	s_cbranch_execz .LBB199_43
; %bb.40:
	s_andn2_b64 vcc, exec, s[8:9]
	s_cbranch_vccnz .LBB199_43
; %bb.41:
	v_mad_i64_i32 v[2:3], s[0:1], s13, v0, 0
	v_mov_b32_e32 v1, 0x100
	v_lshl_add_u64 v[2:3], v[2:3], 4, s[2:3]
	v_lshl_or_b32 v0, v0, 4, v1
.LBB199_42:                             ; =>This Inner Loop Header: Depth=1
	ds_read2_b64 v[4:7], v0 offset1:1
	s_add_i32 s24, s24, -1
	v_add_u32_e32 v0, 64, v0
	s_cmp_lg_u32 s24, 0
	s_waitcnt lgkmcnt(0)
	flat_store_dwordx4 v[2:3], v[4:7]
	v_lshl_add_u64 v[2:3], v[2:3], 0, 16
	s_cbranch_scc1 .LBB199_42
.LBB199_43:
	s_endpgm
	.section	.rodata,"a",@progbits
	.p2align	6, 0x0
	.amdhsa_kernel _ZL38rocblas_trsm_small_left_device_sharedBILi4ELi4ELb0E19rocblas_complex_numIdES1_PKPKS1_PKPS1_Ev13rocblas_fill_18rocblas_operation_17rocblas_diagonal_iiT3_T4_lilT5_lili
		.amdhsa_group_segment_fixed_size 512
		.amdhsa_private_segment_fixed_size 0
		.amdhsa_kernarg_size 368
		.amdhsa_user_sgpr_count 2
		.amdhsa_user_sgpr_dispatch_ptr 0
		.amdhsa_user_sgpr_queue_ptr 0
		.amdhsa_user_sgpr_kernarg_segment_ptr 1
		.amdhsa_user_sgpr_dispatch_id 0
		.amdhsa_user_sgpr_kernarg_preload_length 0
		.amdhsa_user_sgpr_kernarg_preload_offset 0
		.amdhsa_user_sgpr_private_segment_size 0
		.amdhsa_uses_dynamic_stack 0
		.amdhsa_enable_private_segment 0
		.amdhsa_system_sgpr_workgroup_id_x 1
		.amdhsa_system_sgpr_workgroup_id_y 0
		.amdhsa_system_sgpr_workgroup_id_z 1
		.amdhsa_system_sgpr_workgroup_info 0
		.amdhsa_system_vgpr_workitem_id 0
		.amdhsa_next_free_vgpr 33
		.amdhsa_next_free_sgpr 28
		.amdhsa_accum_offset 36
		.amdhsa_reserve_vcc 1
		.amdhsa_float_round_mode_32 0
		.amdhsa_float_round_mode_16_64 0
		.amdhsa_float_denorm_mode_32 3
		.amdhsa_float_denorm_mode_16_64 3
		.amdhsa_dx10_clamp 1
		.amdhsa_ieee_mode 1
		.amdhsa_fp16_overflow 0
		.amdhsa_tg_split 0
		.amdhsa_exception_fp_ieee_invalid_op 0
		.amdhsa_exception_fp_denorm_src 0
		.amdhsa_exception_fp_ieee_div_zero 0
		.amdhsa_exception_fp_ieee_overflow 0
		.amdhsa_exception_fp_ieee_underflow 0
		.amdhsa_exception_fp_ieee_inexact 0
		.amdhsa_exception_int_div_zero 0
	.end_amdhsa_kernel
	.section	.text._ZL38rocblas_trsm_small_left_device_sharedBILi4ELi4ELb0E19rocblas_complex_numIdES1_PKPKS1_PKPS1_Ev13rocblas_fill_18rocblas_operation_17rocblas_diagonal_iiT3_T4_lilT5_lili,"axG",@progbits,_ZL38rocblas_trsm_small_left_device_sharedBILi4ELi4ELb0E19rocblas_complex_numIdES1_PKPKS1_PKPS1_Ev13rocblas_fill_18rocblas_operation_17rocblas_diagonal_iiT3_T4_lilT5_lili,comdat
.Lfunc_end199:
	.size	_ZL38rocblas_trsm_small_left_device_sharedBILi4ELi4ELb0E19rocblas_complex_numIdES1_PKPKS1_PKPS1_Ev13rocblas_fill_18rocblas_operation_17rocblas_diagonal_iiT3_T4_lilT5_lili, .Lfunc_end199-_ZL38rocblas_trsm_small_left_device_sharedBILi4ELi4ELb0E19rocblas_complex_numIdES1_PKPKS1_PKPS1_Ev13rocblas_fill_18rocblas_operation_17rocblas_diagonal_iiT3_T4_lilT5_lili
                                        ; -- End function
	.set _ZL38rocblas_trsm_small_left_device_sharedBILi4ELi4ELb0E19rocblas_complex_numIdES1_PKPKS1_PKPS1_Ev13rocblas_fill_18rocblas_operation_17rocblas_diagonal_iiT3_T4_lilT5_lili.num_vgpr, 33
	.set _ZL38rocblas_trsm_small_left_device_sharedBILi4ELi4ELb0E19rocblas_complex_numIdES1_PKPKS1_PKPS1_Ev13rocblas_fill_18rocblas_operation_17rocblas_diagonal_iiT3_T4_lilT5_lili.num_agpr, 0
	.set _ZL38rocblas_trsm_small_left_device_sharedBILi4ELi4ELb0E19rocblas_complex_numIdES1_PKPKS1_PKPS1_Ev13rocblas_fill_18rocblas_operation_17rocblas_diagonal_iiT3_T4_lilT5_lili.numbered_sgpr, 28
	.set _ZL38rocblas_trsm_small_left_device_sharedBILi4ELi4ELb0E19rocblas_complex_numIdES1_PKPKS1_PKPS1_Ev13rocblas_fill_18rocblas_operation_17rocblas_diagonal_iiT3_T4_lilT5_lili.num_named_barrier, 0
	.set _ZL38rocblas_trsm_small_left_device_sharedBILi4ELi4ELb0E19rocblas_complex_numIdES1_PKPKS1_PKPS1_Ev13rocblas_fill_18rocblas_operation_17rocblas_diagonal_iiT3_T4_lilT5_lili.private_seg_size, 0
	.set _ZL38rocblas_trsm_small_left_device_sharedBILi4ELi4ELb0E19rocblas_complex_numIdES1_PKPKS1_PKPS1_Ev13rocblas_fill_18rocblas_operation_17rocblas_diagonal_iiT3_T4_lilT5_lili.uses_vcc, 1
	.set _ZL38rocblas_trsm_small_left_device_sharedBILi4ELi4ELb0E19rocblas_complex_numIdES1_PKPKS1_PKPS1_Ev13rocblas_fill_18rocblas_operation_17rocblas_diagonal_iiT3_T4_lilT5_lili.uses_flat_scratch, 0
	.set _ZL38rocblas_trsm_small_left_device_sharedBILi4ELi4ELb0E19rocblas_complex_numIdES1_PKPKS1_PKPS1_Ev13rocblas_fill_18rocblas_operation_17rocblas_diagonal_iiT3_T4_lilT5_lili.has_dyn_sized_stack, 0
	.set _ZL38rocblas_trsm_small_left_device_sharedBILi4ELi4ELb0E19rocblas_complex_numIdES1_PKPKS1_PKPS1_Ev13rocblas_fill_18rocblas_operation_17rocblas_diagonal_iiT3_T4_lilT5_lili.has_recursion, 0
	.set _ZL38rocblas_trsm_small_left_device_sharedBILi4ELi4ELb0E19rocblas_complex_numIdES1_PKPKS1_PKPS1_Ev13rocblas_fill_18rocblas_operation_17rocblas_diagonal_iiT3_T4_lilT5_lili.has_indirect_call, 0
	.section	.AMDGPU.csdata,"",@progbits
; Kernel info:
; codeLenInByte = 3124
; TotalNumSgprs: 34
; NumVgprs: 33
; NumAgprs: 0
; TotalNumVgprs: 33
; ScratchSize: 0
; MemoryBound: 0
; FloatMode: 240
; IeeeMode: 1
; LDSByteSize: 512 bytes/workgroup (compile time only)
; SGPRBlocks: 4
; VGPRBlocks: 4
; NumSGPRsForWavesPerEU: 34
; NumVGPRsForWavesPerEU: 33
; AccumOffset: 36
; Occupancy: 8
; WaveLimiterHint : 0
; COMPUTE_PGM_RSRC2:SCRATCH_EN: 0
; COMPUTE_PGM_RSRC2:USER_SGPR: 2
; COMPUTE_PGM_RSRC2:TRAP_HANDLER: 0
; COMPUTE_PGM_RSRC2:TGID_X_EN: 1
; COMPUTE_PGM_RSRC2:TGID_Y_EN: 0
; COMPUTE_PGM_RSRC2:TGID_Z_EN: 1
; COMPUTE_PGM_RSRC2:TIDIG_COMP_CNT: 0
; COMPUTE_PGM_RSRC3_GFX90A:ACCUM_OFFSET: 8
; COMPUTE_PGM_RSRC3_GFX90A:TG_SPLIT: 0
	.section	.text._ZL30rocblas_trsm_small_left_deviceILi4ELi4ELb0E19rocblas_complex_numIdES1_PKPKS1_PKPS1_Ev13rocblas_fill_18rocblas_operation_17rocblas_diagonal_iiT3_T4_lilT5_lili,"axG",@progbits,_ZL30rocblas_trsm_small_left_deviceILi4ELi4ELb0E19rocblas_complex_numIdES1_PKPKS1_PKPS1_Ev13rocblas_fill_18rocblas_operation_17rocblas_diagonal_iiT3_T4_lilT5_lili,comdat
	.globl	_ZL30rocblas_trsm_small_left_deviceILi4ELi4ELb0E19rocblas_complex_numIdES1_PKPKS1_PKPS1_Ev13rocblas_fill_18rocblas_operation_17rocblas_diagonal_iiT3_T4_lilT5_lili ; -- Begin function _ZL30rocblas_trsm_small_left_deviceILi4ELi4ELb0E19rocblas_complex_numIdES1_PKPKS1_PKPS1_Ev13rocblas_fill_18rocblas_operation_17rocblas_diagonal_iiT3_T4_lilT5_lili
	.p2align	8
	.type	_ZL30rocblas_trsm_small_left_deviceILi4ELi4ELb0E19rocblas_complex_numIdES1_PKPKS1_PKPS1_Ev13rocblas_fill_18rocblas_operation_17rocblas_diagonal_iiT3_T4_lilT5_lili,@function
_ZL30rocblas_trsm_small_left_deviceILi4ELi4ELb0E19rocblas_complex_numIdES1_PKPKS1_PKPS1_Ev13rocblas_fill_18rocblas_operation_17rocblas_diagonal_iiT3_T4_lilT5_lili: ; @_ZL30rocblas_trsm_small_left_deviceILi4ELi4ELb0E19rocblas_complex_numIdES1_PKPKS1_PKPS1_Ev13rocblas_fill_18rocblas_operation_17rocblas_diagonal_iiT3_T4_lilT5_lili
; %bb.0:
	s_load_dwordx4 s[16:19], s[2:3], 0x4
	s_load_dwordx4 s[20:23], s[2:3], 0x48
	s_load_dwordx8 s[8:15], s[2:3], 0x18
	s_mov_b32 s6, s5
	s_mov_b32 s7, 0
	s_lshl_b64 s[24:25], s[6:7], 3
	s_waitcnt lgkmcnt(0)
	s_add_u32 s6, s20, s24
	s_addc_u32 s7, s21, s25
	s_load_dword s5, s[2:3], 0x70
	v_and_b32_e32 v1, 0x3ff, v0
	s_load_dwordx2 s[6:7], s[6:7], 0x0
	s_min_i32 s26, s18, 4
	v_cmp_gt_i32_e32 vcc, s26, v1
	s_and_saveexec_b64 s[20:21], vcc
	s_cbranch_execz .LBB200_11
; %bb.1:
	s_load_dword s28, s[2:3], 0x38
	v_lshlrev_b32_e32 v2, 4, v1
	v_mov_b32_e32 v3, 0
	v_mov_b32_e32 v6, v2
	s_waitcnt lgkmcnt(0)
	s_ashr_i32 s29, s28, 31
	s_cmpk_eq_i32 s16, 0x71
	s_cselect_b64 vcc, -1, 0
	s_add_u32 s12, s12, s24
	s_addc_u32 s13, s13, s25
	s_load_dwordx2 s[12:13], s[12:13], 0x0
	s_lshl_b64 s[14:15], s[14:15], 4
	s_waitcnt lgkmcnt(0)
	s_add_u32 s14, s12, s14
	s_addc_u32 s15, s13, s15
	s_lshl_b64 s[12:13], s[28:29], 4
	v_lshl_add_u64 v[4:5], s[14:15], 0, v[2:3]
	s_mov_b32 s14, s26
.LBB200_2:                              ; =>This Inner Loop Header: Depth=1
	flat_load_dwordx4 v[8:11], v[4:5]
	s_add_i32 s14, s14, -1
	v_lshl_add_u64 v[4:5], v[4:5], 0, s[12:13]
	s_cmp_eq_u32 s14, 0
	s_waitcnt vmcnt(0) lgkmcnt(0)
	v_xor_b32_e32 v3, 0x80000000, v11
	v_cndmask_b32_e32 v11, v11, v3, vcc
	ds_write_b128 v6, v[8:11]
	v_add_u32_e32 v6, 64, v6
	s_cbranch_scc0 .LBB200_2
; %bb.3:
	v_lshlrev_b32_e32 v3, 6, v1
	s_cmpk_lg_i32 s17, 0x84
	v_add_u32_e32 v10, v2, v3
	s_cbranch_scc0 .LBB200_9
; %bb.4:
	ds_read_b128 v[2:5], v10
                                        ; implicit-def: $vgpr8_vgpr9
	s_waitcnt lgkmcnt(0)
	v_cmp_ngt_f64_e64 s[12:13], |v[2:3]|, |v[4:5]|
	s_and_saveexec_b64 s[14:15], s[12:13]
	s_xor_b64 s[12:13], exec, s[14:15]
	s_cbranch_execz .LBB200_6
; %bb.5:
	v_div_scale_f64 v[6:7], s[14:15], v[4:5], v[4:5], v[2:3]
	v_rcp_f64_e32 v[8:9], v[6:7]
	v_div_scale_f64 v[12:13], vcc, v[2:3], v[4:5], v[2:3]
	v_fma_f64 v[14:15], -v[6:7], v[8:9], 1.0
	v_fmac_f64_e32 v[8:9], v[8:9], v[14:15]
	v_fma_f64 v[14:15], -v[6:7], v[8:9], 1.0
	v_fmac_f64_e32 v[8:9], v[8:9], v[14:15]
	v_mul_f64 v[14:15], v[12:13], v[8:9]
	v_fma_f64 v[6:7], -v[6:7], v[14:15], v[12:13]
	v_div_fmas_f64 v[6:7], v[6:7], v[8:9], v[14:15]
	v_div_fixup_f64 v[8:9], v[6:7], v[4:5], v[2:3]
	v_fmac_f64_e32 v[4:5], v[2:3], v[8:9]
	v_div_scale_f64 v[2:3], s[14:15], v[4:5], v[4:5], 1.0
	v_rcp_f64_e32 v[6:7], v[2:3]
	s_nop 0
	v_fma_f64 v[12:13], -v[2:3], v[6:7], 1.0
	v_fmac_f64_e32 v[6:7], v[6:7], v[12:13]
	v_fma_f64 v[12:13], -v[2:3], v[6:7], 1.0
	v_fmac_f64_e32 v[6:7], v[6:7], v[12:13]
	v_div_scale_f64 v[12:13], vcc, 1.0, v[4:5], 1.0
	v_mul_f64 v[14:15], v[12:13], v[6:7]
	v_fma_f64 v[2:3], -v[2:3], v[14:15], v[12:13]
	s_nop 1
	v_div_fmas_f64 v[2:3], v[2:3], v[6:7], v[14:15]
	v_div_fixup_f64 v[2:3], v[2:3], v[4:5], 1.0
	v_add_f64 v[4:5], v[8:9], 0
	v_mul_f64 v[6:7], v[4:5], v[2:3]
	v_fma_f64 v[4:5], v[8:9], 0, -1.0
	v_mul_f64 v[8:9], v[4:5], v[2:3]
                                        ; implicit-def: $vgpr2_vgpr3
.LBB200_6:
	s_andn2_saveexec_b64 s[12:13], s[12:13]
	s_cbranch_execz .LBB200_8
; %bb.7:
	v_div_scale_f64 v[6:7], s[14:15], v[2:3], v[2:3], v[4:5]
	v_rcp_f64_e32 v[8:9], v[6:7]
	v_div_scale_f64 v[12:13], vcc, v[4:5], v[2:3], v[4:5]
	v_fma_f64 v[14:15], -v[6:7], v[8:9], 1.0
	v_fmac_f64_e32 v[8:9], v[8:9], v[14:15]
	v_fma_f64 v[14:15], -v[6:7], v[8:9], 1.0
	v_fmac_f64_e32 v[8:9], v[8:9], v[14:15]
	v_mul_f64 v[14:15], v[12:13], v[8:9]
	v_fma_f64 v[6:7], -v[6:7], v[14:15], v[12:13]
	v_div_fmas_f64 v[6:7], v[6:7], v[8:9], v[14:15]
	v_div_fixup_f64 v[8:9], v[6:7], v[2:3], v[4:5]
	v_fmac_f64_e32 v[2:3], v[4:5], v[8:9]
	v_div_scale_f64 v[4:5], s[14:15], v[2:3], v[2:3], 1.0
	v_rcp_f64_e32 v[6:7], v[4:5]
	s_nop 0
	v_fma_f64 v[12:13], -v[4:5], v[6:7], 1.0
	v_fmac_f64_e32 v[6:7], v[6:7], v[12:13]
	v_fma_f64 v[12:13], -v[4:5], v[6:7], 1.0
	v_fmac_f64_e32 v[6:7], v[6:7], v[12:13]
	v_div_scale_f64 v[12:13], vcc, 1.0, v[2:3], 1.0
	v_mul_f64 v[14:15], v[12:13], v[6:7]
	v_fma_f64 v[4:5], -v[4:5], v[14:15], v[12:13]
	s_nop 1
	v_div_fmas_f64 v[4:5], v[4:5], v[6:7], v[14:15]
	v_div_fixup_f64 v[2:3], v[4:5], v[2:3], 1.0
	v_fma_f64 v[4:5], v[8:9], 0, 1.0
	v_mul_f64 v[6:7], v[4:5], v[2:3]
	v_add_f64 v[4:5], -v[8:9], 0
	v_mul_f64 v[8:9], v[4:5], v[2:3]
.LBB200_8:
	s_or_b64 exec, exec, s[12:13]
	s_branch .LBB200_10
.LBB200_9:
	v_mov_b64_e32 v[8:9], 0
	v_mov_b64_e32 v[6:7], 1.0
.LBB200_10:
	ds_write_b128 v10, v[6:9]
.LBB200_11:
	s_or_b64 exec, exec, s[20:21]
	s_waitcnt lgkmcnt(0)
	s_add_i32 s12, s5, -1
	s_lshl_b32 s5, s4, 2
	s_sub_i32 s13, s19, s5
	s_cmp_ge_u32 s4, s12
	s_cselect_b32 s4, s13, 4
	v_cmp_gt_i32_e32 vcc, s4, v1
	; wave barrier
	s_and_saveexec_b64 s[12:13], vcc
	s_cbranch_execz .LBB200_54
; %bb.12:
	s_load_dwordx2 s[12:13], s[0:1], 0x4
	s_load_dword s4, s[2:3], 0x58
	v_bfe_u32 v2, v0, 10, 10
	v_bfe_u32 v0, v0, 20, 10
	s_waitcnt lgkmcnt(0)
	s_lshr_b32 s0, s12, 16
	s_mul_i32 s0, s0, s13
	v_mul_u32_u24_e32 v2, s13, v2
	v_mul_u32_u24_e32 v3, s0, v1
	v_add3_u32 v0, v3, v2, v0
	v_mov_b32_e32 v2, 0x100
	s_lshl_b64 s[0:1], s[22:23], 4
	v_lshl_add_u32 v12, v0, 6, v2
	s_add_u32 s2, s6, s0
	v_add_u32_e32 v0, s5, v1
	s_addc_u32 s3, s7, s1
	v_mad_i64_i32 v[6:7], s[4:5], s4, v0, 0
	v_lshl_add_u64 v[4:5], v[6:7], 4, s[2:3]
	s_cmpk_eq_i32 s16, 0x6f
	s_mov_b64 s[2:3], -1
	s_cbranch_scc1 .LBB200_34
; %bb.13:
	s_add_u32 s2, s6, s0
	s_addc_u32 s3, s7, s1
	v_lshl_add_u64 v[8:9], v[6:7], 4, s[2:3]
	s_mov_b32 s3, 0
	s_mov_b32 s4, s3
	;; [unrolled: 1-line block ×3, first 2 shown]
	s_branch .LBB200_15
.LBB200_14:                             ;   in Loop: Header=BB200_15 Depth=1
	s_cmp_ge_i32 s12, s26
	s_cselect_b64 s[14:15], -1, 0
	s_add_i32 s4, s4, 1
	s_cmp_eq_u32 s4, 3
	s_cselect_b64 s[16:17], -1, 0
	s_or_b64 s[14:15], s[14:15], s[16:17]
	s_andn2_b64 vcc, exec, s[14:15]
	s_cbranch_vccz .LBB200_33
.LBB200_15:                             ; =>This Loop Header: Depth=1
                                        ;     Child Loop BB200_18 Depth 2
                                        ;       Child Loop BB200_19 Depth 3
                                        ;       Child Loop BB200_22 Depth 3
                                        ;         Child Loop BB200_23 Depth 4
                                        ;       Child Loop BB200_27 Depth 3
                                        ;         Child Loop BB200_29 Depth 4
	s_mov_b32 s5, s3
	s_lshl_b64 s[14:15], s[4:5], 2
	s_getpc_b64 s[16:17]
	s_add_u32 s16, s16, __const._ZL30rocblas_trsm_small_left_deviceILi4ELi4ELb0E19rocblas_complex_numIdES1_PKPKS1_PKPS1_Ev13rocblas_fill_18rocblas_operation_17rocblas_diagonal_iiT3_T4_lilT5_lili.step_sizes@rel32@lo+4
	s_addc_u32 s17, s17, __const._ZL30rocblas_trsm_small_left_deviceILi4ELi4ELb0E19rocblas_complex_numIdES1_PKPKS1_PKPS1_Ev13rocblas_fill_18rocblas_operation_17rocblas_diagonal_iiT3_T4_lilT5_lili.step_sizes@rel32@hi+12
	s_add_u32 s14, s16, s14
	s_addc_u32 s15, s17, s15
	s_load_dword s14, s[14:15], 0x0
	s_waitcnt lgkmcnt(0)
	s_add_i32 s5, s14, -1
	s_add_i32 s2, s5, s12
	s_cmp_ge_i32 s2, s26
	s_cbranch_scc1 .LBB200_14
; %bb.16:                               ;   in Loop: Header=BB200_15 Depth=1
	s_ashr_i32 s13, s12, 31
	s_ashr_i32 s15, s14, 31
	s_max_i32 s22, s14, 1
	v_lshl_add_u64 v[10:11], s[12:13], 4, v[8:9]
	s_lshl_b64 s[16:17], s[14:15], 4
	s_lshl_b32 s13, s12, 6
	s_lshl_b32 s15, s14, 6
	s_mul_i32 s23, s12, 0x50
	s_mul_i32 s24, s14, 0x50
	s_branch .LBB200_18
.LBB200_17:                             ;   in Loop: Header=BB200_18 Depth=2
	s_add_i32 s12, s12, s14
	s_add_i32 s2, s5, s12
	;; [unrolled: 1-line block ×4, first 2 shown]
	s_cmp_ge_i32 s2, s26
	v_lshl_add_u64 v[10:11], v[10:11], 0, s[16:17]
	s_cbranch_scc1 .LBB200_14
.LBB200_18:                             ;   Parent Loop BB200_15 Depth=1
                                        ; =>  This Loop Header: Depth=2
                                        ;       Child Loop BB200_19 Depth 3
                                        ;       Child Loop BB200_22 Depth 3
                                        ;         Child Loop BB200_23 Depth 4
                                        ;       Child Loop BB200_27 Depth 3
                                        ;         Child Loop BB200_29 Depth 4
	v_mov_b32_e32 v2, v12
	v_mov_b64_e32 v[0:1], v[10:11]
	s_mov_b32 s2, s22
.LBB200_19:                             ;   Parent Loop BB200_15 Depth=1
                                        ;     Parent Loop BB200_18 Depth=2
                                        ; =>    This Inner Loop Header: Depth=3
	flat_load_dwordx4 v[14:17], v[0:1]
	s_add_i32 s2, s2, -1
	v_lshl_add_u64 v[0:1], v[0:1], 0, 16
	s_cmp_eq_u32 s2, 0
	s_waitcnt vmcnt(0) lgkmcnt(0)
	v_mul_f64 v[20:21], s[10:11], v[16:17]
	v_mul_f64 v[18:19], s[8:9], v[16:17]
	v_fma_f64 v[16:17], s[8:9], v[14:15], -v[20:21]
	v_fmac_f64_e32 v[18:19], s[10:11], v[14:15]
	ds_write_b128 v2, v[16:19]
	v_add_u32_e32 v2, 16, v2
	s_cbranch_scc0 .LBB200_19
; %bb.20:                               ;   in Loop: Header=BB200_18 Depth=2
	s_cmp_lt_i32 s12, 1
	s_cbranch_scc1 .LBB200_25
; %bb.21:                               ;   in Loop: Header=BB200_18 Depth=2
	s_mov_b32 s2, 0
	s_mov_b32 s18, s13
.LBB200_22:                             ;   Parent Loop BB200_15 Depth=1
                                        ;     Parent Loop BB200_18 Depth=2
                                        ; =>    This Loop Header: Depth=3
                                        ;         Child Loop BB200_23 Depth 4
	v_lshl_add_u64 v[0:1], s[2:3], 4, v[4:5]
	flat_load_dwordx4 v[0:3], v[0:1]
	v_mov_b32_e32 v13, v12
	s_mov_b32 s19, s18
	s_mov_b32 s20, s22
.LBB200_23:                             ;   Parent Loop BB200_15 Depth=1
                                        ;     Parent Loop BB200_18 Depth=2
                                        ;       Parent Loop BB200_22 Depth=3
                                        ; =>      This Inner Loop Header: Depth=4
	v_mov_b32_e32 v18, s19
	ds_read_b128 v[18:21], v18
	ds_read_b128 v[14:17], v13
	s_add_i32 s20, s20, -1
	s_add_i32 s19, s19, 64
	s_cmp_eq_u32 s20, 0
	s_waitcnt vmcnt(0) lgkmcnt(0)
	v_mul_f64 v[22:23], v[2:3], v[20:21]
	v_mul_f64 v[20:21], v[0:1], v[20:21]
	v_fma_f64 v[22:23], v[0:1], v[18:19], -v[22:23]
	v_fmac_f64_e32 v[20:21], v[2:3], v[18:19]
	v_add_f64 v[14:15], v[14:15], -v[22:23]
	v_add_f64 v[16:17], v[16:17], -v[20:21]
	ds_write_b128 v13, v[14:17]
	v_add_u32_e32 v13, 16, v13
	s_cbranch_scc0 .LBB200_23
; %bb.24:                               ;   in Loop: Header=BB200_22 Depth=3
	s_add_i32 s2, s2, 1
	s_add_i32 s18, s18, 16
	s_cmp_eq_u32 s2, s12
	s_cbranch_scc0 .LBB200_22
.LBB200_25:                             ;   in Loop: Header=BB200_18 Depth=2
	s_mov_b32 s2, 0
	s_mov_b32 s25, s23
	s_branch .LBB200_27
.LBB200_26:                             ;   in Loop: Header=BB200_27 Depth=3
	s_mul_i32 s19, s18, 0x50
	v_mov_b32_e32 v14, s19
	ds_read_b128 v[14:17], v14
	s_ashr_i32 s19, s18, 31
	s_add_i32 s2, s2, 1
	s_add_i32 s25, s25, 64
	v_lshl_add_u64 v[22:23], s[18:19], 4, v[4:5]
	s_waitcnt lgkmcnt(0)
	v_mul_f64 v[18:19], v[16:17], v[2:3]
	v_mul_f64 v[20:21], v[14:15], v[2:3]
	v_fma_f64 v[18:19], v[14:15], v[0:1], -v[18:19]
	v_fmac_f64_e32 v[20:21], v[16:17], v[0:1]
	s_cmp_eq_u32 s2, s22
	ds_write_b128 v13, v[18:21]
	flat_store_dwordx4 v[22:23], v[18:21]
	s_cbranch_scc1 .LBB200_17
.LBB200_27:                             ;   Parent Loop BB200_15 Depth=1
                                        ;     Parent Loop BB200_18 Depth=2
                                        ; =>    This Loop Header: Depth=3
                                        ;         Child Loop BB200_29 Depth 4
	s_cmp_lg_u32 s2, 0
	v_lshl_add_u32 v13, s2, 4, v12
	s_cbranch_scc0 .LBB200_31
; %bb.28:                               ;   in Loop: Header=BB200_27 Depth=3
	ds_read_b128 v[0:3], v13
	s_add_i32 s18, s2, s12
	s_mov_b32 s19, s25
	v_mov_b32_e32 v14, v12
	s_mov_b32 s20, s2
.LBB200_29:                             ;   Parent Loop BB200_15 Depth=1
                                        ;     Parent Loop BB200_18 Depth=2
                                        ;       Parent Loop BB200_27 Depth=3
                                        ; =>      This Inner Loop Header: Depth=4
	v_mov_b32_e32 v15, s19
	ds_read_b128 v[16:19], v14
	ds_read_b128 v[20:23], v15
	s_add_i32 s20, s20, -1
	s_add_i32 s19, s19, 16
	v_add_u32_e32 v14, 16, v14
	s_cmp_eq_u32 s20, 0
	s_waitcnt lgkmcnt(0)
	v_mul_f64 v[24:25], v[22:23], v[18:19]
	v_mul_f64 v[18:19], v[20:21], v[18:19]
	v_fma_f64 v[20:21], v[20:21], v[16:17], -v[24:25]
	v_fmac_f64_e32 v[18:19], v[22:23], v[16:17]
	v_add_f64 v[0:1], v[0:1], -v[20:21]
	v_add_f64 v[2:3], v[2:3], -v[18:19]
	ds_write_b128 v13, v[0:3]
	s_cbranch_scc0 .LBB200_29
; %bb.30:                               ;   in Loop: Header=BB200_27 Depth=3
	s_branch .LBB200_26
.LBB200_31:                             ;   in Loop: Header=BB200_27 Depth=3
                                        ; implicit-def: $vgpr0_vgpr1
                                        ; implicit-def: $sgpr18
	s_cbranch_execz .LBB200_26
; %bb.32:                               ;   in Loop: Header=BB200_27 Depth=3
	ds_read_b128 v[0:3], v12
	s_mov_b32 s18, s12
	s_branch .LBB200_26
.LBB200_33:
	s_mov_b64 s[2:3], 0
.LBB200_34:
	s_and_b64 vcc, exec, s[2:3]
	s_cbranch_vccz .LBB200_54
; %bb.35:
	s_add_i32 s14, s26, -1
	s_add_u32 s0, s6, s0
	s_addc_u32 s1, s7, s1
	v_lshl_add_u64 v[6:7], v[6:7], 4, s[0:1]
	s_lshl_b32 s0, s26, 6
	s_mov_b32 s1, 0
	s_sub_i32 s15, s0, 64
	s_mov_b32 s2, s14
	s_mov_b32 s0, s1
	s_branch .LBB200_37
.LBB200_36:                             ;   in Loop: Header=BB200_37 Depth=1
	s_cmp_lt_i32 s2, 0
	s_cselect_b64 s[4:5], -1, 0
	s_add_i32 s0, s0, 1
	s_cmp_eq_u32 s0, 3
	s_cselect_b64 s[6:7], -1, 0
	s_or_b64 s[4:5], s[4:5], s[6:7]
	s_and_b64 vcc, exec, s[4:5]
	s_cbranch_vccnz .LBB200_54
.LBB200_37:                             ; =>This Loop Header: Depth=1
                                        ;     Child Loop BB200_40 Depth 2
                                        ;       Child Loop BB200_41 Depth 3
                                        ;       Child Loop BB200_43 Depth 3
                                        ;         Child Loop BB200_44 Depth 4
                                        ;       Child Loop BB200_48 Depth 3
                                        ;         Child Loop BB200_50 Depth 4
	s_lshl_b64 s[4:5], s[0:1], 2
	s_getpc_b64 s[6:7]
	s_add_u32 s6, s6, __const._ZL30rocblas_trsm_small_left_deviceILi4ELi4ELb0E19rocblas_complex_numIdES1_PKPKS1_PKPS1_Ev13rocblas_fill_18rocblas_operation_17rocblas_diagonal_iiT3_T4_lilT5_lili.step_sizes@rel32@lo+4
	s_addc_u32 s7, s7, __const._ZL30rocblas_trsm_small_left_deviceILi4ELi4ELb0E19rocblas_complex_numIdES1_PKPKS1_PKPS1_Ev13rocblas_fill_18rocblas_operation_17rocblas_diagonal_iiT3_T4_lilT5_lili.step_sizes@rel32@hi+12
	s_add_u32 s4, s6, s4
	s_addc_u32 s5, s7, s5
	s_load_dword s16, s[4:5], 0x0
	s_waitcnt lgkmcnt(0)
	s_add_i32 s17, s16, -1
	s_cmp_lt_i32 s2, s17
	s_cbranch_scc1 .LBB200_36
; %bb.38:                               ;   in Loop: Header=BB200_37 Depth=1
	s_lshl_b32 s3, s2, 4
	s_add_i32 s19, s15, s3
	s_lshl_b32 s3, s16, 4
	s_max_i32 s18, s16, 1
	s_sub_i32 s20, 0, s3
	s_mul_i32 s21, s2, 0x50
	s_mul_i32 s22, s16, 0xffffffb0
	s_branch .LBB200_40
.LBB200_39:                             ;   in Loop: Header=BB200_40 Depth=2
	s_sub_i32 s2, s2, s16
	s_add_i32 s19, s19, s20
	s_add_i32 s21, s21, s22
	s_cmp_lt_i32 s2, s17
	s_cbranch_scc1 .LBB200_36
.LBB200_40:                             ;   Parent Loop BB200_37 Depth=1
                                        ; =>  This Loop Header: Depth=2
                                        ;       Child Loop BB200_41 Depth 3
                                        ;       Child Loop BB200_43 Depth 3
                                        ;         Child Loop BB200_44 Depth 4
                                        ;       Child Loop BB200_48 Depth 3
                                        ;         Child Loop BB200_50 Depth 4
	s_ashr_i32 s3, s2, 31
	v_lshl_add_u64 v[0:1], s[2:3], 4, v[6:7]
	v_mov_b32_e32 v2, v12
	s_mov_b32 s4, s18
.LBB200_41:                             ;   Parent Loop BB200_37 Depth=1
                                        ;     Parent Loop BB200_40 Depth=2
                                        ; =>    This Inner Loop Header: Depth=3
	flat_load_dwordx4 v[8:11], v[0:1]
	s_add_i32 s4, s4, -1
	v_lshl_add_u64 v[0:1], v[0:1], 0, -16
	s_cmp_eq_u32 s4, 0
	s_waitcnt vmcnt(0) lgkmcnt(0)
	v_mul_f64 v[14:15], s[10:11], v[10:11]
	v_mul_f64 v[16:17], s[8:9], v[10:11]
	v_fma_f64 v[14:15], s[8:9], v[8:9], -v[14:15]
	v_fmac_f64_e32 v[16:17], s[10:11], v[8:9]
	ds_write_b128 v2, v[14:17]
	v_add_u32_e32 v2, 16, v2
	s_cbranch_scc0 .LBB200_41
; %bb.42:                               ;   in Loop: Header=BB200_40 Depth=2
	s_cmp_le_i32 s14, s2
	s_mov_b32 s6, s19
	s_mov_b32 s4, s14
	s_cbranch_scc1 .LBB200_46
.LBB200_43:                             ;   Parent Loop BB200_37 Depth=1
                                        ;     Parent Loop BB200_40 Depth=2
                                        ; =>    This Loop Header: Depth=3
                                        ;         Child Loop BB200_44 Depth 4
	s_ashr_i32 s5, s4, 31
	v_lshl_add_u64 v[0:1], s[4:5], 4, v[4:5]
	flat_load_dwordx4 v[0:3], v[0:1]
	v_mov_b32_e32 v8, v12
	s_mov_b32 s5, s6
	s_mov_b32 s7, s18
.LBB200_44:                             ;   Parent Loop BB200_37 Depth=1
                                        ;     Parent Loop BB200_40 Depth=2
                                        ;       Parent Loop BB200_43 Depth=3
                                        ; =>      This Inner Loop Header: Depth=4
	v_mov_b32_e32 v9, s5
	ds_read_b128 v[18:21], v9
	ds_read_b128 v[14:17], v8
	s_add_i32 s7, s7, -1
	s_add_i32 s5, s5, -16
	s_cmp_eq_u32 s7, 0
	s_waitcnt vmcnt(0) lgkmcnt(0)
	v_mul_f64 v[10:11], v[2:3], v[20:21]
	v_mul_f64 v[20:21], v[0:1], v[20:21]
	v_fma_f64 v[10:11], v[0:1], v[18:19], -v[10:11]
	v_fmac_f64_e32 v[20:21], v[2:3], v[18:19]
	v_add_f64 v[14:15], v[14:15], -v[10:11]
	v_add_f64 v[16:17], v[16:17], -v[20:21]
	ds_write_b128 v8, v[14:17]
	v_add_u32_e32 v8, 16, v8
	s_cbranch_scc0 .LBB200_44
; %bb.45:                               ;   in Loop: Header=BB200_43 Depth=3
	s_add_i32 s4, s4, -1
	s_sub_i32 s6, s6, 64
	s_cmp_le_i32 s4, s2
	s_cbranch_scc0 .LBB200_43
.LBB200_46:                             ;   in Loop: Header=BB200_40 Depth=2
	s_mov_b32 s23, 0
	s_mov_b32 s24, s21
	s_branch .LBB200_48
.LBB200_47:                             ;   in Loop: Header=BB200_48 Depth=3
	s_mulk_i32 s6, 0x50
	v_mov_b32_e32 v9, s6
	ds_read_b128 v[14:17], v9
	s_add_i32 s23, s23, 1
	s_add_i32 s24, s24, -16
	v_lshl_add_u64 v[10:11], s[4:5], 4, v[4:5]
	s_cmp_eq_u32 s23, s18
	s_waitcnt lgkmcnt(0)
	v_mul_f64 v[18:19], v[16:17], v[2:3]
	v_mul_f64 v[20:21], v[14:15], v[2:3]
	v_fma_f64 v[18:19], v[14:15], v[0:1], -v[18:19]
	v_fmac_f64_e32 v[20:21], v[16:17], v[0:1]
	ds_write_b128 v8, v[18:21]
	flat_store_dwordx4 v[10:11], v[18:21]
	s_cbranch_scc1 .LBB200_39
.LBB200_48:                             ;   Parent Loop BB200_37 Depth=1
                                        ;     Parent Loop BB200_40 Depth=2
                                        ; =>    This Loop Header: Depth=3
                                        ;         Child Loop BB200_50 Depth 4
	s_cmp_lg_u32 s23, 0
	v_lshl_add_u32 v8, s23, 4, v12
	s_cbranch_scc0 .LBB200_52
; %bb.49:                               ;   in Loop: Header=BB200_48 Depth=3
	ds_read_b128 v[0:3], v8
	v_mov_b32_e32 v9, v12
	s_mov_b32 s4, s24
	s_mov_b32 s5, s23
.LBB200_50:                             ;   Parent Loop BB200_37 Depth=1
                                        ;     Parent Loop BB200_40 Depth=2
                                        ;       Parent Loop BB200_48 Depth=3
                                        ; =>      This Inner Loop Header: Depth=4
	v_mov_b32_e32 v10, s4
	ds_read_b128 v[14:17], v9
	ds_read_b128 v[18:21], v10
	s_add_i32 s5, s5, -1
	s_sub_i32 s4, s4, 64
	v_add_u32_e32 v9, 16, v9
	s_cmp_eq_u32 s5, 0
	s_waitcnt lgkmcnt(0)
	v_mul_f64 v[10:11], v[20:21], v[16:17]
	v_mul_f64 v[16:17], v[18:19], v[16:17]
	v_fma_f64 v[10:11], v[18:19], v[14:15], -v[10:11]
	v_fmac_f64_e32 v[16:17], v[20:21], v[14:15]
	v_add_f64 v[0:1], v[0:1], -v[10:11]
	v_add_f64 v[2:3], v[2:3], -v[16:17]
	ds_write_b128 v8, v[0:3]
	s_cbranch_scc0 .LBB200_50
; %bb.51:                               ;   in Loop: Header=BB200_48 Depth=3
	s_sub_i32 s6, s2, s23
	s_ashr_i32 s7, s6, 31
	s_mov_b64 s[4:5], s[6:7]
	s_branch .LBB200_47
.LBB200_52:                             ;   in Loop: Header=BB200_48 Depth=3
                                        ; implicit-def: $vgpr0_vgpr1
                                        ; implicit-def: $sgpr6
                                        ; implicit-def: $sgpr4_sgpr5
	s_cbranch_execz .LBB200_47
; %bb.53:                               ;   in Loop: Header=BB200_48 Depth=3
	ds_read_b128 v[0:3], v12
	s_mov_b64 s[4:5], s[2:3]
	s_mov_b32 s6, s2
	s_branch .LBB200_47
.LBB200_54:
	s_endpgm
	.section	.rodata,"a",@progbits
	.p2align	6, 0x0
	.amdhsa_kernel _ZL30rocblas_trsm_small_left_deviceILi4ELi4ELb0E19rocblas_complex_numIdES1_PKPKS1_PKPS1_Ev13rocblas_fill_18rocblas_operation_17rocblas_diagonal_iiT3_T4_lilT5_lili
		.amdhsa_group_segment_fixed_size 512
		.amdhsa_private_segment_fixed_size 0
		.amdhsa_kernarg_size 368
		.amdhsa_user_sgpr_count 4
		.amdhsa_user_sgpr_dispatch_ptr 1
		.amdhsa_user_sgpr_queue_ptr 0
		.amdhsa_user_sgpr_kernarg_segment_ptr 1
		.amdhsa_user_sgpr_dispatch_id 0
		.amdhsa_user_sgpr_kernarg_preload_length 0
		.amdhsa_user_sgpr_kernarg_preload_offset 0
		.amdhsa_user_sgpr_private_segment_size 0
		.amdhsa_uses_dynamic_stack 0
		.amdhsa_enable_private_segment 0
		.amdhsa_system_sgpr_workgroup_id_x 1
		.amdhsa_system_sgpr_workgroup_id_y 0
		.amdhsa_system_sgpr_workgroup_id_z 1
		.amdhsa_system_sgpr_workgroup_info 0
		.amdhsa_system_vgpr_workitem_id 2
		.amdhsa_next_free_vgpr 26
		.amdhsa_next_free_sgpr 30
		.amdhsa_accum_offset 28
		.amdhsa_reserve_vcc 1
		.amdhsa_float_round_mode_32 0
		.amdhsa_float_round_mode_16_64 0
		.amdhsa_float_denorm_mode_32 3
		.amdhsa_float_denorm_mode_16_64 3
		.amdhsa_dx10_clamp 1
		.amdhsa_ieee_mode 1
		.amdhsa_fp16_overflow 0
		.amdhsa_tg_split 0
		.amdhsa_exception_fp_ieee_invalid_op 0
		.amdhsa_exception_fp_denorm_src 0
		.amdhsa_exception_fp_ieee_div_zero 0
		.amdhsa_exception_fp_ieee_overflow 0
		.amdhsa_exception_fp_ieee_underflow 0
		.amdhsa_exception_fp_ieee_inexact 0
		.amdhsa_exception_int_div_zero 0
	.end_amdhsa_kernel
	.section	.text._ZL30rocblas_trsm_small_left_deviceILi4ELi4ELb0E19rocblas_complex_numIdES1_PKPKS1_PKPS1_Ev13rocblas_fill_18rocblas_operation_17rocblas_diagonal_iiT3_T4_lilT5_lili,"axG",@progbits,_ZL30rocblas_trsm_small_left_deviceILi4ELi4ELb0E19rocblas_complex_numIdES1_PKPKS1_PKPS1_Ev13rocblas_fill_18rocblas_operation_17rocblas_diagonal_iiT3_T4_lilT5_lili,comdat
.Lfunc_end200:
	.size	_ZL30rocblas_trsm_small_left_deviceILi4ELi4ELb0E19rocblas_complex_numIdES1_PKPKS1_PKPS1_Ev13rocblas_fill_18rocblas_operation_17rocblas_diagonal_iiT3_T4_lilT5_lili, .Lfunc_end200-_ZL30rocblas_trsm_small_left_deviceILi4ELi4ELb0E19rocblas_complex_numIdES1_PKPKS1_PKPS1_Ev13rocblas_fill_18rocblas_operation_17rocblas_diagonal_iiT3_T4_lilT5_lili
                                        ; -- End function
	.set _ZL30rocblas_trsm_small_left_deviceILi4ELi4ELb0E19rocblas_complex_numIdES1_PKPKS1_PKPS1_Ev13rocblas_fill_18rocblas_operation_17rocblas_diagonal_iiT3_T4_lilT5_lili.num_vgpr, 26
	.set _ZL30rocblas_trsm_small_left_deviceILi4ELi4ELb0E19rocblas_complex_numIdES1_PKPKS1_PKPS1_Ev13rocblas_fill_18rocblas_operation_17rocblas_diagonal_iiT3_T4_lilT5_lili.num_agpr, 0
	.set _ZL30rocblas_trsm_small_left_deviceILi4ELi4ELb0E19rocblas_complex_numIdES1_PKPKS1_PKPS1_Ev13rocblas_fill_18rocblas_operation_17rocblas_diagonal_iiT3_T4_lilT5_lili.numbered_sgpr, 30
	.set _ZL30rocblas_trsm_small_left_deviceILi4ELi4ELb0E19rocblas_complex_numIdES1_PKPKS1_PKPS1_Ev13rocblas_fill_18rocblas_operation_17rocblas_diagonal_iiT3_T4_lilT5_lili.num_named_barrier, 0
	.set _ZL30rocblas_trsm_small_left_deviceILi4ELi4ELb0E19rocblas_complex_numIdES1_PKPKS1_PKPS1_Ev13rocblas_fill_18rocblas_operation_17rocblas_diagonal_iiT3_T4_lilT5_lili.private_seg_size, 0
	.set _ZL30rocblas_trsm_small_left_deviceILi4ELi4ELb0E19rocblas_complex_numIdES1_PKPKS1_PKPS1_Ev13rocblas_fill_18rocblas_operation_17rocblas_diagonal_iiT3_T4_lilT5_lili.uses_vcc, 1
	.set _ZL30rocblas_trsm_small_left_deviceILi4ELi4ELb0E19rocblas_complex_numIdES1_PKPKS1_PKPS1_Ev13rocblas_fill_18rocblas_operation_17rocblas_diagonal_iiT3_T4_lilT5_lili.uses_flat_scratch, 0
	.set _ZL30rocblas_trsm_small_left_deviceILi4ELi4ELb0E19rocblas_complex_numIdES1_PKPKS1_PKPS1_Ev13rocblas_fill_18rocblas_operation_17rocblas_diagonal_iiT3_T4_lilT5_lili.has_dyn_sized_stack, 0
	.set _ZL30rocblas_trsm_small_left_deviceILi4ELi4ELb0E19rocblas_complex_numIdES1_PKPKS1_PKPS1_Ev13rocblas_fill_18rocblas_operation_17rocblas_diagonal_iiT3_T4_lilT5_lili.has_recursion, 0
	.set _ZL30rocblas_trsm_small_left_deviceILi4ELi4ELb0E19rocblas_complex_numIdES1_PKPKS1_PKPS1_Ev13rocblas_fill_18rocblas_operation_17rocblas_diagonal_iiT3_T4_lilT5_lili.has_indirect_call, 0
	.section	.AMDGPU.csdata,"",@progbits
; Kernel info:
; codeLenInByte = 2312
; TotalNumSgprs: 36
; NumVgprs: 26
; NumAgprs: 0
; TotalNumVgprs: 26
; ScratchSize: 0
; MemoryBound: 0
; FloatMode: 240
; IeeeMode: 1
; LDSByteSize: 512 bytes/workgroup (compile time only)
; SGPRBlocks: 4
; VGPRBlocks: 3
; NumSGPRsForWavesPerEU: 36
; NumVGPRsForWavesPerEU: 26
; AccumOffset: 28
; Occupancy: 8
; WaveLimiterHint : 1
; COMPUTE_PGM_RSRC2:SCRATCH_EN: 0
; COMPUTE_PGM_RSRC2:USER_SGPR: 4
; COMPUTE_PGM_RSRC2:TRAP_HANDLER: 0
; COMPUTE_PGM_RSRC2:TGID_X_EN: 1
; COMPUTE_PGM_RSRC2:TGID_Y_EN: 0
; COMPUTE_PGM_RSRC2:TGID_Z_EN: 1
; COMPUTE_PGM_RSRC2:TIDIG_COMP_CNT: 2
; COMPUTE_PGM_RSRC3_GFX90A:ACCUM_OFFSET: 6
; COMPUTE_PGM_RSRC3_GFX90A:TG_SPLIT: 0
	.section	.text._ZL38rocblas_trsm_small_left_device_sharedBILi4ELi4ELb1E19rocblas_complex_numIdES1_PKPKS1_PKPS1_Ev13rocblas_fill_18rocblas_operation_17rocblas_diagonal_iiT3_T4_lilT5_lili,"axG",@progbits,_ZL38rocblas_trsm_small_left_device_sharedBILi4ELi4ELb1E19rocblas_complex_numIdES1_PKPKS1_PKPS1_Ev13rocblas_fill_18rocblas_operation_17rocblas_diagonal_iiT3_T4_lilT5_lili,comdat
	.globl	_ZL38rocblas_trsm_small_left_device_sharedBILi4ELi4ELb1E19rocblas_complex_numIdES1_PKPKS1_PKPS1_Ev13rocblas_fill_18rocblas_operation_17rocblas_diagonal_iiT3_T4_lilT5_lili ; -- Begin function _ZL38rocblas_trsm_small_left_device_sharedBILi4ELi4ELb1E19rocblas_complex_numIdES1_PKPKS1_PKPS1_Ev13rocblas_fill_18rocblas_operation_17rocblas_diagonal_iiT3_T4_lilT5_lili
	.p2align	8
	.type	_ZL38rocblas_trsm_small_left_device_sharedBILi4ELi4ELb1E19rocblas_complex_numIdES1_PKPKS1_PKPS1_Ev13rocblas_fill_18rocblas_operation_17rocblas_diagonal_iiT3_T4_lilT5_lili,@function
_ZL38rocblas_trsm_small_left_device_sharedBILi4ELi4ELb1E19rocblas_complex_numIdES1_PKPKS1_PKPS1_Ev13rocblas_fill_18rocblas_operation_17rocblas_diagonal_iiT3_T4_lilT5_lili: ; @_ZL38rocblas_trsm_small_left_device_sharedBILi4ELi4ELb1E19rocblas_complex_numIdES1_PKPKS1_PKPS1_Ev13rocblas_fill_18rocblas_operation_17rocblas_diagonal_iiT3_T4_lilT5_lili
; %bb.0:
	s_load_dwordx4 s[12:15], s[0:1], 0x4
	s_load_dwordx4 s[16:19], s[0:1], 0x48
	s_load_dwordx8 s[4:11], s[0:1], 0x18
	s_mov_b32 s20, s3
	s_mov_b32 s21, 0
	s_lshl_b64 s[22:23], s[20:21], 3
	s_waitcnt lgkmcnt(0)
	s_add_u32 s16, s16, s22
	s_addc_u32 s17, s17, s23
	s_load_dword s3, s[0:1], 0x70
	s_min_i32 s24, s14, 4
	s_load_dwordx2 s[16:17], s[16:17], 0x0
	v_cmp_gt_i32_e32 vcc, s24, v0
	s_and_saveexec_b64 s[20:21], vcc
	s_cbranch_execz .LBB201_11
; %bb.1:
	s_load_dword s26, s[0:1], 0x38
	v_lshlrev_b32_e32 v2, 4, v0
	v_mov_b32_e32 v3, 0
	v_mov_b32_e32 v1, v2
	s_waitcnt lgkmcnt(0)
	s_ashr_i32 s27, s26, 31
	s_cmpk_eq_i32 s12, 0x71
	s_cselect_b64 vcc, -1, 0
	s_add_u32 s8, s8, s22
	s_addc_u32 s9, s9, s23
	s_load_dwordx2 s[8:9], s[8:9], 0x0
	s_lshl_b64 s[10:11], s[10:11], 4
	s_waitcnt lgkmcnt(0)
	s_add_u32 s10, s8, s10
	s_addc_u32 s11, s9, s11
	s_lshl_b64 s[8:9], s[26:27], 4
	v_lshl_add_u64 v[4:5], s[10:11], 0, v[2:3]
	s_mov_b32 s10, s24
.LBB201_2:                              ; =>This Inner Loop Header: Depth=1
	flat_load_dwordx4 v[6:9], v[4:5]
	s_add_i32 s10, s10, -1
	v_lshl_add_u64 v[4:5], v[4:5], 0, s[8:9]
	s_cmp_eq_u32 s10, 0
	s_waitcnt vmcnt(0) lgkmcnt(0)
	v_xor_b32_e32 v3, 0x80000000, v9
	v_cndmask_b32_e32 v9, v9, v3, vcc
	ds_write_b128 v1, v[6:9]
	v_add_u32_e32 v1, 64, v1
	s_cbranch_scc0 .LBB201_2
; %bb.3:
	v_lshlrev_b32_e32 v1, 6, v0
	s_cmpk_lg_i32 s13, 0x84
	v_add_u32_e32 v1, v2, v1
	s_cbranch_scc0 .LBB201_9
; %bb.4:
	ds_read_b128 v[2:5], v1
                                        ; implicit-def: $vgpr8_vgpr9
	s_waitcnt lgkmcnt(0)
	v_cmp_ngt_f64_e64 s[8:9], |v[2:3]|, |v[4:5]|
	s_and_saveexec_b64 s[10:11], s[8:9]
	s_xor_b64 s[8:9], exec, s[10:11]
	s_cbranch_execz .LBB201_6
; %bb.5:
	v_div_scale_f64 v[6:7], s[10:11], v[4:5], v[4:5], v[2:3]
	v_rcp_f64_e32 v[8:9], v[6:7]
	v_div_scale_f64 v[10:11], vcc, v[2:3], v[4:5], v[2:3]
	v_fma_f64 v[12:13], -v[6:7], v[8:9], 1.0
	v_fmac_f64_e32 v[8:9], v[8:9], v[12:13]
	v_fma_f64 v[12:13], -v[6:7], v[8:9], 1.0
	v_fmac_f64_e32 v[8:9], v[8:9], v[12:13]
	v_mul_f64 v[12:13], v[10:11], v[8:9]
	v_fma_f64 v[6:7], -v[6:7], v[12:13], v[10:11]
	v_div_fmas_f64 v[6:7], v[6:7], v[8:9], v[12:13]
	v_div_fixup_f64 v[8:9], v[6:7], v[4:5], v[2:3]
	v_fmac_f64_e32 v[4:5], v[2:3], v[8:9]
	v_div_scale_f64 v[2:3], s[10:11], v[4:5], v[4:5], 1.0
	v_rcp_f64_e32 v[6:7], v[2:3]
	s_nop 0
	v_fma_f64 v[10:11], -v[2:3], v[6:7], 1.0
	v_fmac_f64_e32 v[6:7], v[6:7], v[10:11]
	v_fma_f64 v[10:11], -v[2:3], v[6:7], 1.0
	v_fmac_f64_e32 v[6:7], v[6:7], v[10:11]
	v_div_scale_f64 v[10:11], vcc, 1.0, v[4:5], 1.0
	v_mul_f64 v[12:13], v[10:11], v[6:7]
	v_fma_f64 v[2:3], -v[2:3], v[12:13], v[10:11]
	s_nop 1
	v_div_fmas_f64 v[2:3], v[2:3], v[6:7], v[12:13]
	v_div_fixup_f64 v[2:3], v[2:3], v[4:5], 1.0
	v_add_f64 v[4:5], v[8:9], 0
	v_mul_f64 v[6:7], v[4:5], v[2:3]
	v_fma_f64 v[4:5], v[8:9], 0, -1.0
	v_mul_f64 v[8:9], v[4:5], v[2:3]
                                        ; implicit-def: $vgpr2_vgpr3
.LBB201_6:
	s_andn2_saveexec_b64 s[8:9], s[8:9]
	s_cbranch_execz .LBB201_8
; %bb.7:
	v_div_scale_f64 v[6:7], s[10:11], v[2:3], v[2:3], v[4:5]
	v_rcp_f64_e32 v[8:9], v[6:7]
	v_div_scale_f64 v[10:11], vcc, v[4:5], v[2:3], v[4:5]
	v_fma_f64 v[12:13], -v[6:7], v[8:9], 1.0
	v_fmac_f64_e32 v[8:9], v[8:9], v[12:13]
	v_fma_f64 v[12:13], -v[6:7], v[8:9], 1.0
	v_fmac_f64_e32 v[8:9], v[8:9], v[12:13]
	v_mul_f64 v[12:13], v[10:11], v[8:9]
	v_fma_f64 v[6:7], -v[6:7], v[12:13], v[10:11]
	v_div_fmas_f64 v[6:7], v[6:7], v[8:9], v[12:13]
	v_div_fixup_f64 v[8:9], v[6:7], v[2:3], v[4:5]
	v_fmac_f64_e32 v[2:3], v[4:5], v[8:9]
	v_div_scale_f64 v[4:5], s[10:11], v[2:3], v[2:3], 1.0
	v_rcp_f64_e32 v[6:7], v[4:5]
	s_nop 0
	v_fma_f64 v[10:11], -v[4:5], v[6:7], 1.0
	v_fmac_f64_e32 v[6:7], v[6:7], v[10:11]
	v_fma_f64 v[10:11], -v[4:5], v[6:7], 1.0
	v_fmac_f64_e32 v[6:7], v[6:7], v[10:11]
	v_div_scale_f64 v[10:11], vcc, 1.0, v[2:3], 1.0
	v_mul_f64 v[12:13], v[10:11], v[6:7]
	v_fma_f64 v[4:5], -v[4:5], v[12:13], v[10:11]
	s_nop 1
	v_div_fmas_f64 v[4:5], v[4:5], v[6:7], v[12:13]
	v_div_fixup_f64 v[2:3], v[4:5], v[2:3], 1.0
	v_fma_f64 v[4:5], v[8:9], 0, 1.0
	v_mul_f64 v[6:7], v[4:5], v[2:3]
	v_add_f64 v[4:5], -v[8:9], 0
	v_mul_f64 v[8:9], v[4:5], v[2:3]
.LBB201_8:
	s_or_b64 exec, exec, s[8:9]
	s_branch .LBB201_10
.LBB201_9:
	v_mov_b64_e32 v[8:9], 0
	v_mov_b64_e32 v[6:7], 1.0
.LBB201_10:
	ds_write_b128 v1, v[6:9]
.LBB201_11:
	s_or_b64 exec, exec, s[20:21]
	s_load_dword s13, s[0:1], 0x58
	s_lshl_b64 s[0:1], s[18:19], 4
	s_waitcnt lgkmcnt(0)
	s_add_u32 s8, s16, s0
	s_addc_u32 s9, s17, s1
	s_lshl_b32 s0, s2, 2
	s_add_i32 s3, s3, -1
	s_sub_i32 s1, s15, s0
	s_cmp_ge_u32 s2, s3
	s_cselect_b32 s10, s1, 4
	s_mul_hi_i32 s1, s13, s0
	s_mul_i32 s0, s13, s0
	s_lshl_b64 s[0:1], s[0:1], 4
	s_add_u32 s2, s8, s0
	s_addc_u32 s3, s9, s1
	s_cmp_gt_i32 s14, 0
	v_cmp_gt_i32_e64 s[0:1], s10, v0
	s_cselect_b64 s[8:9], -1, 0
	s_and_b64 s[16:17], s[0:1], s[8:9]
	s_and_saveexec_b64 s[10:11], s[16:17]
	s_cbranch_execz .LBB201_14
; %bb.12:
	v_mad_i64_i32 v[2:3], s[16:17], s13, v0, 0
	v_mov_b32_e32 v1, 0x100
	v_lshl_add_u64 v[2:3], v[2:3], 4, s[2:3]
	v_lshl_or_b32 v1, v0, 4, v1
	s_mov_b32 s15, s24
.LBB201_13:                             ; =>This Inner Loop Header: Depth=1
	flat_load_dwordx4 v[4:7], v[2:3]
	s_add_i32 s15, s15, -1
	v_lshl_add_u64 v[2:3], v[2:3], 0, 16
	s_cmp_lg_u32 s15, 0
	s_waitcnt vmcnt(0) lgkmcnt(0)
	v_mul_f64 v[10:11], s[6:7], v[6:7]
	v_mul_f64 v[8:9], s[4:5], v[6:7]
	v_fma_f64 v[6:7], s[4:5], v[4:5], -v[10:11]
	v_fmac_f64_e32 v[8:9], s[6:7], v[4:5]
	ds_write_b128 v1, v[6:9]
	v_add_u32_e32 v1, 64, v1
	s_cbranch_scc1 .LBB201_13
.LBB201_14:
	s_or_b64 exec, exec, s[10:11]
	v_mov_b32_e32 v1, 0x100
	s_cmpk_eq_i32 s12, 0x6f
	v_lshl_or_b32 v1, v0, 4, v1
	s_mov_b64 s[4:5], -1
	s_waitcnt lgkmcnt(0)
	; wave barrier
	s_cbranch_scc1 .LBB201_31
; %bb.15:
	s_add_i32 s4, s24, -1
	s_cmp_gt_i32 s14, 3
	s_mov_b32 s6, s4
	s_cbranch_scc0 .LBB201_17
; %bb.16:
	v_mov_b32_e32 v32, 0
	ds_read_b128 v[2:5], v32 offset:240
	ds_read_b128 v[6:9], v1 offset:192
	;; [unrolled: 1-line block ×4, first 2 shown]
	ds_read_b128 v[18:21], v1
	ds_read_b128 v[22:25], v32 offset:176
	s_waitcnt lgkmcnt(4)
	v_mul_f64 v[28:29], v[2:3], v[8:9]
	v_mul_f64 v[26:27], v[4:5], v[8:9]
	v_fmac_f64_e32 v[28:29], v[4:5], v[6:7]
	v_fma_f64 v[26:27], v[2:3], v[6:7], -v[26:27]
	s_waitcnt lgkmcnt(0)
	v_mul_f64 v[2:3], v[24:25], v[28:29]
	v_mul_f64 v[8:9], v[22:23], v[28:29]
	v_fma_f64 v[6:7], v[22:23], v[26:27], -v[2:3]
	ds_read_b128 v[2:5], v32 offset:160
	v_fmac_f64_e32 v[8:9], v[24:25], v[26:27]
	v_add_f64 v[22:23], v[10:11], -v[6:7]
	v_add_f64 v[12:13], v[12:13], -v[8:9]
	ds_read_b128 v[6:9], v32 offset:112
	s_waitcnt lgkmcnt(1)
	v_mul_f64 v[10:11], v[4:5], v[12:13]
	v_fma_f64 v[10:11], v[2:3], v[22:23], -v[10:11]
	v_mul_f64 v[12:13], v[2:3], v[12:13]
	v_fmac_f64_e32 v[12:13], v[4:5], v[22:23]
	s_waitcnt lgkmcnt(0)
	v_mul_f64 v[2:3], v[8:9], v[28:29]
	v_fma_f64 v[22:23], v[6:7], v[26:27], -v[2:3]
	ds_read_b128 v[2:5], v32 offset:96
	v_mul_f64 v[6:7], v[6:7], v[28:29]
	v_fmac_f64_e32 v[6:7], v[8:9], v[26:27]
	v_add_f64 v[16:17], v[16:17], -v[6:7]
	ds_read_b128 v[6:9], v32 offset:80
	v_add_f64 v[14:15], v[14:15], -v[22:23]
	s_waitcnt lgkmcnt(1)
	v_mul_f64 v[22:23], v[4:5], v[12:13]
	v_fma_f64 v[22:23], v[2:3], v[10:11], -v[22:23]
	v_mul_f64 v[2:3], v[2:3], v[12:13]
	ds_write_b128 v1, v[26:29] offset:192
	ds_write_b128 v1, v[10:13] offset:128
	v_fmac_f64_e32 v[2:3], v[4:5], v[10:11]
	v_add_f64 v[30:31], v[14:15], -v[22:23]
	v_add_f64 v[4:5], v[16:17], -v[2:3]
	ds_read_b128 v[14:17], v32 offset:32
	ds_read_b128 v[22:25], v32 offset:48
	s_waitcnt lgkmcnt(4)
	v_mul_f64 v[2:3], v[8:9], v[4:5]
	v_mul_f64 v[4:5], v[6:7], v[4:5]
	v_fma_f64 v[2:3], v[6:7], v[30:31], -v[2:3]
	v_fmac_f64_e32 v[4:5], v[8:9], v[30:31]
	ds_write_b128 v1, v[2:5] offset:64
	ds_read_b128 v[6:9], v32
	ds_read_b128 v[30:33], v32 offset:16
	s_waitcnt lgkmcnt(3)
	v_mul_f64 v[34:35], v[24:25], v[28:29]
	v_fma_f64 v[34:35], v[22:23], v[26:27], -v[34:35]
	v_mul_f64 v[22:23], v[22:23], v[28:29]
	v_fmac_f64_e32 v[22:23], v[24:25], v[26:27]
	v_add_f64 v[20:21], v[20:21], -v[22:23]
	v_mul_f64 v[22:23], v[16:17], v[12:13]
	v_mul_f64 v[12:13], v[14:15], v[12:13]
	v_fma_f64 v[22:23], v[14:15], v[10:11], -v[22:23]
	v_fmac_f64_e32 v[12:13], v[16:17], v[10:11]
	s_waitcnt lgkmcnt(0)
	v_mul_f64 v[14:15], v[32:33], v[4:5]
	v_mul_f64 v[4:5], v[30:31], v[4:5]
	v_add_f64 v[18:19], v[18:19], -v[34:35]
	v_add_f64 v[12:13], v[20:21], -v[12:13]
	v_fmac_f64_e32 v[4:5], v[32:33], v[2:3]
	v_add_f64 v[10:11], v[18:19], -v[22:23]
	v_fma_f64 v[14:15], v[30:31], v[2:3], -v[14:15]
	v_add_f64 v[4:5], v[12:13], -v[4:5]
	v_add_f64 v[10:11], v[10:11], -v[14:15]
	v_mul_f64 v[2:3], v[8:9], v[4:5]
	v_mul_f64 v[4:5], v[6:7], v[4:5]
	v_fma_f64 v[2:3], v[6:7], v[10:11], -v[2:3]
	v_fmac_f64_e32 v[4:5], v[8:9], v[10:11]
	s_mov_b32 s6, -1
	ds_write_b128 v1, v[2:5]
.LBB201_17:
	s_cmp_gt_i32 s6, -1
	s_cbranch_scc0 .LBB201_30
; %bb.18:
	s_bitcmp1_b32 s6, 0
	s_cselect_b64 s[10:11], -1, 0
	s_and_b64 vcc, exec, s[10:11]
	s_mov_b32 s5, s6
	s_cbranch_vccnz .LBB201_23
; %bb.19:
	s_lshl_b32 s5, s6, 6
	v_add_u32_e32 v6, s5, v1
	ds_read_b128 v[2:5], v6
	s_cmp_le_i32 s4, s6
	s_cbranch_scc1 .LBB201_22
; %bb.20:
	s_lshl_b32 s7, s24, 4
	v_lshlrev_b32_e32 v7, 4, v0
	s_add_i32 s5, s5, s7
	v_lshl_or_b32 v7, s24, 6, v7
	s_add_i32 s5, s5, -16
	v_add_u32_e32 v7, 0xc0, v7
	s_mov_b32 s7, s4
.LBB201_21:                             ; =>This Inner Loop Header: Depth=1
	v_mov_b32_e32 v12, s5
	ds_read_b128 v[8:11], v7
	ds_read_b128 v[12:15], v12
	s_add_i32 s7, s7, -1
	s_add_i32 s5, s5, -16
	v_subrev_u32_e32 v7, 64, v7
	s_cmp_gt_i32 s7, s6
	s_waitcnt lgkmcnt(0)
	v_mul_f64 v[16:17], v[10:11], v[14:15]
	v_mul_f64 v[14:15], v[8:9], v[14:15]
	v_fma_f64 v[8:9], v[8:9], v[12:13], -v[16:17]
	v_fmac_f64_e32 v[14:15], v[10:11], v[12:13]
	v_add_f64 v[2:3], v[2:3], -v[8:9]
	v_add_f64 v[4:5], v[4:5], -v[14:15]
	s_cbranch_scc1 .LBB201_21
.LBB201_22:
	s_mul_i32 s5, s6, 0x50
	v_mov_b32_e32 v7, s5
	ds_read_b128 v[8:11], v7
	s_add_i32 s5, s6, -1
	s_waitcnt lgkmcnt(0)
	v_mul_f64 v[12:13], v[10:11], v[4:5]
	v_mul_f64 v[14:15], v[8:9], v[4:5]
	v_fma_f64 v[12:13], v[8:9], v[2:3], -v[12:13]
	v_fmac_f64_e32 v[14:15], v[10:11], v[2:3]
	ds_write_b128 v6, v[12:15]
.LBB201_23:
	s_cmp_eq_u32 s6, 0
	s_cbranch_scc1 .LBB201_30
; %bb.24:
	s_lshl_b32 s6, s5, 6
	s_lshl_b32 s7, s24, 4
	v_lshlrev_b32_e32 v2, 4, v0
	s_add_i32 s7, s6, s7
	v_lshl_or_b32 v2, s24, 6, v2
	s_add_i32 s6, s7, -16
	v_add_u32_e32 v10, 0xc0, v2
	s_addk_i32 s7, 0xffb0
	s_branch .LBB201_26
.LBB201_25:                             ;   in Loop: Header=BB201_26 Depth=1
	s_addk_i32 s10, 0xffb0
	v_mov_b32_e32 v6, s10
	ds_read_b128 v[6:9], v6
	s_add_i32 s10, s5, -2
	s_addk_i32 s6, 0xff80
	s_addk_i32 s7, 0xff80
	s_cmp_lt_i32 s5, 2
	s_waitcnt lgkmcnt(0)
	v_mul_f64 v[12:13], v[8:9], v[4:5]
	v_mul_f64 v[14:15], v[6:7], v[4:5]
	v_fma_f64 v[12:13], v[6:7], v[2:3], -v[12:13]
	v_fmac_f64_e32 v[14:15], v[8:9], v[2:3]
	s_mov_b32 s5, s10
	ds_write_b128 v11, v[12:15]
	s_cbranch_scc1 .LBB201_30
.LBB201_26:                             ; =>This Loop Header: Depth=1
                                        ;     Child Loop BB201_27 Depth 2
                                        ;     Child Loop BB201_29 Depth 2
	s_lshl_b32 s11, s5, 6
	v_add_u32_e32 v12, s11, v1
	ds_read_b128 v[6:9], v12
	s_cmp_le_i32 s4, s5
	v_mov_b32_e32 v2, v10
	s_mov_b32 s10, s6
	s_mov_b32 s12, s4
	s_cbranch_scc1 .LBB201_28
.LBB201_27:                             ;   Parent Loop BB201_26 Depth=1
                                        ; =>  This Inner Loop Header: Depth=2
	v_mov_b32_e32 v3, s10
	ds_read_b128 v[14:17], v2
	ds_read_b128 v[18:21], v3
	s_add_i32 s12, s12, -1
	s_add_i32 s10, s10, -16
	v_subrev_u32_e32 v2, 64, v2
	s_cmp_gt_i32 s12, s5
	s_waitcnt lgkmcnt(0)
	v_mul_f64 v[4:5], v[16:17], v[20:21]
	v_mul_f64 v[20:21], v[14:15], v[20:21]
	v_fma_f64 v[4:5], v[14:15], v[18:19], -v[4:5]
	v_fmac_f64_e32 v[20:21], v[16:17], v[18:19]
	v_add_f64 v[6:7], v[6:7], -v[4:5]
	v_add_f64 v[8:9], v[8:9], -v[20:21]
	s_cbranch_scc1 .LBB201_27
.LBB201_28:                             ;   in Loop: Header=BB201_26 Depth=1
	s_mul_i32 s10, s5, 0x50
	v_mov_b32_e32 v2, s10
	ds_read_b128 v[14:17], v2
	s_sub_i32 s11, s11, 64
	v_add_u32_e32 v11, s11, v1
	ds_read_b128 v[2:5], v11
	s_cmp_le_i32 s24, s5
	s_waitcnt lgkmcnt(1)
	v_mul_f64 v[18:19], v[16:17], v[8:9]
	v_mul_f64 v[20:21], v[14:15], v[8:9]
	v_fma_f64 v[18:19], v[14:15], v[6:7], -v[18:19]
	v_fmac_f64_e32 v[20:21], v[16:17], v[6:7]
	v_mov_b32_e32 v6, v10
	s_mov_b32 s11, s7
	s_mov_b32 s12, s24
	ds_write_b128 v12, v[18:21]
	s_cbranch_scc1 .LBB201_25
.LBB201_29:                             ;   Parent Loop BB201_26 Depth=1
                                        ; =>  This Inner Loop Header: Depth=2
	v_mov_b32_e32 v7, s11
	ds_read_b128 v[12:15], v6
	ds_read_b128 v[16:19], v7
	s_add_i32 s12, s12, -1
	s_add_i32 s11, s11, -16
	v_subrev_u32_e32 v6, 64, v6
	s_cmp_gt_i32 s12, s5
	s_waitcnt lgkmcnt(0)
	v_mul_f64 v[8:9], v[14:15], v[18:19]
	v_mul_f64 v[18:19], v[12:13], v[18:19]
	v_fma_f64 v[8:9], v[12:13], v[16:17], -v[8:9]
	v_fmac_f64_e32 v[18:19], v[14:15], v[16:17]
	v_add_f64 v[2:3], v[2:3], -v[8:9]
	v_add_f64 v[4:5], v[4:5], -v[18:19]
	s_cbranch_scc1 .LBB201_29
	s_branch .LBB201_25
.LBB201_30:
	s_mov_b64 s[4:5], 0
.LBB201_31:
	s_and_b64 vcc, exec, s[4:5]
	s_cbranch_vccz .LBB201_39
; %bb.32:
	s_cmp_gt_i32 s14, 3
	s_mov_b32 s4, 0
	s_cbranch_scc0 .LBB201_34
; %bb.33:
	ds_read_b128 v[2:5], v1
	ds_read_b128 v[6:9], v1 offset:64
	v_mov_b32_e32 v38, 0
	ds_read_b128 v[10:13], v38
	ds_read_b128 v[14:17], v1 offset:128
	ds_read_b128 v[18:21], v1 offset:192
	;; [unrolled: 1-line block ×5, first 2 shown]
	s_mov_b32 s4, 4
	s_waitcnt lgkmcnt(5)
	v_mul_f64 v[36:37], v[10:11], v[4:5]
	v_mul_f64 v[34:35], v[12:13], v[4:5]
	v_fmac_f64_e32 v[36:37], v[12:13], v[2:3]
	v_fma_f64 v[34:35], v[10:11], v[2:3], -v[34:35]
	s_waitcnt lgkmcnt(2)
	v_mul_f64 v[2:3], v[24:25], v[36:37]
	v_fma_f64 v[10:11], v[22:23], v[34:35], -v[2:3]
	ds_read_b128 v[2:5], v38 offset:80
	v_mul_f64 v[12:13], v[22:23], v[36:37]
	v_fmac_f64_e32 v[12:13], v[24:25], v[34:35]
	v_add_f64 v[22:23], v[6:7], -v[10:11]
	v_add_f64 v[12:13], v[8:9], -v[12:13]
	ds_read_b128 v[6:9], v38 offset:96
	s_waitcnt lgkmcnt(1)
	v_mul_f64 v[10:11], v[4:5], v[12:13]
	v_fma_f64 v[10:11], v[2:3], v[22:23], -v[10:11]
	v_mul_f64 v[12:13], v[2:3], v[12:13]
	v_mul_f64 v[2:3], v[28:29], v[36:37]
	v_fmac_f64_e32 v[12:13], v[4:5], v[22:23]
	v_fma_f64 v[2:3], v[26:27], v[34:35], -v[2:3]
	v_mul_f64 v[4:5], v[26:27], v[36:37]
	v_fmac_f64_e32 v[4:5], v[28:29], v[34:35]
	v_add_f64 v[14:15], v[14:15], -v[2:3]
	s_waitcnt lgkmcnt(0)
	v_mul_f64 v[2:3], v[8:9], v[12:13]
	v_add_f64 v[16:17], v[16:17], -v[4:5]
	v_fma_f64 v[22:23], v[6:7], v[10:11], -v[2:3]
	ds_read_b128 v[2:5], v38 offset:160
	v_mul_f64 v[6:7], v[6:7], v[12:13]
	v_fmac_f64_e32 v[6:7], v[8:9], v[10:11]
	v_add_f64 v[16:17], v[16:17], -v[6:7]
	ds_read_b128 v[6:9], v38 offset:112
	v_add_f64 v[22:23], v[14:15], -v[22:23]
	s_waitcnt lgkmcnt(1)
	v_mul_f64 v[14:15], v[4:5], v[16:17]
	v_fma_f64 v[14:15], v[2:3], v[22:23], -v[14:15]
	v_mul_f64 v[16:17], v[2:3], v[16:17]
	v_mul_f64 v[2:3], v[32:33], v[36:37]
	v_fmac_f64_e32 v[16:17], v[4:5], v[22:23]
	v_fma_f64 v[2:3], v[30:31], v[34:35], -v[2:3]
	v_mul_f64 v[4:5], v[30:31], v[36:37]
	v_fmac_f64_e32 v[4:5], v[32:33], v[34:35]
	v_add_f64 v[18:19], v[18:19], -v[2:3]
	s_waitcnt lgkmcnt(0)
	v_mul_f64 v[2:3], v[8:9], v[12:13]
	v_add_f64 v[20:21], v[20:21], -v[4:5]
	v_fma_f64 v[22:23], v[6:7], v[10:11], -v[2:3]
	ds_read_b128 v[2:5], v38 offset:176
	v_mul_f64 v[6:7], v[6:7], v[12:13]
	v_fmac_f64_e32 v[6:7], v[8:9], v[10:11]
	ds_write_b128 v1, v[10:13] offset:64
	v_add_f64 v[12:13], v[20:21], -v[6:7]
	ds_read_b128 v[6:9], v38 offset:240
	v_add_f64 v[10:11], v[18:19], -v[22:23]
	s_waitcnt lgkmcnt(2)
	v_mul_f64 v[18:19], v[4:5], v[16:17]
	v_fma_f64 v[18:19], v[2:3], v[14:15], -v[18:19]
	v_mul_f64 v[2:3], v[2:3], v[16:17]
	v_fmac_f64_e32 v[2:3], v[4:5], v[14:15]
	v_add_f64 v[4:5], v[12:13], -v[2:3]
	v_add_f64 v[10:11], v[10:11], -v[18:19]
	s_waitcnt lgkmcnt(0)
	v_mul_f64 v[2:3], v[8:9], v[4:5]
	v_mul_f64 v[4:5], v[6:7], v[4:5]
	v_fma_f64 v[2:3], v[6:7], v[10:11], -v[2:3]
	v_fmac_f64_e32 v[4:5], v[8:9], v[10:11]
	ds_write_b128 v1, v[34:37]
	ds_write_b128 v1, v[14:17] offset:128
	ds_write_b128 v1, v[2:5] offset:192
.LBB201_34:
	s_cmp_ge_i32 s4, s24
	s_cbranch_scc1 .LBB201_39
; %bb.35:
	v_mov_b32_e32 v2, 0x100
	s_lshl_b32 s5, s4, 4
	v_lshl_or_b32 v6, v0, 4, v2
	s_branch .LBB201_37
.LBB201_36:                             ;   in Loop: Header=BB201_37 Depth=1
	s_lshl_b32 s7, s4, 4
	s_add_i32 s6, s7, s6
	v_mov_b32_e32 v8, s6
	ds_read_b128 v[8:11], v8
	s_add_i32 s4, s4, 1
	s_add_i32 s5, s5, 16
	s_cmp_ge_i32 s4, s24
	s_waitcnt lgkmcnt(0)
	v_mul_f64 v[12:13], v[10:11], v[4:5]
	v_mul_f64 v[14:15], v[8:9], v[4:5]
	v_fma_f64 v[12:13], v[8:9], v[2:3], -v[12:13]
	v_fmac_f64_e32 v[14:15], v[10:11], v[2:3]
	ds_write_b128 v7, v[12:15]
	s_cbranch_scc1 .LBB201_39
.LBB201_37:                             ; =>This Loop Header: Depth=1
                                        ;     Child Loop BB201_38 Depth 2
	s_lshl_b32 s6, s4, 6
	v_add_u32_e32 v7, s6, v1
	ds_read_b128 v[2:5], v7
	s_cmp_eq_u32 s4, 0
	v_mov_b32_e32 v8, v6
	s_mov_b32 s7, s5
	s_mov_b32 s10, s4
	s_cbranch_scc1 .LBB201_36
.LBB201_38:                             ;   Parent Loop BB201_37 Depth=1
                                        ; =>  This Inner Loop Header: Depth=2
	v_mov_b32_e32 v9, s7
	ds_read_b128 v[10:13], v8
	ds_read_b128 v[14:17], v9
	s_add_i32 s10, s10, -1
	s_add_i32 s7, s7, 64
	v_add_u32_e32 v8, 64, v8
	s_cmp_lg_u32 s10, 0
	s_waitcnt lgkmcnt(0)
	v_mul_f64 v[18:19], v[12:13], v[16:17]
	v_mul_f64 v[16:17], v[10:11], v[16:17]
	v_fma_f64 v[10:11], v[10:11], v[14:15], -v[18:19]
	v_fmac_f64_e32 v[16:17], v[12:13], v[14:15]
	v_add_f64 v[2:3], v[2:3], -v[10:11]
	v_add_f64 v[4:5], v[4:5], -v[16:17]
	s_cbranch_scc1 .LBB201_38
	s_branch .LBB201_36
.LBB201_39:
	s_waitcnt lgkmcnt(0)
	; wave barrier
	s_and_saveexec_b64 s[4:5], s[0:1]
	s_cbranch_execz .LBB201_43
; %bb.40:
	s_andn2_b64 vcc, exec, s[8:9]
	s_cbranch_vccnz .LBB201_43
; %bb.41:
	v_mad_i64_i32 v[2:3], s[0:1], s13, v0, 0
	v_mov_b32_e32 v1, 0x100
	v_lshl_add_u64 v[2:3], v[2:3], 4, s[2:3]
	v_lshl_or_b32 v0, v0, 4, v1
.LBB201_42:                             ; =>This Inner Loop Header: Depth=1
	ds_read2_b64 v[4:7], v0 offset1:1
	s_add_i32 s24, s24, -1
	v_add_u32_e32 v0, 64, v0
	s_cmp_lg_u32 s24, 0
	s_waitcnt lgkmcnt(0)
	flat_store_dwordx4 v[2:3], v[4:7]
	v_lshl_add_u64 v[2:3], v[2:3], 0, 16
	s_cbranch_scc1 .LBB201_42
.LBB201_43:
	s_endpgm
	.section	.rodata,"a",@progbits
	.p2align	6, 0x0
	.amdhsa_kernel _ZL38rocblas_trsm_small_left_device_sharedBILi4ELi4ELb1E19rocblas_complex_numIdES1_PKPKS1_PKPS1_Ev13rocblas_fill_18rocblas_operation_17rocblas_diagonal_iiT3_T4_lilT5_lili
		.amdhsa_group_segment_fixed_size 512
		.amdhsa_private_segment_fixed_size 0
		.amdhsa_kernarg_size 368
		.amdhsa_user_sgpr_count 2
		.amdhsa_user_sgpr_dispatch_ptr 0
		.amdhsa_user_sgpr_queue_ptr 0
		.amdhsa_user_sgpr_kernarg_segment_ptr 1
		.amdhsa_user_sgpr_dispatch_id 0
		.amdhsa_user_sgpr_kernarg_preload_length 0
		.amdhsa_user_sgpr_kernarg_preload_offset 0
		.amdhsa_user_sgpr_private_segment_size 0
		.amdhsa_uses_dynamic_stack 0
		.amdhsa_enable_private_segment 0
		.amdhsa_system_sgpr_workgroup_id_x 1
		.amdhsa_system_sgpr_workgroup_id_y 0
		.amdhsa_system_sgpr_workgroup_id_z 1
		.amdhsa_system_sgpr_workgroup_info 0
		.amdhsa_system_vgpr_workitem_id 0
		.amdhsa_next_free_vgpr 39
		.amdhsa_next_free_sgpr 28
		.amdhsa_accum_offset 40
		.amdhsa_reserve_vcc 1
		.amdhsa_float_round_mode_32 0
		.amdhsa_float_round_mode_16_64 0
		.amdhsa_float_denorm_mode_32 3
		.amdhsa_float_denorm_mode_16_64 3
		.amdhsa_dx10_clamp 1
		.amdhsa_ieee_mode 1
		.amdhsa_fp16_overflow 0
		.amdhsa_tg_split 0
		.amdhsa_exception_fp_ieee_invalid_op 0
		.amdhsa_exception_fp_denorm_src 0
		.amdhsa_exception_fp_ieee_div_zero 0
		.amdhsa_exception_fp_ieee_overflow 0
		.amdhsa_exception_fp_ieee_underflow 0
		.amdhsa_exception_fp_ieee_inexact 0
		.amdhsa_exception_int_div_zero 0
	.end_amdhsa_kernel
	.section	.text._ZL38rocblas_trsm_small_left_device_sharedBILi4ELi4ELb1E19rocblas_complex_numIdES1_PKPKS1_PKPS1_Ev13rocblas_fill_18rocblas_operation_17rocblas_diagonal_iiT3_T4_lilT5_lili,"axG",@progbits,_ZL38rocblas_trsm_small_left_device_sharedBILi4ELi4ELb1E19rocblas_complex_numIdES1_PKPKS1_PKPS1_Ev13rocblas_fill_18rocblas_operation_17rocblas_diagonal_iiT3_T4_lilT5_lili,comdat
.Lfunc_end201:
	.size	_ZL38rocblas_trsm_small_left_device_sharedBILi4ELi4ELb1E19rocblas_complex_numIdES1_PKPKS1_PKPS1_Ev13rocblas_fill_18rocblas_operation_17rocblas_diagonal_iiT3_T4_lilT5_lili, .Lfunc_end201-_ZL38rocblas_trsm_small_left_device_sharedBILi4ELi4ELb1E19rocblas_complex_numIdES1_PKPKS1_PKPS1_Ev13rocblas_fill_18rocblas_operation_17rocblas_diagonal_iiT3_T4_lilT5_lili
                                        ; -- End function
	.set _ZL38rocblas_trsm_small_left_device_sharedBILi4ELi4ELb1E19rocblas_complex_numIdES1_PKPKS1_PKPS1_Ev13rocblas_fill_18rocblas_operation_17rocblas_diagonal_iiT3_T4_lilT5_lili.num_vgpr, 39
	.set _ZL38rocblas_trsm_small_left_device_sharedBILi4ELi4ELb1E19rocblas_complex_numIdES1_PKPKS1_PKPS1_Ev13rocblas_fill_18rocblas_operation_17rocblas_diagonal_iiT3_T4_lilT5_lili.num_agpr, 0
	.set _ZL38rocblas_trsm_small_left_device_sharedBILi4ELi4ELb1E19rocblas_complex_numIdES1_PKPKS1_PKPS1_Ev13rocblas_fill_18rocblas_operation_17rocblas_diagonal_iiT3_T4_lilT5_lili.numbered_sgpr, 28
	.set _ZL38rocblas_trsm_small_left_device_sharedBILi4ELi4ELb1E19rocblas_complex_numIdES1_PKPKS1_PKPS1_Ev13rocblas_fill_18rocblas_operation_17rocblas_diagonal_iiT3_T4_lilT5_lili.num_named_barrier, 0
	.set _ZL38rocblas_trsm_small_left_device_sharedBILi4ELi4ELb1E19rocblas_complex_numIdES1_PKPKS1_PKPS1_Ev13rocblas_fill_18rocblas_operation_17rocblas_diagonal_iiT3_T4_lilT5_lili.private_seg_size, 0
	.set _ZL38rocblas_trsm_small_left_device_sharedBILi4ELi4ELb1E19rocblas_complex_numIdES1_PKPKS1_PKPS1_Ev13rocblas_fill_18rocblas_operation_17rocblas_diagonal_iiT3_T4_lilT5_lili.uses_vcc, 1
	.set _ZL38rocblas_trsm_small_left_device_sharedBILi4ELi4ELb1E19rocblas_complex_numIdES1_PKPKS1_PKPS1_Ev13rocblas_fill_18rocblas_operation_17rocblas_diagonal_iiT3_T4_lilT5_lili.uses_flat_scratch, 0
	.set _ZL38rocblas_trsm_small_left_device_sharedBILi4ELi4ELb1E19rocblas_complex_numIdES1_PKPKS1_PKPS1_Ev13rocblas_fill_18rocblas_operation_17rocblas_diagonal_iiT3_T4_lilT5_lili.has_dyn_sized_stack, 0
	.set _ZL38rocblas_trsm_small_left_device_sharedBILi4ELi4ELb1E19rocblas_complex_numIdES1_PKPKS1_PKPS1_Ev13rocblas_fill_18rocblas_operation_17rocblas_diagonal_iiT3_T4_lilT5_lili.has_recursion, 0
	.set _ZL38rocblas_trsm_small_left_device_sharedBILi4ELi4ELb1E19rocblas_complex_numIdES1_PKPKS1_PKPS1_Ev13rocblas_fill_18rocblas_operation_17rocblas_diagonal_iiT3_T4_lilT5_lili.has_indirect_call, 0
	.section	.AMDGPU.csdata,"",@progbits
; Kernel info:
; codeLenInByte = 3112
; TotalNumSgprs: 34
; NumVgprs: 39
; NumAgprs: 0
; TotalNumVgprs: 39
; ScratchSize: 0
; MemoryBound: 0
; FloatMode: 240
; IeeeMode: 1
; LDSByteSize: 512 bytes/workgroup (compile time only)
; SGPRBlocks: 4
; VGPRBlocks: 4
; NumSGPRsForWavesPerEU: 34
; NumVGPRsForWavesPerEU: 39
; AccumOffset: 40
; Occupancy: 8
; WaveLimiterHint : 0
; COMPUTE_PGM_RSRC2:SCRATCH_EN: 0
; COMPUTE_PGM_RSRC2:USER_SGPR: 2
; COMPUTE_PGM_RSRC2:TRAP_HANDLER: 0
; COMPUTE_PGM_RSRC2:TGID_X_EN: 1
; COMPUTE_PGM_RSRC2:TGID_Y_EN: 0
; COMPUTE_PGM_RSRC2:TGID_Z_EN: 1
; COMPUTE_PGM_RSRC2:TIDIG_COMP_CNT: 0
; COMPUTE_PGM_RSRC3_GFX90A:ACCUM_OFFSET: 9
; COMPUTE_PGM_RSRC3_GFX90A:TG_SPLIT: 0
	.section	.text._ZL30rocblas_trsm_small_left_deviceILi4ELi4ELb1E19rocblas_complex_numIdES1_PKPKS1_PKPS1_Ev13rocblas_fill_18rocblas_operation_17rocblas_diagonal_iiT3_T4_lilT5_lili,"axG",@progbits,_ZL30rocblas_trsm_small_left_deviceILi4ELi4ELb1E19rocblas_complex_numIdES1_PKPKS1_PKPS1_Ev13rocblas_fill_18rocblas_operation_17rocblas_diagonal_iiT3_T4_lilT5_lili,comdat
	.globl	_ZL30rocblas_trsm_small_left_deviceILi4ELi4ELb1E19rocblas_complex_numIdES1_PKPKS1_PKPS1_Ev13rocblas_fill_18rocblas_operation_17rocblas_diagonal_iiT3_T4_lilT5_lili ; -- Begin function _ZL30rocblas_trsm_small_left_deviceILi4ELi4ELb1E19rocblas_complex_numIdES1_PKPKS1_PKPS1_Ev13rocblas_fill_18rocblas_operation_17rocblas_diagonal_iiT3_T4_lilT5_lili
	.p2align	8
	.type	_ZL30rocblas_trsm_small_left_deviceILi4ELi4ELb1E19rocblas_complex_numIdES1_PKPKS1_PKPS1_Ev13rocblas_fill_18rocblas_operation_17rocblas_diagonal_iiT3_T4_lilT5_lili,@function
_ZL30rocblas_trsm_small_left_deviceILi4ELi4ELb1E19rocblas_complex_numIdES1_PKPKS1_PKPS1_Ev13rocblas_fill_18rocblas_operation_17rocblas_diagonal_iiT3_T4_lilT5_lili: ; @_ZL30rocblas_trsm_small_left_deviceILi4ELi4ELb1E19rocblas_complex_numIdES1_PKPKS1_PKPS1_Ev13rocblas_fill_18rocblas_operation_17rocblas_diagonal_iiT3_T4_lilT5_lili
; %bb.0:
	s_load_dwordx4 s[16:19], s[2:3], 0x4
	s_load_dwordx4 s[20:23], s[2:3], 0x48
	s_load_dwordx8 s[8:15], s[2:3], 0x18
	s_mov_b32 s6, s5
	s_mov_b32 s7, 0
	s_lshl_b64 s[24:25], s[6:7], 3
	s_waitcnt lgkmcnt(0)
	s_add_u32 s6, s20, s24
	s_addc_u32 s7, s21, s25
	s_load_dword s5, s[2:3], 0x70
	v_and_b32_e32 v1, 0x3ff, v0
	s_load_dwordx2 s[6:7], s[6:7], 0x0
	s_min_i32 s18, s18, 4
	v_cmp_gt_i32_e32 vcc, s18, v1
	s_and_saveexec_b64 s[20:21], vcc
	s_cbranch_execz .LBB202_11
; %bb.1:
	s_load_dword s26, s[2:3], 0x38
	v_lshlrev_b32_e32 v2, 4, v1
	v_mov_b32_e32 v3, 0
	v_mov_b32_e32 v6, v2
	s_waitcnt lgkmcnt(0)
	s_ashr_i32 s27, s26, 31
	s_cmpk_eq_i32 s16, 0x71
	s_cselect_b64 vcc, -1, 0
	s_add_u32 s12, s12, s24
	s_addc_u32 s13, s13, s25
	s_load_dwordx2 s[12:13], s[12:13], 0x0
	s_lshl_b64 s[14:15], s[14:15], 4
	s_waitcnt lgkmcnt(0)
	s_add_u32 s14, s12, s14
	s_addc_u32 s15, s13, s15
	s_lshl_b64 s[12:13], s[26:27], 4
	v_lshl_add_u64 v[4:5], s[14:15], 0, v[2:3]
	s_mov_b32 s14, s18
.LBB202_2:                              ; =>This Inner Loop Header: Depth=1
	flat_load_dwordx4 v[8:11], v[4:5]
	s_add_i32 s14, s14, -1
	v_lshl_add_u64 v[4:5], v[4:5], 0, s[12:13]
	s_cmp_eq_u32 s14, 0
	s_waitcnt vmcnt(0) lgkmcnt(0)
	v_xor_b32_e32 v3, 0x80000000, v11
	v_cndmask_b32_e32 v11, v11, v3, vcc
	ds_write_b128 v6, v[8:11]
	v_add_u32_e32 v6, 64, v6
	s_cbranch_scc0 .LBB202_2
; %bb.3:
	v_lshlrev_b32_e32 v3, 6, v1
	s_cmpk_lg_i32 s17, 0x84
	v_add_u32_e32 v10, v2, v3
	s_cbranch_scc0 .LBB202_9
; %bb.4:
	ds_read_b128 v[2:5], v10
                                        ; implicit-def: $vgpr8_vgpr9
	s_waitcnt lgkmcnt(0)
	v_cmp_ngt_f64_e64 s[12:13], |v[2:3]|, |v[4:5]|
	s_and_saveexec_b64 s[14:15], s[12:13]
	s_xor_b64 s[12:13], exec, s[14:15]
	s_cbranch_execz .LBB202_6
; %bb.5:
	v_div_scale_f64 v[6:7], s[14:15], v[4:5], v[4:5], v[2:3]
	v_rcp_f64_e32 v[8:9], v[6:7]
	v_div_scale_f64 v[12:13], vcc, v[2:3], v[4:5], v[2:3]
	v_fma_f64 v[14:15], -v[6:7], v[8:9], 1.0
	v_fmac_f64_e32 v[8:9], v[8:9], v[14:15]
	v_fma_f64 v[14:15], -v[6:7], v[8:9], 1.0
	v_fmac_f64_e32 v[8:9], v[8:9], v[14:15]
	v_mul_f64 v[14:15], v[12:13], v[8:9]
	v_fma_f64 v[6:7], -v[6:7], v[14:15], v[12:13]
	v_div_fmas_f64 v[6:7], v[6:7], v[8:9], v[14:15]
	v_div_fixup_f64 v[8:9], v[6:7], v[4:5], v[2:3]
	v_fmac_f64_e32 v[4:5], v[2:3], v[8:9]
	v_div_scale_f64 v[2:3], s[14:15], v[4:5], v[4:5], 1.0
	v_rcp_f64_e32 v[6:7], v[2:3]
	s_nop 0
	v_fma_f64 v[12:13], -v[2:3], v[6:7], 1.0
	v_fmac_f64_e32 v[6:7], v[6:7], v[12:13]
	v_fma_f64 v[12:13], -v[2:3], v[6:7], 1.0
	v_fmac_f64_e32 v[6:7], v[6:7], v[12:13]
	v_div_scale_f64 v[12:13], vcc, 1.0, v[4:5], 1.0
	v_mul_f64 v[14:15], v[12:13], v[6:7]
	v_fma_f64 v[2:3], -v[2:3], v[14:15], v[12:13]
	s_nop 1
	v_div_fmas_f64 v[2:3], v[2:3], v[6:7], v[14:15]
	v_div_fixup_f64 v[2:3], v[2:3], v[4:5], 1.0
	v_add_f64 v[4:5], v[8:9], 0
	v_mul_f64 v[6:7], v[4:5], v[2:3]
	v_fma_f64 v[4:5], v[8:9], 0, -1.0
	v_mul_f64 v[8:9], v[4:5], v[2:3]
                                        ; implicit-def: $vgpr2_vgpr3
.LBB202_6:
	s_andn2_saveexec_b64 s[12:13], s[12:13]
	s_cbranch_execz .LBB202_8
; %bb.7:
	v_div_scale_f64 v[6:7], s[14:15], v[2:3], v[2:3], v[4:5]
	v_rcp_f64_e32 v[8:9], v[6:7]
	v_div_scale_f64 v[12:13], vcc, v[4:5], v[2:3], v[4:5]
	v_fma_f64 v[14:15], -v[6:7], v[8:9], 1.0
	v_fmac_f64_e32 v[8:9], v[8:9], v[14:15]
	v_fma_f64 v[14:15], -v[6:7], v[8:9], 1.0
	v_fmac_f64_e32 v[8:9], v[8:9], v[14:15]
	v_mul_f64 v[14:15], v[12:13], v[8:9]
	v_fma_f64 v[6:7], -v[6:7], v[14:15], v[12:13]
	v_div_fmas_f64 v[6:7], v[6:7], v[8:9], v[14:15]
	v_div_fixup_f64 v[8:9], v[6:7], v[2:3], v[4:5]
	v_fmac_f64_e32 v[2:3], v[4:5], v[8:9]
	v_div_scale_f64 v[4:5], s[14:15], v[2:3], v[2:3], 1.0
	v_rcp_f64_e32 v[6:7], v[4:5]
	s_nop 0
	v_fma_f64 v[12:13], -v[4:5], v[6:7], 1.0
	v_fmac_f64_e32 v[6:7], v[6:7], v[12:13]
	v_fma_f64 v[12:13], -v[4:5], v[6:7], 1.0
	v_fmac_f64_e32 v[6:7], v[6:7], v[12:13]
	v_div_scale_f64 v[12:13], vcc, 1.0, v[2:3], 1.0
	v_mul_f64 v[14:15], v[12:13], v[6:7]
	v_fma_f64 v[4:5], -v[4:5], v[14:15], v[12:13]
	s_nop 1
	v_div_fmas_f64 v[4:5], v[4:5], v[6:7], v[14:15]
	v_div_fixup_f64 v[2:3], v[4:5], v[2:3], 1.0
	v_fma_f64 v[4:5], v[8:9], 0, 1.0
	v_mul_f64 v[6:7], v[4:5], v[2:3]
	v_add_f64 v[4:5], -v[8:9], 0
	v_mul_f64 v[8:9], v[4:5], v[2:3]
.LBB202_8:
	s_or_b64 exec, exec, s[12:13]
	s_branch .LBB202_10
.LBB202_9:
	v_mov_b64_e32 v[8:9], 0
	v_mov_b64_e32 v[6:7], 1.0
.LBB202_10:
	ds_write_b128 v10, v[6:9]
.LBB202_11:
	s_or_b64 exec, exec, s[20:21]
	s_waitcnt lgkmcnt(0)
	s_add_i32 s12, s5, -1
	s_lshl_b32 s5, s4, 2
	s_sub_i32 s13, s19, s5
	s_cmp_ge_u32 s4, s12
	s_cselect_b32 s4, s13, 4
	v_cmp_gt_i32_e32 vcc, s4, v1
	; wave barrier
	s_and_saveexec_b64 s[12:13], vcc
	s_cbranch_execz .LBB202_54
; %bb.12:
	s_load_dwordx2 s[12:13], s[0:1], 0x4
	s_load_dword s4, s[2:3], 0x58
	v_bfe_u32 v2, v0, 10, 10
	v_bfe_u32 v0, v0, 20, 10
	s_waitcnt lgkmcnt(0)
	s_lshr_b32 s0, s12, 16
	s_mul_i32 s0, s0, s13
	v_mul_u32_u24_e32 v2, s13, v2
	v_mul_u32_u24_e32 v3, s0, v1
	v_add3_u32 v0, v3, v2, v0
	v_mov_b32_e32 v2, 0x100
	s_lshl_b64 s[0:1], s[22:23], 4
	v_lshl_add_u32 v10, v0, 6, v2
	s_add_u32 s2, s6, s0
	v_add_u32_e32 v0, s5, v1
	s_addc_u32 s3, s7, s1
	v_mad_i64_i32 v[6:7], s[4:5], s4, v0, 0
	v_lshl_add_u64 v[4:5], v[6:7], 4, s[2:3]
	s_cmpk_eq_i32 s16, 0x6f
	s_mov_b64 s[2:3], -1
	s_cbranch_scc1 .LBB202_33
; %bb.13:
	s_add_i32 s19, s18, -1
	s_add_u32 s2, s6, s0
	s_addc_u32 s3, s7, s1
	v_lshl_add_u64 v[8:9], v[6:7], 4, s[2:3]
	s_lshl_b32 s20, s18, 4
	s_mov_b32 s3, 0
	s_add_i32 s20, s20, -16
	s_mov_b32 s2, s3
	s_mov_b32 s4, s19
	s_branch .LBB202_15
.LBB202_14:                             ;   in Loop: Header=BB202_15 Depth=1
	s_cmp_lt_i32 s4, 0
	s_cselect_b64 s[12:13], -1, 0
	s_add_i32 s2, s2, 1
	s_cmp_eq_u32 s2, 3
	s_cselect_b64 s[14:15], -1, 0
	s_or_b64 s[12:13], s[12:13], s[14:15]
	s_andn2_b64 vcc, exec, s[12:13]
	s_cbranch_vccz .LBB202_32
.LBB202_15:                             ; =>This Loop Header: Depth=1
                                        ;     Child Loop BB202_18 Depth 2
                                        ;       Child Loop BB202_19 Depth 3
                                        ;       Child Loop BB202_21 Depth 3
                                        ;         Child Loop BB202_22 Depth 4
                                        ;       Child Loop BB202_26 Depth 3
                                        ;         Child Loop BB202_28 Depth 4
	s_lshl_b64 s[12:13], s[2:3], 2
	s_getpc_b64 s[14:15]
	s_add_u32 s14, s14, __const._ZL30rocblas_trsm_small_left_deviceILi4ELi4ELb1E19rocblas_complex_numIdES1_PKPKS1_PKPS1_Ev13rocblas_fill_18rocblas_operation_17rocblas_diagonal_iiT3_T4_lilT5_lili.step_sizes@rel32@lo+4
	s_addc_u32 s15, s15, __const._ZL30rocblas_trsm_small_left_deviceILi4ELi4ELb1E19rocblas_complex_numIdES1_PKPKS1_PKPS1_Ev13rocblas_fill_18rocblas_operation_17rocblas_diagonal_iiT3_T4_lilT5_lili.step_sizes@rel32@hi+12
	s_add_u32 s12, s14, s12
	s_addc_u32 s13, s15, s13
	s_load_dword s21, s[12:13], 0x0
	s_waitcnt lgkmcnt(0)
	s_add_i32 s22, s21, -1
	s_cmp_lt_i32 s4, s22
	s_cbranch_scc1 .LBB202_14
; %bb.16:                               ;   in Loop: Header=BB202_15 Depth=1
	s_lshl_b32 s5, s4, 6
	s_add_i32 s24, s20, s5
	s_lshl_b32 s5, s21, 6
	s_max_i32 s23, s21, 1
	s_sub_i32 s25, 0, s5
	s_mul_i32 s26, s4, 0x50
	s_mul_i32 s27, s21, 0xffffffb0
	s_branch .LBB202_18
.LBB202_17:                             ;   in Loop: Header=BB202_18 Depth=2
	s_sub_i32 s4, s4, s21
	s_add_i32 s24, s24, s25
	s_add_i32 s26, s26, s27
	s_cmp_lt_i32 s4, s22
	s_cbranch_scc1 .LBB202_14
.LBB202_18:                             ;   Parent Loop BB202_15 Depth=1
                                        ; =>  This Loop Header: Depth=2
                                        ;       Child Loop BB202_19 Depth 3
                                        ;       Child Loop BB202_21 Depth 3
                                        ;         Child Loop BB202_22 Depth 4
                                        ;       Child Loop BB202_26 Depth 3
                                        ;         Child Loop BB202_28 Depth 4
	s_ashr_i32 s5, s4, 31
	v_lshl_add_u64 v[0:1], s[4:5], 4, v[8:9]
	v_mov_b32_e32 v2, v10
	s_mov_b32 s12, s23
.LBB202_19:                             ;   Parent Loop BB202_15 Depth=1
                                        ;     Parent Loop BB202_18 Depth=2
                                        ; =>    This Inner Loop Header: Depth=3
	flat_load_dwordx4 v[12:15], v[0:1]
	s_add_i32 s12, s12, -1
	v_lshl_add_u64 v[0:1], v[0:1], 0, -16
	s_cmp_eq_u32 s12, 0
	s_waitcnt vmcnt(0) lgkmcnt(0)
	v_mul_f64 v[18:19], s[10:11], v[14:15]
	v_mul_f64 v[16:17], s[8:9], v[14:15]
	v_fma_f64 v[14:15], s[8:9], v[12:13], -v[18:19]
	v_fmac_f64_e32 v[16:17], s[10:11], v[12:13]
	ds_write_b128 v2, v[14:17]
	v_add_u32_e32 v2, 16, v2
	s_cbranch_scc0 .LBB202_19
; %bb.20:                               ;   in Loop: Header=BB202_18 Depth=2
	s_cmp_le_i32 s19, s4
	s_mov_b32 s14, s24
	s_mov_b32 s12, s19
	s_cbranch_scc1 .LBB202_24
.LBB202_21:                             ;   Parent Loop BB202_15 Depth=1
                                        ;     Parent Loop BB202_18 Depth=2
                                        ; =>    This Loop Header: Depth=3
                                        ;         Child Loop BB202_22 Depth 4
	s_ashr_i32 s13, s12, 31
	v_lshl_add_u64 v[0:1], s[12:13], 4, v[4:5]
	flat_load_dwordx4 v[0:3], v[0:1]
	v_mov_b32_e32 v11, v10
	s_mov_b32 s13, s14
	s_mov_b32 s15, s23
.LBB202_22:                             ;   Parent Loop BB202_15 Depth=1
                                        ;     Parent Loop BB202_18 Depth=2
                                        ;       Parent Loop BB202_21 Depth=3
                                        ; =>      This Inner Loop Header: Depth=4
	v_mov_b32_e32 v16, s13
	ds_read_b128 v[16:19], v16
	ds_read_b128 v[12:15], v11
	s_add_i32 s15, s15, -1
	s_sub_i32 s13, s13, 64
	s_cmp_eq_u32 s15, 0
	s_waitcnt vmcnt(0) lgkmcnt(0)
	v_mul_f64 v[20:21], v[2:3], v[18:19]
	v_mul_f64 v[18:19], v[0:1], v[18:19]
	v_fma_f64 v[20:21], v[0:1], v[16:17], -v[20:21]
	v_fmac_f64_e32 v[18:19], v[2:3], v[16:17]
	v_add_f64 v[12:13], v[12:13], -v[20:21]
	v_add_f64 v[14:15], v[14:15], -v[18:19]
	ds_write_b128 v11, v[12:15]
	v_add_u32_e32 v11, 16, v11
	s_cbranch_scc0 .LBB202_22
; %bb.23:                               ;   in Loop: Header=BB202_21 Depth=3
	s_add_i32 s12, s12, -1
	s_add_i32 s14, s14, -16
	s_cmp_le_i32 s12, s4
	s_cbranch_scc0 .LBB202_21
.LBB202_24:                             ;   in Loop: Header=BB202_18 Depth=2
	s_mov_b32 s28, 0
	s_mov_b32 s29, s26
	s_branch .LBB202_26
.LBB202_25:                             ;   in Loop: Header=BB202_26 Depth=3
	s_mulk_i32 s14, 0x50
	v_mov_b32_e32 v12, s14
	ds_read_b128 v[12:15], v12
	s_add_i32 s28, s28, 1
	s_sub_i32 s29, s29, 64
	v_lshl_add_u64 v[20:21], s[12:13], 4, v[4:5]
	s_cmp_eq_u32 s28, s23
	s_waitcnt lgkmcnt(0)
	v_mul_f64 v[16:17], v[14:15], v[2:3]
	v_mul_f64 v[18:19], v[12:13], v[2:3]
	v_fma_f64 v[16:17], v[12:13], v[0:1], -v[16:17]
	v_fmac_f64_e32 v[18:19], v[14:15], v[0:1]
	ds_write_b128 v11, v[16:19]
	flat_store_dwordx4 v[20:21], v[16:19]
	s_cbranch_scc1 .LBB202_17
.LBB202_26:                             ;   Parent Loop BB202_15 Depth=1
                                        ;     Parent Loop BB202_18 Depth=2
                                        ; =>    This Loop Header: Depth=3
                                        ;         Child Loop BB202_28 Depth 4
	s_cmp_lg_u32 s28, 0
	v_lshl_add_u32 v11, s28, 4, v10
	s_cbranch_scc0 .LBB202_30
; %bb.27:                               ;   in Loop: Header=BB202_26 Depth=3
	ds_read_b128 v[0:3], v11
	v_mov_b32_e32 v12, v10
	s_mov_b32 s12, s29
	s_mov_b32 s13, s28
.LBB202_28:                             ;   Parent Loop BB202_15 Depth=1
                                        ;     Parent Loop BB202_18 Depth=2
                                        ;       Parent Loop BB202_26 Depth=3
                                        ; =>      This Inner Loop Header: Depth=4
	v_mov_b32_e32 v13, s12
	ds_read_b128 v[14:17], v12
	ds_read_b128 v[18:21], v13
	s_add_i32 s13, s13, -1
	s_add_i32 s12, s12, -16
	v_add_u32_e32 v12, 16, v12
	s_cmp_eq_u32 s13, 0
	s_waitcnt lgkmcnt(0)
	v_mul_f64 v[22:23], v[20:21], v[16:17]
	v_mul_f64 v[16:17], v[18:19], v[16:17]
	v_fma_f64 v[18:19], v[18:19], v[14:15], -v[22:23]
	v_fmac_f64_e32 v[16:17], v[20:21], v[14:15]
	v_add_f64 v[0:1], v[0:1], -v[18:19]
	v_add_f64 v[2:3], v[2:3], -v[16:17]
	ds_write_b128 v11, v[0:3]
	s_cbranch_scc0 .LBB202_28
; %bb.29:                               ;   in Loop: Header=BB202_26 Depth=3
	s_sub_i32 s14, s4, s28
	s_ashr_i32 s15, s14, 31
	s_mov_b64 s[12:13], s[14:15]
	s_branch .LBB202_25
.LBB202_30:                             ;   in Loop: Header=BB202_26 Depth=3
                                        ; implicit-def: $vgpr0_vgpr1
                                        ; implicit-def: $sgpr14
                                        ; implicit-def: $sgpr12_sgpr13
	s_cbranch_execz .LBB202_25
; %bb.31:                               ;   in Loop: Header=BB202_26 Depth=3
	ds_read_b128 v[0:3], v10
	s_mov_b64 s[12:13], s[4:5]
	s_mov_b32 s14, s4
	s_branch .LBB202_25
.LBB202_32:
	s_mov_b64 s[2:3], 0
.LBB202_33:
	s_and_b64 vcc, exec, s[2:3]
	s_cbranch_vccz .LBB202_54
; %bb.34:
	s_add_u32 s0, s6, s0
	s_addc_u32 s1, s7, s1
	v_lshl_add_u64 v[6:7], v[6:7], 4, s[0:1]
	s_mov_b32 s1, 0
	s_mov_b32 s2, s1
	;; [unrolled: 1-line block ×3, first 2 shown]
	s_branch .LBB202_36
.LBB202_35:                             ;   in Loop: Header=BB202_36 Depth=1
	s_cmp_ge_i32 s2, s18
	s_cselect_b64 s[6:7], -1, 0
	s_add_i32 s4, s4, 1
	s_cmp_eq_u32 s4, 3
	s_cselect_b64 s[12:13], -1, 0
	s_or_b64 s[6:7], s[6:7], s[12:13]
	s_and_b64 vcc, exec, s[6:7]
	s_cbranch_vccnz .LBB202_54
.LBB202_36:                             ; =>This Loop Header: Depth=1
                                        ;     Child Loop BB202_39 Depth 2
                                        ;       Child Loop BB202_40 Depth 3
                                        ;       Child Loop BB202_43 Depth 3
                                        ;         Child Loop BB202_44 Depth 4
                                        ;       Child Loop BB202_48 Depth 3
                                        ;         Child Loop BB202_50 Depth 4
	s_mov_b32 s5, s1
	s_lshl_b64 s[6:7], s[4:5], 2
	s_getpc_b64 s[12:13]
	s_add_u32 s12, s12, __const._ZL30rocblas_trsm_small_left_deviceILi4ELi4ELb1E19rocblas_complex_numIdES1_PKPKS1_PKPS1_Ev13rocblas_fill_18rocblas_operation_17rocblas_diagonal_iiT3_T4_lilT5_lili.step_sizes@rel32@lo+4
	s_addc_u32 s13, s13, __const._ZL30rocblas_trsm_small_left_deviceILi4ELi4ELb1E19rocblas_complex_numIdES1_PKPKS1_PKPS1_Ev13rocblas_fill_18rocblas_operation_17rocblas_diagonal_iiT3_T4_lilT5_lili.step_sizes@rel32@hi+12
	s_add_u32 s6, s12, s6
	s_addc_u32 s7, s13, s7
	s_load_dword s6, s[6:7], 0x0
	s_waitcnt lgkmcnt(0)
	s_add_i32 s5, s6, -1
	s_add_i32 s0, s5, s2
	s_cmp_ge_i32 s0, s18
	s_cbranch_scc1 .LBB202_35
; %bb.37:                               ;   in Loop: Header=BB202_36 Depth=1
	s_ashr_i32 s3, s2, 31
	s_ashr_i32 s7, s6, 31
	s_max_i32 s16, s6, 1
	v_lshl_add_u64 v[8:9], s[2:3], 4, v[6:7]
	s_lshl_b64 s[12:13], s[6:7], 4
	s_lshl_b32 s3, s2, 4
	s_lshl_b32 s7, s6, 4
	s_mul_i32 s17, s2, 0x50
	s_mul_i32 s19, s6, 0x50
	s_branch .LBB202_39
.LBB202_38:                             ;   in Loop: Header=BB202_39 Depth=2
	s_add_i32 s2, s2, s6
	s_add_i32 s0, s5, s2
	;; [unrolled: 1-line block ×4, first 2 shown]
	s_cmp_ge_i32 s0, s18
	v_lshl_add_u64 v[8:9], v[8:9], 0, s[12:13]
	s_cbranch_scc1 .LBB202_35
.LBB202_39:                             ;   Parent Loop BB202_36 Depth=1
                                        ; =>  This Loop Header: Depth=2
                                        ;       Child Loop BB202_40 Depth 3
                                        ;       Child Loop BB202_43 Depth 3
                                        ;         Child Loop BB202_44 Depth 4
                                        ;       Child Loop BB202_48 Depth 3
                                        ;         Child Loop BB202_50 Depth 4
	v_mov_b32_e32 v2, v10
	v_mov_b64_e32 v[0:1], v[8:9]
	s_mov_b32 s0, s16
.LBB202_40:                             ;   Parent Loop BB202_36 Depth=1
                                        ;     Parent Loop BB202_39 Depth=2
                                        ; =>    This Inner Loop Header: Depth=3
	flat_load_dwordx4 v[12:15], v[0:1]
	s_add_i32 s0, s0, -1
	v_lshl_add_u64 v[0:1], v[0:1], 0, 16
	s_cmp_eq_u32 s0, 0
	s_waitcnt vmcnt(0) lgkmcnt(0)
	v_mul_f64 v[18:19], s[10:11], v[14:15]
	v_mul_f64 v[16:17], s[8:9], v[14:15]
	v_fma_f64 v[14:15], s[8:9], v[12:13], -v[18:19]
	v_fmac_f64_e32 v[16:17], s[10:11], v[12:13]
	ds_write_b128 v2, v[14:17]
	v_add_u32_e32 v2, 16, v2
	s_cbranch_scc0 .LBB202_40
; %bb.41:                               ;   in Loop: Header=BB202_39 Depth=2
	s_cmp_lt_i32 s2, 1
	s_cbranch_scc1 .LBB202_46
; %bb.42:                               ;   in Loop: Header=BB202_39 Depth=2
	s_mov_b32 s0, 0
	s_mov_b32 s14, s3
.LBB202_43:                             ;   Parent Loop BB202_36 Depth=1
                                        ;     Parent Loop BB202_39 Depth=2
                                        ; =>    This Loop Header: Depth=3
                                        ;         Child Loop BB202_44 Depth 4
	v_lshl_add_u64 v[0:1], s[0:1], 4, v[4:5]
	flat_load_dwordx4 v[0:3], v[0:1]
	v_mov_b32_e32 v11, v10
	s_mov_b32 s15, s14
	s_mov_b32 s20, s16
.LBB202_44:                             ;   Parent Loop BB202_36 Depth=1
                                        ;     Parent Loop BB202_39 Depth=2
                                        ;       Parent Loop BB202_43 Depth=3
                                        ; =>      This Inner Loop Header: Depth=4
	v_mov_b32_e32 v16, s15
	ds_read_b128 v[16:19], v16
	ds_read_b128 v[12:15], v11
	s_add_i32 s20, s20, -1
	s_add_i32 s15, s15, 16
	s_cmp_eq_u32 s20, 0
	s_waitcnt vmcnt(0) lgkmcnt(0)
	v_mul_f64 v[20:21], v[2:3], v[18:19]
	v_mul_f64 v[18:19], v[0:1], v[18:19]
	v_fma_f64 v[20:21], v[0:1], v[16:17], -v[20:21]
	v_fmac_f64_e32 v[18:19], v[2:3], v[16:17]
	v_add_f64 v[12:13], v[12:13], -v[20:21]
	v_add_f64 v[14:15], v[14:15], -v[18:19]
	ds_write_b128 v11, v[12:15]
	v_add_u32_e32 v11, 16, v11
	s_cbranch_scc0 .LBB202_44
; %bb.45:                               ;   in Loop: Header=BB202_43 Depth=3
	s_add_i32 s0, s0, 1
	s_add_i32 s14, s14, 64
	s_cmp_eq_u32 s0, s2
	s_cbranch_scc0 .LBB202_43
.LBB202_46:                             ;   in Loop: Header=BB202_39 Depth=2
	s_mov_b32 s0, 0
	s_mov_b32 s20, s17
	s_branch .LBB202_48
.LBB202_47:                             ;   in Loop: Header=BB202_48 Depth=3
	s_add_i32 s14, s0, s2
	s_mul_i32 s15, s14, 0x50
	v_mov_b32_e32 v12, s15
	ds_read_b128 v[12:15], v12
	s_ashr_i32 s15, s14, 31
	s_add_i32 s0, s0, 1
	s_add_i32 s20, s20, 16
	v_lshl_add_u64 v[20:21], s[14:15], 4, v[4:5]
	s_waitcnt lgkmcnt(0)
	v_mul_f64 v[16:17], v[14:15], v[2:3]
	v_mul_f64 v[18:19], v[12:13], v[2:3]
	v_fma_f64 v[16:17], v[12:13], v[0:1], -v[16:17]
	v_fmac_f64_e32 v[18:19], v[14:15], v[0:1]
	s_cmp_eq_u32 s0, s16
	ds_write_b128 v11, v[16:19]
	flat_store_dwordx4 v[20:21], v[16:19]
	s_cbranch_scc1 .LBB202_38
.LBB202_48:                             ;   Parent Loop BB202_36 Depth=1
                                        ;     Parent Loop BB202_39 Depth=2
                                        ; =>    This Loop Header: Depth=3
                                        ;         Child Loop BB202_50 Depth 4
	s_cmp_lg_u32 s0, 0
	v_lshl_add_u32 v11, s0, 4, v10
	s_cbranch_scc0 .LBB202_52
; %bb.49:                               ;   in Loop: Header=BB202_48 Depth=3
	ds_read_b128 v[0:3], v11
	v_mov_b32_e32 v12, v10
	s_mov_b32 s14, s20
	s_mov_b32 s15, s0
.LBB202_50:                             ;   Parent Loop BB202_36 Depth=1
                                        ;     Parent Loop BB202_39 Depth=2
                                        ;       Parent Loop BB202_48 Depth=3
                                        ; =>      This Inner Loop Header: Depth=4
	v_mov_b32_e32 v13, s14
	ds_read_b128 v[14:17], v12
	ds_read_b128 v[18:21], v13
	s_add_i32 s15, s15, -1
	s_add_i32 s14, s14, 64
	v_add_u32_e32 v12, 16, v12
	s_cmp_eq_u32 s15, 0
	s_waitcnt lgkmcnt(0)
	v_mul_f64 v[22:23], v[20:21], v[16:17]
	v_mul_f64 v[16:17], v[18:19], v[16:17]
	v_fma_f64 v[18:19], v[18:19], v[14:15], -v[22:23]
	v_fmac_f64_e32 v[16:17], v[20:21], v[14:15]
	v_add_f64 v[0:1], v[0:1], -v[18:19]
	v_add_f64 v[2:3], v[2:3], -v[16:17]
	ds_write_b128 v11, v[0:3]
	s_cbranch_scc0 .LBB202_50
; %bb.51:                               ;   in Loop: Header=BB202_48 Depth=3
	s_branch .LBB202_47
.LBB202_52:                             ;   in Loop: Header=BB202_48 Depth=3
                                        ; implicit-def: $vgpr0_vgpr1
	s_cbranch_execz .LBB202_47
; %bb.53:                               ;   in Loop: Header=BB202_48 Depth=3
	ds_read_b128 v[0:3], v10
	s_branch .LBB202_47
.LBB202_54:
	s_endpgm
	.section	.rodata,"a",@progbits
	.p2align	6, 0x0
	.amdhsa_kernel _ZL30rocblas_trsm_small_left_deviceILi4ELi4ELb1E19rocblas_complex_numIdES1_PKPKS1_PKPS1_Ev13rocblas_fill_18rocblas_operation_17rocblas_diagonal_iiT3_T4_lilT5_lili
		.amdhsa_group_segment_fixed_size 512
		.amdhsa_private_segment_fixed_size 0
		.amdhsa_kernarg_size 368
		.amdhsa_user_sgpr_count 4
		.amdhsa_user_sgpr_dispatch_ptr 1
		.amdhsa_user_sgpr_queue_ptr 0
		.amdhsa_user_sgpr_kernarg_segment_ptr 1
		.amdhsa_user_sgpr_dispatch_id 0
		.amdhsa_user_sgpr_kernarg_preload_length 0
		.amdhsa_user_sgpr_kernarg_preload_offset 0
		.amdhsa_user_sgpr_private_segment_size 0
		.amdhsa_uses_dynamic_stack 0
		.amdhsa_enable_private_segment 0
		.amdhsa_system_sgpr_workgroup_id_x 1
		.amdhsa_system_sgpr_workgroup_id_y 0
		.amdhsa_system_sgpr_workgroup_id_z 1
		.amdhsa_system_sgpr_workgroup_info 0
		.amdhsa_system_vgpr_workitem_id 2
		.amdhsa_next_free_vgpr 24
		.amdhsa_next_free_sgpr 30
		.amdhsa_accum_offset 24
		.amdhsa_reserve_vcc 1
		.amdhsa_float_round_mode_32 0
		.amdhsa_float_round_mode_16_64 0
		.amdhsa_float_denorm_mode_32 3
		.amdhsa_float_denorm_mode_16_64 3
		.amdhsa_dx10_clamp 1
		.amdhsa_ieee_mode 1
		.amdhsa_fp16_overflow 0
		.amdhsa_tg_split 0
		.amdhsa_exception_fp_ieee_invalid_op 0
		.amdhsa_exception_fp_denorm_src 0
		.amdhsa_exception_fp_ieee_div_zero 0
		.amdhsa_exception_fp_ieee_overflow 0
		.amdhsa_exception_fp_ieee_underflow 0
		.amdhsa_exception_fp_ieee_inexact 0
		.amdhsa_exception_int_div_zero 0
	.end_amdhsa_kernel
	.section	.text._ZL30rocblas_trsm_small_left_deviceILi4ELi4ELb1E19rocblas_complex_numIdES1_PKPKS1_PKPS1_Ev13rocblas_fill_18rocblas_operation_17rocblas_diagonal_iiT3_T4_lilT5_lili,"axG",@progbits,_ZL30rocblas_trsm_small_left_deviceILi4ELi4ELb1E19rocblas_complex_numIdES1_PKPKS1_PKPS1_Ev13rocblas_fill_18rocblas_operation_17rocblas_diagonal_iiT3_T4_lilT5_lili,comdat
.Lfunc_end202:
	.size	_ZL30rocblas_trsm_small_left_deviceILi4ELi4ELb1E19rocblas_complex_numIdES1_PKPKS1_PKPS1_Ev13rocblas_fill_18rocblas_operation_17rocblas_diagonal_iiT3_T4_lilT5_lili, .Lfunc_end202-_ZL30rocblas_trsm_small_left_deviceILi4ELi4ELb1E19rocblas_complex_numIdES1_PKPKS1_PKPS1_Ev13rocblas_fill_18rocblas_operation_17rocblas_diagonal_iiT3_T4_lilT5_lili
                                        ; -- End function
	.set _ZL30rocblas_trsm_small_left_deviceILi4ELi4ELb1E19rocblas_complex_numIdES1_PKPKS1_PKPS1_Ev13rocblas_fill_18rocblas_operation_17rocblas_diagonal_iiT3_T4_lilT5_lili.num_vgpr, 24
	.set _ZL30rocblas_trsm_small_left_deviceILi4ELi4ELb1E19rocblas_complex_numIdES1_PKPKS1_PKPS1_Ev13rocblas_fill_18rocblas_operation_17rocblas_diagonal_iiT3_T4_lilT5_lili.num_agpr, 0
	.set _ZL30rocblas_trsm_small_left_deviceILi4ELi4ELb1E19rocblas_complex_numIdES1_PKPKS1_PKPS1_Ev13rocblas_fill_18rocblas_operation_17rocblas_diagonal_iiT3_T4_lilT5_lili.numbered_sgpr, 30
	.set _ZL30rocblas_trsm_small_left_deviceILi4ELi4ELb1E19rocblas_complex_numIdES1_PKPKS1_PKPS1_Ev13rocblas_fill_18rocblas_operation_17rocblas_diagonal_iiT3_T4_lilT5_lili.num_named_barrier, 0
	.set _ZL30rocblas_trsm_small_left_deviceILi4ELi4ELb1E19rocblas_complex_numIdES1_PKPKS1_PKPS1_Ev13rocblas_fill_18rocblas_operation_17rocblas_diagonal_iiT3_T4_lilT5_lili.private_seg_size, 0
	.set _ZL30rocblas_trsm_small_left_deviceILi4ELi4ELb1E19rocblas_complex_numIdES1_PKPKS1_PKPS1_Ev13rocblas_fill_18rocblas_operation_17rocblas_diagonal_iiT3_T4_lilT5_lili.uses_vcc, 1
	.set _ZL30rocblas_trsm_small_left_deviceILi4ELi4ELb1E19rocblas_complex_numIdES1_PKPKS1_PKPS1_Ev13rocblas_fill_18rocblas_operation_17rocblas_diagonal_iiT3_T4_lilT5_lili.uses_flat_scratch, 0
	.set _ZL30rocblas_trsm_small_left_deviceILi4ELi4ELb1E19rocblas_complex_numIdES1_PKPKS1_PKPS1_Ev13rocblas_fill_18rocblas_operation_17rocblas_diagonal_iiT3_T4_lilT5_lili.has_dyn_sized_stack, 0
	.set _ZL30rocblas_trsm_small_left_deviceILi4ELi4ELb1E19rocblas_complex_numIdES1_PKPKS1_PKPS1_Ev13rocblas_fill_18rocblas_operation_17rocblas_diagonal_iiT3_T4_lilT5_lili.has_recursion, 0
	.set _ZL30rocblas_trsm_small_left_deviceILi4ELi4ELb1E19rocblas_complex_numIdES1_PKPKS1_PKPS1_Ev13rocblas_fill_18rocblas_operation_17rocblas_diagonal_iiT3_T4_lilT5_lili.has_indirect_call, 0
	.section	.AMDGPU.csdata,"",@progbits
; Kernel info:
; codeLenInByte = 2308
; TotalNumSgprs: 36
; NumVgprs: 24
; NumAgprs: 0
; TotalNumVgprs: 24
; ScratchSize: 0
; MemoryBound: 0
; FloatMode: 240
; IeeeMode: 1
; LDSByteSize: 512 bytes/workgroup (compile time only)
; SGPRBlocks: 4
; VGPRBlocks: 2
; NumSGPRsForWavesPerEU: 36
; NumVGPRsForWavesPerEU: 24
; AccumOffset: 24
; Occupancy: 8
; WaveLimiterHint : 1
; COMPUTE_PGM_RSRC2:SCRATCH_EN: 0
; COMPUTE_PGM_RSRC2:USER_SGPR: 4
; COMPUTE_PGM_RSRC2:TRAP_HANDLER: 0
; COMPUTE_PGM_RSRC2:TGID_X_EN: 1
; COMPUTE_PGM_RSRC2:TGID_Y_EN: 0
; COMPUTE_PGM_RSRC2:TGID_Z_EN: 1
; COMPUTE_PGM_RSRC2:TIDIG_COMP_CNT: 2
; COMPUTE_PGM_RSRC3_GFX90A:ACCUM_OFFSET: 5
; COMPUTE_PGM_RSRC3_GFX90A:TG_SPLIT: 0
	.section	.text._ZL31rocblas_trsm_small_right_deviceI19rocblas_complex_numIdES1_PKPKS1_PKPS1_Li4EEv13rocblas_fill_18rocblas_operation_17rocblas_diagonal_iiT0_T1_lilT2_lili,"axG",@progbits,_ZL31rocblas_trsm_small_right_deviceI19rocblas_complex_numIdES1_PKPKS1_PKPS1_Li4EEv13rocblas_fill_18rocblas_operation_17rocblas_diagonal_iiT0_T1_lilT2_lili,comdat
	.globl	_ZL31rocblas_trsm_small_right_deviceI19rocblas_complex_numIdES1_PKPKS1_PKPS1_Li4EEv13rocblas_fill_18rocblas_operation_17rocblas_diagonal_iiT0_T1_lilT2_lili ; -- Begin function _ZL31rocblas_trsm_small_right_deviceI19rocblas_complex_numIdES1_PKPKS1_PKPS1_Li4EEv13rocblas_fill_18rocblas_operation_17rocblas_diagonal_iiT0_T1_lilT2_lili
	.p2align	8
	.type	_ZL31rocblas_trsm_small_right_deviceI19rocblas_complex_numIdES1_PKPKS1_PKPS1_Li4EEv13rocblas_fill_18rocblas_operation_17rocblas_diagonal_iiT0_T1_lilT2_lili,@function
_ZL31rocblas_trsm_small_right_deviceI19rocblas_complex_numIdES1_PKPKS1_PKPS1_Li4EEv13rocblas_fill_18rocblas_operation_17rocblas_diagonal_iiT0_T1_lilT2_lili: ; @_ZL31rocblas_trsm_small_right_deviceI19rocblas_complex_numIdES1_PKPKS1_PKPS1_Li4EEv13rocblas_fill_18rocblas_operation_17rocblas_diagonal_iiT0_T1_lilT2_lili
; %bb.0:
	s_mov_b32 s20, s3
	s_load_dwordx4 s[16:19], s[0:1], 0x48
	s_load_dwordx4 s[12:15], s[0:1], 0x0
	s_load_dword s24, s[0:1], 0x10
	s_load_dwordx8 s[4:11], s[0:1], 0x18
	s_mov_b32 s21, 0
	s_lshl_b64 s[22:23], s[20:21], 3
	s_waitcnt lgkmcnt(0)
	s_add_u32 s16, s16, s22
	s_addc_u32 s17, s17, s23
	s_load_dwordx2 s[16:17], s[16:17], 0x0
	s_min_i32 s25, s24, 4
	v_cmp_gt_i32_e32 vcc, s25, v0
	s_and_saveexec_b64 s[20:21], vcc
	s_cbranch_execz .LBB203_5
; %bb.1:
	s_load_dword s26, s[0:1], 0x38
	v_lshlrev_b32_e32 v2, 4, v0
	v_mov_b32_e32 v3, 0
	v_mov_b32_e32 v1, v2
	s_mov_b32 s3, s25
	s_waitcnt lgkmcnt(0)
	s_ashr_i32 s27, s26, 31
	s_cmpk_eq_i32 s13, 0x71
	s_cselect_b64 vcc, -1, 0
	s_add_u32 s8, s8, s22
	s_addc_u32 s9, s9, s23
	s_load_dwordx2 s[8:9], s[8:9], 0x0
	s_lshl_b64 s[10:11], s[10:11], 4
	s_waitcnt lgkmcnt(0)
	s_add_u32 s10, s8, s10
	s_addc_u32 s11, s9, s11
	s_lshl_b64 s[8:9], s[26:27], 4
	v_lshl_add_u64 v[4:5], s[10:11], 0, v[2:3]
.LBB203_2:                              ; =>This Inner Loop Header: Depth=1
	flat_load_dwordx4 v[6:9], v[4:5]
	s_add_i32 s3, s3, -1
	v_lshl_add_u64 v[4:5], v[4:5], 0, s[8:9]
	s_cmp_eq_u32 s3, 0
	s_waitcnt vmcnt(0) lgkmcnt(0)
	v_xor_b32_e32 v3, 0x80000000, v9
	v_cndmask_b32_e32 v9, v9, v3, vcc
	ds_write_b128 v1, v[6:9]
	v_add_u32_e32 v1, 64, v1
	s_cbranch_scc0 .LBB203_2
; %bb.3:
	s_cmpk_eq_i32 s14, 0x84
	s_cbranch_scc0 .LBB203_5
; %bb.4:
	v_lshl_or_b32 v1, v0, 6, v2
	v_mov_b32_e32 v2, 0
	v_mov_b32_e32 v3, 0x3ff00000
	;; [unrolled: 1-line block ×4, first 2 shown]
	ds_write_b128 v1, v[2:5]
.LBB203_5:
	s_or_b64 exec, exec, s[20:21]
	s_load_dword s3, s[0:1], 0x70
	s_load_dword s8, s[0:1], 0x58
	s_lshl_b64 s[0:1], s[18:19], 4
	s_waitcnt lgkmcnt(0)
	s_add_u32 s9, s16, s0
	s_addc_u32 s10, s17, s1
	s_lshl_b32 s0, s2, 2
	s_add_i32 s3, s3, -1
	s_sub_i32 s0, s15, s0
	s_cmp_ge_u32 s2, s3
	s_cselect_b32 s11, s0, 4
	s_ashr_i32 s3, s2, 31
	s_lshl_b64 s[0:1], s[2:3], 6
	s_add_u32 s2, s9, s0
	s_addc_u32 s3, s10, s1
	v_cmp_gt_i32_e64 s[0:1], s11, v0
	s_and_saveexec_b64 s[10:11], s[0:1]
	s_cbranch_execz .LBB203_9
; %bb.6:
	s_cmp_lt_i32 s24, 1
	s_cbranch_scc1 .LBB203_9
; %bb.7:
	s_ashr_i32 s9, s8, 31
	v_lshlrev_b32_e32 v4, 4, v0
	v_mov_b32_e32 v5, 0
	v_lshl_add_u64 v[2:3], s[2:3], 0, v[4:5]
	s_lshl_b64 s[14:15], s[8:9], 4
	v_or_b32_e32 v1, 0x100, v4
	s_mov_b32 s9, s24
.LBB203_8:                              ; =>This Inner Loop Header: Depth=1
	flat_load_dwordx4 v[4:7], v[2:3]
	s_add_i32 s9, s9, -1
	v_lshl_add_u64 v[2:3], v[2:3], 0, s[14:15]
	s_cmp_lg_u32 s9, 0
	s_waitcnt vmcnt(0) lgkmcnt(0)
	v_mul_f64 v[10:11], s[6:7], v[6:7]
	v_mul_f64 v[8:9], s[4:5], v[6:7]
	v_fma_f64 v[6:7], s[4:5], v[4:5], -v[10:11]
	v_fmac_f64_e32 v[8:9], s[6:7], v[4:5]
	ds_write_b128 v1, v[6:9]
	v_add_u32_e32 v1, 64, v1
	s_cbranch_scc1 .LBB203_8
.LBB203_9:
	s_or_b64 exec, exec, s[10:11]
	s_cmpk_eq_i32 s13, 0x6f
	s_cselect_b64 s[4:5], -1, 0
	s_cmpk_lg_i32 s12, 0x79
	s_cselect_b64 s[6:7], -1, 0
	s_cmpk_eq_i32 s12, 0x79
	s_cselect_b64 s[10:11], -1, 0
	s_and_b64 s[10:11], s[10:11], s[4:5]
	s_andn2_b64 vcc, exec, s[10:11]
	s_mov_b64 s[10:11], -1
	s_waitcnt lgkmcnt(0)
	; wave barrier
	s_cbranch_vccz .LBB203_106
; %bb.10:
	s_cmpk_lg_i32 s12, 0x7a
	s_cselect_b64 s[12:13], -1, 0
	s_xor_b64 s[4:5], s[4:5], -1
	s_add_i32 s9, s25, -1
	s_or_b64 s[12:13], s[12:13], s[4:5]
	v_mov_b32_e32 v1, 0x100
	s_cmp_gt_i32 s24, 3
	v_lshl_or_b32 v1, v0, 4, v1
	s_cselect_b64 s[4:5], -1, 0
	s_and_b64 vcc, exec, s[12:13]
	s_cbranch_vccz .LBB203_77
; %bb.11:
	s_andn2_b64 vcc, exec, s[6:7]
	s_mov_b64 s[6:7], -1
	s_cbranch_vccnz .LBB203_44
; %bb.12:
	s_andn2_b64 vcc, exec, s[4:5]
	s_mov_b32 s10, 0
	s_cbranch_vccnz .LBB203_34
; %bb.13:
	v_mov_b32_e32 v2, 0
	ds_read_b128 v[22:25], v2
	ds_read_b128 v[18:21], v1
	ds_read_b128 v[14:17], v1 offset:64
	ds_read_b128 v[10:13], v1 offset:128
	;; [unrolled: 1-line block ×3, first 2 shown]
	s_waitcnt lgkmcnt(4)
	v_cmp_ngt_f64_e64 s[6:7], |v[22:23]|, |v[24:25]|
	s_and_b64 vcc, exec, s[6:7]
	s_cbranch_vccz .LBB203_15
; %bb.14:
	v_div_scale_f64 v[6:7], s[6:7], v[24:25], v[24:25], v[22:23]
	v_rcp_f64_e32 v[8:9], v[6:7]
	v_div_scale_f64 v[26:27], vcc, v[22:23], v[24:25], v[22:23]
	v_fma_f64 v[28:29], -v[6:7], v[8:9], 1.0
	v_fmac_f64_e32 v[8:9], v[8:9], v[28:29]
	v_fma_f64 v[28:29], -v[6:7], v[8:9], 1.0
	v_fmac_f64_e32 v[8:9], v[8:9], v[28:29]
	v_mul_f64 v[28:29], v[26:27], v[8:9]
	v_fma_f64 v[6:7], -v[6:7], v[28:29], v[26:27]
	v_div_fmas_f64 v[6:7], v[6:7], v[8:9], v[28:29]
	v_div_fixup_f64 v[8:9], v[6:7], v[24:25], v[22:23]
	v_fma_f64 v[6:7], v[22:23], v[8:9], v[24:25]
	v_div_scale_f64 v[26:27], s[6:7], v[6:7], v[6:7], 1.0
	v_rcp_f64_e32 v[28:29], v[26:27]
	s_mov_b64 s[6:7], 0
	v_fma_f64 v[30:31], -v[26:27], v[28:29], 1.0
	v_fmac_f64_e32 v[28:29], v[28:29], v[30:31]
	v_fma_f64 v[30:31], -v[26:27], v[28:29], 1.0
	v_fmac_f64_e32 v[28:29], v[28:29], v[30:31]
	v_div_scale_f64 v[30:31], vcc, 1.0, v[6:7], 1.0
	v_mul_f64 v[32:33], v[30:31], v[28:29]
	v_fma_f64 v[26:27], -v[26:27], v[32:33], v[30:31]
	s_nop 1
	v_div_fmas_f64 v[26:27], v[26:27], v[28:29], v[32:33]
	v_div_fixup_f64 v[26:27], v[26:27], v[6:7], 1.0
	s_waitcnt lgkmcnt(3)
	v_fma_f64 v[6:7], v[18:19], v[8:9], v[20:21]
	v_fma_f64 v[8:9], v[20:21], v[8:9], -v[18:19]
	v_mul_f64 v[6:7], v[6:7], v[26:27]
	v_mul_f64 v[8:9], v[8:9], v[26:27]
	s_branch .LBB203_16
.LBB203_15:
	s_mov_b64 s[6:7], -1
                                        ; implicit-def: $vgpr8_vgpr9
.LBB203_16:
	s_andn2_b64 vcc, exec, s[6:7]
	s_cbranch_vccnz .LBB203_18
; %bb.17:
	v_div_scale_f64 v[6:7], s[6:7], v[22:23], v[22:23], v[24:25]
	v_rcp_f64_e32 v[8:9], v[6:7]
	v_div_scale_f64 v[26:27], vcc, v[24:25], v[22:23], v[24:25]
	v_fma_f64 v[28:29], -v[6:7], v[8:9], 1.0
	v_fmac_f64_e32 v[8:9], v[8:9], v[28:29]
	v_fma_f64 v[28:29], -v[6:7], v[8:9], 1.0
	v_fmac_f64_e32 v[8:9], v[8:9], v[28:29]
	v_mul_f64 v[28:29], v[26:27], v[8:9]
	v_fma_f64 v[6:7], -v[6:7], v[28:29], v[26:27]
	v_div_fmas_f64 v[6:7], v[6:7], v[8:9], v[28:29]
	v_div_fixup_f64 v[8:9], v[6:7], v[22:23], v[24:25]
	v_fmac_f64_e32 v[22:23], v[24:25], v[8:9]
	v_div_scale_f64 v[6:7], s[6:7], v[22:23], v[22:23], 1.0
	v_rcp_f64_e32 v[24:25], v[6:7]
	s_nop 0
	v_fma_f64 v[26:27], -v[6:7], v[24:25], 1.0
	v_fmac_f64_e32 v[24:25], v[24:25], v[26:27]
	v_fma_f64 v[26:27], -v[6:7], v[24:25], 1.0
	v_fmac_f64_e32 v[24:25], v[24:25], v[26:27]
	v_div_scale_f64 v[26:27], vcc, 1.0, v[22:23], 1.0
	v_mul_f64 v[28:29], v[26:27], v[24:25]
	v_fma_f64 v[6:7], -v[6:7], v[28:29], v[26:27]
	s_nop 1
	v_div_fmas_f64 v[6:7], v[6:7], v[24:25], v[28:29]
	v_div_fixup_f64 v[22:23], v[6:7], v[22:23], 1.0
	s_waitcnt lgkmcnt(3)
	v_fma_f64 v[6:7], v[20:21], v[8:9], v[18:19]
	v_fma_f64 v[8:9], -v[18:19], v[8:9], v[20:21]
	v_mul_f64 v[6:7], v[6:7], v[22:23]
	v_mul_f64 v[8:9], v[8:9], v[22:23]
.LBB203_18:
	s_waitcnt lgkmcnt(3)
	v_mov_b32_e32 v18, 0
	ds_read_b128 v[22:25], v18 offset:16
	ds_read_b128 v[18:21], v18 offset:80
	ds_write_b128 v1, v[6:9]
	s_waitcnt lgkmcnt(2)
	v_mul_f64 v[26:27], v[8:9], v[24:25]
	v_mul_f64 v[24:25], v[6:7], v[24:25]
	v_fma_f64 v[26:27], v[6:7], v[22:23], -v[26:27]
	v_fmac_f64_e32 v[24:25], v[8:9], v[22:23]
	s_waitcnt lgkmcnt(1)
	v_cmp_ngt_f64_e64 s[6:7], |v[18:19]|, |v[20:21]|
	v_add_f64 v[22:23], v[14:15], -v[26:27]
	v_add_f64 v[24:25], v[16:17], -v[24:25]
	s_and_b64 vcc, exec, s[6:7]
	s_cbranch_vccz .LBB203_20
; %bb.19:
	v_div_scale_f64 v[14:15], s[6:7], v[20:21], v[20:21], v[18:19]
	v_rcp_f64_e32 v[16:17], v[14:15]
	v_div_scale_f64 v[26:27], vcc, v[18:19], v[20:21], v[18:19]
	v_fma_f64 v[28:29], -v[14:15], v[16:17], 1.0
	v_fmac_f64_e32 v[16:17], v[16:17], v[28:29]
	v_fma_f64 v[28:29], -v[14:15], v[16:17], 1.0
	v_fmac_f64_e32 v[16:17], v[16:17], v[28:29]
	v_mul_f64 v[28:29], v[26:27], v[16:17]
	v_fma_f64 v[14:15], -v[14:15], v[28:29], v[26:27]
	v_div_fmas_f64 v[14:15], v[14:15], v[16:17], v[28:29]
	v_div_fixup_f64 v[16:17], v[14:15], v[20:21], v[18:19]
	v_fma_f64 v[14:15], v[18:19], v[16:17], v[20:21]
	v_div_scale_f64 v[26:27], s[6:7], v[14:15], v[14:15], 1.0
	v_rcp_f64_e32 v[28:29], v[26:27]
	s_mov_b64 s[6:7], 0
	v_fma_f64 v[30:31], -v[26:27], v[28:29], 1.0
	v_fmac_f64_e32 v[28:29], v[28:29], v[30:31]
	v_fma_f64 v[30:31], -v[26:27], v[28:29], 1.0
	v_fmac_f64_e32 v[28:29], v[28:29], v[30:31]
	v_div_scale_f64 v[30:31], vcc, 1.0, v[14:15], 1.0
	v_mul_f64 v[32:33], v[30:31], v[28:29]
	v_fma_f64 v[26:27], -v[26:27], v[32:33], v[30:31]
	s_nop 1
	v_div_fmas_f64 v[26:27], v[26:27], v[28:29], v[32:33]
	v_div_fixup_f64 v[26:27], v[26:27], v[14:15], 1.0
	v_fma_f64 v[14:15], v[16:17], v[22:23], v[24:25]
	v_fma_f64 v[16:17], v[16:17], v[24:25], -v[22:23]
	v_mul_f64 v[14:15], v[14:15], v[26:27]
	v_mul_f64 v[16:17], v[16:17], v[26:27]
	s_branch .LBB203_21
.LBB203_20:
	s_mov_b64 s[6:7], -1
                                        ; implicit-def: $vgpr16_vgpr17
.LBB203_21:
	s_andn2_b64 vcc, exec, s[6:7]
	s_cbranch_vccnz .LBB203_23
; %bb.22:
	v_div_scale_f64 v[14:15], s[6:7], v[18:19], v[18:19], v[20:21]
	v_rcp_f64_e32 v[16:17], v[14:15]
	v_div_scale_f64 v[26:27], vcc, v[20:21], v[18:19], v[20:21]
	v_fma_f64 v[28:29], -v[14:15], v[16:17], 1.0
	v_fmac_f64_e32 v[16:17], v[16:17], v[28:29]
	v_fma_f64 v[28:29], -v[14:15], v[16:17], 1.0
	v_fmac_f64_e32 v[16:17], v[16:17], v[28:29]
	v_mul_f64 v[28:29], v[26:27], v[16:17]
	v_fma_f64 v[14:15], -v[14:15], v[28:29], v[26:27]
	v_div_fmas_f64 v[14:15], v[14:15], v[16:17], v[28:29]
	v_div_fixup_f64 v[16:17], v[14:15], v[18:19], v[20:21]
	v_fmac_f64_e32 v[18:19], v[20:21], v[16:17]
	v_div_scale_f64 v[14:15], s[6:7], v[18:19], v[18:19], 1.0
	v_rcp_f64_e32 v[20:21], v[14:15]
	s_nop 0
	v_fma_f64 v[26:27], -v[14:15], v[20:21], 1.0
	v_fmac_f64_e32 v[20:21], v[20:21], v[26:27]
	v_fma_f64 v[26:27], -v[14:15], v[20:21], 1.0
	v_fmac_f64_e32 v[20:21], v[20:21], v[26:27]
	v_div_scale_f64 v[26:27], vcc, 1.0, v[18:19], 1.0
	v_mul_f64 v[28:29], v[26:27], v[20:21]
	v_fma_f64 v[14:15], -v[14:15], v[28:29], v[26:27]
	s_nop 1
	v_div_fmas_f64 v[14:15], v[14:15], v[20:21], v[28:29]
	v_div_fixup_f64 v[18:19], v[14:15], v[18:19], 1.0
	v_fma_f64 v[14:15], v[16:17], v[24:25], v[22:23]
	v_fma_f64 v[16:17], -v[16:17], v[22:23], v[24:25]
	v_mul_f64 v[14:15], v[14:15], v[18:19]
	v_mul_f64 v[16:17], v[16:17], v[18:19]
.LBB203_23:
	v_mov_b32_e32 v28, 0
	ds_read_b128 v[18:21], v28 offset:32
	ds_read_b128 v[22:25], v28 offset:96
	ds_write_b128 v1, v[14:17] offset:64
	s_waitcnt lgkmcnt(2)
	v_mul_f64 v[26:27], v[8:9], v[20:21]
	v_mul_f64 v[20:21], v[6:7], v[20:21]
	v_fma_f64 v[26:27], v[6:7], v[18:19], -v[26:27]
	v_fmac_f64_e32 v[20:21], v[8:9], v[18:19]
	v_add_f64 v[18:19], v[10:11], -v[26:27]
	s_waitcnt lgkmcnt(1)
	v_mul_f64 v[10:11], v[16:17], v[24:25]
	v_add_f64 v[20:21], v[12:13], -v[20:21]
	v_fma_f64 v[26:27], v[14:15], v[22:23], -v[10:11]
	ds_read_b128 v[10:13], v28 offset:160
	v_mul_f64 v[24:25], v[14:15], v[24:25]
	v_fmac_f64_e32 v[24:25], v[16:17], v[22:23]
	v_add_f64 v[22:23], v[18:19], -v[26:27]
	v_add_f64 v[24:25], v[20:21], -v[24:25]
	s_waitcnt lgkmcnt(0)
	v_cmp_ngt_f64_e64 s[6:7], |v[10:11]|, |v[12:13]|
	s_and_b64 vcc, exec, s[6:7]
	s_cbranch_vccz .LBB203_25
; %bb.24:
	v_div_scale_f64 v[18:19], s[6:7], v[12:13], v[12:13], v[10:11]
	v_rcp_f64_e32 v[20:21], v[18:19]
	v_div_scale_f64 v[26:27], vcc, v[10:11], v[12:13], v[10:11]
	v_fma_f64 v[28:29], -v[18:19], v[20:21], 1.0
	v_fmac_f64_e32 v[20:21], v[20:21], v[28:29]
	v_fma_f64 v[28:29], -v[18:19], v[20:21], 1.0
	v_fmac_f64_e32 v[20:21], v[20:21], v[28:29]
	v_mul_f64 v[28:29], v[26:27], v[20:21]
	v_fma_f64 v[18:19], -v[18:19], v[28:29], v[26:27]
	v_div_fmas_f64 v[18:19], v[18:19], v[20:21], v[28:29]
	v_div_fixup_f64 v[20:21], v[18:19], v[12:13], v[10:11]
	v_fma_f64 v[18:19], v[10:11], v[20:21], v[12:13]
	v_div_scale_f64 v[26:27], s[6:7], v[18:19], v[18:19], 1.0
	v_rcp_f64_e32 v[28:29], v[26:27]
	s_mov_b64 s[6:7], 0
	v_fma_f64 v[30:31], -v[26:27], v[28:29], 1.0
	v_fmac_f64_e32 v[28:29], v[28:29], v[30:31]
	v_fma_f64 v[30:31], -v[26:27], v[28:29], 1.0
	v_fmac_f64_e32 v[28:29], v[28:29], v[30:31]
	v_div_scale_f64 v[30:31], vcc, 1.0, v[18:19], 1.0
	v_mul_f64 v[32:33], v[30:31], v[28:29]
	v_fma_f64 v[26:27], -v[26:27], v[32:33], v[30:31]
	s_nop 1
	v_div_fmas_f64 v[26:27], v[26:27], v[28:29], v[32:33]
	v_div_fixup_f64 v[26:27], v[26:27], v[18:19], 1.0
	v_fma_f64 v[18:19], v[20:21], v[22:23], v[24:25]
	v_fma_f64 v[20:21], v[20:21], v[24:25], -v[22:23]
	v_mul_f64 v[18:19], v[18:19], v[26:27]
	v_mul_f64 v[20:21], v[20:21], v[26:27]
	s_branch .LBB203_26
.LBB203_25:
	s_mov_b64 s[6:7], -1
                                        ; implicit-def: $vgpr20_vgpr21
.LBB203_26:
	s_andn2_b64 vcc, exec, s[6:7]
	s_cbranch_vccnz .LBB203_28
; %bb.27:
	v_div_scale_f64 v[18:19], s[6:7], v[10:11], v[10:11], v[12:13]
	v_rcp_f64_e32 v[20:21], v[18:19]
	v_div_scale_f64 v[26:27], vcc, v[12:13], v[10:11], v[12:13]
	v_fma_f64 v[28:29], -v[18:19], v[20:21], 1.0
	v_fmac_f64_e32 v[20:21], v[20:21], v[28:29]
	v_fma_f64 v[28:29], -v[18:19], v[20:21], 1.0
	v_fmac_f64_e32 v[20:21], v[20:21], v[28:29]
	v_mul_f64 v[28:29], v[26:27], v[20:21]
	v_fma_f64 v[18:19], -v[18:19], v[28:29], v[26:27]
	v_div_fmas_f64 v[18:19], v[18:19], v[20:21], v[28:29]
	v_div_fixup_f64 v[20:21], v[18:19], v[10:11], v[12:13]
	v_fmac_f64_e32 v[10:11], v[12:13], v[20:21]
	v_div_scale_f64 v[12:13], s[6:7], v[10:11], v[10:11], 1.0
	v_rcp_f64_e32 v[18:19], v[12:13]
	s_nop 0
	v_fma_f64 v[26:27], -v[12:13], v[18:19], 1.0
	v_fmac_f64_e32 v[18:19], v[18:19], v[26:27]
	v_fma_f64 v[26:27], -v[12:13], v[18:19], 1.0
	v_fmac_f64_e32 v[18:19], v[18:19], v[26:27]
	v_div_scale_f64 v[26:27], vcc, 1.0, v[10:11], 1.0
	v_mul_f64 v[28:29], v[26:27], v[18:19]
	v_fma_f64 v[12:13], -v[12:13], v[28:29], v[26:27]
	s_nop 1
	v_div_fmas_f64 v[12:13], v[12:13], v[18:19], v[28:29]
	v_div_fixup_f64 v[10:11], v[12:13], v[10:11], 1.0
	v_fma_f64 v[12:13], v[20:21], v[24:25], v[22:23]
	v_mul_f64 v[18:19], v[12:13], v[10:11]
	v_fma_f64 v[12:13], -v[20:21], v[22:23], v[24:25]
	v_mul_f64 v[20:21], v[12:13], v[10:11]
.LBB203_28:
	v_mov_b32_e32 v28, 0
	ds_read_b128 v[10:13], v28 offset:48
	ds_read_b128 v[22:25], v28 offset:112
	ds_write_b128 v1, v[18:21] offset:128
	s_waitcnt lgkmcnt(2)
	v_mul_f64 v[26:27], v[8:9], v[12:13]
	v_mul_f64 v[12:13], v[6:7], v[12:13]
	v_fma_f64 v[6:7], v[6:7], v[10:11], -v[26:27]
	v_fmac_f64_e32 v[12:13], v[8:9], v[10:11]
	v_add_f64 v[2:3], v[2:3], -v[6:7]
	v_add_f64 v[4:5], v[4:5], -v[12:13]
	s_waitcnt lgkmcnt(1)
	v_mul_f64 v[6:7], v[16:17], v[24:25]
	v_mul_f64 v[12:13], v[14:15], v[24:25]
	v_fma_f64 v[10:11], v[14:15], v[22:23], -v[6:7]
	ds_read_b128 v[6:9], v28 offset:176
	v_fmac_f64_e32 v[12:13], v[16:17], v[22:23]
	v_add_f64 v[10:11], v[2:3], -v[10:11]
	v_add_f64 v[12:13], v[4:5], -v[12:13]
	ds_read_b128 v[2:5], v28 offset:240
	s_waitcnt lgkmcnt(1)
	v_mul_f64 v[14:15], v[20:21], v[8:9]
	v_mul_f64 v[8:9], v[18:19], v[8:9]
	v_fma_f64 v[14:15], v[18:19], v[6:7], -v[14:15]
	v_fmac_f64_e32 v[8:9], v[20:21], v[6:7]
	s_waitcnt lgkmcnt(0)
	v_cmp_ngt_f64_e64 s[6:7], |v[2:3]|, |v[4:5]|
	v_add_f64 v[10:11], v[10:11], -v[14:15]
	v_add_f64 v[12:13], v[12:13], -v[8:9]
	s_and_b64 vcc, exec, s[6:7]
	s_cbranch_vccz .LBB203_30
; %bb.29:
	v_div_scale_f64 v[6:7], s[6:7], v[4:5], v[4:5], v[2:3]
	v_rcp_f64_e32 v[8:9], v[6:7]
	v_div_scale_f64 v[14:15], vcc, v[2:3], v[4:5], v[2:3]
	v_fma_f64 v[16:17], -v[6:7], v[8:9], 1.0
	v_fmac_f64_e32 v[8:9], v[8:9], v[16:17]
	v_fma_f64 v[16:17], -v[6:7], v[8:9], 1.0
	v_fmac_f64_e32 v[8:9], v[8:9], v[16:17]
	v_mul_f64 v[16:17], v[14:15], v[8:9]
	v_fma_f64 v[6:7], -v[6:7], v[16:17], v[14:15]
	v_div_fmas_f64 v[6:7], v[6:7], v[8:9], v[16:17]
	v_div_fixup_f64 v[8:9], v[6:7], v[4:5], v[2:3]
	v_fma_f64 v[6:7], v[2:3], v[8:9], v[4:5]
	v_div_scale_f64 v[14:15], s[6:7], v[6:7], v[6:7], 1.0
	v_rcp_f64_e32 v[16:17], v[14:15]
	s_mov_b64 s[6:7], 0
	v_fma_f64 v[18:19], -v[14:15], v[16:17], 1.0
	v_fmac_f64_e32 v[16:17], v[16:17], v[18:19]
	v_fma_f64 v[18:19], -v[14:15], v[16:17], 1.0
	v_fmac_f64_e32 v[16:17], v[16:17], v[18:19]
	v_div_scale_f64 v[18:19], vcc, 1.0, v[6:7], 1.0
	v_mul_f64 v[20:21], v[18:19], v[16:17]
	v_fma_f64 v[14:15], -v[14:15], v[20:21], v[18:19]
	s_nop 1
	v_div_fmas_f64 v[14:15], v[14:15], v[16:17], v[20:21]
	v_div_fixup_f64 v[14:15], v[14:15], v[6:7], 1.0
	v_fma_f64 v[6:7], v[8:9], v[10:11], v[12:13]
	v_fma_f64 v[8:9], v[8:9], v[12:13], -v[10:11]
	v_mul_f64 v[6:7], v[6:7], v[14:15]
	v_mul_f64 v[8:9], v[8:9], v[14:15]
	s_branch .LBB203_31
.LBB203_30:
	s_mov_b64 s[6:7], -1
                                        ; implicit-def: $vgpr8_vgpr9
.LBB203_31:
	s_andn2_b64 vcc, exec, s[6:7]
	s_cbranch_vccnz .LBB203_33
; %bb.32:
	v_div_scale_f64 v[6:7], s[6:7], v[2:3], v[2:3], v[4:5]
	v_rcp_f64_e32 v[8:9], v[6:7]
	v_div_scale_f64 v[14:15], vcc, v[4:5], v[2:3], v[4:5]
	v_fma_f64 v[16:17], -v[6:7], v[8:9], 1.0
	v_fmac_f64_e32 v[8:9], v[8:9], v[16:17]
	v_fma_f64 v[16:17], -v[6:7], v[8:9], 1.0
	v_fmac_f64_e32 v[8:9], v[8:9], v[16:17]
	v_mul_f64 v[16:17], v[14:15], v[8:9]
	v_fma_f64 v[6:7], -v[6:7], v[16:17], v[14:15]
	v_div_fmas_f64 v[6:7], v[6:7], v[8:9], v[16:17]
	v_div_fixup_f64 v[8:9], v[6:7], v[2:3], v[4:5]
	v_fmac_f64_e32 v[2:3], v[4:5], v[8:9]
	v_div_scale_f64 v[4:5], s[6:7], v[2:3], v[2:3], 1.0
	v_rcp_f64_e32 v[6:7], v[4:5]
	s_nop 0
	v_fma_f64 v[14:15], -v[4:5], v[6:7], 1.0
	v_fmac_f64_e32 v[6:7], v[6:7], v[14:15]
	v_fma_f64 v[14:15], -v[4:5], v[6:7], 1.0
	v_fmac_f64_e32 v[6:7], v[6:7], v[14:15]
	v_div_scale_f64 v[14:15], vcc, 1.0, v[2:3], 1.0
	v_mul_f64 v[16:17], v[14:15], v[6:7]
	v_fma_f64 v[4:5], -v[4:5], v[16:17], v[14:15]
	s_nop 1
	v_div_fmas_f64 v[4:5], v[4:5], v[6:7], v[16:17]
	v_div_fixup_f64 v[2:3], v[4:5], v[2:3], 1.0
	v_fma_f64 v[4:5], v[8:9], v[12:13], v[10:11]
	v_mul_f64 v[6:7], v[4:5], v[2:3]
	v_fma_f64 v[4:5], -v[8:9], v[10:11], v[12:13]
	v_mul_f64 v[8:9], v[4:5], v[2:3]
.LBB203_33:
	s_mov_b32 s10, 4
	ds_write_b128 v1, v[6:9] offset:192
.LBB203_34:
	s_cmp_ge_i32 s10, s25
	s_cbranch_scc1 .LBB203_43
; %bb.35:
	v_mov_b32_e32 v2, 0x100
	s_lshl_b32 s11, s10, 4
	v_lshl_or_b32 v14, v0, 4, v2
	s_branch .LBB203_37
.LBB203_36:                             ;   in Loop: Header=BB203_37 Depth=1
	s_add_i32 s10, s10, 1
	s_add_i32 s11, s11, 16
	s_cmp_ge_i32 s10, s25
	ds_write_b128 v15, v[10:13]
	s_cbranch_scc1 .LBB203_43
.LBB203_37:                             ; =>This Loop Header: Depth=1
                                        ;     Child Loop BB203_38 Depth 2
	s_lshl_b32 s6, s10, 6
	v_add_u32_e32 v15, s6, v1
	ds_read_b128 v[2:5], v15
	s_cmp_eq_u32 s10, 0
	v_mov_b32_e32 v6, v14
	s_mov_b32 s7, s11
	s_mov_b32 s12, s10
	s_cbranch_scc1 .LBB203_39
.LBB203_38:                             ;   Parent Loop BB203_37 Depth=1
                                        ; =>  This Inner Loop Header: Depth=2
	v_mov_b32_e32 v7, s7
	ds_read_b128 v[8:11], v6
	ds_read_b128 v[16:19], v7
	s_add_i32 s12, s12, -1
	s_add_i32 s7, s7, 64
	v_add_u32_e32 v6, 64, v6
	s_cmp_eq_u32 s12, 0
	s_waitcnt lgkmcnt(0)
	v_mul_f64 v[12:13], v[18:19], v[10:11]
	v_mul_f64 v[10:11], v[16:17], v[10:11]
	v_fma_f64 v[12:13], v[16:17], v[8:9], -v[12:13]
	v_fmac_f64_e32 v[10:11], v[18:19], v[8:9]
	v_add_f64 v[2:3], v[2:3], -v[12:13]
	v_add_f64 v[4:5], v[4:5], -v[10:11]
	s_cbranch_scc0 .LBB203_38
.LBB203_39:                             ;   in Loop: Header=BB203_37 Depth=1
	s_lshl_b32 s7, s10, 4
	s_add_i32 s6, s7, s6
	v_mov_b32_e32 v6, s6
	ds_read_b128 v[6:9], v6
	s_mov_b64 s[6:7], -1
                                        ; implicit-def: $vgpr10_vgpr11
	s_waitcnt lgkmcnt(0)
	v_cmp_ngt_f64_e64 s[12:13], |v[6:7]|, |v[8:9]|
	s_and_b64 vcc, exec, s[12:13]
	s_cbranch_vccz .LBB203_41
; %bb.40:                               ;   in Loop: Header=BB203_37 Depth=1
	v_div_scale_f64 v[10:11], s[6:7], v[8:9], v[8:9], v[6:7]
	v_rcp_f64_e32 v[12:13], v[10:11]
	v_div_scale_f64 v[16:17], vcc, v[6:7], v[8:9], v[6:7]
	v_fma_f64 v[18:19], -v[10:11], v[12:13], 1.0
	v_fmac_f64_e32 v[12:13], v[12:13], v[18:19]
	v_fma_f64 v[18:19], -v[10:11], v[12:13], 1.0
	v_fmac_f64_e32 v[12:13], v[12:13], v[18:19]
	v_mul_f64 v[18:19], v[16:17], v[12:13]
	v_fma_f64 v[10:11], -v[10:11], v[18:19], v[16:17]
	v_div_fmas_f64 v[10:11], v[10:11], v[12:13], v[18:19]
	v_div_fixup_f64 v[12:13], v[10:11], v[8:9], v[6:7]
	v_fma_f64 v[10:11], v[6:7], v[12:13], v[8:9]
	v_div_scale_f64 v[16:17], s[6:7], v[10:11], v[10:11], 1.0
	v_rcp_f64_e32 v[18:19], v[16:17]
	s_mov_b64 s[6:7], 0
	v_fma_f64 v[20:21], -v[16:17], v[18:19], 1.0
	v_fmac_f64_e32 v[18:19], v[18:19], v[20:21]
	v_fma_f64 v[20:21], -v[16:17], v[18:19], 1.0
	v_fmac_f64_e32 v[18:19], v[18:19], v[20:21]
	v_div_scale_f64 v[20:21], vcc, 1.0, v[10:11], 1.0
	v_mul_f64 v[22:23], v[20:21], v[18:19]
	v_fma_f64 v[16:17], -v[16:17], v[22:23], v[20:21]
	s_nop 1
	v_div_fmas_f64 v[16:17], v[16:17], v[18:19], v[22:23]
	v_div_fixup_f64 v[16:17], v[16:17], v[10:11], 1.0
	v_fma_f64 v[10:11], v[2:3], v[12:13], v[4:5]
	v_fma_f64 v[12:13], v[4:5], v[12:13], -v[2:3]
	v_mul_f64 v[10:11], v[10:11], v[16:17]
	v_mul_f64 v[12:13], v[12:13], v[16:17]
.LBB203_41:                             ;   in Loop: Header=BB203_37 Depth=1
	s_andn2_b64 vcc, exec, s[6:7]
	s_cbranch_vccnz .LBB203_36
; %bb.42:                               ;   in Loop: Header=BB203_37 Depth=1
	v_div_scale_f64 v[10:11], s[6:7], v[6:7], v[6:7], v[8:9]
	v_rcp_f64_e32 v[12:13], v[10:11]
	v_div_scale_f64 v[16:17], vcc, v[8:9], v[6:7], v[8:9]
	v_fma_f64 v[18:19], -v[10:11], v[12:13], 1.0
	v_fmac_f64_e32 v[12:13], v[12:13], v[18:19]
	v_fma_f64 v[18:19], -v[10:11], v[12:13], 1.0
	v_fmac_f64_e32 v[12:13], v[12:13], v[18:19]
	v_mul_f64 v[18:19], v[16:17], v[12:13]
	v_fma_f64 v[10:11], -v[10:11], v[18:19], v[16:17]
	v_div_fmas_f64 v[10:11], v[10:11], v[12:13], v[18:19]
	v_div_fixup_f64 v[12:13], v[10:11], v[6:7], v[8:9]
	v_fmac_f64_e32 v[6:7], v[8:9], v[12:13]
	v_div_scale_f64 v[8:9], s[6:7], v[6:7], v[6:7], 1.0
	v_rcp_f64_e32 v[10:11], v[8:9]
	s_nop 0
	v_fma_f64 v[16:17], -v[8:9], v[10:11], 1.0
	v_fmac_f64_e32 v[10:11], v[10:11], v[16:17]
	v_fma_f64 v[16:17], -v[8:9], v[10:11], 1.0
	v_fmac_f64_e32 v[10:11], v[10:11], v[16:17]
	v_div_scale_f64 v[16:17], vcc, 1.0, v[6:7], 1.0
	v_mul_f64 v[18:19], v[16:17], v[10:11]
	v_fma_f64 v[8:9], -v[8:9], v[18:19], v[16:17]
	s_nop 1
	v_div_fmas_f64 v[8:9], v[8:9], v[10:11], v[18:19]
	v_div_fixup_f64 v[6:7], v[8:9], v[6:7], 1.0
	v_fma_f64 v[8:9], v[4:5], v[12:13], v[2:3]
	v_fma_f64 v[2:3], -v[2:3], v[12:13], v[4:5]
	v_mul_f64 v[10:11], v[8:9], v[6:7]
	v_mul_f64 v[12:13], v[2:3], v[6:7]
	s_branch .LBB203_36
.LBB203_43:
	s_mov_b64 s[6:7], 0
.LBB203_44:
	s_and_b64 vcc, exec, s[6:7]
	s_cbranch_vccz .LBB203_76
; %bb.45:
	s_and_b64 vcc, exec, s[4:5]
	s_mov_b32 s10, s9
	s_cbranch_vccz .LBB203_67
; %bb.46:
	s_mul_i32 s11, s9, 0x50
	v_lshl_add_u32 v29, s9, 6, v1
	s_add_i32 s12, s25, -2
	v_mov_b32_e32 v2, s11
	v_lshl_add_u32 v28, s12, 6, v1
	ds_read_b128 v[18:21], v29
	ds_read_b128 v[14:17], v28
	s_add_i32 s10, s25, -3
	s_lshl_b32 s6, s25, 6
	ds_read_b128 v[22:25], v2
	v_lshl_add_u32 v27, s10, 6, v1
	s_addk_i32 s6, 0xff00
	v_add_u32_e32 v26, s6, v1
	ds_read_b128 v[10:13], v27
	ds_read_b128 v[2:5], v26
	s_waitcnt lgkmcnt(2)
	v_cmp_ngt_f64_e64 s[6:7], |v[22:23]|, |v[24:25]|
	s_and_b64 vcc, exec, s[6:7]
	s_cbranch_vccz .LBB203_48
; %bb.47:
	v_div_scale_f64 v[6:7], s[6:7], v[24:25], v[24:25], v[22:23]
	v_rcp_f64_e32 v[8:9], v[6:7]
	v_div_scale_f64 v[30:31], vcc, v[22:23], v[24:25], v[22:23]
	v_fma_f64 v[32:33], -v[6:7], v[8:9], 1.0
	v_fmac_f64_e32 v[8:9], v[8:9], v[32:33]
	v_fma_f64 v[32:33], -v[6:7], v[8:9], 1.0
	v_fmac_f64_e32 v[8:9], v[8:9], v[32:33]
	v_mul_f64 v[32:33], v[30:31], v[8:9]
	v_fma_f64 v[6:7], -v[6:7], v[32:33], v[30:31]
	v_div_fmas_f64 v[6:7], v[6:7], v[8:9], v[32:33]
	v_div_fixup_f64 v[8:9], v[6:7], v[24:25], v[22:23]
	v_fma_f64 v[6:7], v[22:23], v[8:9], v[24:25]
	v_div_scale_f64 v[30:31], s[6:7], v[6:7], v[6:7], 1.0
	v_rcp_f64_e32 v[32:33], v[30:31]
	s_mov_b64 s[6:7], 0
	v_fma_f64 v[34:35], -v[30:31], v[32:33], 1.0
	v_fmac_f64_e32 v[32:33], v[32:33], v[34:35]
	v_fma_f64 v[34:35], -v[30:31], v[32:33], 1.0
	v_fmac_f64_e32 v[32:33], v[32:33], v[34:35]
	v_div_scale_f64 v[34:35], vcc, 1.0, v[6:7], 1.0
	v_mul_f64 v[36:37], v[34:35], v[32:33]
	v_fma_f64 v[30:31], -v[30:31], v[36:37], v[34:35]
	s_nop 1
	v_div_fmas_f64 v[30:31], v[30:31], v[32:33], v[36:37]
	v_div_fixup_f64 v[30:31], v[30:31], v[6:7], 1.0
	v_fma_f64 v[6:7], v[18:19], v[8:9], v[20:21]
	v_fma_f64 v[8:9], v[20:21], v[8:9], -v[18:19]
	v_mul_f64 v[6:7], v[6:7], v[30:31]
	v_mul_f64 v[8:9], v[8:9], v[30:31]
	s_branch .LBB203_49
.LBB203_48:
	s_mov_b64 s[6:7], -1
                                        ; implicit-def: $vgpr8_vgpr9
.LBB203_49:
	s_andn2_b64 vcc, exec, s[6:7]
	s_cbranch_vccnz .LBB203_51
; %bb.50:
	v_div_scale_f64 v[6:7], s[6:7], v[22:23], v[22:23], v[24:25]
	v_rcp_f64_e32 v[8:9], v[6:7]
	v_div_scale_f64 v[30:31], vcc, v[24:25], v[22:23], v[24:25]
	v_fma_f64 v[32:33], -v[6:7], v[8:9], 1.0
	v_fmac_f64_e32 v[8:9], v[8:9], v[32:33]
	v_fma_f64 v[32:33], -v[6:7], v[8:9], 1.0
	v_fmac_f64_e32 v[8:9], v[8:9], v[32:33]
	v_mul_f64 v[32:33], v[30:31], v[8:9]
	v_fma_f64 v[6:7], -v[6:7], v[32:33], v[30:31]
	v_div_fmas_f64 v[6:7], v[6:7], v[8:9], v[32:33]
	v_div_fixup_f64 v[8:9], v[6:7], v[22:23], v[24:25]
	v_fmac_f64_e32 v[22:23], v[24:25], v[8:9]
	v_div_scale_f64 v[6:7], s[6:7], v[22:23], v[22:23], 1.0
	v_rcp_f64_e32 v[24:25], v[6:7]
	s_nop 0
	v_fma_f64 v[30:31], -v[6:7], v[24:25], 1.0
	v_fmac_f64_e32 v[24:25], v[24:25], v[30:31]
	v_fma_f64 v[30:31], -v[6:7], v[24:25], 1.0
	v_fmac_f64_e32 v[24:25], v[24:25], v[30:31]
	v_div_scale_f64 v[30:31], vcc, 1.0, v[22:23], 1.0
	v_mul_f64 v[32:33], v[30:31], v[24:25]
	v_fma_f64 v[6:7], -v[6:7], v[32:33], v[30:31]
	s_nop 1
	v_div_fmas_f64 v[6:7], v[6:7], v[24:25], v[32:33]
	v_div_fixup_f64 v[22:23], v[6:7], v[22:23], 1.0
	v_fma_f64 v[6:7], v[20:21], v[8:9], v[18:19]
	v_fma_f64 v[8:9], -v[18:19], v[8:9], v[20:21]
	v_mul_f64 v[6:7], v[6:7], v[22:23]
	v_mul_f64 v[8:9], v[8:9], v[22:23]
.LBB203_51:
	s_lshl_b32 s6, s9, 4
	s_sub_i32 s13, s11, s6
	s_lshl_b32 s12, s12, 4
	s_add_i32 s6, s13, s12
	v_mov_b32_e32 v18, s6
	s_addk_i32 s11, 0xffb0
	ds_read_b128 v[22:25], v18
	v_mov_b32_e32 v18, s11
	ds_read_b128 v[18:21], v18
	ds_write_b128 v29, v[6:9]
	s_waitcnt lgkmcnt(2)
	v_mul_f64 v[30:31], v[8:9], v[24:25]
	v_mul_f64 v[24:25], v[6:7], v[24:25]
	v_fma_f64 v[30:31], v[6:7], v[22:23], -v[30:31]
	v_fmac_f64_e32 v[24:25], v[8:9], v[22:23]
	s_waitcnt lgkmcnt(1)
	v_cmp_ngt_f64_e64 s[6:7], |v[18:19]|, |v[20:21]|
	v_add_f64 v[22:23], v[14:15], -v[30:31]
	v_add_f64 v[24:25], v[16:17], -v[24:25]
	s_and_b64 vcc, exec, s[6:7]
	s_cbranch_vccz .LBB203_53
; %bb.52:
	v_div_scale_f64 v[14:15], s[6:7], v[20:21], v[20:21], v[18:19]
	v_rcp_f64_e32 v[16:17], v[14:15]
	v_div_scale_f64 v[30:31], vcc, v[18:19], v[20:21], v[18:19]
	v_fma_f64 v[32:33], -v[14:15], v[16:17], 1.0
	v_fmac_f64_e32 v[16:17], v[16:17], v[32:33]
	v_fma_f64 v[32:33], -v[14:15], v[16:17], 1.0
	v_fmac_f64_e32 v[16:17], v[16:17], v[32:33]
	v_mul_f64 v[32:33], v[30:31], v[16:17]
	v_fma_f64 v[14:15], -v[14:15], v[32:33], v[30:31]
	v_div_fmas_f64 v[14:15], v[14:15], v[16:17], v[32:33]
	v_div_fixup_f64 v[16:17], v[14:15], v[20:21], v[18:19]
	v_fma_f64 v[14:15], v[18:19], v[16:17], v[20:21]
	v_div_scale_f64 v[30:31], s[6:7], v[14:15], v[14:15], 1.0
	v_rcp_f64_e32 v[32:33], v[30:31]
	s_mov_b64 s[6:7], 0
	v_fma_f64 v[34:35], -v[30:31], v[32:33], 1.0
	v_fmac_f64_e32 v[32:33], v[32:33], v[34:35]
	v_fma_f64 v[34:35], -v[30:31], v[32:33], 1.0
	v_fmac_f64_e32 v[32:33], v[32:33], v[34:35]
	v_div_scale_f64 v[34:35], vcc, 1.0, v[14:15], 1.0
	v_mul_f64 v[36:37], v[34:35], v[32:33]
	v_fma_f64 v[30:31], -v[30:31], v[36:37], v[34:35]
	s_nop 1
	v_div_fmas_f64 v[30:31], v[30:31], v[32:33], v[36:37]
	v_div_fixup_f64 v[30:31], v[30:31], v[14:15], 1.0
	v_fma_f64 v[14:15], v[16:17], v[22:23], v[24:25]
	v_fma_f64 v[16:17], v[16:17], v[24:25], -v[22:23]
	v_mul_f64 v[14:15], v[14:15], v[30:31]
	v_mul_f64 v[16:17], v[16:17], v[30:31]
	s_branch .LBB203_54
.LBB203_53:
	s_mov_b64 s[6:7], -1
                                        ; implicit-def: $vgpr16_vgpr17
.LBB203_54:
	s_andn2_b64 vcc, exec, s[6:7]
	s_cbranch_vccnz .LBB203_56
; %bb.55:
	v_div_scale_f64 v[14:15], s[6:7], v[18:19], v[18:19], v[20:21]
	v_rcp_f64_e32 v[16:17], v[14:15]
	v_div_scale_f64 v[30:31], vcc, v[20:21], v[18:19], v[20:21]
	v_fma_f64 v[32:33], -v[14:15], v[16:17], 1.0
	v_fmac_f64_e32 v[16:17], v[16:17], v[32:33]
	v_fma_f64 v[32:33], -v[14:15], v[16:17], 1.0
	v_fmac_f64_e32 v[16:17], v[16:17], v[32:33]
	v_mul_f64 v[32:33], v[30:31], v[16:17]
	v_fma_f64 v[14:15], -v[14:15], v[32:33], v[30:31]
	v_div_fmas_f64 v[14:15], v[14:15], v[16:17], v[32:33]
	v_div_fixup_f64 v[16:17], v[14:15], v[18:19], v[20:21]
	v_fmac_f64_e32 v[18:19], v[20:21], v[16:17]
	v_div_scale_f64 v[14:15], s[6:7], v[18:19], v[18:19], 1.0
	v_rcp_f64_e32 v[20:21], v[14:15]
	s_nop 0
	v_fma_f64 v[30:31], -v[14:15], v[20:21], 1.0
	v_fmac_f64_e32 v[20:21], v[20:21], v[30:31]
	v_fma_f64 v[30:31], -v[14:15], v[20:21], 1.0
	v_fmac_f64_e32 v[20:21], v[20:21], v[30:31]
	v_div_scale_f64 v[30:31], vcc, 1.0, v[18:19], 1.0
	v_mul_f64 v[32:33], v[30:31], v[20:21]
	v_fma_f64 v[14:15], -v[14:15], v[32:33], v[30:31]
	s_nop 1
	v_div_fmas_f64 v[14:15], v[14:15], v[20:21], v[32:33]
	v_div_fixup_f64 v[18:19], v[14:15], v[18:19], 1.0
	v_fma_f64 v[14:15], v[16:17], v[24:25], v[22:23]
	v_fma_f64 v[16:17], -v[16:17], v[22:23], v[24:25]
	v_mul_f64 v[14:15], v[14:15], v[18:19]
	v_mul_f64 v[16:17], v[16:17], v[18:19]
.LBB203_56:
	s_lshl_b32 s6, s10, 4
	s_add_i32 s7, s13, s6
	v_mov_b32_e32 v18, s7
	s_sub_i32 s12, s11, s12
	ds_read_b128 v[18:21], v18
	s_add_i32 s6, s12, s6
	v_mov_b32_e32 v22, s6
	ds_read_b128 v[22:25], v22
	ds_write_b128 v28, v[14:17]
	s_waitcnt lgkmcnt(2)
	v_mul_f64 v[28:29], v[8:9], v[20:21]
	v_fma_f64 v[28:29], v[6:7], v[18:19], -v[28:29]
	v_mul_f64 v[20:21], v[6:7], v[20:21]
	v_fmac_f64_e32 v[20:21], v[8:9], v[18:19]
	v_add_f64 v[18:19], v[10:11], -v[28:29]
	s_waitcnt lgkmcnt(1)
	v_mul_f64 v[10:11], v[16:17], v[24:25]
	s_add_i32 s10, s11, 0xffffffb0
	v_fma_f64 v[28:29], v[14:15], v[22:23], -v[10:11]
	v_mov_b32_e32 v10, s10
	v_add_f64 v[20:21], v[12:13], -v[20:21]
	ds_read_b128 v[10:13], v10
	v_mul_f64 v[24:25], v[14:15], v[24:25]
	v_fmac_f64_e32 v[24:25], v[16:17], v[22:23]
	v_add_f64 v[22:23], v[18:19], -v[28:29]
	v_add_f64 v[24:25], v[20:21], -v[24:25]
	s_waitcnt lgkmcnt(0)
	v_cmp_ngt_f64_e64 s[6:7], |v[10:11]|, |v[12:13]|
	s_and_b64 vcc, exec, s[6:7]
	s_cbranch_vccz .LBB203_58
; %bb.57:
	v_div_scale_f64 v[18:19], s[6:7], v[12:13], v[12:13], v[10:11]
	v_rcp_f64_e32 v[20:21], v[18:19]
	v_div_scale_f64 v[28:29], vcc, v[10:11], v[12:13], v[10:11]
	v_fma_f64 v[30:31], -v[18:19], v[20:21], 1.0
	v_fmac_f64_e32 v[20:21], v[20:21], v[30:31]
	v_fma_f64 v[30:31], -v[18:19], v[20:21], 1.0
	v_fmac_f64_e32 v[20:21], v[20:21], v[30:31]
	v_mul_f64 v[30:31], v[28:29], v[20:21]
	v_fma_f64 v[18:19], -v[18:19], v[30:31], v[28:29]
	v_div_fmas_f64 v[18:19], v[18:19], v[20:21], v[30:31]
	v_div_fixup_f64 v[20:21], v[18:19], v[12:13], v[10:11]
	v_fma_f64 v[18:19], v[10:11], v[20:21], v[12:13]
	v_div_scale_f64 v[28:29], s[6:7], v[18:19], v[18:19], 1.0
	v_rcp_f64_e32 v[30:31], v[28:29]
	s_mov_b64 s[6:7], 0
	v_fma_f64 v[32:33], -v[28:29], v[30:31], 1.0
	v_fmac_f64_e32 v[30:31], v[30:31], v[32:33]
	v_fma_f64 v[32:33], -v[28:29], v[30:31], 1.0
	v_fmac_f64_e32 v[30:31], v[30:31], v[32:33]
	v_div_scale_f64 v[32:33], vcc, 1.0, v[18:19], 1.0
	v_mul_f64 v[34:35], v[32:33], v[30:31]
	v_fma_f64 v[28:29], -v[28:29], v[34:35], v[32:33]
	s_nop 1
	v_div_fmas_f64 v[28:29], v[28:29], v[30:31], v[34:35]
	v_div_fixup_f64 v[28:29], v[28:29], v[18:19], 1.0
	v_fma_f64 v[18:19], v[20:21], v[22:23], v[24:25]
	v_fma_f64 v[20:21], v[20:21], v[24:25], -v[22:23]
	v_mul_f64 v[18:19], v[18:19], v[28:29]
	v_mul_f64 v[20:21], v[20:21], v[28:29]
	s_branch .LBB203_59
.LBB203_58:
	s_mov_b64 s[6:7], -1
                                        ; implicit-def: $vgpr20_vgpr21
.LBB203_59:
	s_andn2_b64 vcc, exec, s[6:7]
	s_cbranch_vccnz .LBB203_61
; %bb.60:
	v_div_scale_f64 v[18:19], s[6:7], v[10:11], v[10:11], v[12:13]
	v_rcp_f64_e32 v[20:21], v[18:19]
	v_div_scale_f64 v[28:29], vcc, v[12:13], v[10:11], v[12:13]
	v_fma_f64 v[30:31], -v[18:19], v[20:21], 1.0
	v_fmac_f64_e32 v[20:21], v[20:21], v[30:31]
	v_fma_f64 v[30:31], -v[18:19], v[20:21], 1.0
	v_fmac_f64_e32 v[20:21], v[20:21], v[30:31]
	v_mul_f64 v[30:31], v[28:29], v[20:21]
	v_fma_f64 v[18:19], -v[18:19], v[30:31], v[28:29]
	v_div_fmas_f64 v[18:19], v[18:19], v[20:21], v[30:31]
	v_div_fixup_f64 v[20:21], v[18:19], v[10:11], v[12:13]
	v_fmac_f64_e32 v[10:11], v[12:13], v[20:21]
	v_div_scale_f64 v[12:13], s[6:7], v[10:11], v[10:11], 1.0
	v_rcp_f64_e32 v[18:19], v[12:13]
	s_nop 0
	v_fma_f64 v[28:29], -v[12:13], v[18:19], 1.0
	v_fmac_f64_e32 v[18:19], v[18:19], v[28:29]
	v_fma_f64 v[28:29], -v[12:13], v[18:19], 1.0
	v_fmac_f64_e32 v[18:19], v[18:19], v[28:29]
	v_div_scale_f64 v[28:29], vcc, 1.0, v[10:11], 1.0
	v_mul_f64 v[30:31], v[28:29], v[18:19]
	v_fma_f64 v[12:13], -v[12:13], v[30:31], v[28:29]
	s_nop 1
	v_div_fmas_f64 v[12:13], v[12:13], v[18:19], v[30:31]
	v_div_fixup_f64 v[10:11], v[12:13], v[10:11], 1.0
	v_fma_f64 v[12:13], v[20:21], v[24:25], v[22:23]
	v_mul_f64 v[18:19], v[12:13], v[10:11]
	v_fma_f64 v[12:13], -v[20:21], v[22:23], v[24:25]
	v_mul_f64 v[20:21], v[12:13], v[10:11]
.LBB203_61:
	s_lshl_b32 s6, s25, 4
	s_add_i32 s6, s12, s6
	v_mov_b32_e32 v10, s6
	ds_read_b128 v[10:13], v10
	s_sub_i32 s7, s6, 64
	v_mov_b32_e32 v22, s7
	ds_read_b128 v[22:25], v22
	s_addk_i32 s6, 0xff80
	s_waitcnt lgkmcnt(1)
	v_mul_f64 v[28:29], v[8:9], v[12:13]
	v_fma_f64 v[28:29], v[6:7], v[10:11], -v[28:29]
	v_mul_f64 v[6:7], v[6:7], v[12:13]
	v_fmac_f64_e32 v[6:7], v[8:9], v[10:11]
	v_add_f64 v[4:5], v[4:5], -v[6:7]
	s_waitcnt lgkmcnt(0)
	v_mul_f64 v[6:7], v[16:17], v[24:25]
	v_add_f64 v[2:3], v[2:3], -v[28:29]
	v_fma_f64 v[6:7], v[14:15], v[22:23], -v[6:7]
	v_mul_f64 v[10:11], v[14:15], v[24:25]
	v_add_f64 v[12:13], v[2:3], -v[6:7]
	v_mov_b32_e32 v2, s6
	s_add_i32 s6, s10, 0xffffffb0
	v_fmac_f64_e32 v[10:11], v[16:17], v[22:23]
	ds_read_b128 v[6:9], v2
	v_mov_b32_e32 v2, s6
	v_add_f64 v[14:15], v[4:5], -v[10:11]
	ds_read_b128 v[2:5], v2
	ds_write_b128 v27, v[18:21]
	s_waitcnt lgkmcnt(2)
	v_mul_f64 v[10:11], v[20:21], v[8:9]
	v_mul_f64 v[8:9], v[18:19], v[8:9]
	v_fma_f64 v[10:11], v[18:19], v[6:7], -v[10:11]
	v_fmac_f64_e32 v[8:9], v[20:21], v[6:7]
	s_waitcnt lgkmcnt(1)
	v_cmp_ngt_f64_e64 s[6:7], |v[2:3]|, |v[4:5]|
	v_add_f64 v[10:11], v[12:13], -v[10:11]
	v_add_f64 v[12:13], v[14:15], -v[8:9]
	s_and_b64 vcc, exec, s[6:7]
	s_cbranch_vccz .LBB203_63
; %bb.62:
	v_div_scale_f64 v[6:7], s[6:7], v[4:5], v[4:5], v[2:3]
	v_rcp_f64_e32 v[8:9], v[6:7]
	v_div_scale_f64 v[14:15], vcc, v[2:3], v[4:5], v[2:3]
	v_fma_f64 v[16:17], -v[6:7], v[8:9], 1.0
	v_fmac_f64_e32 v[8:9], v[8:9], v[16:17]
	v_fma_f64 v[16:17], -v[6:7], v[8:9], 1.0
	v_fmac_f64_e32 v[8:9], v[8:9], v[16:17]
	v_mul_f64 v[16:17], v[14:15], v[8:9]
	v_fma_f64 v[6:7], -v[6:7], v[16:17], v[14:15]
	v_div_fmas_f64 v[6:7], v[6:7], v[8:9], v[16:17]
	v_div_fixup_f64 v[8:9], v[6:7], v[4:5], v[2:3]
	v_fma_f64 v[6:7], v[2:3], v[8:9], v[4:5]
	v_div_scale_f64 v[14:15], s[6:7], v[6:7], v[6:7], 1.0
	v_rcp_f64_e32 v[16:17], v[14:15]
	s_mov_b64 s[6:7], 0
	v_fma_f64 v[18:19], -v[14:15], v[16:17], 1.0
	v_fmac_f64_e32 v[16:17], v[16:17], v[18:19]
	v_fma_f64 v[18:19], -v[14:15], v[16:17], 1.0
	v_fmac_f64_e32 v[16:17], v[16:17], v[18:19]
	v_div_scale_f64 v[18:19], vcc, 1.0, v[6:7], 1.0
	v_mul_f64 v[20:21], v[18:19], v[16:17]
	v_fma_f64 v[14:15], -v[14:15], v[20:21], v[18:19]
	s_nop 1
	v_div_fmas_f64 v[14:15], v[14:15], v[16:17], v[20:21]
	v_div_fixup_f64 v[14:15], v[14:15], v[6:7], 1.0
	v_fma_f64 v[6:7], v[8:9], v[10:11], v[12:13]
	v_fma_f64 v[8:9], v[8:9], v[12:13], -v[10:11]
	v_mul_f64 v[6:7], v[6:7], v[14:15]
	v_mul_f64 v[8:9], v[8:9], v[14:15]
	s_branch .LBB203_64
.LBB203_63:
	s_mov_b64 s[6:7], -1
                                        ; implicit-def: $vgpr8_vgpr9
.LBB203_64:
	s_andn2_b64 vcc, exec, s[6:7]
	s_cbranch_vccnz .LBB203_66
; %bb.65:
	v_div_scale_f64 v[6:7], s[6:7], v[2:3], v[2:3], v[4:5]
	v_rcp_f64_e32 v[8:9], v[6:7]
	v_div_scale_f64 v[14:15], vcc, v[4:5], v[2:3], v[4:5]
	v_fma_f64 v[16:17], -v[6:7], v[8:9], 1.0
	v_fmac_f64_e32 v[8:9], v[8:9], v[16:17]
	v_fma_f64 v[16:17], -v[6:7], v[8:9], 1.0
	v_fmac_f64_e32 v[8:9], v[8:9], v[16:17]
	v_mul_f64 v[16:17], v[14:15], v[8:9]
	v_fma_f64 v[6:7], -v[6:7], v[16:17], v[14:15]
	v_div_fmas_f64 v[6:7], v[6:7], v[8:9], v[16:17]
	v_div_fixup_f64 v[8:9], v[6:7], v[2:3], v[4:5]
	v_fmac_f64_e32 v[2:3], v[4:5], v[8:9]
	v_div_scale_f64 v[4:5], s[6:7], v[2:3], v[2:3], 1.0
	v_rcp_f64_e32 v[6:7], v[4:5]
	s_nop 0
	v_fma_f64 v[14:15], -v[4:5], v[6:7], 1.0
	v_fmac_f64_e32 v[6:7], v[6:7], v[14:15]
	v_fma_f64 v[14:15], -v[4:5], v[6:7], 1.0
	v_fmac_f64_e32 v[6:7], v[6:7], v[14:15]
	v_div_scale_f64 v[14:15], vcc, 1.0, v[2:3], 1.0
	v_mul_f64 v[16:17], v[14:15], v[6:7]
	v_fma_f64 v[4:5], -v[4:5], v[16:17], v[14:15]
	s_nop 1
	v_div_fmas_f64 v[4:5], v[4:5], v[6:7], v[16:17]
	v_div_fixup_f64 v[2:3], v[4:5], v[2:3], 1.0
	v_fma_f64 v[4:5], v[8:9], v[12:13], v[10:11]
	v_mul_f64 v[6:7], v[4:5], v[2:3]
	v_fma_f64 v[4:5], -v[8:9], v[10:11], v[12:13]
	v_mul_f64 v[8:9], v[4:5], v[2:3]
.LBB203_66:
	ds_write_b128 v26, v[6:9]
	s_add_i32 s10, s25, -5
.LBB203_67:
	s_cmp_lt_i32 s10, 0
	s_cbranch_scc1 .LBB203_76
; %bb.68:
	s_lshl_b32 s6, s25, 6
	s_lshl_b32 s7, s10, 4
	s_add_i32 s7, s6, s7
	v_lshl_or_b32 v2, v0, 4, s6
	s_sub_i32 s11, s7, 64
	v_add_u32_e32 v14, 0xc0, v2
	s_branch .LBB203_70
.LBB203_69:                             ;   in Loop: Header=BB203_70 Depth=1
	v_sub_co_u32_e64 v2, s[6:7], s10, 1
	s_nop 0
	v_readfirstlane_b32 s10, v2
	s_add_i32 s11, s11, -16
	s_and_b64 vcc, exec, s[6:7]
	ds_write_b128 v15, v[10:13]
	s_cbranch_vccnz .LBB203_76
.LBB203_70:                             ; =>This Loop Header: Depth=1
                                        ;     Child Loop BB203_71 Depth 2
	s_lshl_b32 s6, s10, 6
	v_add_u32_e32 v15, s6, v1
	ds_read_b128 v[2:5], v15
	s_cmp_le_i32 s9, s10
	v_mov_b32_e32 v6, v14
	s_mov_b32 s7, s11
	s_mov_b32 s12, s9
	s_cbranch_scc1 .LBB203_72
.LBB203_71:                             ;   Parent Loop BB203_70 Depth=1
                                        ; =>  This Inner Loop Header: Depth=2
	v_mov_b32_e32 v7, s7
	ds_read_b128 v[8:11], v6
	ds_read_b128 v[16:19], v7
	s_add_i32 s12, s12, -1
	s_sub_i32 s7, s7, 64
	v_subrev_u32_e32 v6, 64, v6
	s_cmp_le_u32 s12, s10
	s_waitcnt lgkmcnt(0)
	v_mul_f64 v[12:13], v[18:19], v[10:11]
	v_mul_f64 v[10:11], v[16:17], v[10:11]
	v_fma_f64 v[12:13], v[16:17], v[8:9], -v[12:13]
	v_fmac_f64_e32 v[10:11], v[18:19], v[8:9]
	v_add_f64 v[2:3], v[2:3], -v[12:13]
	v_add_f64 v[4:5], v[4:5], -v[10:11]
	s_cbranch_scc0 .LBB203_71
.LBB203_72:                             ;   in Loop: Header=BB203_70 Depth=1
	s_lshl_b32 s7, s10, 4
	s_add_i32 s6, s7, s6
	v_mov_b32_e32 v6, s6
	ds_read_b128 v[6:9], v6
	s_mov_b64 s[6:7], -1
                                        ; implicit-def: $vgpr10_vgpr11
	s_waitcnt lgkmcnt(0)
	v_cmp_ngt_f64_e64 s[12:13], |v[6:7]|, |v[8:9]|
	s_and_b64 vcc, exec, s[12:13]
	s_cbranch_vccz .LBB203_74
; %bb.73:                               ;   in Loop: Header=BB203_70 Depth=1
	v_div_scale_f64 v[10:11], s[6:7], v[8:9], v[8:9], v[6:7]
	v_rcp_f64_e32 v[12:13], v[10:11]
	v_div_scale_f64 v[16:17], vcc, v[6:7], v[8:9], v[6:7]
	v_fma_f64 v[18:19], -v[10:11], v[12:13], 1.0
	v_fmac_f64_e32 v[12:13], v[12:13], v[18:19]
	v_fma_f64 v[18:19], -v[10:11], v[12:13], 1.0
	v_fmac_f64_e32 v[12:13], v[12:13], v[18:19]
	v_mul_f64 v[18:19], v[16:17], v[12:13]
	v_fma_f64 v[10:11], -v[10:11], v[18:19], v[16:17]
	v_div_fmas_f64 v[10:11], v[10:11], v[12:13], v[18:19]
	v_div_fixup_f64 v[12:13], v[10:11], v[8:9], v[6:7]
	v_fma_f64 v[10:11], v[6:7], v[12:13], v[8:9]
	v_div_scale_f64 v[16:17], s[6:7], v[10:11], v[10:11], 1.0
	v_rcp_f64_e32 v[18:19], v[16:17]
	s_mov_b64 s[6:7], 0
	v_fma_f64 v[20:21], -v[16:17], v[18:19], 1.0
	v_fmac_f64_e32 v[18:19], v[18:19], v[20:21]
	v_fma_f64 v[20:21], -v[16:17], v[18:19], 1.0
	v_fmac_f64_e32 v[18:19], v[18:19], v[20:21]
	v_div_scale_f64 v[20:21], vcc, 1.0, v[10:11], 1.0
	v_mul_f64 v[22:23], v[20:21], v[18:19]
	v_fma_f64 v[16:17], -v[16:17], v[22:23], v[20:21]
	s_nop 1
	v_div_fmas_f64 v[16:17], v[16:17], v[18:19], v[22:23]
	v_div_fixup_f64 v[16:17], v[16:17], v[10:11], 1.0
	v_fma_f64 v[10:11], v[2:3], v[12:13], v[4:5]
	v_fma_f64 v[12:13], v[4:5], v[12:13], -v[2:3]
	v_mul_f64 v[10:11], v[10:11], v[16:17]
	v_mul_f64 v[12:13], v[12:13], v[16:17]
.LBB203_74:                             ;   in Loop: Header=BB203_70 Depth=1
	s_andn2_b64 vcc, exec, s[6:7]
	s_cbranch_vccnz .LBB203_69
; %bb.75:                               ;   in Loop: Header=BB203_70 Depth=1
	v_div_scale_f64 v[10:11], s[6:7], v[6:7], v[6:7], v[8:9]
	v_rcp_f64_e32 v[12:13], v[10:11]
	v_div_scale_f64 v[16:17], vcc, v[8:9], v[6:7], v[8:9]
	v_fma_f64 v[18:19], -v[10:11], v[12:13], 1.0
	v_fmac_f64_e32 v[12:13], v[12:13], v[18:19]
	v_fma_f64 v[18:19], -v[10:11], v[12:13], 1.0
	v_fmac_f64_e32 v[12:13], v[12:13], v[18:19]
	v_mul_f64 v[18:19], v[16:17], v[12:13]
	v_fma_f64 v[10:11], -v[10:11], v[18:19], v[16:17]
	v_div_fmas_f64 v[10:11], v[10:11], v[12:13], v[18:19]
	v_div_fixup_f64 v[12:13], v[10:11], v[6:7], v[8:9]
	v_fmac_f64_e32 v[6:7], v[8:9], v[12:13]
	v_div_scale_f64 v[8:9], s[6:7], v[6:7], v[6:7], 1.0
	v_rcp_f64_e32 v[10:11], v[8:9]
	s_nop 0
	v_fma_f64 v[16:17], -v[8:9], v[10:11], 1.0
	v_fmac_f64_e32 v[10:11], v[10:11], v[16:17]
	v_fma_f64 v[16:17], -v[8:9], v[10:11], 1.0
	v_fmac_f64_e32 v[10:11], v[10:11], v[16:17]
	v_div_scale_f64 v[16:17], vcc, 1.0, v[6:7], 1.0
	v_mul_f64 v[18:19], v[16:17], v[10:11]
	v_fma_f64 v[8:9], -v[8:9], v[18:19], v[16:17]
	s_nop 1
	v_div_fmas_f64 v[8:9], v[8:9], v[10:11], v[18:19]
	v_div_fixup_f64 v[6:7], v[8:9], v[6:7], 1.0
	v_fma_f64 v[8:9], v[4:5], v[12:13], v[2:3]
	v_fma_f64 v[2:3], -v[2:3], v[12:13], v[4:5]
	v_mul_f64 v[10:11], v[8:9], v[6:7]
	v_mul_f64 v[12:13], v[2:3], v[6:7]
	s_branch .LBB203_69
.LBB203_76:
	s_mov_b64 s[10:11], 0
.LBB203_77:
	s_andn2_b64 vcc, exec, s[10:11]
	s_cbranch_vccnz .LBB203_105
; %bb.78:
	s_and_b64 vcc, exec, s[4:5]
	s_mov_b32 s6, s9
	s_cbranch_vccz .LBB203_96
; %bb.79:
	s_lshl_b32 s4, s9, 6
	v_add_u32_e32 v29, s4, v1
	s_add_i32 s11, s25, -2
	s_mul_i32 s4, s9, 0x50
	v_lshl_add_u32 v28, s11, 6, v1
	s_add_i32 s7, s25, -3
	v_mov_b32_e32 v2, s4
	v_lshl_add_u32 v27, s7, 6, v1
	ds_read_b128 v[14:17], v28
	ds_read_b128 v[10:13], v27
	;; [unrolled: 1-line block ×3, first 2 shown]
	s_add_i32 s6, s25, -4
	v_lshl_add_u32 v26, s6, 6, v1
	ds_read_b128 v[18:21], v29
	ds_read_b128 v[2:5], v26
	s_waitcnt lgkmcnt(2)
	v_cmp_ngt_f64_e64 s[4:5], |v[22:23]|, |v[24:25]|
	s_and_b64 vcc, exec, s[4:5]
	s_cbranch_vccz .LBB203_81
; %bb.80:
	v_div_scale_f64 v[6:7], s[4:5], v[24:25], v[24:25], v[22:23]
	v_rcp_f64_e32 v[8:9], v[6:7]
	v_div_scale_f64 v[30:31], vcc, v[22:23], v[24:25], v[22:23]
	v_fma_f64 v[32:33], -v[6:7], v[8:9], 1.0
	v_fmac_f64_e32 v[8:9], v[8:9], v[32:33]
	v_fma_f64 v[32:33], -v[6:7], v[8:9], 1.0
	v_fmac_f64_e32 v[8:9], v[8:9], v[32:33]
	v_mul_f64 v[32:33], v[30:31], v[8:9]
	v_fma_f64 v[6:7], -v[6:7], v[32:33], v[30:31]
	v_div_fmas_f64 v[6:7], v[6:7], v[8:9], v[32:33]
	v_div_fixup_f64 v[8:9], v[6:7], v[24:25], v[22:23]
	v_fma_f64 v[6:7], v[22:23], v[8:9], v[24:25]
	v_div_scale_f64 v[30:31], s[4:5], v[6:7], v[6:7], 1.0
	v_rcp_f64_e32 v[32:33], v[30:31]
	s_nop 0
	v_fma_f64 v[34:35], -v[30:31], v[32:33], 1.0
	v_fmac_f64_e32 v[32:33], v[32:33], v[34:35]
	v_fma_f64 v[34:35], -v[30:31], v[32:33], 1.0
	v_fmac_f64_e32 v[32:33], v[32:33], v[34:35]
	v_div_scale_f64 v[34:35], vcc, 1.0, v[6:7], 1.0
	v_mul_f64 v[36:37], v[34:35], v[32:33]
	v_fma_f64 v[30:31], -v[30:31], v[36:37], v[34:35]
	s_nop 1
	v_div_fmas_f64 v[30:31], v[30:31], v[32:33], v[36:37]
	v_div_fixup_f64 v[30:31], v[30:31], v[6:7], 1.0
	s_waitcnt lgkmcnt(1)
	v_fma_f64 v[6:7], v[18:19], v[8:9], v[20:21]
	v_fma_f64 v[8:9], v[20:21], v[8:9], -v[18:19]
	v_mul_f64 v[6:7], v[6:7], v[30:31]
	v_mul_f64 v[8:9], v[8:9], v[30:31]
	s_lshl_b32 s4, s11, 2
	s_cbranch_execz .LBB203_82
	s_branch .LBB203_83
.LBB203_81:
                                        ; implicit-def: $vgpr8_vgpr9
	s_lshl_b32 s4, s11, 2
.LBB203_82:
	v_div_scale_f64 v[6:7], s[12:13], v[22:23], v[22:23], v[24:25]
	v_rcp_f64_e32 v[8:9], v[6:7]
	v_div_scale_f64 v[30:31], vcc, v[24:25], v[22:23], v[24:25]
	v_fma_f64 v[32:33], -v[6:7], v[8:9], 1.0
	v_fmac_f64_e32 v[8:9], v[8:9], v[32:33]
	v_fma_f64 v[32:33], -v[6:7], v[8:9], 1.0
	v_fmac_f64_e32 v[8:9], v[8:9], v[32:33]
	v_mul_f64 v[32:33], v[30:31], v[8:9]
	v_fma_f64 v[6:7], -v[6:7], v[32:33], v[30:31]
	v_div_fmas_f64 v[6:7], v[6:7], v[8:9], v[32:33]
	v_div_fixup_f64 v[8:9], v[6:7], v[22:23], v[24:25]
	v_fmac_f64_e32 v[22:23], v[24:25], v[8:9]
	v_div_scale_f64 v[6:7], s[12:13], v[22:23], v[22:23], 1.0
	v_rcp_f64_e32 v[24:25], v[6:7]
	s_nop 0
	v_fma_f64 v[30:31], -v[6:7], v[24:25], 1.0
	v_fmac_f64_e32 v[24:25], v[24:25], v[30:31]
	v_fma_f64 v[30:31], -v[6:7], v[24:25], 1.0
	v_fmac_f64_e32 v[24:25], v[24:25], v[30:31]
	v_div_scale_f64 v[30:31], vcc, 1.0, v[22:23], 1.0
	v_mul_f64 v[32:33], v[30:31], v[24:25]
	v_fma_f64 v[6:7], -v[6:7], v[32:33], v[30:31]
	s_nop 1
	v_div_fmas_f64 v[6:7], v[6:7], v[24:25], v[32:33]
	v_div_fixup_f64 v[22:23], v[6:7], v[22:23], 1.0
	s_waitcnt lgkmcnt(1)
	v_fma_f64 v[6:7], v[20:21], v[8:9], v[18:19]
	v_fma_f64 v[8:9], -v[18:19], v[8:9], v[20:21]
	v_mul_f64 v[6:7], v[6:7], v[22:23]
	v_mul_f64 v[8:9], v[8:9], v[22:23]
.LBB203_83:
	s_lshl_b32 s4, s4, 4
	s_lshl_b32 s10, s9, 4
	s_add_i32 s5, s4, s10
	s_lshl_b32 s11, s11, 4
	s_waitcnt lgkmcnt(1)
	v_mov_b32_e32 v18, s5
	s_add_i32 s4, s4, s11
	ds_read_b128 v[22:25], v18
	v_mov_b32_e32 v18, s4
	ds_read_b128 v[18:21], v18
	ds_write_b128 v29, v[6:9]
	s_waitcnt lgkmcnt(2)
	v_mul_f64 v[30:31], v[8:9], v[24:25]
	v_mul_f64 v[24:25], v[6:7], v[24:25]
	v_fma_f64 v[30:31], v[6:7], v[22:23], -v[30:31]
	v_fmac_f64_e32 v[24:25], v[8:9], v[22:23]
	s_waitcnt lgkmcnt(1)
	v_cmp_ngt_f64_e64 s[4:5], |v[18:19]|, |v[20:21]|
	v_add_f64 v[22:23], v[14:15], -v[30:31]
	v_add_f64 v[24:25], v[16:17], -v[24:25]
	s_and_b64 vcc, exec, s[4:5]
	s_cbranch_vccz .LBB203_85
; %bb.84:
	v_div_scale_f64 v[14:15], s[4:5], v[20:21], v[20:21], v[18:19]
	v_rcp_f64_e32 v[16:17], v[14:15]
	v_div_scale_f64 v[30:31], vcc, v[18:19], v[20:21], v[18:19]
	v_fma_f64 v[32:33], -v[14:15], v[16:17], 1.0
	v_fmac_f64_e32 v[16:17], v[16:17], v[32:33]
	v_fma_f64 v[32:33], -v[14:15], v[16:17], 1.0
	v_fmac_f64_e32 v[16:17], v[16:17], v[32:33]
	v_mul_f64 v[32:33], v[30:31], v[16:17]
	v_fma_f64 v[14:15], -v[14:15], v[32:33], v[30:31]
	v_div_fmas_f64 v[14:15], v[14:15], v[16:17], v[32:33]
	v_div_fixup_f64 v[16:17], v[14:15], v[20:21], v[18:19]
	v_fma_f64 v[14:15], v[18:19], v[16:17], v[20:21]
	v_div_scale_f64 v[30:31], s[4:5], v[14:15], v[14:15], 1.0
	v_rcp_f64_e32 v[32:33], v[30:31]
	s_nop 0
	v_fma_f64 v[34:35], -v[30:31], v[32:33], 1.0
	v_fmac_f64_e32 v[32:33], v[32:33], v[34:35]
	v_fma_f64 v[34:35], -v[30:31], v[32:33], 1.0
	v_fmac_f64_e32 v[32:33], v[32:33], v[34:35]
	v_div_scale_f64 v[34:35], vcc, 1.0, v[14:15], 1.0
	v_mul_f64 v[36:37], v[34:35], v[32:33]
	v_fma_f64 v[30:31], -v[30:31], v[36:37], v[34:35]
	s_nop 1
	v_div_fmas_f64 v[30:31], v[30:31], v[32:33], v[36:37]
	v_div_fixup_f64 v[30:31], v[30:31], v[14:15], 1.0
	v_fma_f64 v[14:15], v[16:17], v[22:23], v[24:25]
	v_fma_f64 v[16:17], v[16:17], v[24:25], -v[22:23]
	v_mul_f64 v[14:15], v[14:15], v[30:31]
	v_mul_f64 v[16:17], v[16:17], v[30:31]
	s_lshl_b32 s4, s7, 2
	s_cbranch_execz .LBB203_86
	s_branch .LBB203_87
.LBB203_85:
                                        ; implicit-def: $vgpr16_vgpr17
	s_lshl_b32 s4, s7, 2
.LBB203_86:
	v_div_scale_f64 v[14:15], s[12:13], v[18:19], v[18:19], v[20:21]
	v_rcp_f64_e32 v[16:17], v[14:15]
	v_div_scale_f64 v[30:31], vcc, v[20:21], v[18:19], v[20:21]
	v_fma_f64 v[32:33], -v[14:15], v[16:17], 1.0
	v_fmac_f64_e32 v[16:17], v[16:17], v[32:33]
	v_fma_f64 v[32:33], -v[14:15], v[16:17], 1.0
	v_fmac_f64_e32 v[16:17], v[16:17], v[32:33]
	v_mul_f64 v[32:33], v[30:31], v[16:17]
	v_fma_f64 v[14:15], -v[14:15], v[32:33], v[30:31]
	v_div_fmas_f64 v[14:15], v[14:15], v[16:17], v[32:33]
	v_div_fixup_f64 v[16:17], v[14:15], v[18:19], v[20:21]
	v_fmac_f64_e32 v[18:19], v[20:21], v[16:17]
	v_div_scale_f64 v[14:15], s[12:13], v[18:19], v[18:19], 1.0
	v_rcp_f64_e32 v[20:21], v[14:15]
	s_nop 0
	v_fma_f64 v[30:31], -v[14:15], v[20:21], 1.0
	v_fmac_f64_e32 v[20:21], v[20:21], v[30:31]
	v_fma_f64 v[30:31], -v[14:15], v[20:21], 1.0
	v_fmac_f64_e32 v[20:21], v[20:21], v[30:31]
	v_div_scale_f64 v[30:31], vcc, 1.0, v[18:19], 1.0
	v_mul_f64 v[32:33], v[30:31], v[20:21]
	v_fma_f64 v[14:15], -v[14:15], v[32:33], v[30:31]
	s_nop 1
	v_div_fmas_f64 v[14:15], v[14:15], v[20:21], v[32:33]
	v_div_fixup_f64 v[18:19], v[14:15], v[18:19], 1.0
	v_fma_f64 v[14:15], v[16:17], v[24:25], v[22:23]
	v_fma_f64 v[16:17], -v[16:17], v[22:23], v[24:25]
	v_mul_f64 v[14:15], v[14:15], v[18:19]
	v_mul_f64 v[16:17], v[16:17], v[18:19]
.LBB203_87:
	s_lshl_b32 s4, s4, 4
	s_add_i32 s5, s4, s10
	v_mov_b32_e32 v18, s5
	ds_read_b128 v[18:21], v18
	s_add_i32 s5, s4, s11
	v_mov_b32_e32 v22, s5
	ds_read_b128 v[22:25], v22
	ds_write_b128 v28, v[14:17]
	s_waitcnt lgkmcnt(2)
	v_mul_f64 v[28:29], v[8:9], v[20:21]
	v_fma_f64 v[28:29], v[6:7], v[18:19], -v[28:29]
	v_mul_f64 v[20:21], v[6:7], v[20:21]
	s_lshl_b32 s7, s7, 4
	v_fmac_f64_e32 v[20:21], v[8:9], v[18:19]
	v_add_f64 v[18:19], v[10:11], -v[28:29]
	s_waitcnt lgkmcnt(1)
	v_mul_f64 v[10:11], v[16:17], v[24:25]
	s_add_i32 s4, s4, s7
	v_fma_f64 v[28:29], v[14:15], v[22:23], -v[10:11]
	v_mov_b32_e32 v10, s4
	v_add_f64 v[20:21], v[12:13], -v[20:21]
	ds_read_b128 v[10:13], v10
	v_mul_f64 v[24:25], v[14:15], v[24:25]
	v_fmac_f64_e32 v[24:25], v[16:17], v[22:23]
	v_add_f64 v[22:23], v[18:19], -v[28:29]
	v_add_f64 v[24:25], v[20:21], -v[24:25]
	s_waitcnt lgkmcnt(0)
	v_cmp_ngt_f64_e64 s[4:5], |v[10:11]|, |v[12:13]|
	s_and_b64 vcc, exec, s[4:5]
	s_cbranch_vccz .LBB203_89
; %bb.88:
	v_div_scale_f64 v[18:19], s[4:5], v[12:13], v[12:13], v[10:11]
	v_rcp_f64_e32 v[20:21], v[18:19]
	v_div_scale_f64 v[28:29], vcc, v[10:11], v[12:13], v[10:11]
	v_fma_f64 v[30:31], -v[18:19], v[20:21], 1.0
	v_fmac_f64_e32 v[20:21], v[20:21], v[30:31]
	v_fma_f64 v[30:31], -v[18:19], v[20:21], 1.0
	v_fmac_f64_e32 v[20:21], v[20:21], v[30:31]
	v_mul_f64 v[30:31], v[28:29], v[20:21]
	v_fma_f64 v[18:19], -v[18:19], v[30:31], v[28:29]
	v_div_fmas_f64 v[18:19], v[18:19], v[20:21], v[30:31]
	v_div_fixup_f64 v[20:21], v[18:19], v[12:13], v[10:11]
	v_fma_f64 v[18:19], v[10:11], v[20:21], v[12:13]
	v_div_scale_f64 v[28:29], s[4:5], v[18:19], v[18:19], 1.0
	v_rcp_f64_e32 v[30:31], v[28:29]
	s_nop 0
	v_fma_f64 v[32:33], -v[28:29], v[30:31], 1.0
	v_fmac_f64_e32 v[30:31], v[30:31], v[32:33]
	v_fma_f64 v[32:33], -v[28:29], v[30:31], 1.0
	v_fmac_f64_e32 v[30:31], v[30:31], v[32:33]
	v_div_scale_f64 v[32:33], vcc, 1.0, v[18:19], 1.0
	v_mul_f64 v[34:35], v[32:33], v[30:31]
	v_fma_f64 v[28:29], -v[28:29], v[34:35], v[32:33]
	s_nop 1
	v_div_fmas_f64 v[28:29], v[28:29], v[30:31], v[34:35]
	v_div_fixup_f64 v[28:29], v[28:29], v[18:19], 1.0
	v_fma_f64 v[18:19], v[20:21], v[22:23], v[24:25]
	v_fma_f64 v[20:21], v[20:21], v[24:25], -v[22:23]
	v_mul_f64 v[18:19], v[18:19], v[28:29]
	v_mul_f64 v[20:21], v[20:21], v[28:29]
	s_lshl_b32 s4, s6, 2
	s_cbranch_execz .LBB203_90
	s_branch .LBB203_91
.LBB203_89:
                                        ; implicit-def: $vgpr20_vgpr21
	s_lshl_b32 s4, s6, 2
.LBB203_90:
	v_div_scale_f64 v[18:19], s[12:13], v[10:11], v[10:11], v[12:13]
	v_rcp_f64_e32 v[20:21], v[18:19]
	v_div_scale_f64 v[28:29], vcc, v[12:13], v[10:11], v[12:13]
	v_fma_f64 v[30:31], -v[18:19], v[20:21], 1.0
	v_fmac_f64_e32 v[20:21], v[20:21], v[30:31]
	v_fma_f64 v[30:31], -v[18:19], v[20:21], 1.0
	v_fmac_f64_e32 v[20:21], v[20:21], v[30:31]
	v_mul_f64 v[30:31], v[28:29], v[20:21]
	v_fma_f64 v[18:19], -v[18:19], v[30:31], v[28:29]
	v_div_fmas_f64 v[18:19], v[18:19], v[20:21], v[30:31]
	v_div_fixup_f64 v[20:21], v[18:19], v[10:11], v[12:13]
	v_fmac_f64_e32 v[10:11], v[12:13], v[20:21]
	v_div_scale_f64 v[12:13], s[12:13], v[10:11], v[10:11], 1.0
	v_rcp_f64_e32 v[18:19], v[12:13]
	s_nop 0
	v_fma_f64 v[28:29], -v[12:13], v[18:19], 1.0
	v_fmac_f64_e32 v[18:19], v[18:19], v[28:29]
	v_fma_f64 v[28:29], -v[12:13], v[18:19], 1.0
	v_fmac_f64_e32 v[18:19], v[18:19], v[28:29]
	v_div_scale_f64 v[28:29], vcc, 1.0, v[10:11], 1.0
	v_mul_f64 v[30:31], v[28:29], v[18:19]
	v_fma_f64 v[12:13], -v[12:13], v[30:31], v[28:29]
	s_nop 1
	v_div_fmas_f64 v[12:13], v[12:13], v[18:19], v[30:31]
	v_div_fixup_f64 v[10:11], v[12:13], v[10:11], 1.0
	v_fma_f64 v[12:13], v[20:21], v[24:25], v[22:23]
	v_mul_f64 v[18:19], v[12:13], v[10:11]
	v_fma_f64 v[12:13], -v[20:21], v[22:23], v[24:25]
	v_mul_f64 v[20:21], v[12:13], v[10:11]
.LBB203_91:
	s_lshl_b32 s4, s4, 4
	s_add_i32 s5, s4, s10
	v_mov_b32_e32 v10, s5
	ds_read_b128 v[10:13], v10
	s_add_i32 s5, s4, s11
	v_mov_b32_e32 v22, s5
	ds_read_b128 v[22:25], v22
	s_add_i32 s5, s4, s7
	s_waitcnt lgkmcnt(1)
	v_mul_f64 v[28:29], v[8:9], v[12:13]
	v_fma_f64 v[28:29], v[6:7], v[10:11], -v[28:29]
	v_mul_f64 v[6:7], v[6:7], v[12:13]
	v_fmac_f64_e32 v[6:7], v[8:9], v[10:11]
	v_add_f64 v[4:5], v[4:5], -v[6:7]
	s_waitcnt lgkmcnt(0)
	v_mul_f64 v[6:7], v[16:17], v[24:25]
	v_add_f64 v[2:3], v[2:3], -v[28:29]
	v_fma_f64 v[6:7], v[14:15], v[22:23], -v[6:7]
	v_mul_f64 v[8:9], v[14:15], v[24:25]
	v_add_f64 v[10:11], v[2:3], -v[6:7]
	v_mov_b32_e32 v2, s5
	s_lshl_b32 s5, s6, 4
	v_fmac_f64_e32 v[8:9], v[16:17], v[22:23]
	s_add_i32 s4, s4, s5
	v_add_f64 v[12:13], v[4:5], -v[8:9]
	ds_read_b128 v[6:9], v2
	v_mov_b32_e32 v2, s4
	ds_read_b128 v[2:5], v2
	ds_write_b128 v27, v[18:21]
	s_waitcnt lgkmcnt(2)
	v_mul_f64 v[14:15], v[20:21], v[8:9]
	v_mul_f64 v[8:9], v[18:19], v[8:9]
	v_fma_f64 v[14:15], v[18:19], v[6:7], -v[14:15]
	v_fmac_f64_e32 v[8:9], v[20:21], v[6:7]
	s_waitcnt lgkmcnt(1)
	v_cmp_ngt_f64_e64 s[4:5], |v[2:3]|, |v[4:5]|
	v_add_f64 v[10:11], v[10:11], -v[14:15]
	v_add_f64 v[12:13], v[12:13], -v[8:9]
	s_and_b64 vcc, exec, s[4:5]
	s_cbranch_vccz .LBB203_93
; %bb.92:
	v_div_scale_f64 v[6:7], s[4:5], v[4:5], v[4:5], v[2:3]
	v_rcp_f64_e32 v[8:9], v[6:7]
	v_div_scale_f64 v[14:15], vcc, v[2:3], v[4:5], v[2:3]
	v_fma_f64 v[16:17], -v[6:7], v[8:9], 1.0
	v_fmac_f64_e32 v[8:9], v[8:9], v[16:17]
	v_fma_f64 v[16:17], -v[6:7], v[8:9], 1.0
	v_fmac_f64_e32 v[8:9], v[8:9], v[16:17]
	v_mul_f64 v[16:17], v[14:15], v[8:9]
	v_fma_f64 v[6:7], -v[6:7], v[16:17], v[14:15]
	v_div_fmas_f64 v[6:7], v[6:7], v[8:9], v[16:17]
	v_div_fixup_f64 v[8:9], v[6:7], v[4:5], v[2:3]
	v_fma_f64 v[6:7], v[2:3], v[8:9], v[4:5]
	v_div_scale_f64 v[14:15], s[4:5], v[6:7], v[6:7], 1.0
	v_rcp_f64_e32 v[16:17], v[14:15]
	s_nop 0
	v_fma_f64 v[18:19], -v[14:15], v[16:17], 1.0
	v_fmac_f64_e32 v[16:17], v[16:17], v[18:19]
	v_fma_f64 v[18:19], -v[14:15], v[16:17], 1.0
	v_fmac_f64_e32 v[16:17], v[16:17], v[18:19]
	v_div_scale_f64 v[18:19], vcc, 1.0, v[6:7], 1.0
	v_mul_f64 v[20:21], v[18:19], v[16:17]
	v_fma_f64 v[14:15], -v[14:15], v[20:21], v[18:19]
	s_nop 1
	v_div_fmas_f64 v[14:15], v[14:15], v[16:17], v[20:21]
	v_div_fixup_f64 v[14:15], v[14:15], v[6:7], 1.0
	v_fma_f64 v[6:7], v[8:9], v[10:11], v[12:13]
	v_fma_f64 v[8:9], v[8:9], v[12:13], -v[10:11]
	v_mul_f64 v[6:7], v[6:7], v[14:15]
	v_mul_f64 v[8:9], v[8:9], v[14:15]
	s_cbranch_execz .LBB203_94
	s_branch .LBB203_95
.LBB203_93:
                                        ; implicit-def: $vgpr8_vgpr9
.LBB203_94:
	v_div_scale_f64 v[6:7], s[4:5], v[2:3], v[2:3], v[4:5]
	v_rcp_f64_e32 v[8:9], v[6:7]
	v_div_scale_f64 v[14:15], vcc, v[4:5], v[2:3], v[4:5]
	v_fma_f64 v[16:17], -v[6:7], v[8:9], 1.0
	v_fmac_f64_e32 v[8:9], v[8:9], v[16:17]
	v_fma_f64 v[16:17], -v[6:7], v[8:9], 1.0
	v_fmac_f64_e32 v[8:9], v[8:9], v[16:17]
	v_mul_f64 v[16:17], v[14:15], v[8:9]
	v_fma_f64 v[6:7], -v[6:7], v[16:17], v[14:15]
	v_div_fmas_f64 v[6:7], v[6:7], v[8:9], v[16:17]
	v_div_fixup_f64 v[8:9], v[6:7], v[2:3], v[4:5]
	v_fmac_f64_e32 v[2:3], v[4:5], v[8:9]
	v_div_scale_f64 v[4:5], s[4:5], v[2:3], v[2:3], 1.0
	v_rcp_f64_e32 v[6:7], v[4:5]
	s_nop 0
	v_fma_f64 v[14:15], -v[4:5], v[6:7], 1.0
	v_fmac_f64_e32 v[6:7], v[6:7], v[14:15]
	v_fma_f64 v[14:15], -v[4:5], v[6:7], 1.0
	v_fmac_f64_e32 v[6:7], v[6:7], v[14:15]
	v_div_scale_f64 v[14:15], vcc, 1.0, v[2:3], 1.0
	v_mul_f64 v[16:17], v[14:15], v[6:7]
	v_fma_f64 v[4:5], -v[4:5], v[16:17], v[14:15]
	s_nop 1
	v_div_fmas_f64 v[4:5], v[4:5], v[6:7], v[16:17]
	v_div_fixup_f64 v[2:3], v[4:5], v[2:3], 1.0
	v_fma_f64 v[4:5], v[8:9], v[12:13], v[10:11]
	v_mul_f64 v[6:7], v[4:5], v[2:3]
	v_fma_f64 v[4:5], -v[8:9], v[10:11], v[12:13]
	v_mul_f64 v[8:9], v[4:5], v[2:3]
.LBB203_95:
	s_add_i32 s6, s25, -5
	ds_write_b128 v26, v[6:9]
.LBB203_96:
	s_cmp_lt_i32 s6, 0
	s_cbranch_scc1 .LBB203_105
; %bb.97:
	v_lshlrev_b32_e32 v2, 4, v0
	s_lshl_b32 s4, s6, 6
	s_lshl_b32 s5, s25, 4
	v_lshl_or_b32 v2, s25, 6, v2
	s_add_i32 s4, s4, s5
	v_add_u32_e32 v14, 0xc0, v2
	s_add_i32 s7, s4, -16
	s_branch .LBB203_99
.LBB203_98:                             ;   in Loop: Header=BB203_99 Depth=1
	v_sub_co_u32_e64 v2, s[4:5], s6, 1
	s_nop 0
	v_readfirstlane_b32 s6, v2
	s_sub_i32 s7, s7, 64
	s_and_b64 vcc, exec, s[4:5]
	ds_write_b128 v15, v[10:13]
	s_cbranch_vccnz .LBB203_105
.LBB203_99:                             ; =>This Loop Header: Depth=1
                                        ;     Child Loop BB203_100 Depth 2
	v_lshl_add_u32 v15, s6, 6, v1
	ds_read_b128 v[2:5], v15
	s_cmp_le_i32 s9, s6
	s_mov_b32 s4, s7
	v_mov_b32_e32 v6, v14
	s_mov_b32 s5, s9
	s_cbranch_scc1 .LBB203_101
.LBB203_100:                            ;   Parent Loop BB203_99 Depth=1
                                        ; =>  This Inner Loop Header: Depth=2
	v_mov_b32_e32 v7, s4
	ds_read_b128 v[8:11], v6
	ds_read_b128 v[16:19], v7
	s_add_i32 s5, s5, -1
	s_add_i32 s4, s4, -16
	v_subrev_u32_e32 v6, 64, v6
	s_cmp_le_u32 s5, s6
	s_waitcnt lgkmcnt(0)
	v_mul_f64 v[12:13], v[18:19], v[10:11]
	v_mul_f64 v[10:11], v[16:17], v[10:11]
	v_fma_f64 v[12:13], v[16:17], v[8:9], -v[12:13]
	v_fmac_f64_e32 v[10:11], v[18:19], v[8:9]
	v_add_f64 v[2:3], v[2:3], -v[12:13]
	v_add_f64 v[4:5], v[4:5], -v[10:11]
	s_cbranch_scc0 .LBB203_100
.LBB203_101:                            ;   in Loop: Header=BB203_99 Depth=1
	s_mul_i32 s4, s6, 0x50
	v_mov_b32_e32 v6, s4
	ds_read_b128 v[6:9], v6
	s_mov_b64 s[4:5], -1
                                        ; implicit-def: $vgpr10_vgpr11
	s_waitcnt lgkmcnt(0)
	v_cmp_ngt_f64_e64 s[10:11], |v[6:7]|, |v[8:9]|
	s_and_b64 vcc, exec, s[10:11]
	s_cbranch_vccz .LBB203_103
; %bb.102:                              ;   in Loop: Header=BB203_99 Depth=1
	v_div_scale_f64 v[10:11], s[4:5], v[8:9], v[8:9], v[6:7]
	v_rcp_f64_e32 v[12:13], v[10:11]
	v_div_scale_f64 v[16:17], vcc, v[6:7], v[8:9], v[6:7]
	v_fma_f64 v[18:19], -v[10:11], v[12:13], 1.0
	v_fmac_f64_e32 v[12:13], v[12:13], v[18:19]
	v_fma_f64 v[18:19], -v[10:11], v[12:13], 1.0
	v_fmac_f64_e32 v[12:13], v[12:13], v[18:19]
	v_mul_f64 v[18:19], v[16:17], v[12:13]
	v_fma_f64 v[10:11], -v[10:11], v[18:19], v[16:17]
	v_div_fmas_f64 v[10:11], v[10:11], v[12:13], v[18:19]
	v_div_fixup_f64 v[12:13], v[10:11], v[8:9], v[6:7]
	v_fma_f64 v[10:11], v[6:7], v[12:13], v[8:9]
	v_div_scale_f64 v[16:17], s[4:5], v[10:11], v[10:11], 1.0
	v_rcp_f64_e32 v[18:19], v[16:17]
	s_mov_b64 s[4:5], 0
	v_fma_f64 v[20:21], -v[16:17], v[18:19], 1.0
	v_fmac_f64_e32 v[18:19], v[18:19], v[20:21]
	v_fma_f64 v[20:21], -v[16:17], v[18:19], 1.0
	v_fmac_f64_e32 v[18:19], v[18:19], v[20:21]
	v_div_scale_f64 v[20:21], vcc, 1.0, v[10:11], 1.0
	v_mul_f64 v[22:23], v[20:21], v[18:19]
	v_fma_f64 v[16:17], -v[16:17], v[22:23], v[20:21]
	s_nop 1
	v_div_fmas_f64 v[16:17], v[16:17], v[18:19], v[22:23]
	v_div_fixup_f64 v[16:17], v[16:17], v[10:11], 1.0
	v_fma_f64 v[10:11], v[2:3], v[12:13], v[4:5]
	v_fma_f64 v[12:13], v[4:5], v[12:13], -v[2:3]
	v_mul_f64 v[10:11], v[10:11], v[16:17]
	v_mul_f64 v[12:13], v[12:13], v[16:17]
.LBB203_103:                            ;   in Loop: Header=BB203_99 Depth=1
	s_andn2_b64 vcc, exec, s[4:5]
	s_cbranch_vccnz .LBB203_98
; %bb.104:                              ;   in Loop: Header=BB203_99 Depth=1
	v_div_scale_f64 v[10:11], s[4:5], v[6:7], v[6:7], v[8:9]
	v_rcp_f64_e32 v[12:13], v[10:11]
	v_div_scale_f64 v[16:17], vcc, v[8:9], v[6:7], v[8:9]
	v_fma_f64 v[18:19], -v[10:11], v[12:13], 1.0
	v_fmac_f64_e32 v[12:13], v[12:13], v[18:19]
	v_fma_f64 v[18:19], -v[10:11], v[12:13], 1.0
	v_fmac_f64_e32 v[12:13], v[12:13], v[18:19]
	v_mul_f64 v[18:19], v[16:17], v[12:13]
	v_fma_f64 v[10:11], -v[10:11], v[18:19], v[16:17]
	v_div_fmas_f64 v[10:11], v[10:11], v[12:13], v[18:19]
	v_div_fixup_f64 v[12:13], v[10:11], v[6:7], v[8:9]
	v_fmac_f64_e32 v[6:7], v[8:9], v[12:13]
	v_div_scale_f64 v[8:9], s[4:5], v[6:7], v[6:7], 1.0
	v_rcp_f64_e32 v[10:11], v[8:9]
	s_nop 0
	v_fma_f64 v[16:17], -v[8:9], v[10:11], 1.0
	v_fmac_f64_e32 v[10:11], v[10:11], v[16:17]
	v_fma_f64 v[16:17], -v[8:9], v[10:11], 1.0
	v_fmac_f64_e32 v[10:11], v[10:11], v[16:17]
	v_div_scale_f64 v[16:17], vcc, 1.0, v[6:7], 1.0
	v_mul_f64 v[18:19], v[16:17], v[10:11]
	v_fma_f64 v[8:9], -v[8:9], v[18:19], v[16:17]
	s_nop 1
	v_div_fmas_f64 v[8:9], v[8:9], v[10:11], v[18:19]
	v_div_fixup_f64 v[6:7], v[8:9], v[6:7], 1.0
	v_fma_f64 v[8:9], v[4:5], v[12:13], v[2:3]
	v_fma_f64 v[2:3], -v[2:3], v[12:13], v[4:5]
	v_mul_f64 v[10:11], v[8:9], v[6:7]
	v_mul_f64 v[12:13], v[2:3], v[6:7]
	s_branch .LBB203_98
.LBB203_105:
	s_mov_b64 s[10:11], 0
.LBB203_106:
	s_andn2_b64 vcc, exec, s[10:11]
	s_cbranch_vccnz .LBB203_134
; %bb.107:
	v_mov_b32_e32 v1, 0x100
	v_lshl_or_b32 v1, v0, 4, v1
	s_cmp_lt_i32 s24, 4
	s_mov_b32 s6, 0
	s_cbranch_scc1 .LBB203_125
; %bb.108:
	v_mov_b32_e32 v2, 0
	ds_read_b128 v[22:25], v2
	ds_read_b128 v[18:21], v1
	ds_read_b128 v[14:17], v1 offset:64
	ds_read_b128 v[10:13], v1 offset:128
	;; [unrolled: 1-line block ×3, first 2 shown]
	s_waitcnt lgkmcnt(4)
	v_cmp_ngt_f64_e64 s[4:5], |v[22:23]|, |v[24:25]|
	s_and_b64 vcc, exec, s[4:5]
	s_cbranch_vccz .LBB203_110
; %bb.109:
	v_div_scale_f64 v[6:7], s[4:5], v[24:25], v[24:25], v[22:23]
	v_rcp_f64_e32 v[8:9], v[6:7]
	v_div_scale_f64 v[26:27], vcc, v[22:23], v[24:25], v[22:23]
	v_fma_f64 v[28:29], -v[6:7], v[8:9], 1.0
	v_fmac_f64_e32 v[8:9], v[8:9], v[28:29]
	v_fma_f64 v[28:29], -v[6:7], v[8:9], 1.0
	v_fmac_f64_e32 v[8:9], v[8:9], v[28:29]
	v_mul_f64 v[28:29], v[26:27], v[8:9]
	v_fma_f64 v[6:7], -v[6:7], v[28:29], v[26:27]
	v_div_fmas_f64 v[6:7], v[6:7], v[8:9], v[28:29]
	v_div_fixup_f64 v[8:9], v[6:7], v[24:25], v[22:23]
	v_fma_f64 v[6:7], v[22:23], v[8:9], v[24:25]
	v_div_scale_f64 v[26:27], s[4:5], v[6:7], v[6:7], 1.0
	v_rcp_f64_e32 v[28:29], v[26:27]
	s_nop 0
	v_fma_f64 v[30:31], -v[26:27], v[28:29], 1.0
	v_fmac_f64_e32 v[28:29], v[28:29], v[30:31]
	v_fma_f64 v[30:31], -v[26:27], v[28:29], 1.0
	v_fmac_f64_e32 v[28:29], v[28:29], v[30:31]
	v_div_scale_f64 v[30:31], vcc, 1.0, v[6:7], 1.0
	v_mul_f64 v[32:33], v[30:31], v[28:29]
	v_fma_f64 v[26:27], -v[26:27], v[32:33], v[30:31]
	s_nop 1
	v_div_fmas_f64 v[26:27], v[26:27], v[28:29], v[32:33]
	v_div_fixup_f64 v[26:27], v[26:27], v[6:7], 1.0
	s_waitcnt lgkmcnt(3)
	v_fma_f64 v[6:7], v[18:19], v[8:9], v[20:21]
	v_fma_f64 v[8:9], v[20:21], v[8:9], -v[18:19]
	v_mul_f64 v[6:7], v[6:7], v[26:27]
	v_mul_f64 v[8:9], v[8:9], v[26:27]
	s_cbranch_execz .LBB203_111
	s_branch .LBB203_112
.LBB203_110:
                                        ; implicit-def: $vgpr8_vgpr9
.LBB203_111:
	v_div_scale_f64 v[6:7], s[4:5], v[22:23], v[22:23], v[24:25]
	v_rcp_f64_e32 v[8:9], v[6:7]
	v_div_scale_f64 v[26:27], vcc, v[24:25], v[22:23], v[24:25]
	v_fma_f64 v[28:29], -v[6:7], v[8:9], 1.0
	v_fmac_f64_e32 v[8:9], v[8:9], v[28:29]
	v_fma_f64 v[28:29], -v[6:7], v[8:9], 1.0
	v_fmac_f64_e32 v[8:9], v[8:9], v[28:29]
	v_mul_f64 v[28:29], v[26:27], v[8:9]
	v_fma_f64 v[6:7], -v[6:7], v[28:29], v[26:27]
	v_div_fmas_f64 v[6:7], v[6:7], v[8:9], v[28:29]
	v_div_fixup_f64 v[8:9], v[6:7], v[22:23], v[24:25]
	v_fmac_f64_e32 v[22:23], v[24:25], v[8:9]
	v_div_scale_f64 v[6:7], s[4:5], v[22:23], v[22:23], 1.0
	v_rcp_f64_e32 v[24:25], v[6:7]
	s_nop 0
	v_fma_f64 v[26:27], -v[6:7], v[24:25], 1.0
	v_fmac_f64_e32 v[24:25], v[24:25], v[26:27]
	v_fma_f64 v[26:27], -v[6:7], v[24:25], 1.0
	v_fmac_f64_e32 v[24:25], v[24:25], v[26:27]
	v_div_scale_f64 v[26:27], vcc, 1.0, v[22:23], 1.0
	v_mul_f64 v[28:29], v[26:27], v[24:25]
	v_fma_f64 v[6:7], -v[6:7], v[28:29], v[26:27]
	s_nop 1
	v_div_fmas_f64 v[6:7], v[6:7], v[24:25], v[28:29]
	v_div_fixup_f64 v[22:23], v[6:7], v[22:23], 1.0
	s_waitcnt lgkmcnt(3)
	v_fma_f64 v[6:7], v[20:21], v[8:9], v[18:19]
	v_fma_f64 v[8:9], -v[18:19], v[8:9], v[20:21]
	v_mul_f64 v[6:7], v[6:7], v[22:23]
	v_mul_f64 v[8:9], v[8:9], v[22:23]
.LBB203_112:
	s_waitcnt lgkmcnt(3)
	v_mov_b32_e32 v18, 0
	ds_read_b128 v[22:25], v18 offset:64
	ds_read_b128 v[18:21], v18 offset:80
	ds_write_b128 v1, v[6:9]
	s_waitcnt lgkmcnt(2)
	v_mul_f64 v[26:27], v[8:9], v[24:25]
	v_mul_f64 v[24:25], v[6:7], v[24:25]
	v_fma_f64 v[26:27], v[6:7], v[22:23], -v[26:27]
	v_fmac_f64_e32 v[24:25], v[8:9], v[22:23]
	s_waitcnt lgkmcnt(1)
	v_cmp_ngt_f64_e64 s[4:5], |v[18:19]|, |v[20:21]|
	v_add_f64 v[22:23], v[14:15], -v[26:27]
	v_add_f64 v[24:25], v[16:17], -v[24:25]
	s_and_b64 vcc, exec, s[4:5]
	s_cbranch_vccz .LBB203_114
; %bb.113:
	v_div_scale_f64 v[14:15], s[4:5], v[20:21], v[20:21], v[18:19]
	v_rcp_f64_e32 v[16:17], v[14:15]
	v_div_scale_f64 v[26:27], vcc, v[18:19], v[20:21], v[18:19]
	v_fma_f64 v[28:29], -v[14:15], v[16:17], 1.0
	v_fmac_f64_e32 v[16:17], v[16:17], v[28:29]
	v_fma_f64 v[28:29], -v[14:15], v[16:17], 1.0
	v_fmac_f64_e32 v[16:17], v[16:17], v[28:29]
	v_mul_f64 v[28:29], v[26:27], v[16:17]
	v_fma_f64 v[14:15], -v[14:15], v[28:29], v[26:27]
	v_div_fmas_f64 v[14:15], v[14:15], v[16:17], v[28:29]
	v_div_fixup_f64 v[16:17], v[14:15], v[20:21], v[18:19]
	v_fma_f64 v[14:15], v[18:19], v[16:17], v[20:21]
	v_div_scale_f64 v[26:27], s[4:5], v[14:15], v[14:15], 1.0
	v_rcp_f64_e32 v[28:29], v[26:27]
	s_nop 0
	v_fma_f64 v[30:31], -v[26:27], v[28:29], 1.0
	v_fmac_f64_e32 v[28:29], v[28:29], v[30:31]
	v_fma_f64 v[30:31], -v[26:27], v[28:29], 1.0
	v_fmac_f64_e32 v[28:29], v[28:29], v[30:31]
	v_div_scale_f64 v[30:31], vcc, 1.0, v[14:15], 1.0
	v_mul_f64 v[32:33], v[30:31], v[28:29]
	v_fma_f64 v[26:27], -v[26:27], v[32:33], v[30:31]
	s_nop 1
	v_div_fmas_f64 v[26:27], v[26:27], v[28:29], v[32:33]
	v_div_fixup_f64 v[26:27], v[26:27], v[14:15], 1.0
	v_fma_f64 v[14:15], v[16:17], v[22:23], v[24:25]
	v_fma_f64 v[16:17], v[16:17], v[24:25], -v[22:23]
	v_mul_f64 v[14:15], v[14:15], v[26:27]
	v_mul_f64 v[16:17], v[16:17], v[26:27]
	s_cbranch_execz .LBB203_115
	s_branch .LBB203_116
.LBB203_114:
                                        ; implicit-def: $vgpr16_vgpr17
.LBB203_115:
	v_div_scale_f64 v[14:15], s[4:5], v[18:19], v[18:19], v[20:21]
	v_rcp_f64_e32 v[16:17], v[14:15]
	v_div_scale_f64 v[26:27], vcc, v[20:21], v[18:19], v[20:21]
	v_fma_f64 v[28:29], -v[14:15], v[16:17], 1.0
	v_fmac_f64_e32 v[16:17], v[16:17], v[28:29]
	v_fma_f64 v[28:29], -v[14:15], v[16:17], 1.0
	v_fmac_f64_e32 v[16:17], v[16:17], v[28:29]
	v_mul_f64 v[28:29], v[26:27], v[16:17]
	v_fma_f64 v[14:15], -v[14:15], v[28:29], v[26:27]
	v_div_fmas_f64 v[14:15], v[14:15], v[16:17], v[28:29]
	v_div_fixup_f64 v[16:17], v[14:15], v[18:19], v[20:21]
	v_fmac_f64_e32 v[18:19], v[20:21], v[16:17]
	v_div_scale_f64 v[14:15], s[4:5], v[18:19], v[18:19], 1.0
	v_rcp_f64_e32 v[20:21], v[14:15]
	s_nop 0
	v_fma_f64 v[26:27], -v[14:15], v[20:21], 1.0
	v_fmac_f64_e32 v[20:21], v[20:21], v[26:27]
	v_fma_f64 v[26:27], -v[14:15], v[20:21], 1.0
	v_fmac_f64_e32 v[20:21], v[20:21], v[26:27]
	v_div_scale_f64 v[26:27], vcc, 1.0, v[18:19], 1.0
	v_mul_f64 v[28:29], v[26:27], v[20:21]
	v_fma_f64 v[14:15], -v[14:15], v[28:29], v[26:27]
	s_nop 1
	v_div_fmas_f64 v[14:15], v[14:15], v[20:21], v[28:29]
	v_div_fixup_f64 v[18:19], v[14:15], v[18:19], 1.0
	v_fma_f64 v[14:15], v[16:17], v[24:25], v[22:23]
	v_fma_f64 v[16:17], -v[16:17], v[22:23], v[24:25]
	v_mul_f64 v[14:15], v[14:15], v[18:19]
	v_mul_f64 v[16:17], v[16:17], v[18:19]
.LBB203_116:
	v_mov_b32_e32 v18, 0
	ds_read_b128 v[22:25], v18 offset:128
	ds_write_b128 v1, v[14:17] offset:64
	ds_read_b128 v[26:29], v18 offset:144
	ds_read_b128 v[18:21], v18 offset:160
	s_waitcnt lgkmcnt(3)
	v_mul_f64 v[30:31], v[8:9], v[24:25]
	v_mul_f64 v[24:25], v[6:7], v[24:25]
	v_fmac_f64_e32 v[24:25], v[8:9], v[22:23]
	v_fma_f64 v[30:31], v[6:7], v[22:23], -v[30:31]
	v_add_f64 v[12:13], v[12:13], -v[24:25]
	s_waitcnt lgkmcnt(1)
	v_mul_f64 v[22:23], v[16:17], v[28:29]
	v_mul_f64 v[24:25], v[14:15], v[28:29]
	v_add_f64 v[10:11], v[10:11], -v[30:31]
	v_fma_f64 v[22:23], v[14:15], v[26:27], -v[22:23]
	v_fmac_f64_e32 v[24:25], v[16:17], v[26:27]
	s_waitcnt lgkmcnt(0)
	v_cmp_ngt_f64_e64 s[4:5], |v[18:19]|, |v[20:21]|
	v_add_f64 v[10:11], v[10:11], -v[22:23]
	v_add_f64 v[12:13], v[12:13], -v[24:25]
	s_and_b64 vcc, exec, s[4:5]
	s_cbranch_vccz .LBB203_118
; %bb.117:
	v_div_scale_f64 v[22:23], s[4:5], v[20:21], v[20:21], v[18:19]
	v_rcp_f64_e32 v[24:25], v[22:23]
	v_div_scale_f64 v[26:27], vcc, v[18:19], v[20:21], v[18:19]
	v_fma_f64 v[28:29], -v[22:23], v[24:25], 1.0
	v_fmac_f64_e32 v[24:25], v[24:25], v[28:29]
	v_fma_f64 v[28:29], -v[22:23], v[24:25], 1.0
	v_fmac_f64_e32 v[24:25], v[24:25], v[28:29]
	v_mul_f64 v[28:29], v[26:27], v[24:25]
	v_fma_f64 v[22:23], -v[22:23], v[28:29], v[26:27]
	v_div_fmas_f64 v[22:23], v[22:23], v[24:25], v[28:29]
	v_div_fixup_f64 v[24:25], v[22:23], v[20:21], v[18:19]
	v_fma_f64 v[22:23], v[18:19], v[24:25], v[20:21]
	v_div_scale_f64 v[26:27], s[4:5], v[22:23], v[22:23], 1.0
	v_rcp_f64_e32 v[28:29], v[26:27]
	s_nop 0
	v_fma_f64 v[30:31], -v[26:27], v[28:29], 1.0
	v_fmac_f64_e32 v[28:29], v[28:29], v[30:31]
	v_fma_f64 v[30:31], -v[26:27], v[28:29], 1.0
	v_fmac_f64_e32 v[28:29], v[28:29], v[30:31]
	v_div_scale_f64 v[30:31], vcc, 1.0, v[22:23], 1.0
	v_mul_f64 v[32:33], v[30:31], v[28:29]
	v_fma_f64 v[26:27], -v[26:27], v[32:33], v[30:31]
	s_nop 1
	v_div_fmas_f64 v[26:27], v[26:27], v[28:29], v[32:33]
	v_div_fixup_f64 v[26:27], v[26:27], v[22:23], 1.0
	v_fma_f64 v[22:23], v[24:25], v[10:11], v[12:13]
	v_fma_f64 v[24:25], v[24:25], v[12:13], -v[10:11]
	v_mul_f64 v[22:23], v[22:23], v[26:27]
	v_mul_f64 v[24:25], v[24:25], v[26:27]
	s_cbranch_execz .LBB203_119
	s_branch .LBB203_120
.LBB203_118:
                                        ; implicit-def: $vgpr24_vgpr25
.LBB203_119:
	v_div_scale_f64 v[22:23], s[4:5], v[18:19], v[18:19], v[20:21]
	v_rcp_f64_e32 v[24:25], v[22:23]
	v_div_scale_f64 v[26:27], vcc, v[20:21], v[18:19], v[20:21]
	v_fma_f64 v[28:29], -v[22:23], v[24:25], 1.0
	v_fmac_f64_e32 v[24:25], v[24:25], v[28:29]
	v_fma_f64 v[28:29], -v[22:23], v[24:25], 1.0
	v_fmac_f64_e32 v[24:25], v[24:25], v[28:29]
	v_mul_f64 v[28:29], v[26:27], v[24:25]
	v_fma_f64 v[22:23], -v[22:23], v[28:29], v[26:27]
	v_div_fmas_f64 v[22:23], v[22:23], v[24:25], v[28:29]
	v_div_fixup_f64 v[24:25], v[22:23], v[18:19], v[20:21]
	v_fmac_f64_e32 v[18:19], v[20:21], v[24:25]
	v_div_scale_f64 v[20:21], s[4:5], v[18:19], v[18:19], 1.0
	v_rcp_f64_e32 v[22:23], v[20:21]
	s_nop 0
	v_fma_f64 v[26:27], -v[20:21], v[22:23], 1.0
	v_fmac_f64_e32 v[22:23], v[22:23], v[26:27]
	v_fma_f64 v[26:27], -v[20:21], v[22:23], 1.0
	v_fmac_f64_e32 v[22:23], v[22:23], v[26:27]
	v_div_scale_f64 v[26:27], vcc, 1.0, v[18:19], 1.0
	v_mul_f64 v[28:29], v[26:27], v[22:23]
	v_fma_f64 v[20:21], -v[20:21], v[28:29], v[26:27]
	s_nop 1
	v_div_fmas_f64 v[20:21], v[20:21], v[22:23], v[28:29]
	v_div_fixup_f64 v[18:19], v[20:21], v[18:19], 1.0
	v_fma_f64 v[20:21], v[24:25], v[12:13], v[10:11]
	v_fma_f64 v[10:11], -v[24:25], v[10:11], v[12:13]
	v_mul_f64 v[22:23], v[20:21], v[18:19]
	v_mul_f64 v[24:25], v[10:11], v[18:19]
.LBB203_120:
	v_mov_b32_e32 v10, 0
	ds_read_b128 v[18:21], v10 offset:192
	ds_write_b128 v1, v[22:25] offset:128
	ds_read_b128 v[26:29], v10 offset:208
	ds_read_b128 v[30:33], v10 offset:224
	;; [unrolled: 1-line block ×3, first 2 shown]
	s_waitcnt lgkmcnt(4)
	v_mul_f64 v[34:35], v[8:9], v[20:21]
	v_fma_f64 v[34:35], v[6:7], v[18:19], -v[34:35]
	v_mul_f64 v[6:7], v[6:7], v[20:21]
	v_fmac_f64_e32 v[6:7], v[8:9], v[18:19]
	v_add_f64 v[4:5], v[4:5], -v[6:7]
	s_waitcnt lgkmcnt(2)
	v_mul_f64 v[6:7], v[16:17], v[28:29]
	v_mul_f64 v[8:9], v[14:15], v[28:29]
	v_add_f64 v[2:3], v[2:3], -v[34:35]
	v_fma_f64 v[6:7], v[14:15], v[26:27], -v[6:7]
	v_fmac_f64_e32 v[8:9], v[16:17], v[26:27]
	v_add_f64 v[2:3], v[2:3], -v[6:7]
	v_add_f64 v[4:5], v[4:5], -v[8:9]
	s_waitcnt lgkmcnt(1)
	v_mul_f64 v[6:7], v[24:25], v[32:33]
	v_mul_f64 v[8:9], v[22:23], v[32:33]
	v_fma_f64 v[6:7], v[22:23], v[30:31], -v[6:7]
	v_fmac_f64_e32 v[8:9], v[24:25], v[30:31]
	s_waitcnt lgkmcnt(0)
	v_cmp_ngt_f64_e64 s[4:5], |v[10:11]|, |v[12:13]|
	v_add_f64 v[6:7], v[2:3], -v[6:7]
	v_add_f64 v[8:9], v[4:5], -v[8:9]
	s_and_b64 vcc, exec, s[4:5]
	s_cbranch_vccz .LBB203_122
; %bb.121:
	v_div_scale_f64 v[2:3], s[4:5], v[12:13], v[12:13], v[10:11]
	v_rcp_f64_e32 v[4:5], v[2:3]
	v_div_scale_f64 v[14:15], vcc, v[10:11], v[12:13], v[10:11]
	v_fma_f64 v[16:17], -v[2:3], v[4:5], 1.0
	v_fmac_f64_e32 v[4:5], v[4:5], v[16:17]
	v_fma_f64 v[16:17], -v[2:3], v[4:5], 1.0
	v_fmac_f64_e32 v[4:5], v[4:5], v[16:17]
	v_mul_f64 v[16:17], v[14:15], v[4:5]
	v_fma_f64 v[2:3], -v[2:3], v[16:17], v[14:15]
	v_div_fmas_f64 v[2:3], v[2:3], v[4:5], v[16:17]
	v_div_fixup_f64 v[4:5], v[2:3], v[12:13], v[10:11]
	v_fma_f64 v[2:3], v[10:11], v[4:5], v[12:13]
	v_div_scale_f64 v[14:15], s[4:5], v[2:3], v[2:3], 1.0
	v_rcp_f64_e32 v[16:17], v[14:15]
	s_nop 0
	v_fma_f64 v[18:19], -v[14:15], v[16:17], 1.0
	v_fmac_f64_e32 v[16:17], v[16:17], v[18:19]
	v_fma_f64 v[18:19], -v[14:15], v[16:17], 1.0
	v_fmac_f64_e32 v[16:17], v[16:17], v[18:19]
	v_div_scale_f64 v[18:19], vcc, 1.0, v[2:3], 1.0
	v_mul_f64 v[20:21], v[18:19], v[16:17]
	v_fma_f64 v[14:15], -v[14:15], v[20:21], v[18:19]
	s_nop 1
	v_div_fmas_f64 v[14:15], v[14:15], v[16:17], v[20:21]
	v_div_fixup_f64 v[14:15], v[14:15], v[2:3], 1.0
	v_fma_f64 v[2:3], v[4:5], v[6:7], v[8:9]
	v_fma_f64 v[4:5], v[4:5], v[8:9], -v[6:7]
	v_mul_f64 v[2:3], v[2:3], v[14:15]
	v_mul_f64 v[4:5], v[4:5], v[14:15]
	s_cbranch_execz .LBB203_123
	s_branch .LBB203_124
.LBB203_122:
                                        ; implicit-def: $vgpr4_vgpr5
.LBB203_123:
	v_div_scale_f64 v[2:3], s[4:5], v[10:11], v[10:11], v[12:13]
	v_rcp_f64_e32 v[4:5], v[2:3]
	v_div_scale_f64 v[14:15], vcc, v[12:13], v[10:11], v[12:13]
	v_fma_f64 v[16:17], -v[2:3], v[4:5], 1.0
	v_fmac_f64_e32 v[4:5], v[4:5], v[16:17]
	v_fma_f64 v[16:17], -v[2:3], v[4:5], 1.0
	v_fmac_f64_e32 v[4:5], v[4:5], v[16:17]
	v_mul_f64 v[16:17], v[14:15], v[4:5]
	v_fma_f64 v[2:3], -v[2:3], v[16:17], v[14:15]
	v_div_fmas_f64 v[2:3], v[2:3], v[4:5], v[16:17]
	v_div_fixup_f64 v[4:5], v[2:3], v[10:11], v[12:13]
	v_fmac_f64_e32 v[10:11], v[12:13], v[4:5]
	v_div_scale_f64 v[2:3], s[4:5], v[10:11], v[10:11], 1.0
	v_rcp_f64_e32 v[12:13], v[2:3]
	s_nop 0
	v_fma_f64 v[14:15], -v[2:3], v[12:13], 1.0
	v_fmac_f64_e32 v[12:13], v[12:13], v[14:15]
	v_fma_f64 v[14:15], -v[2:3], v[12:13], 1.0
	v_fmac_f64_e32 v[12:13], v[12:13], v[14:15]
	v_div_scale_f64 v[14:15], vcc, 1.0, v[10:11], 1.0
	v_mul_f64 v[16:17], v[14:15], v[12:13]
	v_fma_f64 v[2:3], -v[2:3], v[16:17], v[14:15]
	s_nop 1
	v_div_fmas_f64 v[2:3], v[2:3], v[12:13], v[16:17]
	v_div_fixup_f64 v[10:11], v[2:3], v[10:11], 1.0
	v_fma_f64 v[2:3], v[4:5], v[8:9], v[6:7]
	v_fma_f64 v[4:5], -v[4:5], v[6:7], v[8:9]
	v_mul_f64 v[2:3], v[2:3], v[10:11]
	v_mul_f64 v[4:5], v[4:5], v[10:11]
.LBB203_124:
	s_mov_b32 s6, 4
	ds_write_b128 v1, v[2:5] offset:192
.LBB203_125:
	s_cmp_ge_i32 s6, s25
	s_cbranch_scc1 .LBB203_134
; %bb.126:
	v_mov_b32_e32 v2, 0x100
	v_lshl_or_b32 v14, v0, 4, v2
	s_lshl_b32 s7, s6, 6
	s_branch .LBB203_128
.LBB203_127:                            ;   in Loop: Header=BB203_128 Depth=1
	s_add_i32 s6, s6, 1
	s_add_i32 s7, s7, 64
	s_cmp_ge_i32 s6, s25
	ds_write_b128 v15, v[10:13]
	s_cbranch_scc1 .LBB203_134
.LBB203_128:                            ; =>This Loop Header: Depth=1
                                        ;     Child Loop BB203_129 Depth 2
	v_lshl_add_u32 v15, s6, 6, v1
	ds_read_b128 v[2:5], v15
	s_cmp_eq_u32 s6, 0
	s_mov_b32 s4, s7
	v_mov_b32_e32 v6, v14
	s_mov_b32 s5, s6
	s_cbranch_scc1 .LBB203_130
.LBB203_129:                            ;   Parent Loop BB203_128 Depth=1
                                        ; =>  This Inner Loop Header: Depth=2
	v_mov_b32_e32 v7, s4
	ds_read_b128 v[8:11], v6
	ds_read_b128 v[16:19], v7
	s_add_i32 s5, s5, -1
	s_add_i32 s4, s4, 16
	v_add_u32_e32 v6, 64, v6
	s_cmp_eq_u32 s5, 0
	s_waitcnt lgkmcnt(0)
	v_mul_f64 v[12:13], v[18:19], v[10:11]
	v_mul_f64 v[10:11], v[16:17], v[10:11]
	v_fma_f64 v[12:13], v[16:17], v[8:9], -v[12:13]
	v_fmac_f64_e32 v[10:11], v[18:19], v[8:9]
	v_add_f64 v[2:3], v[2:3], -v[12:13]
	v_add_f64 v[4:5], v[4:5], -v[10:11]
	s_cbranch_scc0 .LBB203_129
.LBB203_130:                            ;   in Loop: Header=BB203_128 Depth=1
	s_mul_i32 s4, s6, 0x50
	v_mov_b32_e32 v6, s4
	ds_read_b128 v[6:9], v6
	s_mov_b64 s[4:5], -1
                                        ; implicit-def: $vgpr10_vgpr11
	s_waitcnt lgkmcnt(0)
	v_cmp_ngt_f64_e64 s[10:11], |v[6:7]|, |v[8:9]|
	s_and_b64 vcc, exec, s[10:11]
	s_cbranch_vccz .LBB203_132
; %bb.131:                              ;   in Loop: Header=BB203_128 Depth=1
	v_div_scale_f64 v[10:11], s[4:5], v[8:9], v[8:9], v[6:7]
	v_rcp_f64_e32 v[12:13], v[10:11]
	v_div_scale_f64 v[16:17], vcc, v[6:7], v[8:9], v[6:7]
	v_fma_f64 v[18:19], -v[10:11], v[12:13], 1.0
	v_fmac_f64_e32 v[12:13], v[12:13], v[18:19]
	v_fma_f64 v[18:19], -v[10:11], v[12:13], 1.0
	v_fmac_f64_e32 v[12:13], v[12:13], v[18:19]
	v_mul_f64 v[18:19], v[16:17], v[12:13]
	v_fma_f64 v[10:11], -v[10:11], v[18:19], v[16:17]
	v_div_fmas_f64 v[10:11], v[10:11], v[12:13], v[18:19]
	v_div_fixup_f64 v[12:13], v[10:11], v[8:9], v[6:7]
	v_fma_f64 v[10:11], v[6:7], v[12:13], v[8:9]
	v_div_scale_f64 v[16:17], s[4:5], v[10:11], v[10:11], 1.0
	v_rcp_f64_e32 v[18:19], v[16:17]
	s_mov_b64 s[4:5], 0
	v_fma_f64 v[20:21], -v[16:17], v[18:19], 1.0
	v_fmac_f64_e32 v[18:19], v[18:19], v[20:21]
	v_fma_f64 v[20:21], -v[16:17], v[18:19], 1.0
	v_fmac_f64_e32 v[18:19], v[18:19], v[20:21]
	v_div_scale_f64 v[20:21], vcc, 1.0, v[10:11], 1.0
	v_mul_f64 v[22:23], v[20:21], v[18:19]
	v_fma_f64 v[16:17], -v[16:17], v[22:23], v[20:21]
	s_nop 1
	v_div_fmas_f64 v[16:17], v[16:17], v[18:19], v[22:23]
	v_div_fixup_f64 v[16:17], v[16:17], v[10:11], 1.0
	v_fma_f64 v[10:11], v[2:3], v[12:13], v[4:5]
	v_fma_f64 v[12:13], v[4:5], v[12:13], -v[2:3]
	v_mul_f64 v[10:11], v[10:11], v[16:17]
	v_mul_f64 v[12:13], v[12:13], v[16:17]
.LBB203_132:                            ;   in Loop: Header=BB203_128 Depth=1
	s_andn2_b64 vcc, exec, s[4:5]
	s_cbranch_vccnz .LBB203_127
; %bb.133:                              ;   in Loop: Header=BB203_128 Depth=1
	v_div_scale_f64 v[10:11], s[4:5], v[6:7], v[6:7], v[8:9]
	v_rcp_f64_e32 v[12:13], v[10:11]
	v_div_scale_f64 v[16:17], vcc, v[8:9], v[6:7], v[8:9]
	v_fma_f64 v[18:19], -v[10:11], v[12:13], 1.0
	v_fmac_f64_e32 v[12:13], v[12:13], v[18:19]
	v_fma_f64 v[18:19], -v[10:11], v[12:13], 1.0
	v_fmac_f64_e32 v[12:13], v[12:13], v[18:19]
	v_mul_f64 v[18:19], v[16:17], v[12:13]
	v_fma_f64 v[10:11], -v[10:11], v[18:19], v[16:17]
	v_div_fmas_f64 v[10:11], v[10:11], v[12:13], v[18:19]
	v_div_fixup_f64 v[12:13], v[10:11], v[6:7], v[8:9]
	v_fmac_f64_e32 v[6:7], v[8:9], v[12:13]
	v_div_scale_f64 v[8:9], s[4:5], v[6:7], v[6:7], 1.0
	v_rcp_f64_e32 v[10:11], v[8:9]
	s_nop 0
	v_fma_f64 v[16:17], -v[8:9], v[10:11], 1.0
	v_fmac_f64_e32 v[10:11], v[10:11], v[16:17]
	v_fma_f64 v[16:17], -v[8:9], v[10:11], 1.0
	v_fmac_f64_e32 v[10:11], v[10:11], v[16:17]
	v_div_scale_f64 v[16:17], vcc, 1.0, v[6:7], 1.0
	v_mul_f64 v[18:19], v[16:17], v[10:11]
	v_fma_f64 v[8:9], -v[8:9], v[18:19], v[16:17]
	s_nop 1
	v_div_fmas_f64 v[8:9], v[8:9], v[10:11], v[18:19]
	v_div_fixup_f64 v[6:7], v[8:9], v[6:7], 1.0
	v_fma_f64 v[8:9], v[4:5], v[12:13], v[2:3]
	v_fma_f64 v[2:3], -v[2:3], v[12:13], v[4:5]
	v_mul_f64 v[10:11], v[8:9], v[6:7]
	v_mul_f64 v[12:13], v[2:3], v[6:7]
	s_branch .LBB203_127
.LBB203_134:
	s_and_saveexec_b64 s[4:5], s[0:1]
	s_cbranch_execz .LBB203_138
; %bb.135:
	s_cmp_lt_i32 s24, 1
	s_cbranch_scc1 .LBB203_138
; %bb.136:
	s_ashr_i32 s9, s8, 31
	v_lshlrev_b32_e32 v2, 4, v0
	v_mov_b32_e32 v3, 0
	v_lshl_add_u64 v[0:1], s[2:3], 0, v[2:3]
	s_lshl_b64 s[0:1], s[8:9], 4
	v_or_b32_e32 v2, 0x100, v2
.LBB203_137:                            ; =>This Inner Loop Header: Depth=1
	ds_read2_b64 v[4:7], v2 offset1:1
	s_add_i32 s24, s24, -1
	v_add_u32_e32 v2, 64, v2
	s_cmp_lg_u32 s24, 0
	s_waitcnt lgkmcnt(0)
	flat_store_dwordx4 v[0:1], v[4:7]
	v_lshl_add_u64 v[0:1], v[0:1], 0, s[0:1]
	s_cbranch_scc1 .LBB203_137
.LBB203_138:
	s_endpgm
	.section	.rodata,"a",@progbits
	.p2align	6, 0x0
	.amdhsa_kernel _ZL31rocblas_trsm_small_right_deviceI19rocblas_complex_numIdES1_PKPKS1_PKPS1_Li4EEv13rocblas_fill_18rocblas_operation_17rocblas_diagonal_iiT0_T1_lilT2_lili
		.amdhsa_group_segment_fixed_size 512
		.amdhsa_private_segment_fixed_size 0
		.amdhsa_kernarg_size 368
		.amdhsa_user_sgpr_count 2
		.amdhsa_user_sgpr_dispatch_ptr 0
		.amdhsa_user_sgpr_queue_ptr 0
		.amdhsa_user_sgpr_kernarg_segment_ptr 1
		.amdhsa_user_sgpr_dispatch_id 0
		.amdhsa_user_sgpr_kernarg_preload_length 0
		.amdhsa_user_sgpr_kernarg_preload_offset 0
		.amdhsa_user_sgpr_private_segment_size 0
		.amdhsa_uses_dynamic_stack 0
		.amdhsa_enable_private_segment 0
		.amdhsa_system_sgpr_workgroup_id_x 1
		.amdhsa_system_sgpr_workgroup_id_y 0
		.amdhsa_system_sgpr_workgroup_id_z 1
		.amdhsa_system_sgpr_workgroup_info 0
		.amdhsa_system_vgpr_workitem_id 0
		.amdhsa_next_free_vgpr 38
		.amdhsa_next_free_sgpr 28
		.amdhsa_accum_offset 40
		.amdhsa_reserve_vcc 1
		.amdhsa_float_round_mode_32 0
		.amdhsa_float_round_mode_16_64 0
		.amdhsa_float_denorm_mode_32 3
		.amdhsa_float_denorm_mode_16_64 3
		.amdhsa_dx10_clamp 1
		.amdhsa_ieee_mode 1
		.amdhsa_fp16_overflow 0
		.amdhsa_tg_split 0
		.amdhsa_exception_fp_ieee_invalid_op 0
		.amdhsa_exception_fp_denorm_src 0
		.amdhsa_exception_fp_ieee_div_zero 0
		.amdhsa_exception_fp_ieee_overflow 0
		.amdhsa_exception_fp_ieee_underflow 0
		.amdhsa_exception_fp_ieee_inexact 0
		.amdhsa_exception_int_div_zero 0
	.end_amdhsa_kernel
	.section	.text._ZL31rocblas_trsm_small_right_deviceI19rocblas_complex_numIdES1_PKPKS1_PKPS1_Li4EEv13rocblas_fill_18rocblas_operation_17rocblas_diagonal_iiT0_T1_lilT2_lili,"axG",@progbits,_ZL31rocblas_trsm_small_right_deviceI19rocblas_complex_numIdES1_PKPKS1_PKPS1_Li4EEv13rocblas_fill_18rocblas_operation_17rocblas_diagonal_iiT0_T1_lilT2_lili,comdat
.Lfunc_end203:
	.size	_ZL31rocblas_trsm_small_right_deviceI19rocblas_complex_numIdES1_PKPKS1_PKPS1_Li4EEv13rocblas_fill_18rocblas_operation_17rocblas_diagonal_iiT0_T1_lilT2_lili, .Lfunc_end203-_ZL31rocblas_trsm_small_right_deviceI19rocblas_complex_numIdES1_PKPKS1_PKPS1_Li4EEv13rocblas_fill_18rocblas_operation_17rocblas_diagonal_iiT0_T1_lilT2_lili
                                        ; -- End function
	.set _ZL31rocblas_trsm_small_right_deviceI19rocblas_complex_numIdES1_PKPKS1_PKPS1_Li4EEv13rocblas_fill_18rocblas_operation_17rocblas_diagonal_iiT0_T1_lilT2_lili.num_vgpr, 38
	.set _ZL31rocblas_trsm_small_right_deviceI19rocblas_complex_numIdES1_PKPKS1_PKPS1_Li4EEv13rocblas_fill_18rocblas_operation_17rocblas_diagonal_iiT0_T1_lilT2_lili.num_agpr, 0
	.set _ZL31rocblas_trsm_small_right_deviceI19rocblas_complex_numIdES1_PKPKS1_PKPS1_Li4EEv13rocblas_fill_18rocblas_operation_17rocblas_diagonal_iiT0_T1_lilT2_lili.numbered_sgpr, 28
	.set _ZL31rocblas_trsm_small_right_deviceI19rocblas_complex_numIdES1_PKPKS1_PKPS1_Li4EEv13rocblas_fill_18rocblas_operation_17rocblas_diagonal_iiT0_T1_lilT2_lili.num_named_barrier, 0
	.set _ZL31rocblas_trsm_small_right_deviceI19rocblas_complex_numIdES1_PKPKS1_PKPS1_Li4EEv13rocblas_fill_18rocblas_operation_17rocblas_diagonal_iiT0_T1_lilT2_lili.private_seg_size, 0
	.set _ZL31rocblas_trsm_small_right_deviceI19rocblas_complex_numIdES1_PKPKS1_PKPS1_Li4EEv13rocblas_fill_18rocblas_operation_17rocblas_diagonal_iiT0_T1_lilT2_lili.uses_vcc, 1
	.set _ZL31rocblas_trsm_small_right_deviceI19rocblas_complex_numIdES1_PKPKS1_PKPS1_Li4EEv13rocblas_fill_18rocblas_operation_17rocblas_diagonal_iiT0_T1_lilT2_lili.uses_flat_scratch, 0
	.set _ZL31rocblas_trsm_small_right_deviceI19rocblas_complex_numIdES1_PKPKS1_PKPS1_Li4EEv13rocblas_fill_18rocblas_operation_17rocblas_diagonal_iiT0_T1_lilT2_lili.has_dyn_sized_stack, 0
	.set _ZL31rocblas_trsm_small_right_deviceI19rocblas_complex_numIdES1_PKPKS1_PKPS1_Li4EEv13rocblas_fill_18rocblas_operation_17rocblas_diagonal_iiT0_T1_lilT2_lili.has_recursion, 0
	.set _ZL31rocblas_trsm_small_right_deviceI19rocblas_complex_numIdES1_PKPKS1_PKPS1_Li4EEv13rocblas_fill_18rocblas_operation_17rocblas_diagonal_iiT0_T1_lilT2_lili.has_indirect_call, 0
	.section	.AMDGPU.csdata,"",@progbits
; Kernel info:
; codeLenInByte = 12356
; TotalNumSgprs: 34
; NumVgprs: 38
; NumAgprs: 0
; TotalNumVgprs: 38
; ScratchSize: 0
; MemoryBound: 0
; FloatMode: 240
; IeeeMode: 1
; LDSByteSize: 512 bytes/workgroup (compile time only)
; SGPRBlocks: 4
; VGPRBlocks: 4
; NumSGPRsForWavesPerEU: 34
; NumVGPRsForWavesPerEU: 38
; AccumOffset: 40
; Occupancy: 8
; WaveLimiterHint : 0
; COMPUTE_PGM_RSRC2:SCRATCH_EN: 0
; COMPUTE_PGM_RSRC2:USER_SGPR: 2
; COMPUTE_PGM_RSRC2:TRAP_HANDLER: 0
; COMPUTE_PGM_RSRC2:TGID_X_EN: 1
; COMPUTE_PGM_RSRC2:TGID_Y_EN: 0
; COMPUTE_PGM_RSRC2:TGID_Z_EN: 1
; COMPUTE_PGM_RSRC2:TIDIG_COMP_CNT: 0
; COMPUTE_PGM_RSRC3_GFX90A:ACCUM_OFFSET: 9
; COMPUTE_PGM_RSRC3_GFX90A:TG_SPLIT: 0
	.section	.text._ZL38rocblas_trsm_small_left_device_sharedBILi8ELi8ELb0E19rocblas_complex_numIdES1_PKPKS1_PKPS1_Ev13rocblas_fill_18rocblas_operation_17rocblas_diagonal_iiT3_T4_lilT5_lili,"axG",@progbits,_ZL38rocblas_trsm_small_left_device_sharedBILi8ELi8ELb0E19rocblas_complex_numIdES1_PKPKS1_PKPS1_Ev13rocblas_fill_18rocblas_operation_17rocblas_diagonal_iiT3_T4_lilT5_lili,comdat
	.globl	_ZL38rocblas_trsm_small_left_device_sharedBILi8ELi8ELb0E19rocblas_complex_numIdES1_PKPKS1_PKPS1_Ev13rocblas_fill_18rocblas_operation_17rocblas_diagonal_iiT3_T4_lilT5_lili ; -- Begin function _ZL38rocblas_trsm_small_left_device_sharedBILi8ELi8ELb0E19rocblas_complex_numIdES1_PKPKS1_PKPS1_Ev13rocblas_fill_18rocblas_operation_17rocblas_diagonal_iiT3_T4_lilT5_lili
	.p2align	8
	.type	_ZL38rocblas_trsm_small_left_device_sharedBILi8ELi8ELb0E19rocblas_complex_numIdES1_PKPKS1_PKPS1_Ev13rocblas_fill_18rocblas_operation_17rocblas_diagonal_iiT3_T4_lilT5_lili,@function
_ZL38rocblas_trsm_small_left_device_sharedBILi8ELi8ELb0E19rocblas_complex_numIdES1_PKPKS1_PKPS1_Ev13rocblas_fill_18rocblas_operation_17rocblas_diagonal_iiT3_T4_lilT5_lili: ; @_ZL38rocblas_trsm_small_left_device_sharedBILi8ELi8ELb0E19rocblas_complex_numIdES1_PKPKS1_PKPS1_Ev13rocblas_fill_18rocblas_operation_17rocblas_diagonal_iiT3_T4_lilT5_lili
; %bb.0:
	s_load_dwordx4 s[12:15], s[0:1], 0x4
	s_load_dwordx4 s[16:19], s[0:1], 0x48
	s_load_dwordx8 s[4:11], s[0:1], 0x18
	s_mov_b32 s20, s3
	s_mov_b32 s21, 0
	s_lshl_b64 s[22:23], s[20:21], 3
	s_waitcnt lgkmcnt(0)
	s_add_u32 s16, s16, s22
	s_addc_u32 s17, s17, s23
	s_load_dword s3, s[0:1], 0x70
	s_min_i32 s24, s14, 8
	s_load_dwordx2 s[16:17], s[16:17], 0x0
	v_cmp_gt_i32_e32 vcc, s24, v0
	s_and_saveexec_b64 s[20:21], vcc
	s_cbranch_execz .LBB204_11
; %bb.1:
	s_load_dword s26, s[0:1], 0x38
	v_lshlrev_b32_e32 v2, 4, v0
	v_mov_b32_e32 v3, 0
	v_mov_b32_e32 v1, v2
	s_waitcnt lgkmcnt(0)
	s_ashr_i32 s27, s26, 31
	s_cmpk_eq_i32 s12, 0x71
	s_cselect_b64 vcc, -1, 0
	s_add_u32 s8, s8, s22
	s_addc_u32 s9, s9, s23
	s_load_dwordx2 s[8:9], s[8:9], 0x0
	s_lshl_b64 s[10:11], s[10:11], 4
	s_waitcnt lgkmcnt(0)
	s_add_u32 s10, s8, s10
	s_addc_u32 s11, s9, s11
	s_lshl_b64 s[8:9], s[26:27], 4
	v_lshl_add_u64 v[4:5], s[10:11], 0, v[2:3]
	s_mov_b32 s10, s24
.LBB204_2:                              ; =>This Inner Loop Header: Depth=1
	flat_load_dwordx4 v[6:9], v[4:5]
	s_add_i32 s10, s10, -1
	v_lshl_add_u64 v[4:5], v[4:5], 0, s[8:9]
	s_cmp_eq_u32 s10, 0
	s_waitcnt vmcnt(0) lgkmcnt(0)
	v_xor_b32_e32 v3, 0x80000000, v9
	v_cndmask_b32_e32 v9, v9, v3, vcc
	ds_write_b128 v1, v[6:9]
	v_add_u32_e32 v1, 0x80, v1
	s_cbranch_scc0 .LBB204_2
; %bb.3:
	v_lshlrev_b32_e32 v1, 7, v0
	s_cmpk_lg_i32 s13, 0x84
	v_add_u32_e32 v1, v2, v1
	s_cbranch_scc0 .LBB204_9
; %bb.4:
	ds_read_b128 v[2:5], v1
                                        ; implicit-def: $vgpr8_vgpr9
	s_waitcnt lgkmcnt(0)
	v_cmp_ngt_f64_e64 s[8:9], |v[2:3]|, |v[4:5]|
	s_and_saveexec_b64 s[10:11], s[8:9]
	s_xor_b64 s[8:9], exec, s[10:11]
	s_cbranch_execz .LBB204_6
; %bb.5:
	v_div_scale_f64 v[6:7], s[10:11], v[4:5], v[4:5], v[2:3]
	v_rcp_f64_e32 v[8:9], v[6:7]
	v_div_scale_f64 v[10:11], vcc, v[2:3], v[4:5], v[2:3]
	v_fma_f64 v[12:13], -v[6:7], v[8:9], 1.0
	v_fmac_f64_e32 v[8:9], v[8:9], v[12:13]
	v_fma_f64 v[12:13], -v[6:7], v[8:9], 1.0
	v_fmac_f64_e32 v[8:9], v[8:9], v[12:13]
	v_mul_f64 v[12:13], v[10:11], v[8:9]
	v_fma_f64 v[6:7], -v[6:7], v[12:13], v[10:11]
	v_div_fmas_f64 v[6:7], v[6:7], v[8:9], v[12:13]
	v_div_fixup_f64 v[8:9], v[6:7], v[4:5], v[2:3]
	v_fmac_f64_e32 v[4:5], v[2:3], v[8:9]
	v_div_scale_f64 v[2:3], s[10:11], v[4:5], v[4:5], 1.0
	v_rcp_f64_e32 v[6:7], v[2:3]
	s_nop 0
	v_fma_f64 v[10:11], -v[2:3], v[6:7], 1.0
	v_fmac_f64_e32 v[6:7], v[6:7], v[10:11]
	v_fma_f64 v[10:11], -v[2:3], v[6:7], 1.0
	v_fmac_f64_e32 v[6:7], v[6:7], v[10:11]
	v_div_scale_f64 v[10:11], vcc, 1.0, v[4:5], 1.0
	v_mul_f64 v[12:13], v[10:11], v[6:7]
	v_fma_f64 v[2:3], -v[2:3], v[12:13], v[10:11]
	s_nop 1
	v_div_fmas_f64 v[2:3], v[2:3], v[6:7], v[12:13]
	v_div_fixup_f64 v[2:3], v[2:3], v[4:5], 1.0
	v_add_f64 v[4:5], v[8:9], 0
	v_mul_f64 v[6:7], v[4:5], v[2:3]
	v_fma_f64 v[4:5], v[8:9], 0, -1.0
	v_mul_f64 v[8:9], v[4:5], v[2:3]
                                        ; implicit-def: $vgpr2_vgpr3
.LBB204_6:
	s_andn2_saveexec_b64 s[8:9], s[8:9]
	s_cbranch_execz .LBB204_8
; %bb.7:
	v_div_scale_f64 v[6:7], s[10:11], v[2:3], v[2:3], v[4:5]
	v_rcp_f64_e32 v[8:9], v[6:7]
	v_div_scale_f64 v[10:11], vcc, v[4:5], v[2:3], v[4:5]
	v_fma_f64 v[12:13], -v[6:7], v[8:9], 1.0
	v_fmac_f64_e32 v[8:9], v[8:9], v[12:13]
	v_fma_f64 v[12:13], -v[6:7], v[8:9], 1.0
	v_fmac_f64_e32 v[8:9], v[8:9], v[12:13]
	v_mul_f64 v[12:13], v[10:11], v[8:9]
	v_fma_f64 v[6:7], -v[6:7], v[12:13], v[10:11]
	v_div_fmas_f64 v[6:7], v[6:7], v[8:9], v[12:13]
	v_div_fixup_f64 v[8:9], v[6:7], v[2:3], v[4:5]
	v_fmac_f64_e32 v[2:3], v[4:5], v[8:9]
	v_div_scale_f64 v[4:5], s[10:11], v[2:3], v[2:3], 1.0
	v_rcp_f64_e32 v[6:7], v[4:5]
	s_nop 0
	v_fma_f64 v[10:11], -v[4:5], v[6:7], 1.0
	v_fmac_f64_e32 v[6:7], v[6:7], v[10:11]
	v_fma_f64 v[10:11], -v[4:5], v[6:7], 1.0
	v_fmac_f64_e32 v[6:7], v[6:7], v[10:11]
	v_div_scale_f64 v[10:11], vcc, 1.0, v[2:3], 1.0
	v_mul_f64 v[12:13], v[10:11], v[6:7]
	v_fma_f64 v[4:5], -v[4:5], v[12:13], v[10:11]
	s_nop 1
	v_div_fmas_f64 v[4:5], v[4:5], v[6:7], v[12:13]
	v_div_fixup_f64 v[2:3], v[4:5], v[2:3], 1.0
	v_fma_f64 v[4:5], v[8:9], 0, 1.0
	v_mul_f64 v[6:7], v[4:5], v[2:3]
	v_add_f64 v[4:5], -v[8:9], 0
	v_mul_f64 v[8:9], v[4:5], v[2:3]
.LBB204_8:
	s_or_b64 exec, exec, s[8:9]
	s_branch .LBB204_10
.LBB204_9:
	v_mov_b64_e32 v[8:9], 0
	v_mov_b64_e32 v[6:7], 1.0
.LBB204_10:
	ds_write_b128 v1, v[6:9]
.LBB204_11:
	s_or_b64 exec, exec, s[20:21]
	s_load_dword s13, s[0:1], 0x58
	s_lshl_b64 s[0:1], s[18:19], 4
	s_waitcnt lgkmcnt(0)
	s_add_u32 s8, s16, s0
	s_addc_u32 s9, s17, s1
	s_lshl_b32 s0, s2, 3
	s_add_i32 s3, s3, -1
	s_sub_i32 s1, s15, s0
	s_cmp_ge_u32 s2, s3
	s_cselect_b32 s10, s1, 8
	s_mul_hi_i32 s1, s13, s0
	s_mul_i32 s0, s13, s0
	s_lshl_b64 s[0:1], s[0:1], 4
	s_add_u32 s2, s8, s0
	s_addc_u32 s3, s9, s1
	s_cmp_gt_i32 s14, 0
	v_cmp_gt_i32_e64 s[0:1], s10, v0
	s_cselect_b64 s[8:9], -1, 0
	s_and_b64 s[16:17], s[0:1], s[8:9]
	s_and_saveexec_b64 s[10:11], s[16:17]
	s_cbranch_execz .LBB204_14
; %bb.12:
	v_mad_i64_i32 v[2:3], s[16:17], s13, v0, 0
	v_mov_b32_e32 v1, 0x400
	v_lshl_add_u64 v[2:3], v[2:3], 4, s[2:3]
	v_lshl_or_b32 v1, v0, 4, v1
	s_mov_b32 s15, s24
.LBB204_13:                             ; =>This Inner Loop Header: Depth=1
	flat_load_dwordx4 v[4:7], v[2:3]
	s_add_i32 s15, s15, -1
	v_lshl_add_u64 v[2:3], v[2:3], 0, 16
	s_cmp_lg_u32 s15, 0
	s_waitcnt vmcnt(0) lgkmcnt(0)
	v_mul_f64 v[10:11], s[6:7], v[6:7]
	v_mul_f64 v[8:9], s[4:5], v[6:7]
	v_fma_f64 v[6:7], s[4:5], v[4:5], -v[10:11]
	v_fmac_f64_e32 v[8:9], s[6:7], v[4:5]
	ds_write_b128 v1, v[6:9]
	v_add_u32_e32 v1, 0x80, v1
	s_cbranch_scc1 .LBB204_13
.LBB204_14:
	s_or_b64 exec, exec, s[10:11]
	v_mov_b32_e32 v1, 0x400
	s_cmpk_eq_i32 s12, 0x6f
	v_lshl_or_b32 v1, v0, 4, v1
	s_mov_b64 s[4:5], -1
	s_waitcnt lgkmcnt(0)
	; wave barrier
	s_cbranch_scc1 .LBB204_31
; %bb.15:
	s_cmp_gt_i32 s14, 7
	s_mov_b32 s4, 0
	s_cbranch_scc0 .LBB204_17
; %bb.16:
	v_mov_b32_e32 v30, 0
	ds_read_b128 v[10:13], v1
	ds_read_b128 v[14:17], v1 offset:128
	ds_read_b128 v[22:25], v1 offset:256
	;; [unrolled: 1-line block ×3, first 2 shown]
	ds_read_b128 v[32:35], v30
	ds_read_b128 v[36:39], v1 offset:512
	ds_read_b128 v[40:43], v1 offset:640
	;; [unrolled: 1-line block ×5, first 2 shown]
	s_waitcnt lgkmcnt(5)
	v_mul_f64 v[8:9], v[32:33], v[12:13]
	v_mul_f64 v[6:7], v[34:35], v[12:13]
	v_fmac_f64_e32 v[8:9], v[34:35], v[10:11]
	v_fma_f64 v[6:7], v[32:33], v[10:11], -v[6:7]
	s_waitcnt lgkmcnt(0)
	v_mul_f64 v[10:11], v[46:47], v[8:9]
	v_mul_f64 v[12:13], v[44:45], v[8:9]
	v_fma_f64 v[10:11], v[44:45], v[6:7], -v[10:11]
	ds_read_b128 v[32:35], v30 offset:144
	v_fmac_f64_e32 v[12:13], v[46:47], v[6:7]
	v_add_f64 v[44:45], v[14:15], -v[10:11]
	v_add_f64 v[12:13], v[16:17], -v[12:13]
	ds_read_b128 v[14:17], v30 offset:256
	s_waitcnt lgkmcnt(1)
	v_mul_f64 v[10:11], v[34:35], v[12:13]
	v_fma_f64 v[10:11], v[32:33], v[44:45], -v[10:11]
	v_mul_f64 v[12:13], v[32:33], v[12:13]
	v_fmac_f64_e32 v[12:13], v[34:35], v[44:45]
	s_waitcnt lgkmcnt(0)
	v_mul_f64 v[32:33], v[16:17], v[8:9]
	v_fma_f64 v[44:45], v[14:15], v[6:7], -v[32:33]
	ds_read_b128 v[32:35], v30 offset:272
	v_mul_f64 v[14:15], v[14:15], v[8:9]
	v_fmac_f64_e32 v[14:15], v[16:17], v[6:7]
	v_add_f64 v[16:17], v[22:23], -v[44:45]
	v_add_f64 v[14:15], v[24:25], -v[14:15]
	ds_read_b128 v[22:25], v30 offset:288
	s_waitcnt lgkmcnt(1)
	v_mul_f64 v[44:45], v[34:35], v[12:13]
	v_fma_f64 v[44:45], v[32:33], v[10:11], -v[44:45]
	v_mul_f64 v[32:33], v[32:33], v[12:13]
	v_fmac_f64_e32 v[32:33], v[34:35], v[10:11]
	v_add_f64 v[34:35], v[16:17], -v[44:45]
	v_add_f64 v[16:17], v[14:15], -v[32:33]
	s_waitcnt lgkmcnt(0)
	v_mul_f64 v[14:15], v[24:25], v[16:17]
	v_mul_f64 v[16:17], v[22:23], v[16:17]
	v_fma_f64 v[14:15], v[22:23], v[34:35], -v[14:15]
	v_fmac_f64_e32 v[16:17], v[24:25], v[34:35]
	ds_read_b128 v[22:25], v30 offset:384
	ds_write_b128 v1, v[6:9]
	ds_write_b128 v1, v[10:13] offset:128
	ds_write_b128 v1, v[14:17] offset:256
	ds_read_b128 v[32:35], v30 offset:400
	ds_read_b128 v[44:47], v30 offset:416
	;; [unrolled: 1-line block ×3, first 2 shown]
	s_waitcnt lgkmcnt(6)
	v_mul_f64 v[52:53], v[24:25], v[8:9]
	v_fma_f64 v[52:53], v[22:23], v[6:7], -v[52:53]
	v_mul_f64 v[22:23], v[22:23], v[8:9]
	v_fmac_f64_e32 v[22:23], v[24:25], v[6:7]
	v_add_f64 v[24:25], v[26:27], -v[52:53]
	v_add_f64 v[22:23], v[28:29], -v[22:23]
	s_waitcnt lgkmcnt(2)
	v_mul_f64 v[26:27], v[34:35], v[12:13]
	v_mul_f64 v[28:29], v[32:33], v[12:13]
	v_fma_f64 v[26:27], v[32:33], v[10:11], -v[26:27]
	v_fmac_f64_e32 v[28:29], v[34:35], v[10:11]
	v_add_f64 v[24:25], v[24:25], -v[26:27]
	v_add_f64 v[22:23], v[22:23], -v[28:29]
	s_waitcnt lgkmcnt(1)
	v_mul_f64 v[26:27], v[46:47], v[16:17]
	v_mul_f64 v[28:29], v[44:45], v[16:17]
	v_fma_f64 v[26:27], v[44:45], v[14:15], -v[26:27]
	;; [unrolled: 7-line block ×3, first 2 shown]
	v_fmac_f64_e32 v[24:25], v[50:51], v[26:27]
	ds_read_b128 v[26:29], v30 offset:512
	ds_write_b128 v1, v[22:25] offset:384
	ds_read_b128 v[32:35], v30 offset:528
	ds_read_b128 v[44:47], v30 offset:544
	;; [unrolled: 1-line block ×3, first 2 shown]
	s_mov_b32 s4, 8
	s_waitcnt lgkmcnt(4)
	v_mul_f64 v[52:53], v[28:29], v[8:9]
	v_fma_f64 v[52:53], v[26:27], v[6:7], -v[52:53]
	v_mul_f64 v[26:27], v[26:27], v[8:9]
	v_fmac_f64_e32 v[26:27], v[28:29], v[6:7]
	v_add_f64 v[28:29], v[36:37], -v[52:53]
	s_waitcnt lgkmcnt(2)
	v_mul_f64 v[36:37], v[34:35], v[12:13]
	v_fma_f64 v[36:37], v[32:33], v[10:11], -v[36:37]
	v_mul_f64 v[32:33], v[32:33], v[12:13]
	v_add_f64 v[26:27], v[38:39], -v[26:27]
	v_fmac_f64_e32 v[32:33], v[34:35], v[10:11]
	v_add_f64 v[26:27], v[26:27], -v[32:33]
	s_waitcnt lgkmcnt(1)
	v_mul_f64 v[32:33], v[46:47], v[16:17]
	v_add_f64 v[28:29], v[28:29], -v[36:37]
	v_fma_f64 v[32:33], v[44:45], v[14:15], -v[32:33]
	v_mul_f64 v[34:35], v[44:45], v[16:17]
	v_fmac_f64_e32 v[34:35], v[46:47], v[14:15]
	v_add_f64 v[28:29], v[28:29], -v[32:33]
	s_waitcnt lgkmcnt(0)
	v_mul_f64 v[32:33], v[50:51], v[24:25]
	v_add_f64 v[26:27], v[26:27], -v[34:35]
	v_fma_f64 v[36:37], v[48:49], v[22:23], -v[32:33]
	ds_read_b128 v[32:35], v30 offset:576
	v_mul_f64 v[38:39], v[48:49], v[24:25]
	v_fmac_f64_e32 v[38:39], v[50:51], v[22:23]
	v_add_f64 v[44:45], v[28:29], -v[36:37]
	v_add_f64 v[28:29], v[26:27], -v[38:39]
	ds_read_b128 v[36:39], v30 offset:640
	s_waitcnt lgkmcnt(1)
	v_mul_f64 v[26:27], v[34:35], v[28:29]
	v_mul_f64 v[28:29], v[32:33], v[28:29]
	v_fma_f64 v[26:27], v[32:33], v[44:45], -v[26:27]
	v_fmac_f64_e32 v[28:29], v[34:35], v[44:45]
	ds_write_b128 v1, v[26:29] offset:512
	ds_read_b128 v[32:35], v30 offset:656
	ds_read_b128 v[44:47], v30 offset:672
	;; [unrolled: 1-line block ×3, first 2 shown]
	s_waitcnt lgkmcnt(4)
	v_mul_f64 v[52:53], v[38:39], v[8:9]
	v_fma_f64 v[52:53], v[36:37], v[6:7], -v[52:53]
	v_mul_f64 v[36:37], v[36:37], v[8:9]
	v_fmac_f64_e32 v[36:37], v[38:39], v[6:7]
	v_add_f64 v[38:39], v[40:41], -v[52:53]
	s_waitcnt lgkmcnt(2)
	v_mul_f64 v[40:41], v[34:35], v[12:13]
	v_fma_f64 v[40:41], v[32:33], v[10:11], -v[40:41]
	v_mul_f64 v[32:33], v[32:33], v[12:13]
	v_add_f64 v[36:37], v[42:43], -v[36:37]
	v_fmac_f64_e32 v[32:33], v[34:35], v[10:11]
	v_add_f64 v[34:35], v[38:39], -v[40:41]
	v_add_f64 v[32:33], v[36:37], -v[32:33]
	s_waitcnt lgkmcnt(1)
	v_mul_f64 v[36:37], v[46:47], v[16:17]
	v_mul_f64 v[38:39], v[44:45], v[16:17]
	v_fma_f64 v[36:37], v[44:45], v[14:15], -v[36:37]
	v_fmac_f64_e32 v[38:39], v[46:47], v[14:15]
	v_add_f64 v[36:37], v[34:35], -v[36:37]
	v_add_f64 v[38:39], v[32:33], -v[38:39]
	ds_read_b128 v[32:35], v30 offset:704
	s_waitcnt lgkmcnt(1)
	v_mul_f64 v[40:41], v[50:51], v[24:25]
	v_fma_f64 v[40:41], v[48:49], v[22:23], -v[40:41]
	v_mul_f64 v[42:43], v[48:49], v[24:25]
	v_fmac_f64_e32 v[42:43], v[50:51], v[22:23]
	v_add_f64 v[40:41], v[36:37], -v[40:41]
	s_waitcnt lgkmcnt(0)
	v_mul_f64 v[36:37], v[34:35], v[28:29]
	v_add_f64 v[42:43], v[38:39], -v[42:43]
	v_fma_f64 v[44:45], v[32:33], v[26:27], -v[36:37]
	ds_read_b128 v[36:39], v30 offset:720
	v_mul_f64 v[32:33], v[32:33], v[28:29]
	v_fmac_f64_e32 v[32:33], v[34:35], v[26:27]
	v_add_f64 v[42:43], v[42:43], -v[32:33]
	ds_read_b128 v[32:35], v30 offset:768
	v_add_f64 v[44:45], v[40:41], -v[44:45]
	s_waitcnt lgkmcnt(1)
	v_mul_f64 v[40:41], v[38:39], v[42:43]
	v_mul_f64 v[42:43], v[36:37], v[42:43]
	v_fma_f64 v[40:41], v[36:37], v[44:45], -v[40:41]
	v_fmac_f64_e32 v[42:43], v[38:39], v[44:45]
	ds_write_b128 v1, v[40:43] offset:640
	ds_read_b128 v[36:39], v30 offset:784
	ds_read_b128 v[44:47], v30 offset:800
	;; [unrolled: 1-line block ×3, first 2 shown]
	s_waitcnt lgkmcnt(4)
	v_mul_f64 v[52:53], v[34:35], v[8:9]
	v_fma_f64 v[52:53], v[32:33], v[6:7], -v[52:53]
	v_mul_f64 v[32:33], v[32:33], v[8:9]
	v_fmac_f64_e32 v[32:33], v[34:35], v[6:7]
	v_add_f64 v[20:21], v[20:21], -v[32:33]
	s_waitcnt lgkmcnt(2)
	v_mul_f64 v[32:33], v[38:39], v[12:13]
	v_mul_f64 v[34:35], v[36:37], v[12:13]
	v_add_f64 v[18:19], v[18:19], -v[52:53]
	v_fma_f64 v[32:33], v[36:37], v[10:11], -v[32:33]
	v_fmac_f64_e32 v[34:35], v[38:39], v[10:11]
	v_add_f64 v[18:19], v[18:19], -v[32:33]
	v_add_f64 v[20:21], v[20:21], -v[34:35]
	s_waitcnt lgkmcnt(1)
	v_mul_f64 v[32:33], v[46:47], v[16:17]
	v_mul_f64 v[34:35], v[44:45], v[16:17]
	v_fma_f64 v[32:33], v[44:45], v[14:15], -v[32:33]
	v_fmac_f64_e32 v[34:35], v[46:47], v[14:15]
	v_add_f64 v[32:33], v[18:19], -v[32:33]
	v_add_f64 v[34:35], v[20:21], -v[34:35]
	ds_read_b128 v[18:21], v30 offset:832
	s_waitcnt lgkmcnt(1)
	v_mul_f64 v[36:37], v[50:51], v[24:25]
	v_fma_f64 v[36:37], v[48:49], v[22:23], -v[36:37]
	v_mul_f64 v[38:39], v[48:49], v[24:25]
	v_fmac_f64_e32 v[38:39], v[50:51], v[22:23]
	v_add_f64 v[36:37], v[32:33], -v[36:37]
	s_waitcnt lgkmcnt(0)
	v_mul_f64 v[32:33], v[20:21], v[28:29]
	v_add_f64 v[38:39], v[34:35], -v[38:39]
	v_fma_f64 v[44:45], v[18:19], v[26:27], -v[32:33]
	ds_read_b128 v[32:35], v30 offset:848
	v_mul_f64 v[18:19], v[18:19], v[28:29]
	v_fmac_f64_e32 v[18:19], v[20:21], v[26:27]
	v_add_f64 v[38:39], v[38:39], -v[18:19]
	ds_read_b128 v[18:21], v30 offset:864
	v_add_f64 v[36:37], v[36:37], -v[44:45]
	s_waitcnt lgkmcnt(1)
	v_mul_f64 v[44:45], v[34:35], v[42:43]
	v_fma_f64 v[44:45], v[32:33], v[40:41], -v[44:45]
	v_mul_f64 v[32:33], v[32:33], v[42:43]
	v_fmac_f64_e32 v[32:33], v[34:35], v[40:41]
	v_add_f64 v[34:35], v[38:39], -v[32:33]
	v_add_f64 v[36:37], v[36:37], -v[44:45]
	s_waitcnt lgkmcnt(0)
	v_mul_f64 v[32:33], v[20:21], v[34:35]
	v_mul_f64 v[34:35], v[18:19], v[34:35]
	v_fma_f64 v[32:33], v[18:19], v[36:37], -v[32:33]
	v_fmac_f64_e32 v[34:35], v[20:21], v[36:37]
	ds_read_b128 v[18:21], v30 offset:896
	ds_write_b128 v1, v[32:35] offset:768
	ds_read_b128 v[36:39], v30 offset:912
	ds_read_b128 v[44:47], v30 offset:928
	;; [unrolled: 1-line block ×3, first 2 shown]
	s_waitcnt lgkmcnt(4)
	v_mul_f64 v[52:53], v[20:21], v[8:9]
	v_mul_f64 v[8:9], v[18:19], v[8:9]
	v_fma_f64 v[52:53], v[18:19], v[6:7], -v[52:53]
	v_fmac_f64_e32 v[8:9], v[20:21], v[6:7]
	s_waitcnt lgkmcnt(2)
	v_mul_f64 v[6:7], v[38:39], v[12:13]
	v_add_f64 v[2:3], v[2:3], -v[52:53]
	v_add_f64 v[4:5], v[4:5], -v[8:9]
	v_fma_f64 v[6:7], v[36:37], v[10:11], -v[6:7]
	v_mul_f64 v[8:9], v[36:37], v[12:13]
	v_fmac_f64_e32 v[8:9], v[38:39], v[10:11]
	v_add_f64 v[2:3], v[2:3], -v[6:7]
	s_waitcnt lgkmcnt(1)
	v_mul_f64 v[6:7], v[46:47], v[16:17]
	v_add_f64 v[4:5], v[4:5], -v[8:9]
	v_fma_f64 v[6:7], v[44:45], v[14:15], -v[6:7]
	v_mul_f64 v[8:9], v[44:45], v[16:17]
	v_fmac_f64_e32 v[8:9], v[46:47], v[14:15]
	v_add_f64 v[6:7], v[2:3], -v[6:7]
	s_waitcnt lgkmcnt(0)
	v_mul_f64 v[2:3], v[50:51], v[24:25]
	v_add_f64 v[8:9], v[4:5], -v[8:9]
	v_fma_f64 v[10:11], v[48:49], v[22:23], -v[2:3]
	ds_read_b128 v[2:5], v30 offset:960
	v_mul_f64 v[12:13], v[48:49], v[24:25]
	v_fmac_f64_e32 v[12:13], v[50:51], v[22:23]
	v_add_f64 v[10:11], v[6:7], -v[10:11]
	v_add_f64 v[12:13], v[8:9], -v[12:13]
	ds_read_b128 v[6:9], v30 offset:976
	s_waitcnt lgkmcnt(1)
	v_mul_f64 v[14:15], v[4:5], v[28:29]
	v_fma_f64 v[14:15], v[2:3], v[26:27], -v[14:15]
	v_mul_f64 v[2:3], v[2:3], v[28:29]
	v_fmac_f64_e32 v[2:3], v[4:5], v[26:27]
	v_add_f64 v[12:13], v[12:13], -v[2:3]
	s_waitcnt lgkmcnt(0)
	v_mul_f64 v[2:3], v[8:9], v[42:43]
	v_add_f64 v[10:11], v[10:11], -v[14:15]
	v_fma_f64 v[14:15], v[6:7], v[40:41], -v[2:3]
	ds_read_b128 v[2:5], v30 offset:992
	v_mul_f64 v[6:7], v[6:7], v[42:43]
	v_fmac_f64_e32 v[6:7], v[8:9], v[40:41]
	v_add_f64 v[12:13], v[12:13], -v[6:7]
	ds_read_b128 v[6:9], v30 offset:1008
	v_add_f64 v[10:11], v[10:11], -v[14:15]
	s_waitcnt lgkmcnt(1)
	v_mul_f64 v[14:15], v[4:5], v[34:35]
	v_fma_f64 v[14:15], v[2:3], v[32:33], -v[14:15]
	v_mul_f64 v[2:3], v[2:3], v[34:35]
	v_fmac_f64_e32 v[2:3], v[4:5], v[32:33]
	v_add_f64 v[4:5], v[12:13], -v[2:3]
	v_add_f64 v[10:11], v[10:11], -v[14:15]
	s_waitcnt lgkmcnt(0)
	v_mul_f64 v[2:3], v[8:9], v[4:5]
	v_mul_f64 v[4:5], v[6:7], v[4:5]
	v_fma_f64 v[2:3], v[6:7], v[10:11], -v[2:3]
	v_fmac_f64_e32 v[4:5], v[8:9], v[10:11]
	ds_write_b128 v1, v[2:5] offset:896
.LBB204_17:
	s_cmp_lt_i32 s4, s24
	s_cbranch_scc0 .LBB204_30
; %bb.18:
	s_or_b32 s5, s4, 3
	s_cmp_ge_u32 s5, s24
	s_cbranch_scc1 .LBB204_24
; %bb.19:
	v_mov_b32_e32 v2, 0x400
	s_lshl_b32 s5, s4, 7
	v_lshl_or_b32 v22, v0, 4, v2
.LBB204_20:                             ; =>This Loop Header: Depth=1
                                        ;     Child Loop BB204_21 Depth 2
	s_lshl_b32 s6, s4, 7
	v_add_u32_e32 v23, s6, v1
	ds_read_b128 v[10:13], v23
	ds_read_b128 v[6:9], v23 offset:128
	ds_read_b128 v[14:17], v23 offset:256
	;; [unrolled: 1-line block ×3, first 2 shown]
	s_cmp_eq_u32 s4, 0
	s_mov_b32 s7, s4
	v_mov_b32_e32 v24, v22
	s_mov_b32 s10, s5
	s_cbranch_scc1 .LBB204_22
.LBB204_21:                             ;   Parent Loop BB204_20 Depth=1
                                        ; =>  This Inner Loop Header: Depth=2
	ds_read_b128 v[26:29], v24
	v_mov_b32_e32 v25, s10
	ds_read_b128 v[30:33], v25
	ds_read_b128 v[34:37], v25 offset:16
	ds_read_b128 v[38:41], v25 offset:32
	;; [unrolled: 1-line block ×3, first 2 shown]
	s_add_i32 s10, s10, 64
	s_add_i32 s7, s7, -4
	s_waitcnt lgkmcnt(3)
	v_mul_f64 v[42:43], v[28:29], v[32:33]
	v_mul_f64 v[32:33], v[26:27], v[32:33]
	v_fma_f64 v[42:43], v[26:27], v[30:31], -v[42:43]
	v_fmac_f64_e32 v[32:33], v[28:29], v[30:31]
	v_add_f64 v[30:31], v[10:11], -v[42:43]
	v_add_f64 v[32:33], v[12:13], -v[32:33]
	ds_read_b128 v[10:13], v25 offset:128
	s_cmp_lg_u32 s7, 0
	s_waitcnt lgkmcnt(0)
	v_mul_f64 v[42:43], v[28:29], v[12:13]
	v_mul_f64 v[12:13], v[26:27], v[12:13]
	v_fma_f64 v[42:43], v[26:27], v[10:11], -v[42:43]
	v_fmac_f64_e32 v[12:13], v[28:29], v[10:11]
	v_add_f64 v[10:11], v[6:7], -v[42:43]
	v_add_f64 v[12:13], v[8:9], -v[12:13]
	ds_read_b128 v[6:9], v25 offset:256
	s_waitcnt lgkmcnt(0)
	v_mul_f64 v[42:43], v[28:29], v[8:9]
	v_mul_f64 v[8:9], v[26:27], v[8:9]
	v_fmac_f64_e32 v[8:9], v[28:29], v[6:7]
	v_fma_f64 v[42:43], v[26:27], v[6:7], -v[42:43]
	v_add_f64 v[16:17], v[16:17], -v[8:9]
	ds_read_b128 v[6:9], v25 offset:384
	v_add_f64 v[14:15], v[14:15], -v[42:43]
	s_waitcnt lgkmcnt(0)
	v_mul_f64 v[42:43], v[28:29], v[8:9]
	v_mul_f64 v[8:9], v[26:27], v[8:9]
	v_fma_f64 v[42:43], v[26:27], v[6:7], -v[42:43]
	v_fmac_f64_e32 v[8:9], v[28:29], v[6:7]
	v_add_f64 v[26:27], v[2:3], -v[42:43]
	v_add_f64 v[28:29], v[4:5], -v[8:9]
	ds_read_b128 v[2:5], v24 offset:128
	s_waitcnt lgkmcnt(0)
	v_mul_f64 v[6:7], v[4:5], v[36:37]
	v_mul_f64 v[8:9], v[2:3], v[36:37]
	v_fma_f64 v[6:7], v[2:3], v[34:35], -v[6:7]
	v_fmac_f64_e32 v[8:9], v[4:5], v[34:35]
	v_add_f64 v[30:31], v[30:31], -v[6:7]
	v_add_f64 v[32:33], v[32:33], -v[8:9]
	ds_read_b128 v[6:9], v25 offset:144
	s_waitcnt lgkmcnt(0)
	v_mul_f64 v[34:35], v[4:5], v[8:9]
	v_mul_f64 v[8:9], v[2:3], v[8:9]
	v_fmac_f64_e32 v[8:9], v[4:5], v[6:7]
	v_fma_f64 v[34:35], v[2:3], v[6:7], -v[34:35]
	v_add_f64 v[12:13], v[12:13], -v[8:9]
	ds_read_b128 v[6:9], v25 offset:272
	v_add_f64 v[10:11], v[10:11], -v[34:35]
	s_waitcnt lgkmcnt(0)
	v_mul_f64 v[34:35], v[4:5], v[8:9]
	v_mul_f64 v[8:9], v[2:3], v[8:9]
	v_fmac_f64_e32 v[8:9], v[4:5], v[6:7]
	v_fma_f64 v[34:35], v[2:3], v[6:7], -v[34:35]
	v_add_f64 v[16:17], v[16:17], -v[8:9]
	ds_read_b128 v[6:9], v25 offset:400
	v_add_f64 v[14:15], v[14:15], -v[34:35]
	s_waitcnt lgkmcnt(0)
	v_mul_f64 v[34:35], v[4:5], v[8:9]
	v_fma_f64 v[34:35], v[2:3], v[6:7], -v[34:35]
	v_mul_f64 v[2:3], v[2:3], v[8:9]
	v_fmac_f64_e32 v[2:3], v[4:5], v[6:7]
	v_add_f64 v[28:29], v[28:29], -v[2:3]
	ds_read_b128 v[2:5], v24 offset:256
	v_add_f64 v[26:27], v[26:27], -v[34:35]
	s_waitcnt lgkmcnt(0)
	v_mul_f64 v[6:7], v[4:5], v[40:41]
	v_mul_f64 v[8:9], v[2:3], v[40:41]
	v_fma_f64 v[6:7], v[2:3], v[38:39], -v[6:7]
	v_fmac_f64_e32 v[8:9], v[4:5], v[38:39]
	v_add_f64 v[30:31], v[30:31], -v[6:7]
	v_add_f64 v[32:33], v[32:33], -v[8:9]
	ds_read_b128 v[6:9], v25 offset:160
	s_waitcnt lgkmcnt(0)
	v_mul_f64 v[34:35], v[4:5], v[8:9]
	v_mul_f64 v[8:9], v[2:3], v[8:9]
	v_fmac_f64_e32 v[8:9], v[4:5], v[6:7]
	v_fma_f64 v[34:35], v[2:3], v[6:7], -v[34:35]
	v_add_f64 v[36:37], v[12:13], -v[8:9]
	ds_read_b128 v[6:9], v25 offset:288
	v_add_f64 v[34:35], v[10:11], -v[34:35]
	s_waitcnt lgkmcnt(0)
	v_mul_f64 v[10:11], v[4:5], v[8:9]
	v_mul_f64 v[8:9], v[2:3], v[8:9]
	v_fmac_f64_e32 v[8:9], v[4:5], v[6:7]
	v_fma_f64 v[10:11], v[2:3], v[6:7], -v[10:11]
	v_add_f64 v[40:41], v[16:17], -v[8:9]
	ds_read_b128 v[6:9], v25 offset:416
	v_add_f64 v[38:39], v[14:15], -v[10:11]
	s_waitcnt lgkmcnt(0)
	v_mul_f64 v[10:11], v[4:5], v[8:9]
	v_fma_f64 v[10:11], v[2:3], v[6:7], -v[10:11]
	v_mul_f64 v[2:3], v[2:3], v[8:9]
	v_fmac_f64_e32 v[2:3], v[4:5], v[6:7]
	v_add_f64 v[28:29], v[28:29], -v[2:3]
	ds_read_b128 v[2:5], v24 offset:384
	v_add_f64 v[26:27], v[26:27], -v[10:11]
	v_add_u32_e32 v24, 0x200, v24
	s_waitcnt lgkmcnt(0)
	v_mul_f64 v[6:7], v[4:5], v[20:21]
	v_mul_f64 v[8:9], v[2:3], v[20:21]
	v_fma_f64 v[6:7], v[2:3], v[18:19], -v[6:7]
	v_fmac_f64_e32 v[8:9], v[4:5], v[18:19]
	v_add_f64 v[10:11], v[30:31], -v[6:7]
	v_add_f64 v[12:13], v[32:33], -v[8:9]
	ds_read_b128 v[6:9], v25 offset:176
	s_waitcnt lgkmcnt(0)
	v_mul_f64 v[14:15], v[4:5], v[8:9]
	v_fma_f64 v[14:15], v[2:3], v[6:7], -v[14:15]
	v_mul_f64 v[8:9], v[2:3], v[8:9]
	v_fmac_f64_e32 v[8:9], v[4:5], v[6:7]
	v_add_f64 v[6:7], v[34:35], -v[14:15]
	ds_read_b128 v[14:17], v25 offset:304
	v_add_f64 v[8:9], v[36:37], -v[8:9]
	s_waitcnt lgkmcnt(0)
	v_mul_f64 v[18:19], v[4:5], v[16:17]
	v_fma_f64 v[18:19], v[2:3], v[14:15], -v[18:19]
	v_mul_f64 v[16:17], v[2:3], v[16:17]
	v_fmac_f64_e32 v[16:17], v[4:5], v[14:15]
	v_add_f64 v[14:15], v[38:39], -v[18:19]
	ds_read_b128 v[18:21], v25 offset:432
	v_add_f64 v[16:17], v[40:41], -v[16:17]
	s_waitcnt lgkmcnt(0)
	v_mul_f64 v[30:31], v[4:5], v[20:21]
	v_mul_f64 v[20:21], v[2:3], v[20:21]
	v_fma_f64 v[30:31], v[2:3], v[18:19], -v[30:31]
	v_fmac_f64_e32 v[20:21], v[4:5], v[18:19]
	v_add_f64 v[2:3], v[26:27], -v[30:31]
	v_add_f64 v[4:5], v[28:29], -v[20:21]
	s_cbranch_scc1 .LBB204_21
.LBB204_22:                             ;   in Loop: Header=BB204_20 Depth=1
	s_lshl_b32 s7, s4, 4
	s_add_i32 s10, s7, s6
	v_mov_b32_e32 v34, s10
	ds_read_b128 v[18:21], v34
	ds_read_b128 v[24:27], v34 offset:144
	s_or_b32 s10, s6, 0x80
	s_add_i32 s11, s7, s10
	s_addk_i32 s5, 0x200
	s_waitcnt lgkmcnt(1)
	v_mul_f64 v[28:29], v[20:21], v[12:13]
	v_mul_f64 v[30:31], v[18:19], v[12:13]
	v_fma_f64 v[28:29], v[18:19], v[10:11], -v[28:29]
	v_fmac_f64_e32 v[30:31], v[20:21], v[10:11]
	v_mov_b32_e32 v10, s11
	ds_read_b128 v[10:13], v10
	s_or_b32 s11, s6, 0x100
	s_add_i32 s12, s7, s11
	ds_write_b128 v23, v[28:31]
	v_mov_b32_e32 v23, s12
	ds_read_b128 v[18:21], v23
	s_waitcnt lgkmcnt(2)
	v_mul_f64 v[32:33], v[12:13], v[30:31]
	v_fma_f64 v[32:33], v[10:11], v[28:29], -v[32:33]
	v_mul_f64 v[10:11], v[10:11], v[30:31]
	v_fmac_f64_e32 v[10:11], v[12:13], v[28:29]
	v_add_f64 v[8:9], v[8:9], -v[10:11]
	v_add_f64 v[12:13], v[6:7], -v[32:33]
	v_mul_f64 v[6:7], v[26:27], v[8:9]
	v_mul_f64 v[8:9], v[24:25], v[8:9]
	v_fma_f64 v[6:7], v[24:25], v[12:13], -v[6:7]
	v_fmac_f64_e32 v[8:9], v[26:27], v[12:13]
	v_add_u32_e32 v10, s10, v1
	ds_write_b128 v10, v[6:9]
	ds_read_b128 v[10:13], v23 offset:16
	s_waitcnt lgkmcnt(2)
	v_mul_f64 v[24:25], v[20:21], v[30:31]
	v_fma_f64 v[24:25], v[18:19], v[28:29], -v[24:25]
	v_mul_f64 v[18:19], v[18:19], v[30:31]
	s_or_b32 s6, s6, 0x180
	v_fmac_f64_e32 v[18:19], v[20:21], v[28:29]
	s_add_i32 s7, s7, s6
	v_add_f64 v[26:27], v[16:17], -v[18:19]
	v_mov_b32_e32 v23, s7
	s_waitcnt lgkmcnt(0)
	v_mul_f64 v[18:19], v[12:13], v[8:9]
	v_add_f64 v[24:25], v[14:15], -v[24:25]
	ds_read_b128 v[14:17], v23
	v_fma_f64 v[32:33], v[10:11], v[6:7], -v[18:19]
	ds_read_b128 v[18:21], v34 offset:288
	v_mul_f64 v[10:11], v[10:11], v[8:9]
	v_fmac_f64_e32 v[10:11], v[12:13], v[6:7]
	v_add_f64 v[26:27], v[26:27], -v[10:11]
	v_add_f64 v[32:33], v[24:25], -v[32:33]
	s_waitcnt lgkmcnt(0)
	v_mul_f64 v[24:25], v[20:21], v[26:27]
	v_mul_f64 v[26:27], v[18:19], v[26:27]
	v_fma_f64 v[24:25], v[18:19], v[32:33], -v[24:25]
	v_fmac_f64_e32 v[26:27], v[20:21], v[32:33]
	v_add_u32_e32 v18, s11, v1
	ds_write_b128 v18, v[24:27]
	ds_read_b128 v[10:13], v34 offset:432
	ds_read_b128 v[18:21], v23 offset:16
	;; [unrolled: 1-line block ×3, first 2 shown]
	v_mul_f64 v[36:37], v[16:17], v[30:31]
	v_fma_f64 v[36:37], v[14:15], v[28:29], -v[36:37]
	v_mul_f64 v[14:15], v[14:15], v[30:31]
	v_fmac_f64_e32 v[14:15], v[16:17], v[28:29]
	v_add_f64 v[4:5], v[4:5], -v[14:15]
	s_waitcnt lgkmcnt(1)
	v_mul_f64 v[14:15], v[20:21], v[8:9]
	v_mul_f64 v[8:9], v[18:19], v[8:9]
	v_fmac_f64_e32 v[8:9], v[20:21], v[6:7]
	v_add_f64 v[4:5], v[4:5], -v[8:9]
	s_waitcnt lgkmcnt(0)
	v_mul_f64 v[8:9], v[32:33], v[26:27]
	v_add_f64 v[2:3], v[2:3], -v[36:37]
	v_fma_f64 v[14:15], v[18:19], v[6:7], -v[14:15]
	v_mul_f64 v[6:7], v[34:35], v[26:27]
	v_fmac_f64_e32 v[8:9], v[34:35], v[24:25]
	v_add_f64 v[2:3], v[2:3], -v[14:15]
	v_fma_f64 v[6:7], v[32:33], v[24:25], -v[6:7]
	v_add_f64 v[4:5], v[4:5], -v[8:9]
	v_add_f64 v[6:7], v[2:3], -v[6:7]
	v_mul_f64 v[2:3], v[12:13], v[4:5]
	v_mul_f64 v[4:5], v[10:11], v[4:5]
	v_fma_f64 v[2:3], v[10:11], v[6:7], -v[2:3]
	v_fmac_f64_e32 v[4:5], v[12:13], v[6:7]
	v_add_u32_e32 v6, s6, v1
	s_add_i32 s6, s4, 4
	s_add_i32 s4, s4, 7
	s_cmp_lt_i32 s4, s24
	ds_write_b128 v6, v[2:5]
	s_cbranch_scc0 .LBB204_25
; %bb.23:                               ;   in Loop: Header=BB204_20 Depth=1
	s_mov_b32 s4, s6
	s_branch .LBB204_20
.LBB204_24:
	s_mov_b32 s6, s4
.LBB204_25:
	s_cmp_ge_i32 s6, s24
	s_cbranch_scc1 .LBB204_30
; %bb.26:
	v_mov_b32_e32 v2, 0x400
	s_lshl_b32 s4, s6, 7
	v_lshl_or_b32 v6, v0, 4, v2
	s_branch .LBB204_28
.LBB204_27:                             ;   in Loop: Header=BB204_28 Depth=1
	s_mul_i32 s5, s6, 0x90
	v_mov_b32_e32 v8, s5
	ds_read_b128 v[8:11], v8
	s_add_i32 s6, s6, 1
	s_addk_i32 s4, 0x80
	s_cmp_ge_i32 s6, s24
	s_waitcnt lgkmcnt(0)
	v_mul_f64 v[12:13], v[10:11], v[4:5]
	v_mul_f64 v[14:15], v[8:9], v[4:5]
	v_fma_f64 v[12:13], v[8:9], v[2:3], -v[12:13]
	v_fmac_f64_e32 v[14:15], v[10:11], v[2:3]
	ds_write_b128 v7, v[12:15]
	s_cbranch_scc1 .LBB204_30
.LBB204_28:                             ; =>This Loop Header: Depth=1
                                        ;     Child Loop BB204_29 Depth 2
	s_lshl_b32 s5, s6, 7
	v_add_u32_e32 v7, s5, v1
	ds_read_b128 v[2:5], v7
	s_cmp_eq_u32 s6, 0
	v_mov_b32_e32 v8, v6
	s_mov_b32 s5, s6
	s_mov_b32 s7, s4
	s_cbranch_scc1 .LBB204_27
.LBB204_29:                             ;   Parent Loop BB204_28 Depth=1
                                        ; =>  This Inner Loop Header: Depth=2
	v_mov_b32_e32 v9, s7
	ds_read_b128 v[10:13], v8
	ds_read_b128 v[14:17], v9
	s_add_i32 s7, s7, 16
	s_add_i32 s5, s5, -1
	v_add_u32_e32 v8, 0x80, v8
	s_cmp_lg_u32 s5, 0
	s_waitcnt lgkmcnt(0)
	v_mul_f64 v[18:19], v[12:13], v[16:17]
	v_mul_f64 v[16:17], v[10:11], v[16:17]
	v_fma_f64 v[10:11], v[10:11], v[14:15], -v[18:19]
	v_fmac_f64_e32 v[16:17], v[12:13], v[14:15]
	v_add_f64 v[2:3], v[2:3], -v[10:11]
	v_add_f64 v[4:5], v[4:5], -v[16:17]
	s_cbranch_scc1 .LBB204_29
	s_branch .LBB204_27
.LBB204_30:
	s_mov_b64 s[4:5], 0
.LBB204_31:
	s_and_b64 vcc, exec, s[4:5]
	s_cbranch_vccz .LBB204_53
; %bb.32:
	s_add_i32 s4, s24, -1
	s_cmp_gt_i32 s14, 7
	s_mov_b32 s5, s4
	s_cbranch_scc0 .LBB204_34
; %bb.33:
	v_mov_b32_e32 v34, 0
	ds_read_b128 v[2:5], v1 offset:896
	ds_read_b128 v[6:9], v1 offset:768
	;; [unrolled: 1-line block ×7, first 2 shown]
	ds_read_b128 v[26:29], v1
	ds_read_b128 v[18:21], v34 offset:1008
	s_mov_b32 s5, -1
	s_waitcnt lgkmcnt(0)
	v_mul_f64 v[22:23], v[20:21], v[4:5]
	v_mul_f64 v[32:33], v[18:19], v[4:5]
	v_fma_f64 v[30:31], v[18:19], v[2:3], -v[22:23]
	v_fmac_f64_e32 v[32:33], v[20:21], v[2:3]
	ds_read_b128 v[2:5], v34 offset:992
	ds_write_b128 v1, v[30:33] offset:896
	s_waitcnt lgkmcnt(1)
	v_mul_f64 v[18:19], v[4:5], v[32:33]
	v_fma_f64 v[18:19], v[2:3], v[30:31], -v[18:19]
	v_mul_f64 v[2:3], v[2:3], v[32:33]
	v_fmac_f64_e32 v[2:3], v[4:5], v[30:31]
	v_add_f64 v[8:9], v[8:9], -v[2:3]
	ds_read_b128 v[2:5], v34 offset:864
	v_add_f64 v[6:7], v[6:7], -v[18:19]
	s_waitcnt lgkmcnt(0)
	v_mul_f64 v[18:19], v[4:5], v[8:9]
	v_mul_f64 v[20:21], v[2:3], v[8:9]
	v_fma_f64 v[18:19], v[2:3], v[6:7], -v[18:19]
	v_fmac_f64_e32 v[20:21], v[4:5], v[6:7]
	ds_read_b128 v[2:5], v34 offset:976
	ds_write_b128 v1, v[18:21] offset:768
	s_waitcnt lgkmcnt(1)
	v_mul_f64 v[6:7], v[4:5], v[32:33]
	v_fma_f64 v[6:7], v[2:3], v[30:31], -v[6:7]
	v_mul_f64 v[2:3], v[2:3], v[32:33]
	v_fmac_f64_e32 v[2:3], v[4:5], v[30:31]
	v_add_f64 v[8:9], v[12:13], -v[2:3]
	ds_read_b128 v[2:5], v34 offset:848
	v_add_f64 v[6:7], v[10:11], -v[6:7]
	s_waitcnt lgkmcnt(0)
	v_mul_f64 v[10:11], v[4:5], v[20:21]
	v_fma_f64 v[10:11], v[2:3], v[18:19], -v[10:11]
	v_mul_f64 v[2:3], v[2:3], v[20:21]
	v_fmac_f64_e32 v[2:3], v[4:5], v[18:19]
	v_add_f64 v[8:9], v[8:9], -v[2:3]
	ds_read_b128 v[2:5], v34 offset:720
	v_add_f64 v[6:7], v[6:7], -v[10:11]
	s_waitcnt lgkmcnt(0)
	v_mul_f64 v[10:11], v[4:5], v[8:9]
	v_mul_f64 v[24:25], v[2:3], v[8:9]
	v_fma_f64 v[22:23], v[2:3], v[6:7], -v[10:11]
	v_fmac_f64_e32 v[24:25], v[4:5], v[6:7]
	ds_read_b128 v[2:5], v34 offset:960
	ds_write_b128 v1, v[22:25] offset:640
	s_waitcnt lgkmcnt(1)
	v_mul_f64 v[6:7], v[4:5], v[32:33]
	v_fma_f64 v[6:7], v[2:3], v[30:31], -v[6:7]
	v_mul_f64 v[2:3], v[2:3], v[32:33]
	v_fmac_f64_e32 v[2:3], v[4:5], v[30:31]
	v_add_f64 v[8:9], v[38:39], -v[2:3]
	ds_read_b128 v[2:5], v34 offset:832
	v_add_f64 v[6:7], v[36:37], -v[6:7]
	s_waitcnt lgkmcnt(0)
	v_mul_f64 v[10:11], v[4:5], v[20:21]
	v_fma_f64 v[10:11], v[2:3], v[18:19], -v[10:11]
	v_mul_f64 v[2:3], v[2:3], v[20:21]
	v_fmac_f64_e32 v[2:3], v[4:5], v[18:19]
	v_add_f64 v[8:9], v[8:9], -v[2:3]
	ds_read_b128 v[2:5], v34 offset:704
	v_add_f64 v[6:7], v[6:7], -v[10:11]
	;; [unrolled: 8-line block ×3, first 2 shown]
	s_waitcnt lgkmcnt(0)
	v_mul_f64 v[6:7], v[4:5], v[8:9]
	v_mul_f64 v[8:9], v[2:3], v[8:9]
	v_fma_f64 v[6:7], v[2:3], v[10:11], -v[6:7]
	v_fmac_f64_e32 v[8:9], v[4:5], v[10:11]
	ds_read_b128 v[2:5], v34 offset:944
	ds_write_b128 v1, v[6:9] offset:512
	s_waitcnt lgkmcnt(1)
	v_mul_f64 v[10:11], v[4:5], v[32:33]
	v_fma_f64 v[10:11], v[2:3], v[30:31], -v[10:11]
	v_mul_f64 v[2:3], v[2:3], v[32:33]
	v_fmac_f64_e32 v[2:3], v[4:5], v[30:31]
	v_add_f64 v[12:13], v[42:43], -v[2:3]
	ds_read_b128 v[2:5], v34 offset:816
	v_add_f64 v[10:11], v[40:41], -v[10:11]
	s_waitcnt lgkmcnt(0)
	v_mul_f64 v[36:37], v[4:5], v[20:21]
	v_fma_f64 v[36:37], v[2:3], v[18:19], -v[36:37]
	v_mul_f64 v[2:3], v[2:3], v[20:21]
	v_fmac_f64_e32 v[2:3], v[4:5], v[18:19]
	v_add_f64 v[12:13], v[12:13], -v[2:3]
	ds_read_b128 v[2:5], v34 offset:688
	v_add_f64 v[10:11], v[10:11], -v[36:37]
	;; [unrolled: 8-line block ×4, first 2 shown]
	s_waitcnt lgkmcnt(0)
	v_mul_f64 v[10:11], v[4:5], v[12:13]
	v_mul_f64 v[12:13], v[2:3], v[12:13]
	v_fma_f64 v[10:11], v[2:3], v[36:37], -v[10:11]
	v_fmac_f64_e32 v[12:13], v[4:5], v[36:37]
	ds_read_b128 v[2:5], v34 offset:928
	ds_write_b128 v1, v[10:13] offset:384
	s_waitcnt lgkmcnt(1)
	v_mul_f64 v[36:37], v[4:5], v[32:33]
	v_fma_f64 v[36:37], v[2:3], v[30:31], -v[36:37]
	v_mul_f64 v[2:3], v[2:3], v[32:33]
	v_fmac_f64_e32 v[2:3], v[4:5], v[30:31]
	v_add_f64 v[38:39], v[46:47], -v[2:3]
	ds_read_b128 v[2:5], v34 offset:800
	v_add_f64 v[36:37], v[44:45], -v[36:37]
	s_waitcnt lgkmcnt(0)
	v_mul_f64 v[40:41], v[4:5], v[20:21]
	v_fma_f64 v[40:41], v[2:3], v[18:19], -v[40:41]
	v_mul_f64 v[2:3], v[2:3], v[20:21]
	v_fmac_f64_e32 v[2:3], v[4:5], v[18:19]
	v_add_f64 v[38:39], v[38:39], -v[2:3]
	ds_read_b128 v[2:5], v34 offset:672
	v_add_f64 v[36:37], v[36:37], -v[40:41]
	;; [unrolled: 8-line block ×4, first 2 shown]
	s_waitcnt lgkmcnt(0)
	v_mul_f64 v[40:41], v[4:5], v[12:13]
	v_fma_f64 v[40:41], v[2:3], v[10:11], -v[40:41]
	v_mul_f64 v[2:3], v[2:3], v[12:13]
	v_fmac_f64_e32 v[2:3], v[4:5], v[10:11]
	v_add_f64 v[40:41], v[36:37], -v[40:41]
	v_add_f64 v[4:5], v[38:39], -v[2:3]
	ds_read_b128 v[36:39], v34 offset:288
	s_waitcnt lgkmcnt(0)
	v_mul_f64 v[2:3], v[38:39], v[4:5]
	v_mul_f64 v[4:5], v[36:37], v[4:5]
	v_fma_f64 v[2:3], v[36:37], v[40:41], -v[2:3]
	v_fmac_f64_e32 v[4:5], v[38:39], v[40:41]
	ds_read_b128 v[36:39], v34 offset:912
	ds_write_b128 v1, v[2:5] offset:256
	s_waitcnt lgkmcnt(1)
	v_mul_f64 v[40:41], v[38:39], v[32:33]
	v_fma_f64 v[40:41], v[36:37], v[30:31], -v[40:41]
	v_mul_f64 v[36:37], v[36:37], v[32:33]
	v_fmac_f64_e32 v[36:37], v[38:39], v[30:31]
	v_add_f64 v[38:39], v[14:15], -v[40:41]
	v_add_f64 v[36:37], v[16:17], -v[36:37]
	ds_read_b128 v[14:17], v34 offset:784
	s_waitcnt lgkmcnt(0)
	v_mul_f64 v[40:41], v[16:17], v[20:21]
	v_fma_f64 v[40:41], v[14:15], v[18:19], -v[40:41]
	v_mul_f64 v[14:15], v[14:15], v[20:21]
	v_fmac_f64_e32 v[14:15], v[16:17], v[18:19]
	v_add_f64 v[36:37], v[36:37], -v[14:15]
	ds_read_b128 v[14:17], v34 offset:656
	v_add_f64 v[38:39], v[38:39], -v[40:41]
	s_waitcnt lgkmcnt(0)
	v_mul_f64 v[40:41], v[16:17], v[24:25]
	v_fma_f64 v[40:41], v[14:15], v[22:23], -v[40:41]
	v_mul_f64 v[14:15], v[14:15], v[24:25]
	v_fmac_f64_e32 v[14:15], v[16:17], v[22:23]
	v_add_f64 v[36:37], v[36:37], -v[14:15]
	ds_read_b128 v[14:17], v34 offset:528
	v_add_f64 v[38:39], v[38:39], -v[40:41]
	;; [unrolled: 8-line block ×4, first 2 shown]
	s_waitcnt lgkmcnt(0)
	v_mul_f64 v[40:41], v[16:17], v[4:5]
	v_fma_f64 v[40:41], v[14:15], v[2:3], -v[40:41]
	v_mul_f64 v[14:15], v[14:15], v[4:5]
	v_fmac_f64_e32 v[14:15], v[16:17], v[2:3]
	v_add_f64 v[40:41], v[38:39], -v[40:41]
	v_add_f64 v[16:17], v[36:37], -v[14:15]
	ds_read_b128 v[36:39], v34 offset:144
	s_waitcnt lgkmcnt(0)
	v_mul_f64 v[14:15], v[38:39], v[16:17]
	v_mul_f64 v[16:17], v[36:37], v[16:17]
	v_fma_f64 v[14:15], v[36:37], v[40:41], -v[14:15]
	v_fmac_f64_e32 v[16:17], v[38:39], v[40:41]
	ds_read_b128 v[36:39], v34 offset:896
	ds_write_b128 v1, v[14:17] offset:128
	s_waitcnt lgkmcnt(1)
	v_mul_f64 v[40:41], v[38:39], v[32:33]
	v_mul_f64 v[32:33], v[36:37], v[32:33]
	v_fmac_f64_e32 v[32:33], v[38:39], v[30:31]
	v_fma_f64 v[40:41], v[36:37], v[30:31], -v[40:41]
	v_add_f64 v[28:29], v[28:29], -v[32:33]
	ds_read_b128 v[30:33], v34 offset:768
	v_add_f64 v[26:27], v[26:27], -v[40:41]
	s_waitcnt lgkmcnt(0)
	v_mul_f64 v[36:37], v[32:33], v[20:21]
	v_mul_f64 v[20:21], v[30:31], v[20:21]
	v_fmac_f64_e32 v[20:21], v[32:33], v[18:19]
	v_fma_f64 v[36:37], v[30:31], v[18:19], -v[36:37]
	v_add_f64 v[28:29], v[28:29], -v[20:21]
	ds_read_b128 v[18:21], v34 offset:640
	v_add_f64 v[26:27], v[26:27], -v[36:37]
	s_waitcnt lgkmcnt(0)
	v_mul_f64 v[30:31], v[20:21], v[24:25]
	v_fma_f64 v[30:31], v[18:19], v[22:23], -v[30:31]
	v_mul_f64 v[18:19], v[18:19], v[24:25]
	v_fmac_f64_e32 v[18:19], v[20:21], v[22:23]
	v_add_f64 v[24:25], v[28:29], -v[18:19]
	ds_read_b128 v[18:21], v34 offset:512
	v_add_f64 v[22:23], v[26:27], -v[30:31]
	s_waitcnt lgkmcnt(0)
	v_mul_f64 v[26:27], v[20:21], v[8:9]
	v_mul_f64 v[8:9], v[18:19], v[8:9]
	v_fmac_f64_e32 v[8:9], v[20:21], v[6:7]
	v_fma_f64 v[26:27], v[18:19], v[6:7], -v[26:27]
	v_add_f64 v[20:21], v[24:25], -v[8:9]
	ds_read_b128 v[6:9], v34 offset:384
	v_add_f64 v[18:19], v[22:23], -v[26:27]
	s_waitcnt lgkmcnt(0)
	v_mul_f64 v[22:23], v[8:9], v[12:13]
	v_fma_f64 v[22:23], v[6:7], v[10:11], -v[22:23]
	v_mul_f64 v[6:7], v[6:7], v[12:13]
	v_fmac_f64_e32 v[6:7], v[8:9], v[10:11]
	v_add_f64 v[12:13], v[20:21], -v[6:7]
	ds_read_b128 v[6:9], v34 offset:256
	v_add_f64 v[10:11], v[18:19], -v[22:23]
	s_waitcnt lgkmcnt(0)
	v_mul_f64 v[18:19], v[8:9], v[4:5]
	v_mul_f64 v[4:5], v[6:7], v[4:5]
	v_fmac_f64_e32 v[4:5], v[8:9], v[2:3]
	v_fma_f64 v[18:19], v[6:7], v[2:3], -v[18:19]
	v_add_f64 v[8:9], v[12:13], -v[4:5]
	ds_read_b128 v[2:5], v34 offset:128
	v_add_f64 v[6:7], v[10:11], -v[18:19]
	s_waitcnt lgkmcnt(0)
	v_mul_f64 v[10:11], v[4:5], v[16:17]
	v_fma_f64 v[10:11], v[2:3], v[14:15], -v[10:11]
	v_mul_f64 v[2:3], v[2:3], v[16:17]
	v_fmac_f64_e32 v[2:3], v[4:5], v[14:15]
	v_add_f64 v[8:9], v[8:9], -v[2:3]
	ds_read_b128 v[2:5], v34
	v_add_f64 v[10:11], v[6:7], -v[10:11]
	s_waitcnt lgkmcnt(0)
	v_mul_f64 v[6:7], v[4:5], v[8:9]
	v_mul_f64 v[8:9], v[2:3], v[8:9]
	v_fma_f64 v[6:7], v[2:3], v[10:11], -v[6:7]
	v_fmac_f64_e32 v[8:9], v[4:5], v[10:11]
	ds_write_b128 v1, v[6:9]
.LBB204_34:
	s_cmp_gt_i32 s5, -1
	s_cbranch_scc0 .LBB204_53
; %bb.35:
	s_cmp_lt_u32 s5, 3
	s_cbranch_scc1 .LBB204_40
; %bb.36:
	s_lshl_b32 s6, s5, 7
	v_add_u32_e32 v18, s6, v1
	v_add_u32_e32 v2, 0xffffff80, v18
	ds_read_b128 v[14:17], v18
	ds_read_b128 v[10:13], v2
	v_add_u32_e32 v2, 0xffffff00, v18
	v_add_u32_e32 v3, 0xfffffe80, v18
	ds_read_b128 v[6:9], v2
	ds_read_b128 v[2:5], v3
	s_cmp_le_i32 s4, s5
	s_cbranch_scc1 .LBB204_39
; %bb.37:
	s_lshl_b32 s7, s24, 7
	s_lshl_b32 s10, s5, 4
	v_lshl_or_b32 v19, v0, 4, s7
	s_add_i32 s7, s7, s10
	v_add_u32_e32 v19, 0x380, v19
	s_addk_i32 s7, 0xff50
	s_mov_b32 s10, s4
.LBB204_38:                             ; =>This Inner Loop Header: Depth=1
	v_mov_b32_e32 v36, s7
	ds_read_b128 v[20:23], v19
	ds_read_b128 v[24:27], v36 offset:48
	ds_read_b128 v[28:31], v36 offset:32
	ds_read_b128 v[32:35], v36
	ds_read_b128 v[36:39], v36 offset:16
	s_add_i32 s10, s10, -1
	s_addk_i32 s7, 0xff80
	v_add_u32_e32 v19, 0xffffff80, v19
	s_waitcnt lgkmcnt(3)
	v_mul_f64 v[40:41], v[22:23], v[26:27]
	v_mul_f64 v[26:27], v[20:21], v[26:27]
	s_waitcnt lgkmcnt(2)
	v_mul_f64 v[42:43], v[22:23], v[30:31]
	v_mul_f64 v[30:31], v[20:21], v[30:31]
	;; [unrolled: 3-line block ×3, first 2 shown]
	v_mul_f64 v[46:47], v[22:23], v[34:35]
	v_mul_f64 v[34:35], v[20:21], v[34:35]
	v_fma_f64 v[40:41], v[20:21], v[24:25], -v[40:41]
	v_fmac_f64_e32 v[26:27], v[22:23], v[24:25]
	v_fma_f64 v[24:25], v[20:21], v[28:29], -v[42:43]
	v_fmac_f64_e32 v[30:31], v[22:23], v[28:29]
	;; [unrolled: 2-line block ×4, first 2 shown]
	s_cmp_gt_i32 s10, s5
	v_add_f64 v[14:15], v[14:15], -v[40:41]
	v_add_f64 v[16:17], v[16:17], -v[26:27]
	v_add_f64 v[10:11], v[10:11], -v[24:25]
	v_add_f64 v[12:13], v[12:13], -v[30:31]
	v_add_f64 v[6:7], v[6:7], -v[28:29]
	v_add_f64 v[8:9], v[8:9], -v[38:39]
	v_add_f64 v[2:3], v[2:3], -v[20:21]
	v_add_f64 v[4:5], v[4:5], -v[34:35]
	s_cbranch_scc1 .LBB204_38
.LBB204_39:
	s_mul_i32 s7, s5, 0x90
	v_mov_b32_e32 v19, s7
	s_add_i32 s7, s5, -1
	s_lshl_b32 s10, s7, 4
	ds_read_b128 v[20:23], v19
	s_add_i32 s11, s10, s6
	v_mov_b32_e32 v19, s11
	ds_read_b128 v[24:27], v19
	s_lshl_b32 s7, s7, 7
	s_waitcnt lgkmcnt(1)
	v_mul_f64 v[30:31], v[20:21], v[16:17]
	v_mul_f64 v[28:29], v[22:23], v[16:17]
	v_fmac_f64_e32 v[30:31], v[22:23], v[14:15]
	v_fma_f64 v[28:29], v[20:21], v[14:15], -v[28:29]
	s_waitcnt lgkmcnt(0)
	v_mul_f64 v[14:15], v[26:27], v[30:31]
	v_fma_f64 v[14:15], v[24:25], v[28:29], -v[14:15]
	s_add_i32 s10, s10, s7
	v_mul_f64 v[16:17], v[24:25], v[30:31]
	v_add_f64 v[22:23], v[10:11], -v[14:15]
	v_mov_b32_e32 v10, s10
	s_add_i32 s10, s5, -2
	v_fmac_f64_e32 v[16:17], v[26:27], v[28:29]
	s_lshl_b32 s11, s10, 4
	v_add_f64 v[20:21], v[12:13], -v[16:17]
	ds_read_b128 v[10:13], v10
	s_add_i32 s12, s11, s6
	v_mov_b32_e32 v14, s12
	ds_read_b128 v[14:17], v14
	ds_write_b128 v18, v[28:31]
	s_waitcnt lgkmcnt(2)
	v_mul_f64 v[18:19], v[12:13], v[20:21]
	v_mul_f64 v[20:21], v[10:11], v[20:21]
	v_fma_f64 v[18:19], v[10:11], v[22:23], -v[18:19]
	v_fmac_f64_e32 v[20:21], v[12:13], v[22:23]
	v_add_u32_e32 v10, s7, v1
	ds_write_b128 v10, v[18:21]
	s_waitcnt lgkmcnt(2)
	v_mul_f64 v[10:11], v[16:17], v[30:31]
	v_fma_f64 v[10:11], v[14:15], v[28:29], -v[10:11]
	v_mul_f64 v[12:13], v[14:15], v[30:31]
	s_add_i32 s12, s11, s7
	v_fmac_f64_e32 v[12:13], v[16:17], v[28:29]
	v_add_f64 v[14:15], v[6:7], -v[10:11]
	v_mov_b32_e32 v6, s12
	v_add_f64 v[16:17], v[8:9], -v[12:13]
	ds_read_b128 v[6:9], v6
	s_lshl_b32 s10, s10, 7
	s_add_i32 s11, s11, s10
	v_mov_b32_e32 v10, s11
	ds_read_b128 v[10:13], v10
	s_waitcnt lgkmcnt(1)
	v_mul_f64 v[22:23], v[8:9], v[20:21]
	v_fma_f64 v[22:23], v[6:7], v[18:19], -v[22:23]
	v_mul_f64 v[6:7], v[6:7], v[20:21]
	v_fmac_f64_e32 v[6:7], v[8:9], v[18:19]
	s_add_i32 s11, s5, -3
	v_add_f64 v[8:9], v[16:17], -v[6:7]
	s_lshl_b32 s12, s11, 4
	v_add_f64 v[14:15], v[14:15], -v[22:23]
	s_waitcnt lgkmcnt(0)
	v_mul_f64 v[6:7], v[12:13], v[8:9]
	s_add_i32 s6, s12, s6
	v_fma_f64 v[6:7], v[10:11], v[14:15], -v[6:7]
	v_mul_f64 v[8:9], v[10:11], v[8:9]
	v_mov_b32_e32 v10, s6
	v_fmac_f64_e32 v[8:9], v[12:13], v[14:15]
	ds_read_b128 v[10:13], v10
	v_add_u32_e32 v14, s10, v1
	s_add_i32 s6, s12, s7
	ds_write_b128 v14, v[6:9]
	v_mov_b32_e32 v14, s6
	ds_read_b128 v[14:17], v14
	s_waitcnt lgkmcnt(2)
	v_mul_f64 v[22:23], v[12:13], v[30:31]
	v_fma_f64 v[22:23], v[10:11], v[28:29], -v[22:23]
	v_mul_f64 v[10:11], v[10:11], v[30:31]
	v_fmac_f64_e32 v[10:11], v[12:13], v[28:29]
	v_add_f64 v[4:5], v[4:5], -v[10:11]
	s_waitcnt lgkmcnt(0)
	v_mul_f64 v[10:11], v[16:17], v[20:21]
	v_add_f64 v[2:3], v[2:3], -v[22:23]
	v_fma_f64 v[10:11], v[14:15], v[18:19], -v[10:11]
	v_mul_f64 v[12:13], v[14:15], v[20:21]
	s_add_i32 s6, s12, s10
	v_fmac_f64_e32 v[12:13], v[16:17], v[18:19]
	v_add_f64 v[14:15], v[2:3], -v[10:11]
	v_mov_b32_e32 v2, s6
	v_add_f64 v[16:17], v[4:5], -v[12:13]
	ds_read_b128 v[2:5], v2
	s_lshl_b32 s6, s11, 7
	s_add_i32 s7, s12, s6
	v_mov_b32_e32 v10, s7
	ds_read_b128 v[10:13], v10
	s_waitcnt lgkmcnt(1)
	v_mul_f64 v[18:19], v[4:5], v[8:9]
	v_fma_f64 v[18:19], v[2:3], v[6:7], -v[18:19]
	v_mul_f64 v[2:3], v[2:3], v[8:9]
	v_fmac_f64_e32 v[2:3], v[4:5], v[6:7]
	v_add_f64 v[4:5], v[16:17], -v[2:3]
	v_add_f64 v[6:7], v[14:15], -v[18:19]
	s_waitcnt lgkmcnt(0)
	v_mul_f64 v[2:3], v[12:13], v[4:5]
	v_mul_f64 v[4:5], v[10:11], v[4:5]
	v_fma_f64 v[2:3], v[10:11], v[6:7], -v[2:3]
	v_fmac_f64_e32 v[4:5], v[12:13], v[6:7]
	v_add_u32_e32 v6, s6, v1
	s_add_i32 s5, s5, -4
	ds_write_b128 v6, v[2:5]
.LBB204_40:
	s_cmp_lt_i32 s5, 0
	s_cbranch_scc1 .LBB204_53
; %bb.41:
	s_bitcmp1_b32 s5, 0
	s_cselect_b64 s[6:7], -1, 0
	s_and_b64 vcc, exec, s[6:7]
	s_mov_b32 s6, s5
	s_cbranch_vccnz .LBB204_46
; %bb.42:
	s_lshl_b32 s6, s5, 7
	v_add_u32_e32 v6, s6, v1
	ds_read_b128 v[2:5], v6
	s_cmp_le_i32 s4, s5
	s_cbranch_scc1 .LBB204_45
; %bb.43:
	s_lshl_b32 s7, s24, 7
	s_lshl_b32 s6, s5, 4
	s_add_i32 s6, s7, s6
	v_lshl_or_b32 v7, v0, 4, s7
	s_addk_i32 s6, 0xff80
	v_add_u32_e32 v7, 0x380, v7
	s_mov_b32 s7, s4
.LBB204_44:                             ; =>This Inner Loop Header: Depth=1
	v_mov_b32_e32 v12, s6
	ds_read_b128 v[8:11], v7
	ds_read_b128 v[12:15], v12
	s_add_i32 s7, s7, -1
	s_addk_i32 s6, 0xff80
	v_add_u32_e32 v7, 0xffffff80, v7
	s_cmp_gt_i32 s7, s5
	s_waitcnt lgkmcnt(0)
	v_mul_f64 v[16:17], v[10:11], v[14:15]
	v_mul_f64 v[14:15], v[8:9], v[14:15]
	v_fma_f64 v[8:9], v[8:9], v[12:13], -v[16:17]
	v_fmac_f64_e32 v[14:15], v[10:11], v[12:13]
	v_add_f64 v[2:3], v[2:3], -v[8:9]
	v_add_f64 v[4:5], v[4:5], -v[14:15]
	s_cbranch_scc1 .LBB204_44
.LBB204_45:
	s_mul_i32 s6, s5, 0x90
	v_mov_b32_e32 v7, s6
	ds_read_b128 v[8:11], v7
	s_add_i32 s6, s5, -1
	s_waitcnt lgkmcnt(0)
	v_mul_f64 v[12:13], v[10:11], v[4:5]
	v_mul_f64 v[14:15], v[8:9], v[4:5]
	v_fma_f64 v[12:13], v[8:9], v[2:3], -v[12:13]
	v_fmac_f64_e32 v[14:15], v[10:11], v[2:3]
	ds_write_b128 v6, v[12:15]
.LBB204_46:
	s_cmp_eq_u32 s5, 0
	s_cbranch_scc1 .LBB204_53
; %bb.47:
	s_lshl_b32 s7, s24, 7
	s_lshl_b32 s5, s6, 4
	s_add_i32 s10, s7, s5
	v_lshl_or_b32 v2, v0, 4, s7
	s_add_i32 s5, s10, 0xffffff80
	v_add_u32_e32 v10, 0x380, v2
	s_add_i32 s7, s10, 0xffffff70
	s_branch .LBB204_49
.LBB204_48:                             ;   in Loop: Header=BB204_49 Depth=1
	s_addk_i32 s10, 0xff70
	v_mov_b32_e32 v6, s10
	ds_read_b128 v[6:9], v6
	s_add_i32 s10, s6, -2
	s_sub_i32 s5, s5, 32
	s_sub_i32 s7, s7, 32
	s_cmp_lt_i32 s6, 2
	s_waitcnt lgkmcnt(0)
	v_mul_f64 v[12:13], v[8:9], v[4:5]
	v_mul_f64 v[14:15], v[6:7], v[4:5]
	v_fma_f64 v[12:13], v[6:7], v[2:3], -v[12:13]
	v_fmac_f64_e32 v[14:15], v[8:9], v[2:3]
	s_mov_b32 s6, s10
	ds_write_b128 v11, v[12:15]
	s_cbranch_scc1 .LBB204_53
.LBB204_49:                             ; =>This Loop Header: Depth=1
                                        ;     Child Loop BB204_50 Depth 2
                                        ;     Child Loop BB204_52 Depth 2
	s_lshl_b32 s11, s6, 7
	v_add_u32_e32 v12, s11, v1
	ds_read_b128 v[6:9], v12
	s_cmp_le_i32 s4, s6
	v_mov_b32_e32 v2, v10
	s_mov_b32 s10, s5
	s_mov_b32 s12, s4
	s_cbranch_scc1 .LBB204_51
.LBB204_50:                             ;   Parent Loop BB204_49 Depth=1
                                        ; =>  This Inner Loop Header: Depth=2
	v_mov_b32_e32 v3, s10
	ds_read_b128 v[14:17], v2
	ds_read_b128 v[18:21], v3
	s_add_i32 s12, s12, -1
	s_addk_i32 s10, 0xff80
	v_add_u32_e32 v2, 0xffffff80, v2
	s_cmp_gt_i32 s12, s6
	s_waitcnt lgkmcnt(0)
	v_mul_f64 v[4:5], v[16:17], v[20:21]
	v_mul_f64 v[20:21], v[14:15], v[20:21]
	v_fma_f64 v[4:5], v[14:15], v[18:19], -v[4:5]
	v_fmac_f64_e32 v[20:21], v[16:17], v[18:19]
	v_add_f64 v[6:7], v[6:7], -v[4:5]
	v_add_f64 v[8:9], v[8:9], -v[20:21]
	s_cbranch_scc1 .LBB204_50
.LBB204_51:                             ;   in Loop: Header=BB204_49 Depth=1
	s_mul_i32 s10, s6, 0x90
	v_mov_b32_e32 v2, s10
	ds_read_b128 v[14:17], v2
	s_addk_i32 s11, 0xff80
	v_add_u32_e32 v11, s11, v1
	ds_read_b128 v[2:5], v11
	s_cmp_le_i32 s24, s6
	s_waitcnt lgkmcnt(1)
	v_mul_f64 v[18:19], v[16:17], v[8:9]
	v_mul_f64 v[20:21], v[14:15], v[8:9]
	v_fma_f64 v[18:19], v[14:15], v[6:7], -v[18:19]
	v_fmac_f64_e32 v[20:21], v[16:17], v[6:7]
	s_mov_b32 s11, s7
	v_mov_b32_e32 v6, v10
	s_mov_b32 s12, s24
	ds_write_b128 v12, v[18:21]
	s_cbranch_scc1 .LBB204_48
.LBB204_52:                             ;   Parent Loop BB204_49 Depth=1
                                        ; =>  This Inner Loop Header: Depth=2
	v_mov_b32_e32 v7, s11
	ds_read_b128 v[12:15], v6
	ds_read_b128 v[16:19], v7
	s_add_i32 s12, s12, -1
	s_addk_i32 s11, 0xff80
	v_add_u32_e32 v6, 0xffffff80, v6
	s_cmp_gt_i32 s12, s6
	s_waitcnt lgkmcnt(0)
	v_mul_f64 v[8:9], v[14:15], v[18:19]
	v_mul_f64 v[18:19], v[12:13], v[18:19]
	v_fma_f64 v[8:9], v[12:13], v[16:17], -v[8:9]
	v_fmac_f64_e32 v[18:19], v[14:15], v[16:17]
	v_add_f64 v[2:3], v[2:3], -v[8:9]
	v_add_f64 v[4:5], v[4:5], -v[18:19]
	s_cbranch_scc1 .LBB204_52
	s_branch .LBB204_48
.LBB204_53:
	s_waitcnt lgkmcnt(0)
	; wave barrier
	s_and_saveexec_b64 s[4:5], s[0:1]
	s_cbranch_execz .LBB204_57
; %bb.54:
	s_andn2_b64 vcc, exec, s[8:9]
	s_cbranch_vccnz .LBB204_57
; %bb.55:
	v_mad_i64_i32 v[2:3], s[0:1], s13, v0, 0
	v_mov_b32_e32 v1, 0x400
	v_lshl_add_u64 v[2:3], v[2:3], 4, s[2:3]
	v_lshl_or_b32 v0, v0, 4, v1
.LBB204_56:                             ; =>This Inner Loop Header: Depth=1
	ds_read2_b64 v[4:7], v0 offset1:1
	s_add_i32 s24, s24, -1
	v_add_u32_e32 v0, 0x80, v0
	s_cmp_lg_u32 s24, 0
	s_waitcnt lgkmcnt(0)
	flat_store_dwordx4 v[2:3], v[4:7]
	v_lshl_add_u64 v[2:3], v[2:3], 0, 16
	s_cbranch_scc1 .LBB204_56
.LBB204_57:
	s_endpgm
	.section	.rodata,"a",@progbits
	.p2align	6, 0x0
	.amdhsa_kernel _ZL38rocblas_trsm_small_left_device_sharedBILi8ELi8ELb0E19rocblas_complex_numIdES1_PKPKS1_PKPS1_Ev13rocblas_fill_18rocblas_operation_17rocblas_diagonal_iiT3_T4_lilT5_lili
		.amdhsa_group_segment_fixed_size 2048
		.amdhsa_private_segment_fixed_size 0
		.amdhsa_kernarg_size 368
		.amdhsa_user_sgpr_count 2
		.amdhsa_user_sgpr_dispatch_ptr 0
		.amdhsa_user_sgpr_queue_ptr 0
		.amdhsa_user_sgpr_kernarg_segment_ptr 1
		.amdhsa_user_sgpr_dispatch_id 0
		.amdhsa_user_sgpr_kernarg_preload_length 0
		.amdhsa_user_sgpr_kernarg_preload_offset 0
		.amdhsa_user_sgpr_private_segment_size 0
		.amdhsa_uses_dynamic_stack 0
		.amdhsa_enable_private_segment 0
		.amdhsa_system_sgpr_workgroup_id_x 1
		.amdhsa_system_sgpr_workgroup_id_y 0
		.amdhsa_system_sgpr_workgroup_id_z 1
		.amdhsa_system_sgpr_workgroup_info 0
		.amdhsa_system_vgpr_workitem_id 0
		.amdhsa_next_free_vgpr 54
		.amdhsa_next_free_sgpr 28
		.amdhsa_accum_offset 56
		.amdhsa_reserve_vcc 1
		.amdhsa_float_round_mode_32 0
		.amdhsa_float_round_mode_16_64 0
		.amdhsa_float_denorm_mode_32 3
		.amdhsa_float_denorm_mode_16_64 3
		.amdhsa_dx10_clamp 1
		.amdhsa_ieee_mode 1
		.amdhsa_fp16_overflow 0
		.amdhsa_tg_split 0
		.amdhsa_exception_fp_ieee_invalid_op 0
		.amdhsa_exception_fp_denorm_src 0
		.amdhsa_exception_fp_ieee_div_zero 0
		.amdhsa_exception_fp_ieee_overflow 0
		.amdhsa_exception_fp_ieee_underflow 0
		.amdhsa_exception_fp_ieee_inexact 0
		.amdhsa_exception_int_div_zero 0
	.end_amdhsa_kernel
	.section	.text._ZL38rocblas_trsm_small_left_device_sharedBILi8ELi8ELb0E19rocblas_complex_numIdES1_PKPKS1_PKPS1_Ev13rocblas_fill_18rocblas_operation_17rocblas_diagonal_iiT3_T4_lilT5_lili,"axG",@progbits,_ZL38rocblas_trsm_small_left_device_sharedBILi8ELi8ELb0E19rocblas_complex_numIdES1_PKPKS1_PKPS1_Ev13rocblas_fill_18rocblas_operation_17rocblas_diagonal_iiT3_T4_lilT5_lili,comdat
.Lfunc_end204:
	.size	_ZL38rocblas_trsm_small_left_device_sharedBILi8ELi8ELb0E19rocblas_complex_numIdES1_PKPKS1_PKPS1_Ev13rocblas_fill_18rocblas_operation_17rocblas_diagonal_iiT3_T4_lilT5_lili, .Lfunc_end204-_ZL38rocblas_trsm_small_left_device_sharedBILi8ELi8ELb0E19rocblas_complex_numIdES1_PKPKS1_PKPS1_Ev13rocblas_fill_18rocblas_operation_17rocblas_diagonal_iiT3_T4_lilT5_lili
                                        ; -- End function
	.set _ZL38rocblas_trsm_small_left_device_sharedBILi8ELi8ELb0E19rocblas_complex_numIdES1_PKPKS1_PKPS1_Ev13rocblas_fill_18rocblas_operation_17rocblas_diagonal_iiT3_T4_lilT5_lili.num_vgpr, 54
	.set _ZL38rocblas_trsm_small_left_device_sharedBILi8ELi8ELb0E19rocblas_complex_numIdES1_PKPKS1_PKPS1_Ev13rocblas_fill_18rocblas_operation_17rocblas_diagonal_iiT3_T4_lilT5_lili.num_agpr, 0
	.set _ZL38rocblas_trsm_small_left_device_sharedBILi8ELi8ELb0E19rocblas_complex_numIdES1_PKPKS1_PKPS1_Ev13rocblas_fill_18rocblas_operation_17rocblas_diagonal_iiT3_T4_lilT5_lili.numbered_sgpr, 28
	.set _ZL38rocblas_trsm_small_left_device_sharedBILi8ELi8ELb0E19rocblas_complex_numIdES1_PKPKS1_PKPS1_Ev13rocblas_fill_18rocblas_operation_17rocblas_diagonal_iiT3_T4_lilT5_lili.num_named_barrier, 0
	.set _ZL38rocblas_trsm_small_left_device_sharedBILi8ELi8ELb0E19rocblas_complex_numIdES1_PKPKS1_PKPS1_Ev13rocblas_fill_18rocblas_operation_17rocblas_diagonal_iiT3_T4_lilT5_lili.private_seg_size, 0
	.set _ZL38rocblas_trsm_small_left_device_sharedBILi8ELi8ELb0E19rocblas_complex_numIdES1_PKPKS1_PKPS1_Ev13rocblas_fill_18rocblas_operation_17rocblas_diagonal_iiT3_T4_lilT5_lili.uses_vcc, 1
	.set _ZL38rocblas_trsm_small_left_device_sharedBILi8ELi8ELb0E19rocblas_complex_numIdES1_PKPKS1_PKPS1_Ev13rocblas_fill_18rocblas_operation_17rocblas_diagonal_iiT3_T4_lilT5_lili.uses_flat_scratch, 0
	.set _ZL38rocblas_trsm_small_left_device_sharedBILi8ELi8ELb0E19rocblas_complex_numIdES1_PKPKS1_PKPS1_Ev13rocblas_fill_18rocblas_operation_17rocblas_diagonal_iiT3_T4_lilT5_lili.has_dyn_sized_stack, 0
	.set _ZL38rocblas_trsm_small_left_device_sharedBILi8ELi8ELb0E19rocblas_complex_numIdES1_PKPKS1_PKPS1_Ev13rocblas_fill_18rocblas_operation_17rocblas_diagonal_iiT3_T4_lilT5_lili.has_recursion, 0
	.set _ZL38rocblas_trsm_small_left_device_sharedBILi8ELi8ELb0E19rocblas_complex_numIdES1_PKPKS1_PKPS1_Ev13rocblas_fill_18rocblas_operation_17rocblas_diagonal_iiT3_T4_lilT5_lili.has_indirect_call, 0
	.section	.AMDGPU.csdata,"",@progbits
; Kernel info:
; codeLenInByte = 8792
; TotalNumSgprs: 34
; NumVgprs: 54
; NumAgprs: 0
; TotalNumVgprs: 54
; ScratchSize: 0
; MemoryBound: 0
; FloatMode: 240
; IeeeMode: 1
; LDSByteSize: 2048 bytes/workgroup (compile time only)
; SGPRBlocks: 4
; VGPRBlocks: 6
; NumSGPRsForWavesPerEU: 34
; NumVGPRsForWavesPerEU: 54
; AccumOffset: 56
; Occupancy: 8
; WaveLimiterHint : 0
; COMPUTE_PGM_RSRC2:SCRATCH_EN: 0
; COMPUTE_PGM_RSRC2:USER_SGPR: 2
; COMPUTE_PGM_RSRC2:TRAP_HANDLER: 0
; COMPUTE_PGM_RSRC2:TGID_X_EN: 1
; COMPUTE_PGM_RSRC2:TGID_Y_EN: 0
; COMPUTE_PGM_RSRC2:TGID_Z_EN: 1
; COMPUTE_PGM_RSRC2:TIDIG_COMP_CNT: 0
; COMPUTE_PGM_RSRC3_GFX90A:ACCUM_OFFSET: 13
; COMPUTE_PGM_RSRC3_GFX90A:TG_SPLIT: 0
	.section	.text._ZL30rocblas_trsm_small_left_deviceILi8ELi8ELb0E19rocblas_complex_numIdES1_PKPKS1_PKPS1_Ev13rocblas_fill_18rocblas_operation_17rocblas_diagonal_iiT3_T4_lilT5_lili,"axG",@progbits,_ZL30rocblas_trsm_small_left_deviceILi8ELi8ELb0E19rocblas_complex_numIdES1_PKPKS1_PKPS1_Ev13rocblas_fill_18rocblas_operation_17rocblas_diagonal_iiT3_T4_lilT5_lili,comdat
	.globl	_ZL30rocblas_trsm_small_left_deviceILi8ELi8ELb0E19rocblas_complex_numIdES1_PKPKS1_PKPS1_Ev13rocblas_fill_18rocblas_operation_17rocblas_diagonal_iiT3_T4_lilT5_lili ; -- Begin function _ZL30rocblas_trsm_small_left_deviceILi8ELi8ELb0E19rocblas_complex_numIdES1_PKPKS1_PKPS1_Ev13rocblas_fill_18rocblas_operation_17rocblas_diagonal_iiT3_T4_lilT5_lili
	.p2align	8
	.type	_ZL30rocblas_trsm_small_left_deviceILi8ELi8ELb0E19rocblas_complex_numIdES1_PKPKS1_PKPS1_Ev13rocblas_fill_18rocblas_operation_17rocblas_diagonal_iiT3_T4_lilT5_lili,@function
_ZL30rocblas_trsm_small_left_deviceILi8ELi8ELb0E19rocblas_complex_numIdES1_PKPKS1_PKPS1_Ev13rocblas_fill_18rocblas_operation_17rocblas_diagonal_iiT3_T4_lilT5_lili: ; @_ZL30rocblas_trsm_small_left_deviceILi8ELi8ELb0E19rocblas_complex_numIdES1_PKPKS1_PKPS1_Ev13rocblas_fill_18rocblas_operation_17rocblas_diagonal_iiT3_T4_lilT5_lili
; %bb.0:
	s_load_dwordx4 s[16:19], s[2:3], 0x4
	s_load_dwordx4 s[20:23], s[2:3], 0x48
	s_load_dwordx8 s[8:15], s[2:3], 0x18
	s_mov_b32 s6, s5
	s_mov_b32 s7, 0
	s_lshl_b64 s[24:25], s[6:7], 3
	s_waitcnt lgkmcnt(0)
	s_add_u32 s6, s20, s24
	s_addc_u32 s7, s21, s25
	s_load_dword s5, s[2:3], 0x70
	v_and_b32_e32 v1, 0x3ff, v0
	s_load_dwordx2 s[6:7], s[6:7], 0x0
	s_min_i32 s26, s18, 8
	v_cmp_gt_i32_e32 vcc, s26, v1
	s_and_saveexec_b64 s[20:21], vcc
	s_cbranch_execz .LBB205_11
; %bb.1:
	s_load_dword s28, s[2:3], 0x38
	v_lshlrev_b32_e32 v2, 4, v1
	v_mov_b32_e32 v3, 0
	v_mov_b32_e32 v6, v2
	s_waitcnt lgkmcnt(0)
	s_ashr_i32 s29, s28, 31
	s_cmpk_eq_i32 s16, 0x71
	s_cselect_b64 vcc, -1, 0
	s_add_u32 s12, s12, s24
	s_addc_u32 s13, s13, s25
	s_load_dwordx2 s[12:13], s[12:13], 0x0
	s_lshl_b64 s[14:15], s[14:15], 4
	s_waitcnt lgkmcnt(0)
	s_add_u32 s14, s12, s14
	s_addc_u32 s15, s13, s15
	s_lshl_b64 s[12:13], s[28:29], 4
	v_lshl_add_u64 v[4:5], s[14:15], 0, v[2:3]
	s_mov_b32 s14, s26
.LBB205_2:                              ; =>This Inner Loop Header: Depth=1
	flat_load_dwordx4 v[8:11], v[4:5]
	s_add_i32 s14, s14, -1
	v_lshl_add_u64 v[4:5], v[4:5], 0, s[12:13]
	s_cmp_eq_u32 s14, 0
	s_waitcnt vmcnt(0) lgkmcnt(0)
	v_xor_b32_e32 v3, 0x80000000, v11
	v_cndmask_b32_e32 v11, v11, v3, vcc
	ds_write_b128 v6, v[8:11]
	v_add_u32_e32 v6, 0x80, v6
	s_cbranch_scc0 .LBB205_2
; %bb.3:
	v_lshlrev_b32_e32 v3, 7, v1
	s_cmpk_lg_i32 s17, 0x84
	v_add_u32_e32 v10, v2, v3
	s_cbranch_scc0 .LBB205_9
; %bb.4:
	ds_read_b128 v[2:5], v10
                                        ; implicit-def: $vgpr8_vgpr9
	s_waitcnt lgkmcnt(0)
	v_cmp_ngt_f64_e64 s[12:13], |v[2:3]|, |v[4:5]|
	s_and_saveexec_b64 s[14:15], s[12:13]
	s_xor_b64 s[12:13], exec, s[14:15]
	s_cbranch_execz .LBB205_6
; %bb.5:
	v_div_scale_f64 v[6:7], s[14:15], v[4:5], v[4:5], v[2:3]
	v_rcp_f64_e32 v[8:9], v[6:7]
	v_div_scale_f64 v[12:13], vcc, v[2:3], v[4:5], v[2:3]
	v_fma_f64 v[14:15], -v[6:7], v[8:9], 1.0
	v_fmac_f64_e32 v[8:9], v[8:9], v[14:15]
	v_fma_f64 v[14:15], -v[6:7], v[8:9], 1.0
	v_fmac_f64_e32 v[8:9], v[8:9], v[14:15]
	v_mul_f64 v[14:15], v[12:13], v[8:9]
	v_fma_f64 v[6:7], -v[6:7], v[14:15], v[12:13]
	v_div_fmas_f64 v[6:7], v[6:7], v[8:9], v[14:15]
	v_div_fixup_f64 v[8:9], v[6:7], v[4:5], v[2:3]
	v_fmac_f64_e32 v[4:5], v[2:3], v[8:9]
	v_div_scale_f64 v[2:3], s[14:15], v[4:5], v[4:5], 1.0
	v_rcp_f64_e32 v[6:7], v[2:3]
	s_nop 0
	v_fma_f64 v[12:13], -v[2:3], v[6:7], 1.0
	v_fmac_f64_e32 v[6:7], v[6:7], v[12:13]
	v_fma_f64 v[12:13], -v[2:3], v[6:7], 1.0
	v_fmac_f64_e32 v[6:7], v[6:7], v[12:13]
	v_div_scale_f64 v[12:13], vcc, 1.0, v[4:5], 1.0
	v_mul_f64 v[14:15], v[12:13], v[6:7]
	v_fma_f64 v[2:3], -v[2:3], v[14:15], v[12:13]
	s_nop 1
	v_div_fmas_f64 v[2:3], v[2:3], v[6:7], v[14:15]
	v_div_fixup_f64 v[2:3], v[2:3], v[4:5], 1.0
	v_add_f64 v[4:5], v[8:9], 0
	v_mul_f64 v[6:7], v[4:5], v[2:3]
	v_fma_f64 v[4:5], v[8:9], 0, -1.0
	v_mul_f64 v[8:9], v[4:5], v[2:3]
                                        ; implicit-def: $vgpr2_vgpr3
.LBB205_6:
	s_andn2_saveexec_b64 s[12:13], s[12:13]
	s_cbranch_execz .LBB205_8
; %bb.7:
	v_div_scale_f64 v[6:7], s[14:15], v[2:3], v[2:3], v[4:5]
	v_rcp_f64_e32 v[8:9], v[6:7]
	v_div_scale_f64 v[12:13], vcc, v[4:5], v[2:3], v[4:5]
	v_fma_f64 v[14:15], -v[6:7], v[8:9], 1.0
	v_fmac_f64_e32 v[8:9], v[8:9], v[14:15]
	v_fma_f64 v[14:15], -v[6:7], v[8:9], 1.0
	v_fmac_f64_e32 v[8:9], v[8:9], v[14:15]
	v_mul_f64 v[14:15], v[12:13], v[8:9]
	v_fma_f64 v[6:7], -v[6:7], v[14:15], v[12:13]
	v_div_fmas_f64 v[6:7], v[6:7], v[8:9], v[14:15]
	v_div_fixup_f64 v[8:9], v[6:7], v[2:3], v[4:5]
	v_fmac_f64_e32 v[2:3], v[4:5], v[8:9]
	v_div_scale_f64 v[4:5], s[14:15], v[2:3], v[2:3], 1.0
	v_rcp_f64_e32 v[6:7], v[4:5]
	s_nop 0
	v_fma_f64 v[12:13], -v[4:5], v[6:7], 1.0
	v_fmac_f64_e32 v[6:7], v[6:7], v[12:13]
	v_fma_f64 v[12:13], -v[4:5], v[6:7], 1.0
	v_fmac_f64_e32 v[6:7], v[6:7], v[12:13]
	v_div_scale_f64 v[12:13], vcc, 1.0, v[2:3], 1.0
	v_mul_f64 v[14:15], v[12:13], v[6:7]
	v_fma_f64 v[4:5], -v[4:5], v[14:15], v[12:13]
	s_nop 1
	v_div_fmas_f64 v[4:5], v[4:5], v[6:7], v[14:15]
	v_div_fixup_f64 v[2:3], v[4:5], v[2:3], 1.0
	v_fma_f64 v[4:5], v[8:9], 0, 1.0
	v_mul_f64 v[6:7], v[4:5], v[2:3]
	v_add_f64 v[4:5], -v[8:9], 0
	v_mul_f64 v[8:9], v[4:5], v[2:3]
.LBB205_8:
	s_or_b64 exec, exec, s[12:13]
	s_branch .LBB205_10
.LBB205_9:
	v_mov_b64_e32 v[8:9], 0
	v_mov_b64_e32 v[6:7], 1.0
.LBB205_10:
	ds_write_b128 v10, v[6:9]
.LBB205_11:
	s_or_b64 exec, exec, s[20:21]
	s_waitcnt lgkmcnt(0)
	s_add_i32 s12, s5, -1
	s_lshl_b32 s5, s4, 3
	s_sub_i32 s13, s19, s5
	s_cmp_ge_u32 s4, s12
	s_cselect_b32 s4, s13, 8
	v_cmp_gt_i32_e32 vcc, s4, v1
	; wave barrier
	s_and_saveexec_b64 s[12:13], vcc
	s_cbranch_execz .LBB205_54
; %bb.12:
	s_load_dwordx2 s[12:13], s[0:1], 0x4
	s_load_dword s4, s[2:3], 0x58
	v_bfe_u32 v2, v0, 10, 10
	v_bfe_u32 v0, v0, 20, 10
	s_waitcnt lgkmcnt(0)
	s_lshr_b32 s0, s12, 16
	s_mul_i32 s0, s0, s13
	v_mul_u32_u24_e32 v2, s13, v2
	v_mul_u32_u24_e32 v3, s0, v1
	v_add3_u32 v0, v3, v2, v0
	v_mov_b32_e32 v2, 0x400
	s_lshl_b64 s[0:1], s[22:23], 4
	v_lshl_add_u32 v12, v0, 7, v2
	s_add_u32 s2, s6, s0
	v_add_u32_e32 v0, s5, v1
	s_addc_u32 s3, s7, s1
	v_mad_i64_i32 v[6:7], s[4:5], s4, v0, 0
	v_lshl_add_u64 v[4:5], v[6:7], 4, s[2:3]
	s_cmpk_eq_i32 s16, 0x6f
	s_mov_b64 s[2:3], -1
	s_cbranch_scc1 .LBB205_34
; %bb.13:
	s_add_u32 s2, s6, s0
	s_addc_u32 s3, s7, s1
	v_lshl_add_u64 v[8:9], v[6:7], 4, s[2:3]
	s_mov_b32 s3, 0
	s_mov_b32 s4, s3
	;; [unrolled: 1-line block ×3, first 2 shown]
	s_branch .LBB205_15
.LBB205_14:                             ;   in Loop: Header=BB205_15 Depth=1
	s_cmp_ge_i32 s12, s26
	s_cselect_b64 s[14:15], -1, 0
	s_add_i32 s4, s4, 1
	s_cmp_eq_u32 s4, 3
	s_cselect_b64 s[16:17], -1, 0
	s_or_b64 s[14:15], s[14:15], s[16:17]
	s_andn2_b64 vcc, exec, s[14:15]
	s_cbranch_vccz .LBB205_33
.LBB205_15:                             ; =>This Loop Header: Depth=1
                                        ;     Child Loop BB205_18 Depth 2
                                        ;       Child Loop BB205_19 Depth 3
                                        ;       Child Loop BB205_22 Depth 3
                                        ;         Child Loop BB205_23 Depth 4
                                        ;       Child Loop BB205_27 Depth 3
                                        ;         Child Loop BB205_29 Depth 4
	s_mov_b32 s5, s3
	s_lshl_b64 s[14:15], s[4:5], 2
	s_getpc_b64 s[16:17]
	s_add_u32 s16, s16, __const._ZL30rocblas_trsm_small_left_deviceILi8ELi8ELb0E19rocblas_complex_numIdES1_PKPKS1_PKPS1_Ev13rocblas_fill_18rocblas_operation_17rocblas_diagonal_iiT3_T4_lilT5_lili.step_sizes@rel32@lo+4
	s_addc_u32 s17, s17, __const._ZL30rocblas_trsm_small_left_deviceILi8ELi8ELb0E19rocblas_complex_numIdES1_PKPKS1_PKPS1_Ev13rocblas_fill_18rocblas_operation_17rocblas_diagonal_iiT3_T4_lilT5_lili.step_sizes@rel32@hi+12
	s_add_u32 s14, s16, s14
	s_addc_u32 s15, s17, s15
	s_load_dword s14, s[14:15], 0x0
	s_waitcnt lgkmcnt(0)
	s_add_i32 s5, s14, -1
	s_add_i32 s2, s5, s12
	s_cmp_ge_i32 s2, s26
	s_cbranch_scc1 .LBB205_14
; %bb.16:                               ;   in Loop: Header=BB205_15 Depth=1
	s_ashr_i32 s13, s12, 31
	s_ashr_i32 s15, s14, 31
	s_max_i32 s22, s14, 1
	v_lshl_add_u64 v[10:11], s[12:13], 4, v[8:9]
	s_lshl_b64 s[16:17], s[14:15], 4
	s_lshl_b32 s13, s12, 7
	s_lshl_b32 s15, s14, 7
	s_mul_i32 s23, s12, 0x90
	s_mul_i32 s24, s14, 0x90
	s_branch .LBB205_18
.LBB205_17:                             ;   in Loop: Header=BB205_18 Depth=2
	s_add_i32 s12, s12, s14
	s_add_i32 s2, s5, s12
	;; [unrolled: 1-line block ×4, first 2 shown]
	s_cmp_ge_i32 s2, s26
	v_lshl_add_u64 v[10:11], v[10:11], 0, s[16:17]
	s_cbranch_scc1 .LBB205_14
.LBB205_18:                             ;   Parent Loop BB205_15 Depth=1
                                        ; =>  This Loop Header: Depth=2
                                        ;       Child Loop BB205_19 Depth 3
                                        ;       Child Loop BB205_22 Depth 3
                                        ;         Child Loop BB205_23 Depth 4
                                        ;       Child Loop BB205_27 Depth 3
                                        ;         Child Loop BB205_29 Depth 4
	v_mov_b32_e32 v2, v12
	v_mov_b64_e32 v[0:1], v[10:11]
	s_mov_b32 s2, s22
.LBB205_19:                             ;   Parent Loop BB205_15 Depth=1
                                        ;     Parent Loop BB205_18 Depth=2
                                        ; =>    This Inner Loop Header: Depth=3
	flat_load_dwordx4 v[14:17], v[0:1]
	s_add_i32 s2, s2, -1
	v_lshl_add_u64 v[0:1], v[0:1], 0, 16
	s_cmp_eq_u32 s2, 0
	s_waitcnt vmcnt(0) lgkmcnt(0)
	v_mul_f64 v[20:21], s[10:11], v[16:17]
	v_mul_f64 v[18:19], s[8:9], v[16:17]
	v_fma_f64 v[16:17], s[8:9], v[14:15], -v[20:21]
	v_fmac_f64_e32 v[18:19], s[10:11], v[14:15]
	ds_write_b128 v2, v[16:19]
	v_add_u32_e32 v2, 16, v2
	s_cbranch_scc0 .LBB205_19
; %bb.20:                               ;   in Loop: Header=BB205_18 Depth=2
	s_cmp_lt_i32 s12, 1
	s_cbranch_scc1 .LBB205_25
; %bb.21:                               ;   in Loop: Header=BB205_18 Depth=2
	s_mov_b32 s2, 0
	s_mov_b32 s18, s13
.LBB205_22:                             ;   Parent Loop BB205_15 Depth=1
                                        ;     Parent Loop BB205_18 Depth=2
                                        ; =>    This Loop Header: Depth=3
                                        ;         Child Loop BB205_23 Depth 4
	v_lshl_add_u64 v[0:1], s[2:3], 4, v[4:5]
	flat_load_dwordx4 v[0:3], v[0:1]
	v_mov_b32_e32 v13, v12
	s_mov_b32 s19, s18
	s_mov_b32 s20, s22
.LBB205_23:                             ;   Parent Loop BB205_15 Depth=1
                                        ;     Parent Loop BB205_18 Depth=2
                                        ;       Parent Loop BB205_22 Depth=3
                                        ; =>      This Inner Loop Header: Depth=4
	v_mov_b32_e32 v18, s19
	ds_read_b128 v[18:21], v18
	ds_read_b128 v[14:17], v13
	s_add_i32 s20, s20, -1
	s_addk_i32 s19, 0x80
	s_cmp_eq_u32 s20, 0
	s_waitcnt vmcnt(0) lgkmcnt(0)
	v_mul_f64 v[22:23], v[2:3], v[20:21]
	v_mul_f64 v[20:21], v[0:1], v[20:21]
	v_fma_f64 v[22:23], v[0:1], v[18:19], -v[22:23]
	v_fmac_f64_e32 v[20:21], v[2:3], v[18:19]
	v_add_f64 v[14:15], v[14:15], -v[22:23]
	v_add_f64 v[16:17], v[16:17], -v[20:21]
	ds_write_b128 v13, v[14:17]
	v_add_u32_e32 v13, 16, v13
	s_cbranch_scc0 .LBB205_23
; %bb.24:                               ;   in Loop: Header=BB205_22 Depth=3
	s_add_i32 s2, s2, 1
	s_add_i32 s18, s18, 16
	s_cmp_eq_u32 s2, s12
	s_cbranch_scc0 .LBB205_22
.LBB205_25:                             ;   in Loop: Header=BB205_18 Depth=2
	s_mov_b32 s2, 0
	s_mov_b32 s25, s23
	s_branch .LBB205_27
.LBB205_26:                             ;   in Loop: Header=BB205_27 Depth=3
	s_mul_i32 s19, s18, 0x90
	v_mov_b32_e32 v14, s19
	ds_read_b128 v[14:17], v14
	s_ashr_i32 s19, s18, 31
	s_add_i32 s2, s2, 1
	s_addk_i32 s25, 0x80
	v_lshl_add_u64 v[22:23], s[18:19], 4, v[4:5]
	s_waitcnt lgkmcnt(0)
	v_mul_f64 v[18:19], v[16:17], v[2:3]
	v_mul_f64 v[20:21], v[14:15], v[2:3]
	v_fma_f64 v[18:19], v[14:15], v[0:1], -v[18:19]
	v_fmac_f64_e32 v[20:21], v[16:17], v[0:1]
	s_cmp_eq_u32 s2, s22
	ds_write_b128 v13, v[18:21]
	flat_store_dwordx4 v[22:23], v[18:21]
	s_cbranch_scc1 .LBB205_17
.LBB205_27:                             ;   Parent Loop BB205_15 Depth=1
                                        ;     Parent Loop BB205_18 Depth=2
                                        ; =>    This Loop Header: Depth=3
                                        ;         Child Loop BB205_29 Depth 4
	s_cmp_lg_u32 s2, 0
	v_lshl_add_u32 v13, s2, 4, v12
	s_cbranch_scc0 .LBB205_31
; %bb.28:                               ;   in Loop: Header=BB205_27 Depth=3
	ds_read_b128 v[0:3], v13
	s_add_i32 s18, s2, s12
	s_mov_b32 s19, s25
	v_mov_b32_e32 v14, v12
	s_mov_b32 s20, s2
.LBB205_29:                             ;   Parent Loop BB205_15 Depth=1
                                        ;     Parent Loop BB205_18 Depth=2
                                        ;       Parent Loop BB205_27 Depth=3
                                        ; =>      This Inner Loop Header: Depth=4
	v_mov_b32_e32 v15, s19
	ds_read_b128 v[16:19], v14
	ds_read_b128 v[20:23], v15
	s_add_i32 s20, s20, -1
	s_add_i32 s19, s19, 16
	v_add_u32_e32 v14, 16, v14
	s_cmp_eq_u32 s20, 0
	s_waitcnt lgkmcnt(0)
	v_mul_f64 v[24:25], v[22:23], v[18:19]
	v_mul_f64 v[18:19], v[20:21], v[18:19]
	v_fma_f64 v[20:21], v[20:21], v[16:17], -v[24:25]
	v_fmac_f64_e32 v[18:19], v[22:23], v[16:17]
	v_add_f64 v[0:1], v[0:1], -v[20:21]
	v_add_f64 v[2:3], v[2:3], -v[18:19]
	ds_write_b128 v13, v[0:3]
	s_cbranch_scc0 .LBB205_29
; %bb.30:                               ;   in Loop: Header=BB205_27 Depth=3
	s_branch .LBB205_26
.LBB205_31:                             ;   in Loop: Header=BB205_27 Depth=3
                                        ; implicit-def: $vgpr0_vgpr1
                                        ; implicit-def: $sgpr18
	s_cbranch_execz .LBB205_26
; %bb.32:                               ;   in Loop: Header=BB205_27 Depth=3
	ds_read_b128 v[0:3], v12
	s_mov_b32 s18, s12
	s_branch .LBB205_26
.LBB205_33:
	s_mov_b64 s[2:3], 0
.LBB205_34:
	s_and_b64 vcc, exec, s[2:3]
	s_cbranch_vccz .LBB205_54
; %bb.35:
	s_add_i32 s14, s26, -1
	s_add_u32 s0, s6, s0
	s_addc_u32 s1, s7, s1
	v_lshl_add_u64 v[6:7], v[6:7], 4, s[0:1]
	s_lshl_b32 s15, s26, 7
	s_mov_b32 s1, 0
	s_addk_i32 s15, 0xff80
	s_mov_b32 s2, s14
	s_mov_b32 s0, s1
	s_branch .LBB205_37
.LBB205_36:                             ;   in Loop: Header=BB205_37 Depth=1
	s_cmp_lt_i32 s2, 0
	s_cselect_b64 s[4:5], -1, 0
	s_add_i32 s0, s0, 1
	s_cmp_eq_u32 s0, 3
	s_cselect_b64 s[6:7], -1, 0
	s_or_b64 s[4:5], s[4:5], s[6:7]
	s_and_b64 vcc, exec, s[4:5]
	s_cbranch_vccnz .LBB205_54
.LBB205_37:                             ; =>This Loop Header: Depth=1
                                        ;     Child Loop BB205_40 Depth 2
                                        ;       Child Loop BB205_41 Depth 3
                                        ;       Child Loop BB205_43 Depth 3
                                        ;         Child Loop BB205_44 Depth 4
                                        ;       Child Loop BB205_48 Depth 3
                                        ;         Child Loop BB205_50 Depth 4
	s_lshl_b64 s[4:5], s[0:1], 2
	s_getpc_b64 s[6:7]
	s_add_u32 s6, s6, __const._ZL30rocblas_trsm_small_left_deviceILi8ELi8ELb0E19rocblas_complex_numIdES1_PKPKS1_PKPS1_Ev13rocblas_fill_18rocblas_operation_17rocblas_diagonal_iiT3_T4_lilT5_lili.step_sizes@rel32@lo+4
	s_addc_u32 s7, s7, __const._ZL30rocblas_trsm_small_left_deviceILi8ELi8ELb0E19rocblas_complex_numIdES1_PKPKS1_PKPS1_Ev13rocblas_fill_18rocblas_operation_17rocblas_diagonal_iiT3_T4_lilT5_lili.step_sizes@rel32@hi+12
	s_add_u32 s4, s6, s4
	s_addc_u32 s5, s7, s5
	s_load_dword s16, s[4:5], 0x0
	s_waitcnt lgkmcnt(0)
	s_add_i32 s17, s16, -1
	s_cmp_lt_i32 s2, s17
	s_cbranch_scc1 .LBB205_36
; %bb.38:                               ;   in Loop: Header=BB205_37 Depth=1
	s_lshl_b32 s3, s2, 4
	s_add_i32 s19, s15, s3
	s_lshl_b32 s3, s16, 4
	s_max_i32 s18, s16, 1
	s_sub_i32 s20, 0, s3
	s_mul_i32 s21, s2, 0x90
	s_mul_i32 s22, s16, 0xffffff70
	s_branch .LBB205_40
.LBB205_39:                             ;   in Loop: Header=BB205_40 Depth=2
	s_sub_i32 s2, s2, s16
	s_add_i32 s19, s19, s20
	s_add_i32 s21, s21, s22
	s_cmp_lt_i32 s2, s17
	s_cbranch_scc1 .LBB205_36
.LBB205_40:                             ;   Parent Loop BB205_37 Depth=1
                                        ; =>  This Loop Header: Depth=2
                                        ;       Child Loop BB205_41 Depth 3
                                        ;       Child Loop BB205_43 Depth 3
                                        ;         Child Loop BB205_44 Depth 4
                                        ;       Child Loop BB205_48 Depth 3
                                        ;         Child Loop BB205_50 Depth 4
	s_ashr_i32 s3, s2, 31
	v_lshl_add_u64 v[0:1], s[2:3], 4, v[6:7]
	v_mov_b32_e32 v2, v12
	s_mov_b32 s4, s18
.LBB205_41:                             ;   Parent Loop BB205_37 Depth=1
                                        ;     Parent Loop BB205_40 Depth=2
                                        ; =>    This Inner Loop Header: Depth=3
	flat_load_dwordx4 v[8:11], v[0:1]
	s_add_i32 s4, s4, -1
	v_lshl_add_u64 v[0:1], v[0:1], 0, -16
	s_cmp_eq_u32 s4, 0
	s_waitcnt vmcnt(0) lgkmcnt(0)
	v_mul_f64 v[14:15], s[10:11], v[10:11]
	v_mul_f64 v[16:17], s[8:9], v[10:11]
	v_fma_f64 v[14:15], s[8:9], v[8:9], -v[14:15]
	v_fmac_f64_e32 v[16:17], s[10:11], v[8:9]
	ds_write_b128 v2, v[14:17]
	v_add_u32_e32 v2, 16, v2
	s_cbranch_scc0 .LBB205_41
; %bb.42:                               ;   in Loop: Header=BB205_40 Depth=2
	s_cmp_le_i32 s14, s2
	s_mov_b32 s6, s19
	s_mov_b32 s4, s14
	s_cbranch_scc1 .LBB205_46
.LBB205_43:                             ;   Parent Loop BB205_37 Depth=1
                                        ;     Parent Loop BB205_40 Depth=2
                                        ; =>    This Loop Header: Depth=3
                                        ;         Child Loop BB205_44 Depth 4
	s_ashr_i32 s5, s4, 31
	v_lshl_add_u64 v[0:1], s[4:5], 4, v[4:5]
	flat_load_dwordx4 v[0:3], v[0:1]
	v_mov_b32_e32 v8, v12
	s_mov_b32 s5, s6
	s_mov_b32 s7, s18
.LBB205_44:                             ;   Parent Loop BB205_37 Depth=1
                                        ;     Parent Loop BB205_40 Depth=2
                                        ;       Parent Loop BB205_43 Depth=3
                                        ; =>      This Inner Loop Header: Depth=4
	v_mov_b32_e32 v9, s5
	ds_read_b128 v[18:21], v9
	ds_read_b128 v[14:17], v8
	s_add_i32 s7, s7, -1
	s_add_i32 s5, s5, -16
	s_cmp_eq_u32 s7, 0
	s_waitcnt vmcnt(0) lgkmcnt(0)
	v_mul_f64 v[10:11], v[2:3], v[20:21]
	v_mul_f64 v[20:21], v[0:1], v[20:21]
	v_fma_f64 v[10:11], v[0:1], v[18:19], -v[10:11]
	v_fmac_f64_e32 v[20:21], v[2:3], v[18:19]
	v_add_f64 v[14:15], v[14:15], -v[10:11]
	v_add_f64 v[16:17], v[16:17], -v[20:21]
	ds_write_b128 v8, v[14:17]
	v_add_u32_e32 v8, 16, v8
	s_cbranch_scc0 .LBB205_44
; %bb.45:                               ;   in Loop: Header=BB205_43 Depth=3
	s_add_i32 s4, s4, -1
	s_addk_i32 s6, 0xff80
	s_cmp_le_i32 s4, s2
	s_cbranch_scc0 .LBB205_43
.LBB205_46:                             ;   in Loop: Header=BB205_40 Depth=2
	s_mov_b32 s23, 0
	s_mov_b32 s24, s21
	s_branch .LBB205_48
.LBB205_47:                             ;   in Loop: Header=BB205_48 Depth=3
	s_mulk_i32 s6, 0x90
	v_mov_b32_e32 v9, s6
	ds_read_b128 v[14:17], v9
	s_add_i32 s23, s23, 1
	s_add_i32 s24, s24, -16
	v_lshl_add_u64 v[10:11], s[4:5], 4, v[4:5]
	s_cmp_eq_u32 s23, s18
	s_waitcnt lgkmcnt(0)
	v_mul_f64 v[18:19], v[16:17], v[2:3]
	v_mul_f64 v[20:21], v[14:15], v[2:3]
	v_fma_f64 v[18:19], v[14:15], v[0:1], -v[18:19]
	v_fmac_f64_e32 v[20:21], v[16:17], v[0:1]
	ds_write_b128 v8, v[18:21]
	flat_store_dwordx4 v[10:11], v[18:21]
	s_cbranch_scc1 .LBB205_39
.LBB205_48:                             ;   Parent Loop BB205_37 Depth=1
                                        ;     Parent Loop BB205_40 Depth=2
                                        ; =>    This Loop Header: Depth=3
                                        ;         Child Loop BB205_50 Depth 4
	s_cmp_lg_u32 s23, 0
	v_lshl_add_u32 v8, s23, 4, v12
	s_cbranch_scc0 .LBB205_52
; %bb.49:                               ;   in Loop: Header=BB205_48 Depth=3
	ds_read_b128 v[0:3], v8
	v_mov_b32_e32 v9, v12
	s_mov_b32 s4, s24
	s_mov_b32 s5, s23
.LBB205_50:                             ;   Parent Loop BB205_37 Depth=1
                                        ;     Parent Loop BB205_40 Depth=2
                                        ;       Parent Loop BB205_48 Depth=3
                                        ; =>      This Inner Loop Header: Depth=4
	v_mov_b32_e32 v10, s4
	ds_read_b128 v[14:17], v9
	ds_read_b128 v[18:21], v10
	s_add_i32 s5, s5, -1
	s_addk_i32 s4, 0xff80
	v_add_u32_e32 v9, 16, v9
	s_cmp_eq_u32 s5, 0
	s_waitcnt lgkmcnt(0)
	v_mul_f64 v[10:11], v[20:21], v[16:17]
	v_mul_f64 v[16:17], v[18:19], v[16:17]
	v_fma_f64 v[10:11], v[18:19], v[14:15], -v[10:11]
	v_fmac_f64_e32 v[16:17], v[20:21], v[14:15]
	v_add_f64 v[0:1], v[0:1], -v[10:11]
	v_add_f64 v[2:3], v[2:3], -v[16:17]
	ds_write_b128 v8, v[0:3]
	s_cbranch_scc0 .LBB205_50
; %bb.51:                               ;   in Loop: Header=BB205_48 Depth=3
	s_sub_i32 s6, s2, s23
	s_ashr_i32 s7, s6, 31
	s_mov_b64 s[4:5], s[6:7]
	s_branch .LBB205_47
.LBB205_52:                             ;   in Loop: Header=BB205_48 Depth=3
                                        ; implicit-def: $vgpr0_vgpr1
                                        ; implicit-def: $sgpr6
                                        ; implicit-def: $sgpr4_sgpr5
	s_cbranch_execz .LBB205_47
; %bb.53:                               ;   in Loop: Header=BB205_48 Depth=3
	ds_read_b128 v[0:3], v12
	s_mov_b64 s[4:5], s[2:3]
	s_mov_b32 s6, s2
	s_branch .LBB205_47
.LBB205_54:
	s_endpgm
	.section	.rodata,"a",@progbits
	.p2align	6, 0x0
	.amdhsa_kernel _ZL30rocblas_trsm_small_left_deviceILi8ELi8ELb0E19rocblas_complex_numIdES1_PKPKS1_PKPS1_Ev13rocblas_fill_18rocblas_operation_17rocblas_diagonal_iiT3_T4_lilT5_lili
		.amdhsa_group_segment_fixed_size 2048
		.amdhsa_private_segment_fixed_size 0
		.amdhsa_kernarg_size 368
		.amdhsa_user_sgpr_count 4
		.amdhsa_user_sgpr_dispatch_ptr 1
		.amdhsa_user_sgpr_queue_ptr 0
		.amdhsa_user_sgpr_kernarg_segment_ptr 1
		.amdhsa_user_sgpr_dispatch_id 0
		.amdhsa_user_sgpr_kernarg_preload_length 0
		.amdhsa_user_sgpr_kernarg_preload_offset 0
		.amdhsa_user_sgpr_private_segment_size 0
		.amdhsa_uses_dynamic_stack 0
		.amdhsa_enable_private_segment 0
		.amdhsa_system_sgpr_workgroup_id_x 1
		.amdhsa_system_sgpr_workgroup_id_y 0
		.amdhsa_system_sgpr_workgroup_id_z 1
		.amdhsa_system_sgpr_workgroup_info 0
		.amdhsa_system_vgpr_workitem_id 2
		.amdhsa_next_free_vgpr 26
		.amdhsa_next_free_sgpr 30
		.amdhsa_accum_offset 28
		.amdhsa_reserve_vcc 1
		.amdhsa_float_round_mode_32 0
		.amdhsa_float_round_mode_16_64 0
		.amdhsa_float_denorm_mode_32 3
		.amdhsa_float_denorm_mode_16_64 3
		.amdhsa_dx10_clamp 1
		.amdhsa_ieee_mode 1
		.amdhsa_fp16_overflow 0
		.amdhsa_tg_split 0
		.amdhsa_exception_fp_ieee_invalid_op 0
		.amdhsa_exception_fp_denorm_src 0
		.amdhsa_exception_fp_ieee_div_zero 0
		.amdhsa_exception_fp_ieee_overflow 0
		.amdhsa_exception_fp_ieee_underflow 0
		.amdhsa_exception_fp_ieee_inexact 0
		.amdhsa_exception_int_div_zero 0
	.end_amdhsa_kernel
	.section	.text._ZL30rocblas_trsm_small_left_deviceILi8ELi8ELb0E19rocblas_complex_numIdES1_PKPKS1_PKPS1_Ev13rocblas_fill_18rocblas_operation_17rocblas_diagonal_iiT3_T4_lilT5_lili,"axG",@progbits,_ZL30rocblas_trsm_small_left_deviceILi8ELi8ELb0E19rocblas_complex_numIdES1_PKPKS1_PKPS1_Ev13rocblas_fill_18rocblas_operation_17rocblas_diagonal_iiT3_T4_lilT5_lili,comdat
.Lfunc_end205:
	.size	_ZL30rocblas_trsm_small_left_deviceILi8ELi8ELb0E19rocblas_complex_numIdES1_PKPKS1_PKPS1_Ev13rocblas_fill_18rocblas_operation_17rocblas_diagonal_iiT3_T4_lilT5_lili, .Lfunc_end205-_ZL30rocblas_trsm_small_left_deviceILi8ELi8ELb0E19rocblas_complex_numIdES1_PKPKS1_PKPS1_Ev13rocblas_fill_18rocblas_operation_17rocblas_diagonal_iiT3_T4_lilT5_lili
                                        ; -- End function
	.set _ZL30rocblas_trsm_small_left_deviceILi8ELi8ELb0E19rocblas_complex_numIdES1_PKPKS1_PKPS1_Ev13rocblas_fill_18rocblas_operation_17rocblas_diagonal_iiT3_T4_lilT5_lili.num_vgpr, 26
	.set _ZL30rocblas_trsm_small_left_deviceILi8ELi8ELb0E19rocblas_complex_numIdES1_PKPKS1_PKPS1_Ev13rocblas_fill_18rocblas_operation_17rocblas_diagonal_iiT3_T4_lilT5_lili.num_agpr, 0
	.set _ZL30rocblas_trsm_small_left_deviceILi8ELi8ELb0E19rocblas_complex_numIdES1_PKPKS1_PKPS1_Ev13rocblas_fill_18rocblas_operation_17rocblas_diagonal_iiT3_T4_lilT5_lili.numbered_sgpr, 30
	.set _ZL30rocblas_trsm_small_left_deviceILi8ELi8ELb0E19rocblas_complex_numIdES1_PKPKS1_PKPS1_Ev13rocblas_fill_18rocblas_operation_17rocblas_diagonal_iiT3_T4_lilT5_lili.num_named_barrier, 0
	.set _ZL30rocblas_trsm_small_left_deviceILi8ELi8ELb0E19rocblas_complex_numIdES1_PKPKS1_PKPS1_Ev13rocblas_fill_18rocblas_operation_17rocblas_diagonal_iiT3_T4_lilT5_lili.private_seg_size, 0
	.set _ZL30rocblas_trsm_small_left_deviceILi8ELi8ELb0E19rocblas_complex_numIdES1_PKPKS1_PKPS1_Ev13rocblas_fill_18rocblas_operation_17rocblas_diagonal_iiT3_T4_lilT5_lili.uses_vcc, 1
	.set _ZL30rocblas_trsm_small_left_deviceILi8ELi8ELb0E19rocblas_complex_numIdES1_PKPKS1_PKPS1_Ev13rocblas_fill_18rocblas_operation_17rocblas_diagonal_iiT3_T4_lilT5_lili.uses_flat_scratch, 0
	.set _ZL30rocblas_trsm_small_left_deviceILi8ELi8ELb0E19rocblas_complex_numIdES1_PKPKS1_PKPS1_Ev13rocblas_fill_18rocblas_operation_17rocblas_diagonal_iiT3_T4_lilT5_lili.has_dyn_sized_stack, 0
	.set _ZL30rocblas_trsm_small_left_deviceILi8ELi8ELb0E19rocblas_complex_numIdES1_PKPKS1_PKPS1_Ev13rocblas_fill_18rocblas_operation_17rocblas_diagonal_iiT3_T4_lilT5_lili.has_recursion, 0
	.set _ZL30rocblas_trsm_small_left_deviceILi8ELi8ELb0E19rocblas_complex_numIdES1_PKPKS1_PKPS1_Ev13rocblas_fill_18rocblas_operation_17rocblas_diagonal_iiT3_T4_lilT5_lili.has_indirect_call, 0
	.section	.AMDGPU.csdata,"",@progbits
; Kernel info:
; codeLenInByte = 2316
; TotalNumSgprs: 36
; NumVgprs: 26
; NumAgprs: 0
; TotalNumVgprs: 26
; ScratchSize: 0
; MemoryBound: 0
; FloatMode: 240
; IeeeMode: 1
; LDSByteSize: 2048 bytes/workgroup (compile time only)
; SGPRBlocks: 4
; VGPRBlocks: 3
; NumSGPRsForWavesPerEU: 36
; NumVGPRsForWavesPerEU: 26
; AccumOffset: 28
; Occupancy: 8
; WaveLimiterHint : 1
; COMPUTE_PGM_RSRC2:SCRATCH_EN: 0
; COMPUTE_PGM_RSRC2:USER_SGPR: 4
; COMPUTE_PGM_RSRC2:TRAP_HANDLER: 0
; COMPUTE_PGM_RSRC2:TGID_X_EN: 1
; COMPUTE_PGM_RSRC2:TGID_Y_EN: 0
; COMPUTE_PGM_RSRC2:TGID_Z_EN: 1
; COMPUTE_PGM_RSRC2:TIDIG_COMP_CNT: 2
; COMPUTE_PGM_RSRC3_GFX90A:ACCUM_OFFSET: 6
; COMPUTE_PGM_RSRC3_GFX90A:TG_SPLIT: 0
	.section	.text._ZL38rocblas_trsm_small_left_device_sharedBILi8ELi8ELb1E19rocblas_complex_numIdES1_PKPKS1_PKPS1_Ev13rocblas_fill_18rocblas_operation_17rocblas_diagonal_iiT3_T4_lilT5_lili,"axG",@progbits,_ZL38rocblas_trsm_small_left_device_sharedBILi8ELi8ELb1E19rocblas_complex_numIdES1_PKPKS1_PKPS1_Ev13rocblas_fill_18rocblas_operation_17rocblas_diagonal_iiT3_T4_lilT5_lili,comdat
	.globl	_ZL38rocblas_trsm_small_left_device_sharedBILi8ELi8ELb1E19rocblas_complex_numIdES1_PKPKS1_PKPS1_Ev13rocblas_fill_18rocblas_operation_17rocblas_diagonal_iiT3_T4_lilT5_lili ; -- Begin function _ZL38rocblas_trsm_small_left_device_sharedBILi8ELi8ELb1E19rocblas_complex_numIdES1_PKPKS1_PKPS1_Ev13rocblas_fill_18rocblas_operation_17rocblas_diagonal_iiT3_T4_lilT5_lili
	.p2align	8
	.type	_ZL38rocblas_trsm_small_left_device_sharedBILi8ELi8ELb1E19rocblas_complex_numIdES1_PKPKS1_PKPS1_Ev13rocblas_fill_18rocblas_operation_17rocblas_diagonal_iiT3_T4_lilT5_lili,@function
_ZL38rocblas_trsm_small_left_device_sharedBILi8ELi8ELb1E19rocblas_complex_numIdES1_PKPKS1_PKPS1_Ev13rocblas_fill_18rocblas_operation_17rocblas_diagonal_iiT3_T4_lilT5_lili: ; @_ZL38rocblas_trsm_small_left_device_sharedBILi8ELi8ELb1E19rocblas_complex_numIdES1_PKPKS1_PKPS1_Ev13rocblas_fill_18rocblas_operation_17rocblas_diagonal_iiT3_T4_lilT5_lili
; %bb.0:
	s_load_dwordx4 s[12:15], s[0:1], 0x4
	s_load_dwordx4 s[16:19], s[0:1], 0x48
	s_load_dwordx8 s[4:11], s[0:1], 0x18
	s_mov_b32 s20, s3
	s_mov_b32 s21, 0
	s_lshl_b64 s[22:23], s[20:21], 3
	s_waitcnt lgkmcnt(0)
	s_add_u32 s16, s16, s22
	s_addc_u32 s17, s17, s23
	s_load_dword s3, s[0:1], 0x70
	s_min_i32 s24, s14, 8
	s_load_dwordx2 s[16:17], s[16:17], 0x0
	v_cmp_gt_i32_e32 vcc, s24, v0
	s_and_saveexec_b64 s[20:21], vcc
	s_cbranch_execz .LBB206_11
; %bb.1:
	s_load_dword s26, s[0:1], 0x38
	v_lshlrev_b32_e32 v2, 4, v0
	v_mov_b32_e32 v3, 0
	v_mov_b32_e32 v1, v2
	s_waitcnt lgkmcnt(0)
	s_ashr_i32 s27, s26, 31
	s_cmpk_eq_i32 s12, 0x71
	s_cselect_b64 vcc, -1, 0
	s_add_u32 s8, s8, s22
	s_addc_u32 s9, s9, s23
	s_load_dwordx2 s[8:9], s[8:9], 0x0
	s_lshl_b64 s[10:11], s[10:11], 4
	s_waitcnt lgkmcnt(0)
	s_add_u32 s10, s8, s10
	s_addc_u32 s11, s9, s11
	s_lshl_b64 s[8:9], s[26:27], 4
	v_lshl_add_u64 v[4:5], s[10:11], 0, v[2:3]
	s_mov_b32 s10, s24
.LBB206_2:                              ; =>This Inner Loop Header: Depth=1
	flat_load_dwordx4 v[6:9], v[4:5]
	s_add_i32 s10, s10, -1
	v_lshl_add_u64 v[4:5], v[4:5], 0, s[8:9]
	s_cmp_eq_u32 s10, 0
	s_waitcnt vmcnt(0) lgkmcnt(0)
	v_xor_b32_e32 v3, 0x80000000, v9
	v_cndmask_b32_e32 v9, v9, v3, vcc
	ds_write_b128 v1, v[6:9]
	v_add_u32_e32 v1, 0x80, v1
	s_cbranch_scc0 .LBB206_2
; %bb.3:
	v_lshlrev_b32_e32 v1, 7, v0
	s_cmpk_lg_i32 s13, 0x84
	v_add_u32_e32 v1, v2, v1
	s_cbranch_scc0 .LBB206_9
; %bb.4:
	ds_read_b128 v[2:5], v1
                                        ; implicit-def: $vgpr8_vgpr9
	s_waitcnt lgkmcnt(0)
	v_cmp_ngt_f64_e64 s[8:9], |v[2:3]|, |v[4:5]|
	s_and_saveexec_b64 s[10:11], s[8:9]
	s_xor_b64 s[8:9], exec, s[10:11]
	s_cbranch_execz .LBB206_6
; %bb.5:
	v_div_scale_f64 v[6:7], s[10:11], v[4:5], v[4:5], v[2:3]
	v_rcp_f64_e32 v[8:9], v[6:7]
	v_div_scale_f64 v[10:11], vcc, v[2:3], v[4:5], v[2:3]
	v_fma_f64 v[12:13], -v[6:7], v[8:9], 1.0
	v_fmac_f64_e32 v[8:9], v[8:9], v[12:13]
	v_fma_f64 v[12:13], -v[6:7], v[8:9], 1.0
	v_fmac_f64_e32 v[8:9], v[8:9], v[12:13]
	v_mul_f64 v[12:13], v[10:11], v[8:9]
	v_fma_f64 v[6:7], -v[6:7], v[12:13], v[10:11]
	v_div_fmas_f64 v[6:7], v[6:7], v[8:9], v[12:13]
	v_div_fixup_f64 v[8:9], v[6:7], v[4:5], v[2:3]
	v_fmac_f64_e32 v[4:5], v[2:3], v[8:9]
	v_div_scale_f64 v[2:3], s[10:11], v[4:5], v[4:5], 1.0
	v_rcp_f64_e32 v[6:7], v[2:3]
	s_nop 0
	v_fma_f64 v[10:11], -v[2:3], v[6:7], 1.0
	v_fmac_f64_e32 v[6:7], v[6:7], v[10:11]
	v_fma_f64 v[10:11], -v[2:3], v[6:7], 1.0
	v_fmac_f64_e32 v[6:7], v[6:7], v[10:11]
	v_div_scale_f64 v[10:11], vcc, 1.0, v[4:5], 1.0
	v_mul_f64 v[12:13], v[10:11], v[6:7]
	v_fma_f64 v[2:3], -v[2:3], v[12:13], v[10:11]
	s_nop 1
	v_div_fmas_f64 v[2:3], v[2:3], v[6:7], v[12:13]
	v_div_fixup_f64 v[2:3], v[2:3], v[4:5], 1.0
	v_add_f64 v[4:5], v[8:9], 0
	v_mul_f64 v[6:7], v[4:5], v[2:3]
	v_fma_f64 v[4:5], v[8:9], 0, -1.0
	v_mul_f64 v[8:9], v[4:5], v[2:3]
                                        ; implicit-def: $vgpr2_vgpr3
.LBB206_6:
	s_andn2_saveexec_b64 s[8:9], s[8:9]
	s_cbranch_execz .LBB206_8
; %bb.7:
	v_div_scale_f64 v[6:7], s[10:11], v[2:3], v[2:3], v[4:5]
	v_rcp_f64_e32 v[8:9], v[6:7]
	v_div_scale_f64 v[10:11], vcc, v[4:5], v[2:3], v[4:5]
	v_fma_f64 v[12:13], -v[6:7], v[8:9], 1.0
	v_fmac_f64_e32 v[8:9], v[8:9], v[12:13]
	v_fma_f64 v[12:13], -v[6:7], v[8:9], 1.0
	v_fmac_f64_e32 v[8:9], v[8:9], v[12:13]
	v_mul_f64 v[12:13], v[10:11], v[8:9]
	v_fma_f64 v[6:7], -v[6:7], v[12:13], v[10:11]
	v_div_fmas_f64 v[6:7], v[6:7], v[8:9], v[12:13]
	v_div_fixup_f64 v[8:9], v[6:7], v[2:3], v[4:5]
	v_fmac_f64_e32 v[2:3], v[4:5], v[8:9]
	v_div_scale_f64 v[4:5], s[10:11], v[2:3], v[2:3], 1.0
	v_rcp_f64_e32 v[6:7], v[4:5]
	s_nop 0
	v_fma_f64 v[10:11], -v[4:5], v[6:7], 1.0
	v_fmac_f64_e32 v[6:7], v[6:7], v[10:11]
	v_fma_f64 v[10:11], -v[4:5], v[6:7], 1.0
	v_fmac_f64_e32 v[6:7], v[6:7], v[10:11]
	v_div_scale_f64 v[10:11], vcc, 1.0, v[2:3], 1.0
	v_mul_f64 v[12:13], v[10:11], v[6:7]
	v_fma_f64 v[4:5], -v[4:5], v[12:13], v[10:11]
	s_nop 1
	v_div_fmas_f64 v[4:5], v[4:5], v[6:7], v[12:13]
	v_div_fixup_f64 v[2:3], v[4:5], v[2:3], 1.0
	v_fma_f64 v[4:5], v[8:9], 0, 1.0
	v_mul_f64 v[6:7], v[4:5], v[2:3]
	v_add_f64 v[4:5], -v[8:9], 0
	v_mul_f64 v[8:9], v[4:5], v[2:3]
.LBB206_8:
	s_or_b64 exec, exec, s[8:9]
	s_branch .LBB206_10
.LBB206_9:
	v_mov_b64_e32 v[8:9], 0
	v_mov_b64_e32 v[6:7], 1.0
.LBB206_10:
	ds_write_b128 v1, v[6:9]
.LBB206_11:
	s_or_b64 exec, exec, s[20:21]
	s_load_dword s13, s[0:1], 0x58
	s_lshl_b64 s[0:1], s[18:19], 4
	s_waitcnt lgkmcnt(0)
	s_add_u32 s8, s16, s0
	s_addc_u32 s9, s17, s1
	s_lshl_b32 s0, s2, 3
	s_add_i32 s3, s3, -1
	s_sub_i32 s1, s15, s0
	s_cmp_ge_u32 s2, s3
	s_cselect_b32 s10, s1, 8
	s_mul_hi_i32 s1, s13, s0
	s_mul_i32 s0, s13, s0
	s_lshl_b64 s[0:1], s[0:1], 4
	s_add_u32 s2, s8, s0
	s_addc_u32 s3, s9, s1
	s_cmp_gt_i32 s14, 0
	v_cmp_gt_i32_e64 s[0:1], s10, v0
	s_cselect_b64 s[8:9], -1, 0
	s_and_b64 s[16:17], s[0:1], s[8:9]
	s_and_saveexec_b64 s[10:11], s[16:17]
	s_cbranch_execz .LBB206_14
; %bb.12:
	v_mad_i64_i32 v[2:3], s[16:17], s13, v0, 0
	v_mov_b32_e32 v1, 0x400
	v_lshl_add_u64 v[2:3], v[2:3], 4, s[2:3]
	v_lshl_or_b32 v1, v0, 4, v1
	s_mov_b32 s15, s24
.LBB206_13:                             ; =>This Inner Loop Header: Depth=1
	flat_load_dwordx4 v[4:7], v[2:3]
	s_add_i32 s15, s15, -1
	v_lshl_add_u64 v[2:3], v[2:3], 0, 16
	s_cmp_lg_u32 s15, 0
	s_waitcnt vmcnt(0) lgkmcnt(0)
	v_mul_f64 v[10:11], s[6:7], v[6:7]
	v_mul_f64 v[8:9], s[4:5], v[6:7]
	v_fma_f64 v[6:7], s[4:5], v[4:5], -v[10:11]
	v_fmac_f64_e32 v[8:9], s[6:7], v[4:5]
	ds_write_b128 v1, v[6:9]
	v_add_u32_e32 v1, 0x80, v1
	s_cbranch_scc1 .LBB206_13
.LBB206_14:
	s_or_b64 exec, exec, s[10:11]
	v_mov_b32_e32 v1, 0x400
	s_cmpk_eq_i32 s12, 0x6f
	v_lshl_or_b32 v1, v0, 4, v1
	s_mov_b64 s[4:5], -1
	s_waitcnt lgkmcnt(0)
	; wave barrier
	s_cbranch_scc1 .LBB206_37
; %bb.15:
	s_add_i32 s4, s24, -1
	s_cmp_gt_i32 s14, 7
	s_mov_b32 s5, s4
	s_cbranch_scc0 .LBB206_17
; %bb.16:
	v_mov_b32_e32 v52, 0
	ds_read_b128 v[10:13], v1 offset:896
	ds_read_b128 v[14:17], v1 offset:768
	;; [unrolled: 1-line block ×8, first 2 shown]
	ds_read_b128 v[2:5], v1
	ds_read_b128 v[42:45], v52 offset:880
	s_waitcnt lgkmcnt(5)
	v_mul_f64 v[6:7], v[32:33], v[12:13]
	v_mul_f64 v[8:9], v[30:31], v[12:13]
	v_fma_f64 v[6:7], v[30:31], v[10:11], -v[6:7]
	v_fmac_f64_e32 v[8:9], v[32:33], v[10:11]
	ds_read_b128 v[30:33], v52 offset:864
	s_waitcnt lgkmcnt(1)
	v_mul_f64 v[12:13], v[42:43], v[8:9]
	v_mul_f64 v[10:11], v[44:45], v[8:9]
	v_fmac_f64_e32 v[12:13], v[44:45], v[6:7]
	v_fma_f64 v[10:11], v[42:43], v[6:7], -v[10:11]
	v_add_f64 v[12:13], v[16:17], -v[12:13]
	v_add_f64 v[42:43], v[14:15], -v[10:11]
	ds_read_b128 v[14:17], v52 offset:752
	s_waitcnt lgkmcnt(1)
	v_mul_f64 v[10:11], v[32:33], v[12:13]
	v_mul_f64 v[12:13], v[30:31], v[12:13]
	v_fma_f64 v[10:11], v[30:31], v[42:43], -v[10:11]
	v_fmac_f64_e32 v[12:13], v[32:33], v[42:43]
	ds_write_b128 v1, v[6:9] offset:896
	ds_write_b128 v1, v[10:13] offset:768
	ds_read_b128 v[30:33], v52 offset:720
	ds_read_b128 v[42:45], v52 offset:736
	s_waitcnt lgkmcnt(4)
	v_mul_f64 v[46:47], v[16:17], v[8:9]
	v_fma_f64 v[46:47], v[14:15], v[6:7], -v[46:47]
	v_mul_f64 v[14:15], v[14:15], v[8:9]
	v_fmac_f64_e32 v[14:15], v[16:17], v[6:7]
	v_add_f64 v[16:17], v[18:19], -v[46:47]
	v_add_f64 v[14:15], v[20:21], -v[14:15]
	s_waitcnt lgkmcnt(0)
	v_mul_f64 v[18:19], v[44:45], v[12:13]
	v_mul_f64 v[20:21], v[42:43], v[12:13]
	v_fma_f64 v[18:19], v[42:43], v[10:11], -v[18:19]
	v_fmac_f64_e32 v[20:21], v[44:45], v[10:11]
	v_add_f64 v[46:47], v[16:17], -v[18:19]
	v_add_f64 v[16:17], v[14:15], -v[20:21]
	ds_read_b128 v[18:21], v52 offset:608
	ds_read_b128 v[42:45], v52 offset:624
	v_mul_f64 v[14:15], v[32:33], v[16:17]
	v_mul_f64 v[16:17], v[30:31], v[16:17]
	v_fma_f64 v[14:15], v[30:31], v[46:47], -v[14:15]
	v_fmac_f64_e32 v[16:17], v[32:33], v[46:47]
	ds_write_b128 v1, v[14:17] offset:640
	s_waitcnt lgkmcnt(1)
	v_mul_f64 v[50:51], v[44:45], v[8:9]
	ds_read_b128 v[30:33], v52 offset:576
	ds_read_b128 v[46:49], v52 offset:592
	v_fma_f64 v[50:51], v[42:43], v[6:7], -v[50:51]
	v_mul_f64 v[42:43], v[42:43], v[8:9]
	v_fmac_f64_e32 v[42:43], v[44:45], v[6:7]
	v_add_f64 v[28:29], v[28:29], -v[42:43]
	v_mul_f64 v[42:43], v[20:21], v[12:13]
	v_fma_f64 v[42:43], v[18:19], v[10:11], -v[42:43]
	v_mul_f64 v[18:19], v[18:19], v[12:13]
	v_add_f64 v[26:27], v[26:27], -v[50:51]
	v_fmac_f64_e32 v[18:19], v[20:21], v[10:11]
	v_add_f64 v[20:21], v[26:27], -v[42:43]
	v_add_f64 v[18:19], v[28:29], -v[18:19]
	s_waitcnt lgkmcnt(0)
	v_mul_f64 v[26:27], v[48:49], v[16:17]
	v_mul_f64 v[28:29], v[46:47], v[16:17]
	v_fma_f64 v[26:27], v[46:47], v[14:15], -v[26:27]
	v_fmac_f64_e32 v[28:29], v[48:49], v[14:15]
	v_add_f64 v[42:43], v[20:21], -v[26:27]
	v_add_f64 v[20:21], v[18:19], -v[28:29]
	ds_read_b128 v[26:29], v52 offset:496
	v_mul_f64 v[18:19], v[32:33], v[20:21]
	v_mul_f64 v[20:21], v[30:31], v[20:21]
	v_fma_f64 v[18:19], v[30:31], v[42:43], -v[18:19]
	v_fmac_f64_e32 v[20:21], v[32:33], v[42:43]
	ds_read_b128 v[30:33], v52 offset:480
	s_waitcnt lgkmcnt(1)
	v_mul_f64 v[42:43], v[28:29], v[8:9]
	v_fma_f64 v[42:43], v[26:27], v[6:7], -v[42:43]
	v_mul_f64 v[26:27], v[26:27], v[8:9]
	ds_write_b128 v1, v[18:21] offset:512
	v_fmac_f64_e32 v[26:27], v[28:29], v[6:7]
	v_add_f64 v[46:47], v[34:35], -v[42:43]
	v_add_f64 v[48:49], v[36:37], -v[26:27]
	ds_read_b128 v[34:37], v52 offset:432
	ds_read_b128 v[26:29], v52 offset:448
	;; [unrolled: 1-line block ×3, first 2 shown]
	s_waitcnt lgkmcnt(4)
	v_mul_f64 v[50:51], v[32:33], v[12:13]
	v_fma_f64 v[50:51], v[30:31], v[10:11], -v[50:51]
	v_mul_f64 v[30:31], v[30:31], v[12:13]
	v_fmac_f64_e32 v[30:31], v[32:33], v[10:11]
	v_add_f64 v[32:33], v[46:47], -v[50:51]
	s_waitcnt lgkmcnt(0)
	v_mul_f64 v[46:47], v[44:45], v[16:17]
	v_fma_f64 v[46:47], v[42:43], v[14:15], -v[46:47]
	v_mul_f64 v[42:43], v[42:43], v[16:17]
	v_add_f64 v[30:31], v[48:49], -v[30:31]
	v_fmac_f64_e32 v[42:43], v[44:45], v[14:15]
	v_add_f64 v[30:31], v[30:31], -v[42:43]
	v_mul_f64 v[42:43], v[28:29], v[20:21]
	v_fma_f64 v[42:43], v[26:27], v[18:19], -v[42:43]
	v_mul_f64 v[26:27], v[26:27], v[20:21]
	v_add_f64 v[32:33], v[32:33], -v[46:47]
	v_fmac_f64_e32 v[26:27], v[28:29], v[18:19]
	v_add_f64 v[42:43], v[32:33], -v[42:43]
	v_add_f64 v[28:29], v[30:31], -v[26:27]
	ds_read_b128 v[30:33], v52 offset:368
	v_mul_f64 v[26:27], v[36:37], v[28:29]
	v_fma_f64 v[26:27], v[34:35], v[42:43], -v[26:27]
	v_mul_f64 v[28:29], v[34:35], v[28:29]
	v_fmac_f64_e32 v[28:29], v[36:37], v[42:43]
	s_waitcnt lgkmcnt(0)
	v_mul_f64 v[34:35], v[32:33], v[8:9]
	v_fma_f64 v[42:43], v[30:31], v[6:7], -v[34:35]
	ds_read_b128 v[34:37], v52 offset:352
	v_mul_f64 v[30:31], v[30:31], v[8:9]
	v_fmac_f64_e32 v[30:31], v[32:33], v[6:7]
	v_add_f64 v[38:39], v[38:39], -v[42:43]
	v_add_f64 v[40:41], v[40:41], -v[30:31]
	ds_read_b128 v[30:33], v52 offset:336
	s_waitcnt lgkmcnt(1)
	v_mul_f64 v[42:43], v[36:37], v[12:13]
	v_fma_f64 v[42:43], v[34:35], v[10:11], -v[42:43]
	v_mul_f64 v[34:35], v[34:35], v[12:13]
	ds_write_b128 v1, v[26:29] offset:384
	v_fmac_f64_e32 v[34:35], v[36:37], v[10:11]
	v_add_f64 v[46:47], v[38:39], -v[42:43]
	v_add_f64 v[48:49], v[40:41], -v[34:35]
	ds_read_b128 v[34:37], v52 offset:288
	ds_read_b128 v[38:41], v52 offset:304
	;; [unrolled: 1-line block ×3, first 2 shown]
	s_waitcnt lgkmcnt(4)
	v_mul_f64 v[50:51], v[32:33], v[16:17]
	v_fma_f64 v[50:51], v[30:31], v[14:15], -v[50:51]
	v_mul_f64 v[30:31], v[30:31], v[16:17]
	v_fmac_f64_e32 v[30:31], v[32:33], v[14:15]
	v_add_f64 v[32:33], v[46:47], -v[50:51]
	s_waitcnt lgkmcnt(0)
	v_mul_f64 v[46:47], v[44:45], v[20:21]
	v_fma_f64 v[46:47], v[42:43], v[18:19], -v[46:47]
	v_mul_f64 v[42:43], v[42:43], v[20:21]
	v_add_f64 v[30:31], v[48:49], -v[30:31]
	v_fmac_f64_e32 v[42:43], v[44:45], v[18:19]
	v_add_f64 v[30:31], v[30:31], -v[42:43]
	v_mul_f64 v[42:43], v[40:41], v[28:29]
	v_fma_f64 v[42:43], v[38:39], v[26:27], -v[42:43]
	v_mul_f64 v[38:39], v[38:39], v[28:29]
	v_add_f64 v[32:33], v[32:33], -v[46:47]
	v_fmac_f64_e32 v[38:39], v[40:41], v[26:27]
	v_add_f64 v[42:43], v[32:33], -v[42:43]
	v_add_f64 v[40:41], v[30:31], -v[38:39]
	ds_read_b128 v[30:33], v52 offset:240
	v_mul_f64 v[38:39], v[36:37], v[40:41]
	v_fma_f64 v[38:39], v[34:35], v[42:43], -v[38:39]
	v_mul_f64 v[40:41], v[34:35], v[40:41]
	v_fmac_f64_e32 v[40:41], v[36:37], v[42:43]
	s_waitcnt lgkmcnt(0)
	v_mul_f64 v[34:35], v[32:33], v[8:9]
	v_fma_f64 v[42:43], v[30:31], v[6:7], -v[34:35]
	ds_read_b128 v[34:37], v52 offset:224
	v_mul_f64 v[30:31], v[30:31], v[8:9]
	v_fmac_f64_e32 v[30:31], v[32:33], v[6:7]
	v_add_f64 v[32:33], v[22:23], -v[42:43]
	v_add_f64 v[30:31], v[24:25], -v[30:31]
	ds_read_b128 v[22:25], v52 offset:208
	s_waitcnt lgkmcnt(1)
	v_mul_f64 v[42:43], v[36:37], v[12:13]
	v_fma_f64 v[42:43], v[34:35], v[10:11], -v[42:43]
	v_mul_f64 v[34:35], v[34:35], v[12:13]
	v_fmac_f64_e32 v[34:35], v[36:37], v[10:11]
	ds_write_b128 v1, v[38:41] offset:256
	v_add_f64 v[34:35], v[30:31], -v[34:35]
	s_waitcnt lgkmcnt(1)
	v_mul_f64 v[30:31], v[24:25], v[16:17]
	v_mul_f64 v[44:45], v[22:23], v[16:17]
	v_add_f64 v[36:37], v[32:33], -v[42:43]
	v_fma_f64 v[42:43], v[22:23], v[14:15], -v[30:31]
	v_fmac_f64_e32 v[44:45], v[24:25], v[14:15]
	ds_read_b128 v[22:25], v52 offset:176
	ds_read_b128 v[30:33], v52 offset:192
	v_add_f64 v[46:47], v[36:37], -v[42:43]
	v_add_f64 v[48:49], v[34:35], -v[44:45]
	ds_read_b128 v[34:37], v52 offset:144
	ds_read_b128 v[42:45], v52 offset:160
	s_mov_b32 s5, -1
	s_waitcnt lgkmcnt(2)
	v_mul_f64 v[50:51], v[32:33], v[20:21]
	v_fma_f64 v[50:51], v[30:31], v[18:19], -v[50:51]
	v_mul_f64 v[30:31], v[30:31], v[20:21]
	v_fmac_f64_e32 v[30:31], v[32:33], v[18:19]
	v_add_f64 v[32:33], v[46:47], -v[50:51]
	v_mul_f64 v[46:47], v[24:25], v[28:29]
	v_fma_f64 v[46:47], v[22:23], v[26:27], -v[46:47]
	v_mul_f64 v[22:23], v[22:23], v[28:29]
	v_add_f64 v[30:31], v[48:49], -v[30:31]
	v_fmac_f64_e32 v[22:23], v[24:25], v[26:27]
	v_add_f64 v[24:25], v[32:33], -v[46:47]
	v_add_f64 v[22:23], v[30:31], -v[22:23]
	s_waitcnt lgkmcnt(0)
	v_mul_f64 v[30:31], v[44:45], v[40:41]
	v_mul_f64 v[32:33], v[42:43], v[40:41]
	v_fma_f64 v[30:31], v[42:43], v[38:39], -v[30:31]
	v_fmac_f64_e32 v[32:33], v[44:45], v[38:39]
	v_add_f64 v[42:43], v[24:25], -v[30:31]
	v_add_f64 v[24:25], v[22:23], -v[32:33]
	ds_read_b128 v[30:33], v52 offset:112
	v_mul_f64 v[22:23], v[36:37], v[24:25]
	v_mul_f64 v[24:25], v[34:35], v[24:25]
	v_fma_f64 v[22:23], v[34:35], v[42:43], -v[22:23]
	v_fmac_f64_e32 v[24:25], v[36:37], v[42:43]
	ds_read_b128 v[34:37], v52 offset:96
	s_waitcnt lgkmcnt(1)
	v_mul_f64 v[42:43], v[32:33], v[8:9]
	v_fma_f64 v[42:43], v[30:31], v[6:7], -v[42:43]
	v_mul_f64 v[8:9], v[30:31], v[8:9]
	v_fmac_f64_e32 v[8:9], v[32:33], v[6:7]
	v_add_f64 v[6:7], v[2:3], -v[42:43]
	s_waitcnt lgkmcnt(0)
	v_mul_f64 v[2:3], v[36:37], v[12:13]
	v_add_f64 v[8:9], v[4:5], -v[8:9]
	v_fma_f64 v[30:31], v[34:35], v[10:11], -v[2:3]
	ds_read_b128 v[2:5], v52 offset:80
	v_mul_f64 v[12:13], v[34:35], v[12:13]
	v_fmac_f64_e32 v[12:13], v[36:37], v[10:11]
	v_add_f64 v[10:11], v[6:7], -v[30:31]
	v_add_f64 v[12:13], v[8:9], -v[12:13]
	ds_read_b128 v[6:9], v52 offset:64
	s_waitcnt lgkmcnt(1)
	v_mul_f64 v[30:31], v[4:5], v[16:17]
	v_fma_f64 v[30:31], v[2:3], v[14:15], -v[30:31]
	v_mul_f64 v[2:3], v[2:3], v[16:17]
	v_fmac_f64_e32 v[2:3], v[4:5], v[14:15]
	ds_write_b128 v1, v[22:25] offset:128
	v_add_f64 v[12:13], v[12:13], -v[2:3]
	s_waitcnt lgkmcnt(1)
	v_mul_f64 v[2:3], v[8:9], v[20:21]
	v_mul_f64 v[16:17], v[6:7], v[20:21]
	v_fma_f64 v[14:15], v[6:7], v[18:19], -v[2:3]
	v_fmac_f64_e32 v[16:17], v[8:9], v[18:19]
	ds_read_b128 v[2:5], v52 offset:32
	ds_read_b128 v[6:9], v52 offset:48
	v_add_f64 v[10:11], v[10:11], -v[30:31]
	v_add_f64 v[18:19], v[10:11], -v[14:15]
	;; [unrolled: 1-line block ×3, first 2 shown]
	ds_read_b128 v[10:13], v52
	ds_read_b128 v[14:17], v52 offset:16
	s_waitcnt lgkmcnt(2)
	v_mul_f64 v[30:31], v[8:9], v[28:29]
	v_fma_f64 v[30:31], v[6:7], v[26:27], -v[30:31]
	v_mul_f64 v[6:7], v[6:7], v[28:29]
	v_fmac_f64_e32 v[6:7], v[8:9], v[26:27]
	v_add_f64 v[8:9], v[18:19], -v[30:31]
	v_mul_f64 v[18:19], v[4:5], v[40:41]
	v_fma_f64 v[18:19], v[2:3], v[38:39], -v[18:19]
	v_mul_f64 v[2:3], v[2:3], v[40:41]
	v_add_f64 v[6:7], v[20:21], -v[6:7]
	v_fmac_f64_e32 v[2:3], v[4:5], v[38:39]
	v_add_f64 v[4:5], v[8:9], -v[18:19]
	v_add_f64 v[2:3], v[6:7], -v[2:3]
	s_waitcnt lgkmcnt(0)
	v_mul_f64 v[6:7], v[16:17], v[24:25]
	v_mul_f64 v[8:9], v[14:15], v[24:25]
	v_fma_f64 v[6:7], v[14:15], v[22:23], -v[6:7]
	v_fmac_f64_e32 v[8:9], v[16:17], v[22:23]
	v_add_f64 v[6:7], v[4:5], -v[6:7]
	v_add_f64 v[4:5], v[2:3], -v[8:9]
	v_mul_f64 v[2:3], v[12:13], v[4:5]
	v_mul_f64 v[4:5], v[10:11], v[4:5]
	v_fma_f64 v[2:3], v[10:11], v[6:7], -v[2:3]
	v_fmac_f64_e32 v[4:5], v[12:13], v[6:7]
	ds_write_b128 v1, v[2:5]
.LBB206_17:
	s_cmp_gt_i32 s5, -1
	s_cbranch_scc0 .LBB206_36
; %bb.18:
	s_cmp_lt_u32 s5, 3
	s_cbranch_scc1 .LBB206_23
; %bb.19:
	s_lshl_b32 s6, s5, 7
	v_add_u32_e32 v18, s6, v1
	v_add_u32_e32 v2, 0xffffff80, v18
	ds_read_b128 v[14:17], v18
	ds_read_b128 v[10:13], v2
	v_add_u32_e32 v2, 0xffffff00, v18
	v_add_u32_e32 v3, 0xfffffe80, v18
	ds_read_b128 v[6:9], v2
	ds_read_b128 v[2:5], v3
	s_cmp_le_i32 s4, s5
	s_cbranch_scc1 .LBB206_22
; %bb.20:
	v_lshlrev_b32_e32 v19, 4, v0
	s_lshl_b32 s7, s24, 4
	v_lshl_or_b32 v19, s24, 7, v19
	s_add_i32 s6, s6, s7
	v_add_u32_e32 v19, 0x380, v19
	s_addk_i32 s6, 0xfe70
	s_mov_b32 s7, s4
.LBB206_21:                             ; =>This Inner Loop Header: Depth=1
	v_mov_b32_e32 v36, s6
	ds_read_b128 v[20:23], v19
	ds_read_b128 v[24:27], v36 offset:384
	ds_read_b128 v[28:31], v36 offset:256
	;; [unrolled: 1-line block ×3, first 2 shown]
	ds_read_b128 v[36:39], v36
	s_add_i32 s7, s7, -1
	s_add_i32 s6, s6, -16
	v_add_u32_e32 v19, 0xffffff80, v19
	s_waitcnt lgkmcnt(3)
	v_mul_f64 v[40:41], v[22:23], v[26:27]
	v_mul_f64 v[26:27], v[20:21], v[26:27]
	s_waitcnt lgkmcnt(2)
	v_mul_f64 v[42:43], v[22:23], v[30:31]
	v_mul_f64 v[30:31], v[20:21], v[30:31]
	;; [unrolled: 3-line block ×4, first 2 shown]
	v_fma_f64 v[40:41], v[20:21], v[24:25], -v[40:41]
	v_fmac_f64_e32 v[26:27], v[22:23], v[24:25]
	v_fma_f64 v[24:25], v[20:21], v[28:29], -v[42:43]
	v_fmac_f64_e32 v[30:31], v[22:23], v[28:29]
	;; [unrolled: 2-line block ×4, first 2 shown]
	s_cmp_gt_i32 s7, s5
	v_add_f64 v[14:15], v[14:15], -v[40:41]
	v_add_f64 v[16:17], v[16:17], -v[26:27]
	;; [unrolled: 1-line block ×8, first 2 shown]
	s_cbranch_scc1 .LBB206_21
.LBB206_22:
	s_mul_i32 s6, s5, 0x90
	v_mov_b32_e32 v19, s6
	s_add_i32 s6, s5, -1
	s_lshl_b32 s7, s6, 7
	s_lshl_b32 s10, s5, 4
	ds_read_b128 v[20:23], v19
	s_add_i32 s11, s7, s10
	v_mov_b32_e32 v19, s11
	ds_read_b128 v[24:27], v19
	s_lshl_b32 s6, s6, 4
	s_waitcnt lgkmcnt(1)
	v_mul_f64 v[30:31], v[20:21], v[16:17]
	v_mul_f64 v[28:29], v[22:23], v[16:17]
	v_fmac_f64_e32 v[30:31], v[22:23], v[14:15]
	v_fma_f64 v[28:29], v[20:21], v[14:15], -v[28:29]
	s_waitcnt lgkmcnt(0)
	v_mul_f64 v[14:15], v[26:27], v[30:31]
	v_fma_f64 v[14:15], v[24:25], v[28:29], -v[14:15]
	s_add_i32 s6, s7, s6
	v_mul_f64 v[16:17], v[24:25], v[30:31]
	v_add_f64 v[22:23], v[10:11], -v[14:15]
	v_mov_b32_e32 v10, s6
	s_add_i32 s6, s5, -2
	v_fmac_f64_e32 v[16:17], v[26:27], v[28:29]
	s_lshl_b32 s11, s6, 7
	v_add_f64 v[20:21], v[12:13], -v[16:17]
	ds_read_b128 v[10:13], v10
	s_add_i32 s12, s11, s10
	v_mov_b32_e32 v14, s12
	ds_read_b128 v[14:17], v14
	ds_write_b128 v18, v[28:31]
	s_waitcnt lgkmcnt(2)
	v_mul_f64 v[18:19], v[12:13], v[20:21]
	v_mul_f64 v[20:21], v[10:11], v[20:21]
	v_fma_f64 v[18:19], v[10:11], v[22:23], -v[18:19]
	v_fmac_f64_e32 v[20:21], v[12:13], v[22:23]
	v_add_u32_e32 v10, s7, v1
	ds_write_b128 v10, v[18:21]
	s_waitcnt lgkmcnt(2)
	v_mul_f64 v[10:11], v[16:17], v[30:31]
	v_fma_f64 v[10:11], v[14:15], v[28:29], -v[10:11]
	v_mul_f64 v[12:13], v[14:15], v[30:31]
	s_add_i32 s7, s12, -16
	v_fmac_f64_e32 v[12:13], v[16:17], v[28:29]
	v_add_f64 v[14:15], v[6:7], -v[10:11]
	v_mov_b32_e32 v6, s7
	v_add_f64 v[16:17], v[8:9], -v[12:13]
	ds_read_b128 v[6:9], v6
	s_lshl_b32 s6, s6, 4
	s_add_i32 s6, s11, s6
	v_mov_b32_e32 v10, s6
	ds_read_b128 v[10:13], v10
	s_waitcnt lgkmcnt(1)
	v_mul_f64 v[22:23], v[8:9], v[20:21]
	v_fma_f64 v[22:23], v[6:7], v[18:19], -v[22:23]
	v_mul_f64 v[6:7], v[6:7], v[20:21]
	v_fmac_f64_e32 v[6:7], v[8:9], v[18:19]
	s_add_i32 s6, s5, -3
	v_add_f64 v[8:9], v[16:17], -v[6:7]
	s_lshl_b32 s7, s6, 7
	v_add_f64 v[14:15], v[14:15], -v[22:23]
	s_waitcnt lgkmcnt(0)
	v_mul_f64 v[6:7], v[12:13], v[8:9]
	s_add_i32 s10, s7, s10
	v_fma_f64 v[6:7], v[10:11], v[14:15], -v[6:7]
	v_mul_f64 v[8:9], v[10:11], v[8:9]
	v_mov_b32_e32 v10, s10
	v_fmac_f64_e32 v[8:9], v[12:13], v[14:15]
	ds_read_b128 v[10:13], v10
	v_add_u32_e32 v14, s11, v1
	s_add_i32 s11, s10, -16
	ds_write_b128 v14, v[6:9]
	v_mov_b32_e32 v14, s11
	ds_read_b128 v[14:17], v14
	s_waitcnt lgkmcnt(2)
	v_mul_f64 v[22:23], v[12:13], v[30:31]
	v_fma_f64 v[22:23], v[10:11], v[28:29], -v[22:23]
	v_mul_f64 v[10:11], v[10:11], v[30:31]
	v_fmac_f64_e32 v[10:11], v[12:13], v[28:29]
	v_add_f64 v[4:5], v[4:5], -v[10:11]
	s_waitcnt lgkmcnt(0)
	v_mul_f64 v[10:11], v[16:17], v[20:21]
	v_add_f64 v[2:3], v[2:3], -v[22:23]
	v_fma_f64 v[10:11], v[14:15], v[18:19], -v[10:11]
	v_mul_f64 v[12:13], v[14:15], v[20:21]
	s_sub_i32 s10, s10, 32
	v_fmac_f64_e32 v[12:13], v[16:17], v[18:19]
	v_add_f64 v[14:15], v[2:3], -v[10:11]
	v_mov_b32_e32 v2, s10
	v_add_f64 v[16:17], v[4:5], -v[12:13]
	ds_read_b128 v[2:5], v2
	s_lshl_b32 s6, s6, 4
	s_add_i32 s6, s7, s6
	v_mov_b32_e32 v10, s6
	ds_read_b128 v[10:13], v10
	s_waitcnt lgkmcnt(1)
	v_mul_f64 v[18:19], v[4:5], v[8:9]
	v_fma_f64 v[18:19], v[2:3], v[6:7], -v[18:19]
	v_mul_f64 v[2:3], v[2:3], v[8:9]
	v_fmac_f64_e32 v[2:3], v[4:5], v[6:7]
	v_add_f64 v[4:5], v[16:17], -v[2:3]
	v_add_f64 v[6:7], v[14:15], -v[18:19]
	s_waitcnt lgkmcnt(0)
	v_mul_f64 v[2:3], v[12:13], v[4:5]
	v_mul_f64 v[4:5], v[10:11], v[4:5]
	v_fma_f64 v[2:3], v[10:11], v[6:7], -v[2:3]
	v_fmac_f64_e32 v[4:5], v[12:13], v[6:7]
	v_add_u32_e32 v6, s7, v1
	s_add_i32 s5, s5, -4
	ds_write_b128 v6, v[2:5]
.LBB206_23:
	s_cmp_lt_i32 s5, 0
	s_cbranch_scc1 .LBB206_36
; %bb.24:
	s_bitcmp1_b32 s5, 0
	s_cselect_b64 s[6:7], -1, 0
	s_and_b64 vcc, exec, s[6:7]
	s_mov_b32 s6, s5
	s_cbranch_vccnz .LBB206_29
; %bb.25:
	s_lshl_b32 s6, s5, 7
	v_add_u32_e32 v6, s6, v1
	ds_read_b128 v[2:5], v6
	s_cmp_le_i32 s4, s5
	s_cbranch_scc1 .LBB206_28
; %bb.26:
	s_lshl_b32 s7, s24, 4
	v_lshlrev_b32_e32 v7, 4, v0
	s_add_i32 s6, s6, s7
	v_lshl_or_b32 v7, s24, 7, v7
	s_add_i32 s6, s6, -16
	v_add_u32_e32 v7, 0x380, v7
	s_mov_b32 s7, s4
.LBB206_27:                             ; =>This Inner Loop Header: Depth=1
	v_mov_b32_e32 v12, s6
	ds_read_b128 v[8:11], v7
	ds_read_b128 v[12:15], v12
	s_add_i32 s7, s7, -1
	s_add_i32 s6, s6, -16
	v_add_u32_e32 v7, 0xffffff80, v7
	s_cmp_gt_i32 s7, s5
	s_waitcnt lgkmcnt(0)
	v_mul_f64 v[16:17], v[10:11], v[14:15]
	v_mul_f64 v[14:15], v[8:9], v[14:15]
	v_fma_f64 v[8:9], v[8:9], v[12:13], -v[16:17]
	v_fmac_f64_e32 v[14:15], v[10:11], v[12:13]
	v_add_f64 v[2:3], v[2:3], -v[8:9]
	v_add_f64 v[4:5], v[4:5], -v[14:15]
	s_cbranch_scc1 .LBB206_27
.LBB206_28:
	s_mul_i32 s6, s5, 0x90
	v_mov_b32_e32 v7, s6
	ds_read_b128 v[8:11], v7
	s_add_i32 s6, s5, -1
	s_waitcnt lgkmcnt(0)
	v_mul_f64 v[12:13], v[10:11], v[4:5]
	v_mul_f64 v[14:15], v[8:9], v[4:5]
	v_fma_f64 v[12:13], v[8:9], v[2:3], -v[12:13]
	v_fmac_f64_e32 v[14:15], v[10:11], v[2:3]
	ds_write_b128 v6, v[12:15]
.LBB206_29:
	s_cmp_eq_u32 s5, 0
	s_cbranch_scc1 .LBB206_36
; %bb.30:
	s_lshl_b32 s5, s6, 7
	s_lshl_b32 s7, s24, 4
	v_lshlrev_b32_e32 v2, 4, v0
	s_add_i32 s7, s5, s7
	v_lshl_or_b32 v2, s24, 7, v2
	s_add_i32 s5, s7, -16
	v_add_u32_e32 v10, 0x380, v2
	s_addk_i32 s7, 0xff70
	s_branch .LBB206_32
.LBB206_31:                             ;   in Loop: Header=BB206_32 Depth=1
	s_addk_i32 s10, 0xff70
	v_mov_b32_e32 v6, s10
	ds_read_b128 v[6:9], v6
	s_add_i32 s10, s6, -2
	s_addk_i32 s5, 0xff00
	s_addk_i32 s7, 0xff00
	s_cmp_lt_i32 s6, 2
	s_waitcnt lgkmcnt(0)
	v_mul_f64 v[12:13], v[8:9], v[4:5]
	v_mul_f64 v[14:15], v[6:7], v[4:5]
	v_fma_f64 v[12:13], v[6:7], v[2:3], -v[12:13]
	v_fmac_f64_e32 v[14:15], v[8:9], v[2:3]
	s_mov_b32 s6, s10
	ds_write_b128 v11, v[12:15]
	s_cbranch_scc1 .LBB206_36
.LBB206_32:                             ; =>This Loop Header: Depth=1
                                        ;     Child Loop BB206_33 Depth 2
                                        ;     Child Loop BB206_35 Depth 2
	s_lshl_b32 s11, s6, 7
	v_add_u32_e32 v12, s11, v1
	ds_read_b128 v[6:9], v12
	s_cmp_le_i32 s4, s6
	v_mov_b32_e32 v2, v10
	s_mov_b32 s10, s5
	s_mov_b32 s12, s4
	s_cbranch_scc1 .LBB206_34
.LBB206_33:                             ;   Parent Loop BB206_32 Depth=1
                                        ; =>  This Inner Loop Header: Depth=2
	v_mov_b32_e32 v3, s10
	ds_read_b128 v[14:17], v2
	ds_read_b128 v[18:21], v3
	s_add_i32 s12, s12, -1
	s_add_i32 s10, s10, -16
	v_add_u32_e32 v2, 0xffffff80, v2
	s_cmp_gt_i32 s12, s6
	s_waitcnt lgkmcnt(0)
	v_mul_f64 v[4:5], v[16:17], v[20:21]
	v_mul_f64 v[20:21], v[14:15], v[20:21]
	v_fma_f64 v[4:5], v[14:15], v[18:19], -v[4:5]
	v_fmac_f64_e32 v[20:21], v[16:17], v[18:19]
	v_add_f64 v[6:7], v[6:7], -v[4:5]
	v_add_f64 v[8:9], v[8:9], -v[20:21]
	s_cbranch_scc1 .LBB206_33
.LBB206_34:                             ;   in Loop: Header=BB206_32 Depth=1
	s_mul_i32 s10, s6, 0x90
	v_mov_b32_e32 v2, s10
	ds_read_b128 v[14:17], v2
	s_addk_i32 s11, 0xff80
	v_add_u32_e32 v11, s11, v1
	ds_read_b128 v[2:5], v11
	s_cmp_le_i32 s24, s6
	s_waitcnt lgkmcnt(1)
	v_mul_f64 v[18:19], v[16:17], v[8:9]
	v_mul_f64 v[20:21], v[14:15], v[8:9]
	v_fma_f64 v[18:19], v[14:15], v[6:7], -v[18:19]
	v_fmac_f64_e32 v[20:21], v[16:17], v[6:7]
	v_mov_b32_e32 v6, v10
	s_mov_b32 s11, s7
	s_mov_b32 s12, s24
	ds_write_b128 v12, v[18:21]
	s_cbranch_scc1 .LBB206_31
.LBB206_35:                             ;   Parent Loop BB206_32 Depth=1
                                        ; =>  This Inner Loop Header: Depth=2
	v_mov_b32_e32 v7, s11
	ds_read_b128 v[12:15], v6
	ds_read_b128 v[16:19], v7
	s_add_i32 s12, s12, -1
	s_add_i32 s11, s11, -16
	v_add_u32_e32 v6, 0xffffff80, v6
	s_cmp_gt_i32 s12, s6
	s_waitcnt lgkmcnt(0)
	v_mul_f64 v[8:9], v[14:15], v[18:19]
	v_mul_f64 v[18:19], v[12:13], v[18:19]
	v_fma_f64 v[8:9], v[12:13], v[16:17], -v[8:9]
	v_fmac_f64_e32 v[18:19], v[14:15], v[16:17]
	v_add_f64 v[2:3], v[2:3], -v[8:9]
	v_add_f64 v[4:5], v[4:5], -v[18:19]
	s_cbranch_scc1 .LBB206_35
	s_branch .LBB206_31
.LBB206_36:
	s_mov_b64 s[4:5], 0
.LBB206_37:
	s_and_b64 vcc, exec, s[4:5]
	s_cbranch_vccz .LBB206_53
; %bb.38:
	s_cmp_gt_i32 s14, 7
	s_mov_b32 s4, 0
	s_cbranch_scc0 .LBB206_40
; %bb.39:
	v_mov_b32_e32 v34, 0
	ds_read_b128 v[2:5], v1
	ds_read_b128 v[6:9], v1 offset:128
	ds_read_b128 v[10:13], v1 offset:256
	;; [unrolled: 1-line block ×7, first 2 shown]
	ds_read_b128 v[18:21], v34
	ds_read_b128 v[22:25], v34 offset:16
	ds_read_b128 v[48:51], v34 offset:32
	s_mov_b32 s4, 8
	s_waitcnt lgkmcnt(2)
	v_mul_f64 v[32:33], v[18:19], v[4:5]
	v_mul_f64 v[30:31], v[20:21], v[4:5]
	v_fmac_f64_e32 v[32:33], v[20:21], v[2:3]
	v_fma_f64 v[30:31], v[18:19], v[2:3], -v[30:31]
	s_waitcnt lgkmcnt(1)
	v_mul_f64 v[2:3], v[24:25], v[32:33]
	v_mul_f64 v[4:5], v[22:23], v[32:33]
	v_fma_f64 v[2:3], v[22:23], v[30:31], -v[2:3]
	v_fmac_f64_e32 v[4:5], v[24:25], v[30:31]
	v_add_f64 v[6:7], v[6:7], -v[2:3]
	v_add_f64 v[8:9], v[8:9], -v[4:5]
	ds_read_b128 v[2:5], v34 offset:144
	ds_write_b128 v1, v[30:33]
	s_waitcnt lgkmcnt(1)
	v_mul_f64 v[18:19], v[4:5], v[8:9]
	v_mul_f64 v[20:21], v[2:3], v[8:9]
	v_fma_f64 v[18:19], v[2:3], v[6:7], -v[18:19]
	v_fmac_f64_e32 v[20:21], v[4:5], v[6:7]
	v_mul_f64 v[2:3], v[50:51], v[32:33]
	v_mul_f64 v[4:5], v[48:49], v[32:33]
	v_fma_f64 v[2:3], v[48:49], v[30:31], -v[2:3]
	v_fmac_f64_e32 v[4:5], v[50:51], v[30:31]
	v_add_f64 v[6:7], v[10:11], -v[2:3]
	v_add_f64 v[8:9], v[12:13], -v[4:5]
	ds_read_b128 v[2:5], v34 offset:160
	ds_write_b128 v1, v[18:21] offset:128
	s_waitcnt lgkmcnt(1)
	v_mul_f64 v[10:11], v[4:5], v[20:21]
	v_fma_f64 v[10:11], v[2:3], v[18:19], -v[10:11]
	v_mul_f64 v[2:3], v[2:3], v[20:21]
	v_fmac_f64_e32 v[2:3], v[4:5], v[18:19]
	v_add_f64 v[8:9], v[8:9], -v[2:3]
	ds_read_b128 v[2:5], v34 offset:288
	v_add_f64 v[6:7], v[6:7], -v[10:11]
	s_waitcnt lgkmcnt(0)
	v_mul_f64 v[10:11], v[4:5], v[8:9]
	v_mul_f64 v[24:25], v[2:3], v[8:9]
	v_fma_f64 v[22:23], v[2:3], v[6:7], -v[10:11]
	v_fmac_f64_e32 v[24:25], v[4:5], v[6:7]
	ds_read_b128 v[2:5], v34 offset:48
	ds_write_b128 v1, v[22:25] offset:256
	s_waitcnt lgkmcnt(1)
	v_mul_f64 v[6:7], v[4:5], v[32:33]
	v_fma_f64 v[6:7], v[2:3], v[30:31], -v[6:7]
	v_mul_f64 v[2:3], v[2:3], v[32:33]
	v_fmac_f64_e32 v[2:3], v[4:5], v[30:31]
	v_add_f64 v[8:9], v[16:17], -v[2:3]
	ds_read_b128 v[2:5], v34 offset:176
	v_add_f64 v[6:7], v[14:15], -v[6:7]
	s_waitcnt lgkmcnt(0)
	v_mul_f64 v[10:11], v[4:5], v[20:21]
	v_fma_f64 v[10:11], v[2:3], v[18:19], -v[10:11]
	v_mul_f64 v[2:3], v[2:3], v[20:21]
	v_fmac_f64_e32 v[2:3], v[4:5], v[18:19]
	v_add_f64 v[8:9], v[8:9], -v[2:3]
	ds_read_b128 v[2:5], v34 offset:304
	v_add_f64 v[6:7], v[6:7], -v[10:11]
	;; [unrolled: 8-line block ×3, first 2 shown]
	s_waitcnt lgkmcnt(0)
	v_mul_f64 v[6:7], v[4:5], v[8:9]
	v_mul_f64 v[8:9], v[2:3], v[8:9]
	v_fma_f64 v[6:7], v[2:3], v[10:11], -v[6:7]
	v_fmac_f64_e32 v[8:9], v[4:5], v[10:11]
	ds_read_b128 v[2:5], v34 offset:64
	ds_write_b128 v1, v[6:9] offset:384
	s_waitcnt lgkmcnt(1)
	v_mul_f64 v[10:11], v[4:5], v[32:33]
	v_fma_f64 v[10:11], v[2:3], v[30:31], -v[10:11]
	v_mul_f64 v[2:3], v[2:3], v[32:33]
	v_fmac_f64_e32 v[2:3], v[4:5], v[30:31]
	v_add_f64 v[12:13], v[38:39], -v[2:3]
	ds_read_b128 v[2:5], v34 offset:192
	v_add_f64 v[10:11], v[36:37], -v[10:11]
	s_waitcnt lgkmcnt(0)
	v_mul_f64 v[14:15], v[4:5], v[20:21]
	v_fma_f64 v[14:15], v[2:3], v[18:19], -v[14:15]
	v_mul_f64 v[2:3], v[2:3], v[20:21]
	v_fmac_f64_e32 v[2:3], v[4:5], v[18:19]
	v_add_f64 v[12:13], v[12:13], -v[2:3]
	ds_read_b128 v[2:5], v34 offset:320
	v_add_f64 v[10:11], v[10:11], -v[14:15]
	;; [unrolled: 8-line block ×4, first 2 shown]
	s_waitcnt lgkmcnt(0)
	v_mul_f64 v[10:11], v[4:5], v[12:13]
	v_mul_f64 v[12:13], v[2:3], v[12:13]
	v_fma_f64 v[10:11], v[2:3], v[14:15], -v[10:11]
	v_fmac_f64_e32 v[12:13], v[4:5], v[14:15]
	ds_read_b128 v[2:5], v34 offset:80
	ds_write_b128 v1, v[10:13] offset:512
	s_waitcnt lgkmcnt(1)
	v_mul_f64 v[14:15], v[4:5], v[32:33]
	v_fma_f64 v[14:15], v[2:3], v[30:31], -v[14:15]
	v_mul_f64 v[2:3], v[2:3], v[32:33]
	v_fmac_f64_e32 v[2:3], v[4:5], v[30:31]
	v_add_f64 v[16:17], v[42:43], -v[2:3]
	ds_read_b128 v[2:5], v34 offset:208
	v_add_f64 v[14:15], v[40:41], -v[14:15]
	s_waitcnt lgkmcnt(0)
	v_mul_f64 v[36:37], v[4:5], v[20:21]
	v_fma_f64 v[36:37], v[2:3], v[18:19], -v[36:37]
	v_mul_f64 v[2:3], v[2:3], v[20:21]
	v_fmac_f64_e32 v[2:3], v[4:5], v[18:19]
	v_add_f64 v[16:17], v[16:17], -v[2:3]
	ds_read_b128 v[2:5], v34 offset:336
	v_add_f64 v[14:15], v[14:15], -v[36:37]
	;; [unrolled: 8-line block ×4, first 2 shown]
	s_waitcnt lgkmcnt(0)
	v_mul_f64 v[36:37], v[4:5], v[12:13]
	v_fma_f64 v[36:37], v[2:3], v[10:11], -v[36:37]
	v_mul_f64 v[2:3], v[2:3], v[12:13]
	v_fmac_f64_e32 v[2:3], v[4:5], v[10:11]
	v_add_f64 v[36:37], v[14:15], -v[36:37]
	v_add_f64 v[4:5], v[16:17], -v[2:3]
	ds_read_b128 v[14:17], v34 offset:720
	s_waitcnt lgkmcnt(0)
	v_mul_f64 v[2:3], v[16:17], v[4:5]
	v_mul_f64 v[4:5], v[14:15], v[4:5]
	v_fma_f64 v[2:3], v[14:15], v[36:37], -v[2:3]
	v_fmac_f64_e32 v[4:5], v[16:17], v[36:37]
	ds_read_b128 v[14:17], v34 offset:96
	ds_write_b128 v1, v[2:5] offset:640
	s_waitcnt lgkmcnt(1)
	v_mul_f64 v[36:37], v[16:17], v[32:33]
	v_fma_f64 v[36:37], v[14:15], v[30:31], -v[36:37]
	v_mul_f64 v[14:15], v[14:15], v[32:33]
	v_fmac_f64_e32 v[14:15], v[16:17], v[30:31]
	v_add_f64 v[38:39], v[46:47], -v[14:15]
	ds_read_b128 v[14:17], v34 offset:224
	v_add_f64 v[36:37], v[44:45], -v[36:37]
	s_waitcnt lgkmcnt(0)
	v_mul_f64 v[40:41], v[16:17], v[20:21]
	v_fma_f64 v[40:41], v[14:15], v[18:19], -v[40:41]
	v_mul_f64 v[14:15], v[14:15], v[20:21]
	v_fmac_f64_e32 v[14:15], v[16:17], v[18:19]
	v_add_f64 v[38:39], v[38:39], -v[14:15]
	ds_read_b128 v[14:17], v34 offset:352
	v_add_f64 v[36:37], v[36:37], -v[40:41]
	;; [unrolled: 8-line block ×5, first 2 shown]
	s_waitcnt lgkmcnt(0)
	v_mul_f64 v[40:41], v[16:17], v[4:5]
	v_fma_f64 v[40:41], v[14:15], v[2:3], -v[40:41]
	v_mul_f64 v[14:15], v[14:15], v[4:5]
	v_fmac_f64_e32 v[14:15], v[16:17], v[2:3]
	v_add_f64 v[40:41], v[36:37], -v[40:41]
	v_add_f64 v[16:17], v[38:39], -v[14:15]
	ds_read_b128 v[36:39], v34 offset:864
	s_waitcnt lgkmcnt(0)
	v_mul_f64 v[14:15], v[38:39], v[16:17]
	v_mul_f64 v[16:17], v[36:37], v[16:17]
	v_fma_f64 v[14:15], v[36:37], v[40:41], -v[14:15]
	v_fmac_f64_e32 v[16:17], v[38:39], v[40:41]
	ds_read_b128 v[36:39], v34 offset:112
	ds_write_b128 v1, v[14:17] offset:768
	s_waitcnt lgkmcnt(1)
	v_mul_f64 v[40:41], v[38:39], v[32:33]
	v_mul_f64 v[32:33], v[36:37], v[32:33]
	v_fmac_f64_e32 v[32:33], v[38:39], v[30:31]
	v_fma_f64 v[40:41], v[36:37], v[30:31], -v[40:41]
	v_add_f64 v[28:29], v[28:29], -v[32:33]
	ds_read_b128 v[30:33], v34 offset:240
	v_add_f64 v[26:27], v[26:27], -v[40:41]
	s_waitcnt lgkmcnt(0)
	v_mul_f64 v[36:37], v[32:33], v[20:21]
	v_mul_f64 v[20:21], v[30:31], v[20:21]
	v_fmac_f64_e32 v[20:21], v[32:33], v[18:19]
	v_fma_f64 v[36:37], v[30:31], v[18:19], -v[36:37]
	v_add_f64 v[28:29], v[28:29], -v[20:21]
	ds_read_b128 v[18:21], v34 offset:368
	v_add_f64 v[26:27], v[26:27], -v[36:37]
	s_waitcnt lgkmcnt(0)
	v_mul_f64 v[30:31], v[20:21], v[24:25]
	v_fma_f64 v[30:31], v[18:19], v[22:23], -v[30:31]
	v_mul_f64 v[18:19], v[18:19], v[24:25]
	v_fmac_f64_e32 v[18:19], v[20:21], v[22:23]
	v_add_f64 v[24:25], v[28:29], -v[18:19]
	ds_read_b128 v[18:21], v34 offset:496
	v_add_f64 v[22:23], v[26:27], -v[30:31]
	s_waitcnt lgkmcnt(0)
	v_mul_f64 v[26:27], v[20:21], v[8:9]
	v_mul_f64 v[8:9], v[18:19], v[8:9]
	v_fmac_f64_e32 v[8:9], v[20:21], v[6:7]
	v_fma_f64 v[26:27], v[18:19], v[6:7], -v[26:27]
	v_add_f64 v[20:21], v[24:25], -v[8:9]
	ds_read_b128 v[6:9], v34 offset:624
	v_add_f64 v[18:19], v[22:23], -v[26:27]
	s_waitcnt lgkmcnt(0)
	v_mul_f64 v[22:23], v[8:9], v[12:13]
	v_fma_f64 v[22:23], v[6:7], v[10:11], -v[22:23]
	v_mul_f64 v[6:7], v[6:7], v[12:13]
	v_fmac_f64_e32 v[6:7], v[8:9], v[10:11]
	;; [unrolled: 16-line block ×3, first 2 shown]
	v_add_f64 v[8:9], v[8:9], -v[2:3]
	ds_read_b128 v[2:5], v34 offset:1008
	v_add_f64 v[10:11], v[6:7], -v[10:11]
	s_waitcnt lgkmcnt(0)
	v_mul_f64 v[6:7], v[4:5], v[8:9]
	v_mul_f64 v[8:9], v[2:3], v[8:9]
	v_fma_f64 v[6:7], v[2:3], v[10:11], -v[6:7]
	v_fmac_f64_e32 v[8:9], v[4:5], v[10:11]
	ds_write_b128 v1, v[6:9] offset:896
.LBB206_40:
	s_cmp_lt_i32 s4, s24
	s_cbranch_scc0 .LBB206_53
; %bb.41:
	s_or_b32 s5, s4, 3
	s_cmp_ge_u32 s5, s24
	s_cbranch_scc1 .LBB206_47
; %bb.42:
	v_mov_b32_e32 v2, 0x400
	s_lshl_b32 s5, s4, 4
	v_lshl_or_b32 v18, v0, 4, v2
.LBB206_43:                             ; =>This Loop Header: Depth=1
                                        ;     Child Loop BB206_44 Depth 2
	s_lshl_b32 s6, s4, 7
	v_add_u32_e32 v19, s6, v1
	ds_read_b128 v[14:17], v19
	ds_read_b128 v[10:13], v19 offset:128
	ds_read_b128 v[6:9], v19 offset:256
	;; [unrolled: 1-line block ×3, first 2 shown]
	s_cmp_eq_u32 s4, 0
	v_mov_b32_e32 v20, v18
	s_mov_b32 s7, s5
	s_mov_b32 s10, s4
	s_cbranch_scc1 .LBB206_45
.LBB206_44:                             ;   Parent Loop BB206_43 Depth=1
                                        ; =>  This Inner Loop Header: Depth=2
	v_mov_b32_e32 v21, s7
	ds_read_b128 v[22:25], v20
	ds_read_b128 v[26:29], v21
	ds_read_b128 v[30:33], v21 offset:16
	ds_read_b128 v[34:37], v21 offset:32
	;; [unrolled: 1-line block ×3, first 2 shown]
	s_add_i32 s10, s10, -1
	s_addk_i32 s7, 0x80
	v_add_u32_e32 v20, 0x80, v20
	s_waitcnt lgkmcnt(3)
	v_mul_f64 v[42:43], v[24:25], v[28:29]
	v_mul_f64 v[28:29], v[22:23], v[28:29]
	s_waitcnt lgkmcnt(2)
	v_mul_f64 v[44:45], v[24:25], v[32:33]
	v_mul_f64 v[32:33], v[22:23], v[32:33]
	;; [unrolled: 3-line block ×4, first 2 shown]
	v_fma_f64 v[42:43], v[22:23], v[26:27], -v[42:43]
	v_fmac_f64_e32 v[28:29], v[24:25], v[26:27]
	v_fma_f64 v[26:27], v[22:23], v[30:31], -v[44:45]
	v_fmac_f64_e32 v[32:33], v[24:25], v[30:31]
	;; [unrolled: 2-line block ×4, first 2 shown]
	s_cmp_lg_u32 s10, 0
	v_add_f64 v[14:15], v[14:15], -v[42:43]
	v_add_f64 v[16:17], v[16:17], -v[28:29]
	;; [unrolled: 1-line block ×8, first 2 shown]
	s_cbranch_scc1 .LBB206_44
.LBB206_45:                             ;   in Loop: Header=BB206_43 Depth=1
	s_lshl_b32 s7, s4, 4
	s_add_i32 s10, s7, s6
	v_mov_b32_e32 v40, s10
	ds_read_b128 v[20:23], v40
	ds_read_b128 v[24:27], v40 offset:16
	ds_read_b128 v[28:31], v40 offset:32
	;; [unrolled: 1-line block ×3, first 2 shown]
	s_or_b32 s10, s6, 0x80
	s_waitcnt lgkmcnt(3)
	v_mul_f64 v[38:39], v[20:21], v[16:17]
	v_mul_f64 v[36:37], v[22:23], v[16:17]
	v_fmac_f64_e32 v[38:39], v[22:23], v[14:15]
	v_fma_f64 v[36:37], v[20:21], v[14:15], -v[36:37]
	s_waitcnt lgkmcnt(2)
	v_mul_f64 v[14:15], v[26:27], v[38:39]
	v_fma_f64 v[20:21], v[24:25], v[36:37], -v[14:15]
	ds_read_b128 v[14:17], v40 offset:144
	v_mul_f64 v[22:23], v[24:25], v[38:39]
	v_fmac_f64_e32 v[22:23], v[26:27], v[36:37]
	v_add_f64 v[22:23], v[12:13], -v[22:23]
	v_add_f64 v[24:25], v[10:11], -v[20:21]
	ds_read_b128 v[10:13], v40 offset:288
	s_waitcnt lgkmcnt(1)
	v_mul_f64 v[20:21], v[16:17], v[22:23]
	v_mul_f64 v[22:23], v[14:15], v[22:23]
	v_fma_f64 v[20:21], v[14:15], v[24:25], -v[20:21]
	v_fmac_f64_e32 v[22:23], v[16:17], v[24:25]
	v_add_u32_e32 v14, s10, v1
	s_add_i32 s10, s7, s10
	ds_write_b128 v14, v[20:23]
	v_mul_f64 v[14:15], v[30:31], v[38:39]
	v_mov_b32_e32 v41, s10
	v_fma_f64 v[24:25], v[28:29], v[36:37], -v[14:15]
	ds_read_b128 v[14:17], v41 offset:32
	v_mul_f64 v[26:27], v[28:29], v[38:39]
	ds_write_b128 v19, v[36:39]
	v_fmac_f64_e32 v[26:27], v[30:31], v[36:37]
	v_add_f64 v[28:29], v[6:7], -v[24:25]
	v_add_f64 v[30:31], v[8:9], -v[26:27]
	ds_read_b128 v[6:9], v41 offset:48
	ds_read_b128 v[24:27], v40 offset:432
	s_waitcnt lgkmcnt(3)
	v_mul_f64 v[40:41], v[16:17], v[22:23]
	v_fma_f64 v[40:41], v[14:15], v[20:21], -v[40:41]
	v_mul_f64 v[14:15], v[14:15], v[22:23]
	v_fmac_f64_e32 v[14:15], v[16:17], v[20:21]
	v_add_f64 v[16:17], v[30:31], -v[14:15]
	v_add_f64 v[28:29], v[28:29], -v[40:41]
	v_mul_f64 v[14:15], v[12:13], v[16:17]
	v_mul_f64 v[16:17], v[10:11], v[16:17]
	s_bitset1_b32 s6, 8
	v_fma_f64 v[14:15], v[10:11], v[28:29], -v[14:15]
	v_fmac_f64_e32 v[16:17], v[12:13], v[28:29]
	v_add_u32_e32 v10, s6, v1
	ds_write_b128 v10, v[14:17]
	v_mul_f64 v[10:11], v[34:35], v[38:39]
	v_fma_f64 v[10:11], v[32:33], v[36:37], -v[10:11]
	v_mul_f64 v[12:13], v[32:33], v[38:39]
	s_add_i32 s6, s7, s6
	v_fmac_f64_e32 v[12:13], v[34:35], v[36:37]
	v_add_f64 v[10:11], v[2:3], -v[10:11]
	v_mov_b32_e32 v2, s6
	v_add_f64 v[12:13], v[4:5], -v[12:13]
	ds_read_b128 v[2:5], v2 offset:48
	s_waitcnt lgkmcnt(3)
	v_mul_f64 v[28:29], v[8:9], v[22:23]
	v_fma_f64 v[28:29], v[6:7], v[20:21], -v[28:29]
	v_mul_f64 v[6:7], v[6:7], v[22:23]
	v_fmac_f64_e32 v[6:7], v[8:9], v[20:21]
	v_add_f64 v[8:9], v[10:11], -v[28:29]
	s_waitcnt lgkmcnt(0)
	v_mul_f64 v[10:11], v[4:5], v[16:17]
	v_fma_f64 v[10:11], v[2:3], v[14:15], -v[10:11]
	v_mul_f64 v[2:3], v[2:3], v[16:17]
	v_add_f64 v[6:7], v[12:13], -v[6:7]
	v_fmac_f64_e32 v[2:3], v[4:5], v[14:15]
	v_add_f64 v[4:5], v[6:7], -v[2:3]
	v_add_f64 v[8:9], v[8:9], -v[10:11]
	v_mul_f64 v[2:3], v[26:27], v[4:5]
	v_mul_f64 v[4:5], v[24:25], v[4:5]
	s_add_i32 s6, s4, 4
	s_add_i32 s4, s4, 7
	s_add_i32 s5, s5, 64
	v_fma_f64 v[2:3], v[24:25], v[8:9], -v[2:3]
	v_fmac_f64_e32 v[4:5], v[26:27], v[8:9]
	s_cmp_lt_i32 s4, s24
	ds_write_b128 v19, v[2:5] offset:384
	s_cbranch_scc0 .LBB206_48
; %bb.46:                               ;   in Loop: Header=BB206_43 Depth=1
	s_mov_b32 s4, s6
	s_branch .LBB206_43
.LBB206_47:
	s_mov_b32 s6, s4
.LBB206_48:
	s_cmp_ge_i32 s6, s24
	s_cbranch_scc1 .LBB206_53
; %bb.49:
	v_mov_b32_e32 v2, 0x400
	s_lshl_b32 s4, s6, 4
	v_lshl_or_b32 v6, v0, 4, v2
	s_branch .LBB206_51
.LBB206_50:                             ;   in Loop: Header=BB206_51 Depth=1
	s_lshl_b32 s7, s6, 4
	s_add_i32 s5, s7, s5
	v_mov_b32_e32 v8, s5
	ds_read_b128 v[8:11], v8
	s_add_i32 s6, s6, 1
	s_add_i32 s4, s4, 16
	s_cmp_ge_i32 s6, s24
	s_waitcnt lgkmcnt(0)
	v_mul_f64 v[12:13], v[10:11], v[4:5]
	v_mul_f64 v[14:15], v[8:9], v[4:5]
	v_fma_f64 v[12:13], v[8:9], v[2:3], -v[12:13]
	v_fmac_f64_e32 v[14:15], v[10:11], v[2:3]
	ds_write_b128 v7, v[12:15]
	s_cbranch_scc1 .LBB206_53
.LBB206_51:                             ; =>This Loop Header: Depth=1
                                        ;     Child Loop BB206_52 Depth 2
	s_lshl_b32 s5, s6, 7
	v_add_u32_e32 v7, s5, v1
	ds_read_b128 v[2:5], v7
	s_cmp_eq_u32 s6, 0
	v_mov_b32_e32 v8, v6
	s_mov_b32 s7, s4
	s_mov_b32 s10, s6
	s_cbranch_scc1 .LBB206_50
.LBB206_52:                             ;   Parent Loop BB206_51 Depth=1
                                        ; =>  This Inner Loop Header: Depth=2
	v_mov_b32_e32 v9, s7
	ds_read_b128 v[10:13], v8
	ds_read_b128 v[14:17], v9
	s_add_i32 s10, s10, -1
	s_addk_i32 s7, 0x80
	v_add_u32_e32 v8, 0x80, v8
	s_cmp_lg_u32 s10, 0
	s_waitcnt lgkmcnt(0)
	v_mul_f64 v[18:19], v[12:13], v[16:17]
	v_mul_f64 v[16:17], v[10:11], v[16:17]
	v_fma_f64 v[10:11], v[10:11], v[14:15], -v[18:19]
	v_fmac_f64_e32 v[16:17], v[12:13], v[14:15]
	v_add_f64 v[2:3], v[2:3], -v[10:11]
	v_add_f64 v[4:5], v[4:5], -v[16:17]
	s_cbranch_scc1 .LBB206_52
	s_branch .LBB206_50
.LBB206_53:
	s_waitcnt lgkmcnt(0)
	; wave barrier
	s_and_saveexec_b64 s[4:5], s[0:1]
	s_cbranch_execz .LBB206_57
; %bb.54:
	s_andn2_b64 vcc, exec, s[8:9]
	s_cbranch_vccnz .LBB206_57
; %bb.55:
	v_mad_i64_i32 v[2:3], s[0:1], s13, v0, 0
	v_mov_b32_e32 v1, 0x400
	v_lshl_add_u64 v[2:3], v[2:3], 4, s[2:3]
	v_lshl_or_b32 v0, v0, 4, v1
.LBB206_56:                             ; =>This Inner Loop Header: Depth=1
	ds_read2_b64 v[4:7], v0 offset1:1
	s_add_i32 s24, s24, -1
	v_add_u32_e32 v0, 0x80, v0
	s_cmp_lg_u32 s24, 0
	s_waitcnt lgkmcnt(0)
	flat_store_dwordx4 v[2:3], v[4:7]
	v_lshl_add_u64 v[2:3], v[2:3], 0, 16
	s_cbranch_scc1 .LBB206_56
.LBB206_57:
	s_endpgm
	.section	.rodata,"a",@progbits
	.p2align	6, 0x0
	.amdhsa_kernel _ZL38rocblas_trsm_small_left_device_sharedBILi8ELi8ELb1E19rocblas_complex_numIdES1_PKPKS1_PKPS1_Ev13rocblas_fill_18rocblas_operation_17rocblas_diagonal_iiT3_T4_lilT5_lili
		.amdhsa_group_segment_fixed_size 2048
		.amdhsa_private_segment_fixed_size 0
		.amdhsa_kernarg_size 368
		.amdhsa_user_sgpr_count 2
		.amdhsa_user_sgpr_dispatch_ptr 0
		.amdhsa_user_sgpr_queue_ptr 0
		.amdhsa_user_sgpr_kernarg_segment_ptr 1
		.amdhsa_user_sgpr_dispatch_id 0
		.amdhsa_user_sgpr_kernarg_preload_length 0
		.amdhsa_user_sgpr_kernarg_preload_offset 0
		.amdhsa_user_sgpr_private_segment_size 0
		.amdhsa_uses_dynamic_stack 0
		.amdhsa_enable_private_segment 0
		.amdhsa_system_sgpr_workgroup_id_x 1
		.amdhsa_system_sgpr_workgroup_id_y 0
		.amdhsa_system_sgpr_workgroup_id_z 1
		.amdhsa_system_sgpr_workgroup_info 0
		.amdhsa_system_vgpr_workitem_id 0
		.amdhsa_next_free_vgpr 53
		.amdhsa_next_free_sgpr 28
		.amdhsa_accum_offset 56
		.amdhsa_reserve_vcc 1
		.amdhsa_float_round_mode_32 0
		.amdhsa_float_round_mode_16_64 0
		.amdhsa_float_denorm_mode_32 3
		.amdhsa_float_denorm_mode_16_64 3
		.amdhsa_dx10_clamp 1
		.amdhsa_ieee_mode 1
		.amdhsa_fp16_overflow 0
		.amdhsa_tg_split 0
		.amdhsa_exception_fp_ieee_invalid_op 0
		.amdhsa_exception_fp_denorm_src 0
		.amdhsa_exception_fp_ieee_div_zero 0
		.amdhsa_exception_fp_ieee_overflow 0
		.amdhsa_exception_fp_ieee_underflow 0
		.amdhsa_exception_fp_ieee_inexact 0
		.amdhsa_exception_int_div_zero 0
	.end_amdhsa_kernel
	.section	.text._ZL38rocblas_trsm_small_left_device_sharedBILi8ELi8ELb1E19rocblas_complex_numIdES1_PKPKS1_PKPS1_Ev13rocblas_fill_18rocblas_operation_17rocblas_diagonal_iiT3_T4_lilT5_lili,"axG",@progbits,_ZL38rocblas_trsm_small_left_device_sharedBILi8ELi8ELb1E19rocblas_complex_numIdES1_PKPKS1_PKPS1_Ev13rocblas_fill_18rocblas_operation_17rocblas_diagonal_iiT3_T4_lilT5_lili,comdat
.Lfunc_end206:
	.size	_ZL38rocblas_trsm_small_left_device_sharedBILi8ELi8ELb1E19rocblas_complex_numIdES1_PKPKS1_PKPS1_Ev13rocblas_fill_18rocblas_operation_17rocblas_diagonal_iiT3_T4_lilT5_lili, .Lfunc_end206-_ZL38rocblas_trsm_small_left_device_sharedBILi8ELi8ELb1E19rocblas_complex_numIdES1_PKPKS1_PKPS1_Ev13rocblas_fill_18rocblas_operation_17rocblas_diagonal_iiT3_T4_lilT5_lili
                                        ; -- End function
	.set _ZL38rocblas_trsm_small_left_device_sharedBILi8ELi8ELb1E19rocblas_complex_numIdES1_PKPKS1_PKPS1_Ev13rocblas_fill_18rocblas_operation_17rocblas_diagonal_iiT3_T4_lilT5_lili.num_vgpr, 53
	.set _ZL38rocblas_trsm_small_left_device_sharedBILi8ELi8ELb1E19rocblas_complex_numIdES1_PKPKS1_PKPS1_Ev13rocblas_fill_18rocblas_operation_17rocblas_diagonal_iiT3_T4_lilT5_lili.num_agpr, 0
	.set _ZL38rocblas_trsm_small_left_device_sharedBILi8ELi8ELb1E19rocblas_complex_numIdES1_PKPKS1_PKPS1_Ev13rocblas_fill_18rocblas_operation_17rocblas_diagonal_iiT3_T4_lilT5_lili.numbered_sgpr, 28
	.set _ZL38rocblas_trsm_small_left_device_sharedBILi8ELi8ELb1E19rocblas_complex_numIdES1_PKPKS1_PKPS1_Ev13rocblas_fill_18rocblas_operation_17rocblas_diagonal_iiT3_T4_lilT5_lili.num_named_barrier, 0
	.set _ZL38rocblas_trsm_small_left_device_sharedBILi8ELi8ELb1E19rocblas_complex_numIdES1_PKPKS1_PKPS1_Ev13rocblas_fill_18rocblas_operation_17rocblas_diagonal_iiT3_T4_lilT5_lili.private_seg_size, 0
	.set _ZL38rocblas_trsm_small_left_device_sharedBILi8ELi8ELb1E19rocblas_complex_numIdES1_PKPKS1_PKPS1_Ev13rocblas_fill_18rocblas_operation_17rocblas_diagonal_iiT3_T4_lilT5_lili.uses_vcc, 1
	.set _ZL38rocblas_trsm_small_left_device_sharedBILi8ELi8ELb1E19rocblas_complex_numIdES1_PKPKS1_PKPS1_Ev13rocblas_fill_18rocblas_operation_17rocblas_diagonal_iiT3_T4_lilT5_lili.uses_flat_scratch, 0
	.set _ZL38rocblas_trsm_small_left_device_sharedBILi8ELi8ELb1E19rocblas_complex_numIdES1_PKPKS1_PKPS1_Ev13rocblas_fill_18rocblas_operation_17rocblas_diagonal_iiT3_T4_lilT5_lili.has_dyn_sized_stack, 0
	.set _ZL38rocblas_trsm_small_left_device_sharedBILi8ELi8ELb1E19rocblas_complex_numIdES1_PKPKS1_PKPS1_Ev13rocblas_fill_18rocblas_operation_17rocblas_diagonal_iiT3_T4_lilT5_lili.has_recursion, 0
	.set _ZL38rocblas_trsm_small_left_device_sharedBILi8ELi8ELb1E19rocblas_complex_numIdES1_PKPKS1_PKPS1_Ev13rocblas_fill_18rocblas_operation_17rocblas_diagonal_iiT3_T4_lilT5_lili.has_indirect_call, 0
	.section	.AMDGPU.csdata,"",@progbits
; Kernel info:
; codeLenInByte = 8024
; TotalNumSgprs: 34
; NumVgprs: 53
; NumAgprs: 0
; TotalNumVgprs: 53
; ScratchSize: 0
; MemoryBound: 0
; FloatMode: 240
; IeeeMode: 1
; LDSByteSize: 2048 bytes/workgroup (compile time only)
; SGPRBlocks: 4
; VGPRBlocks: 6
; NumSGPRsForWavesPerEU: 34
; NumVGPRsForWavesPerEU: 53
; AccumOffset: 56
; Occupancy: 8
; WaveLimiterHint : 0
; COMPUTE_PGM_RSRC2:SCRATCH_EN: 0
; COMPUTE_PGM_RSRC2:USER_SGPR: 2
; COMPUTE_PGM_RSRC2:TRAP_HANDLER: 0
; COMPUTE_PGM_RSRC2:TGID_X_EN: 1
; COMPUTE_PGM_RSRC2:TGID_Y_EN: 0
; COMPUTE_PGM_RSRC2:TGID_Z_EN: 1
; COMPUTE_PGM_RSRC2:TIDIG_COMP_CNT: 0
; COMPUTE_PGM_RSRC3_GFX90A:ACCUM_OFFSET: 13
; COMPUTE_PGM_RSRC3_GFX90A:TG_SPLIT: 0
	.section	.text._ZL30rocblas_trsm_small_left_deviceILi8ELi8ELb1E19rocblas_complex_numIdES1_PKPKS1_PKPS1_Ev13rocblas_fill_18rocblas_operation_17rocblas_diagonal_iiT3_T4_lilT5_lili,"axG",@progbits,_ZL30rocblas_trsm_small_left_deviceILi8ELi8ELb1E19rocblas_complex_numIdES1_PKPKS1_PKPS1_Ev13rocblas_fill_18rocblas_operation_17rocblas_diagonal_iiT3_T4_lilT5_lili,comdat
	.globl	_ZL30rocblas_trsm_small_left_deviceILi8ELi8ELb1E19rocblas_complex_numIdES1_PKPKS1_PKPS1_Ev13rocblas_fill_18rocblas_operation_17rocblas_diagonal_iiT3_T4_lilT5_lili ; -- Begin function _ZL30rocblas_trsm_small_left_deviceILi8ELi8ELb1E19rocblas_complex_numIdES1_PKPKS1_PKPS1_Ev13rocblas_fill_18rocblas_operation_17rocblas_diagonal_iiT3_T4_lilT5_lili
	.p2align	8
	.type	_ZL30rocblas_trsm_small_left_deviceILi8ELi8ELb1E19rocblas_complex_numIdES1_PKPKS1_PKPS1_Ev13rocblas_fill_18rocblas_operation_17rocblas_diagonal_iiT3_T4_lilT5_lili,@function
_ZL30rocblas_trsm_small_left_deviceILi8ELi8ELb1E19rocblas_complex_numIdES1_PKPKS1_PKPS1_Ev13rocblas_fill_18rocblas_operation_17rocblas_diagonal_iiT3_T4_lilT5_lili: ; @_ZL30rocblas_trsm_small_left_deviceILi8ELi8ELb1E19rocblas_complex_numIdES1_PKPKS1_PKPS1_Ev13rocblas_fill_18rocblas_operation_17rocblas_diagonal_iiT3_T4_lilT5_lili
; %bb.0:
	s_load_dwordx4 s[16:19], s[2:3], 0x4
	s_load_dwordx4 s[20:23], s[2:3], 0x48
	s_load_dwordx8 s[8:15], s[2:3], 0x18
	s_mov_b32 s6, s5
	s_mov_b32 s7, 0
	s_lshl_b64 s[24:25], s[6:7], 3
	s_waitcnt lgkmcnt(0)
	s_add_u32 s6, s20, s24
	s_addc_u32 s7, s21, s25
	s_load_dword s5, s[2:3], 0x70
	v_and_b32_e32 v1, 0x3ff, v0
	s_load_dwordx2 s[6:7], s[6:7], 0x0
	s_min_i32 s18, s18, 8
	v_cmp_gt_i32_e32 vcc, s18, v1
	s_and_saveexec_b64 s[20:21], vcc
	s_cbranch_execz .LBB207_11
; %bb.1:
	s_load_dword s26, s[2:3], 0x38
	v_lshlrev_b32_e32 v2, 4, v1
	v_mov_b32_e32 v3, 0
	v_mov_b32_e32 v6, v2
	s_waitcnt lgkmcnt(0)
	s_ashr_i32 s27, s26, 31
	s_cmpk_eq_i32 s16, 0x71
	s_cselect_b64 vcc, -1, 0
	s_add_u32 s12, s12, s24
	s_addc_u32 s13, s13, s25
	s_load_dwordx2 s[12:13], s[12:13], 0x0
	s_lshl_b64 s[14:15], s[14:15], 4
	s_waitcnt lgkmcnt(0)
	s_add_u32 s14, s12, s14
	s_addc_u32 s15, s13, s15
	s_lshl_b64 s[12:13], s[26:27], 4
	v_lshl_add_u64 v[4:5], s[14:15], 0, v[2:3]
	s_mov_b32 s14, s18
.LBB207_2:                              ; =>This Inner Loop Header: Depth=1
	flat_load_dwordx4 v[8:11], v[4:5]
	s_add_i32 s14, s14, -1
	v_lshl_add_u64 v[4:5], v[4:5], 0, s[12:13]
	s_cmp_eq_u32 s14, 0
	s_waitcnt vmcnt(0) lgkmcnt(0)
	v_xor_b32_e32 v3, 0x80000000, v11
	v_cndmask_b32_e32 v11, v11, v3, vcc
	ds_write_b128 v6, v[8:11]
	v_add_u32_e32 v6, 0x80, v6
	s_cbranch_scc0 .LBB207_2
; %bb.3:
	v_lshlrev_b32_e32 v3, 7, v1
	s_cmpk_lg_i32 s17, 0x84
	v_add_u32_e32 v10, v2, v3
	s_cbranch_scc0 .LBB207_9
; %bb.4:
	ds_read_b128 v[2:5], v10
                                        ; implicit-def: $vgpr8_vgpr9
	s_waitcnt lgkmcnt(0)
	v_cmp_ngt_f64_e64 s[12:13], |v[2:3]|, |v[4:5]|
	s_and_saveexec_b64 s[14:15], s[12:13]
	s_xor_b64 s[12:13], exec, s[14:15]
	s_cbranch_execz .LBB207_6
; %bb.5:
	v_div_scale_f64 v[6:7], s[14:15], v[4:5], v[4:5], v[2:3]
	v_rcp_f64_e32 v[8:9], v[6:7]
	v_div_scale_f64 v[12:13], vcc, v[2:3], v[4:5], v[2:3]
	v_fma_f64 v[14:15], -v[6:7], v[8:9], 1.0
	v_fmac_f64_e32 v[8:9], v[8:9], v[14:15]
	v_fma_f64 v[14:15], -v[6:7], v[8:9], 1.0
	v_fmac_f64_e32 v[8:9], v[8:9], v[14:15]
	v_mul_f64 v[14:15], v[12:13], v[8:9]
	v_fma_f64 v[6:7], -v[6:7], v[14:15], v[12:13]
	v_div_fmas_f64 v[6:7], v[6:7], v[8:9], v[14:15]
	v_div_fixup_f64 v[8:9], v[6:7], v[4:5], v[2:3]
	v_fmac_f64_e32 v[4:5], v[2:3], v[8:9]
	v_div_scale_f64 v[2:3], s[14:15], v[4:5], v[4:5], 1.0
	v_rcp_f64_e32 v[6:7], v[2:3]
	s_nop 0
	v_fma_f64 v[12:13], -v[2:3], v[6:7], 1.0
	v_fmac_f64_e32 v[6:7], v[6:7], v[12:13]
	v_fma_f64 v[12:13], -v[2:3], v[6:7], 1.0
	v_fmac_f64_e32 v[6:7], v[6:7], v[12:13]
	v_div_scale_f64 v[12:13], vcc, 1.0, v[4:5], 1.0
	v_mul_f64 v[14:15], v[12:13], v[6:7]
	v_fma_f64 v[2:3], -v[2:3], v[14:15], v[12:13]
	s_nop 1
	v_div_fmas_f64 v[2:3], v[2:3], v[6:7], v[14:15]
	v_div_fixup_f64 v[2:3], v[2:3], v[4:5], 1.0
	v_add_f64 v[4:5], v[8:9], 0
	v_mul_f64 v[6:7], v[4:5], v[2:3]
	v_fma_f64 v[4:5], v[8:9], 0, -1.0
	v_mul_f64 v[8:9], v[4:5], v[2:3]
                                        ; implicit-def: $vgpr2_vgpr3
.LBB207_6:
	s_andn2_saveexec_b64 s[12:13], s[12:13]
	s_cbranch_execz .LBB207_8
; %bb.7:
	v_div_scale_f64 v[6:7], s[14:15], v[2:3], v[2:3], v[4:5]
	v_rcp_f64_e32 v[8:9], v[6:7]
	v_div_scale_f64 v[12:13], vcc, v[4:5], v[2:3], v[4:5]
	v_fma_f64 v[14:15], -v[6:7], v[8:9], 1.0
	v_fmac_f64_e32 v[8:9], v[8:9], v[14:15]
	v_fma_f64 v[14:15], -v[6:7], v[8:9], 1.0
	v_fmac_f64_e32 v[8:9], v[8:9], v[14:15]
	v_mul_f64 v[14:15], v[12:13], v[8:9]
	v_fma_f64 v[6:7], -v[6:7], v[14:15], v[12:13]
	v_div_fmas_f64 v[6:7], v[6:7], v[8:9], v[14:15]
	v_div_fixup_f64 v[8:9], v[6:7], v[2:3], v[4:5]
	v_fmac_f64_e32 v[2:3], v[4:5], v[8:9]
	v_div_scale_f64 v[4:5], s[14:15], v[2:3], v[2:3], 1.0
	v_rcp_f64_e32 v[6:7], v[4:5]
	s_nop 0
	v_fma_f64 v[12:13], -v[4:5], v[6:7], 1.0
	v_fmac_f64_e32 v[6:7], v[6:7], v[12:13]
	v_fma_f64 v[12:13], -v[4:5], v[6:7], 1.0
	v_fmac_f64_e32 v[6:7], v[6:7], v[12:13]
	v_div_scale_f64 v[12:13], vcc, 1.0, v[2:3], 1.0
	v_mul_f64 v[14:15], v[12:13], v[6:7]
	v_fma_f64 v[4:5], -v[4:5], v[14:15], v[12:13]
	s_nop 1
	v_div_fmas_f64 v[4:5], v[4:5], v[6:7], v[14:15]
	v_div_fixup_f64 v[2:3], v[4:5], v[2:3], 1.0
	v_fma_f64 v[4:5], v[8:9], 0, 1.0
	v_mul_f64 v[6:7], v[4:5], v[2:3]
	v_add_f64 v[4:5], -v[8:9], 0
	v_mul_f64 v[8:9], v[4:5], v[2:3]
.LBB207_8:
	s_or_b64 exec, exec, s[12:13]
	s_branch .LBB207_10
.LBB207_9:
	v_mov_b64_e32 v[8:9], 0
	v_mov_b64_e32 v[6:7], 1.0
.LBB207_10:
	ds_write_b128 v10, v[6:9]
.LBB207_11:
	s_or_b64 exec, exec, s[20:21]
	s_waitcnt lgkmcnt(0)
	s_add_i32 s12, s5, -1
	s_lshl_b32 s5, s4, 3
	s_sub_i32 s13, s19, s5
	s_cmp_ge_u32 s4, s12
	s_cselect_b32 s4, s13, 8
	v_cmp_gt_i32_e32 vcc, s4, v1
	; wave barrier
	s_and_saveexec_b64 s[12:13], vcc
	s_cbranch_execz .LBB207_54
; %bb.12:
	s_load_dwordx2 s[12:13], s[0:1], 0x4
	s_load_dword s4, s[2:3], 0x58
	v_bfe_u32 v2, v0, 10, 10
	v_bfe_u32 v0, v0, 20, 10
	s_waitcnt lgkmcnt(0)
	s_lshr_b32 s0, s12, 16
	s_mul_i32 s0, s0, s13
	v_mul_u32_u24_e32 v2, s13, v2
	v_mul_u32_u24_e32 v3, s0, v1
	v_add3_u32 v0, v3, v2, v0
	v_mov_b32_e32 v2, 0x400
	s_lshl_b64 s[0:1], s[22:23], 4
	v_lshl_add_u32 v10, v0, 7, v2
	s_add_u32 s2, s6, s0
	v_add_u32_e32 v0, s5, v1
	s_addc_u32 s3, s7, s1
	v_mad_i64_i32 v[6:7], s[4:5], s4, v0, 0
	v_lshl_add_u64 v[4:5], v[6:7], 4, s[2:3]
	s_cmpk_eq_i32 s16, 0x6f
	s_mov_b64 s[2:3], -1
	s_cbranch_scc1 .LBB207_33
; %bb.13:
	s_add_i32 s19, s18, -1
	s_add_u32 s2, s6, s0
	s_addc_u32 s3, s7, s1
	v_lshl_add_u64 v[8:9], v[6:7], 4, s[2:3]
	s_lshl_b32 s20, s18, 4
	s_mov_b32 s3, 0
	s_add_i32 s20, s20, -16
	s_mov_b32 s2, s3
	s_mov_b32 s4, s19
	s_branch .LBB207_15
.LBB207_14:                             ;   in Loop: Header=BB207_15 Depth=1
	s_cmp_lt_i32 s4, 0
	s_cselect_b64 s[12:13], -1, 0
	s_add_i32 s2, s2, 1
	s_cmp_eq_u32 s2, 3
	s_cselect_b64 s[14:15], -1, 0
	s_or_b64 s[12:13], s[12:13], s[14:15]
	s_andn2_b64 vcc, exec, s[12:13]
	s_cbranch_vccz .LBB207_32
.LBB207_15:                             ; =>This Loop Header: Depth=1
                                        ;     Child Loop BB207_18 Depth 2
                                        ;       Child Loop BB207_19 Depth 3
                                        ;       Child Loop BB207_21 Depth 3
                                        ;         Child Loop BB207_22 Depth 4
                                        ;       Child Loop BB207_26 Depth 3
                                        ;         Child Loop BB207_28 Depth 4
	s_lshl_b64 s[12:13], s[2:3], 2
	s_getpc_b64 s[14:15]
	s_add_u32 s14, s14, __const._ZL30rocblas_trsm_small_left_deviceILi8ELi8ELb1E19rocblas_complex_numIdES1_PKPKS1_PKPS1_Ev13rocblas_fill_18rocblas_operation_17rocblas_diagonal_iiT3_T4_lilT5_lili.step_sizes@rel32@lo+4
	s_addc_u32 s15, s15, __const._ZL30rocblas_trsm_small_left_deviceILi8ELi8ELb1E19rocblas_complex_numIdES1_PKPKS1_PKPS1_Ev13rocblas_fill_18rocblas_operation_17rocblas_diagonal_iiT3_T4_lilT5_lili.step_sizes@rel32@hi+12
	s_add_u32 s12, s14, s12
	s_addc_u32 s13, s15, s13
	s_load_dword s21, s[12:13], 0x0
	s_waitcnt lgkmcnt(0)
	s_add_i32 s22, s21, -1
	s_cmp_lt_i32 s4, s22
	s_cbranch_scc1 .LBB207_14
; %bb.16:                               ;   in Loop: Header=BB207_15 Depth=1
	s_lshl_b32 s5, s4, 7
	s_add_i32 s24, s20, s5
	s_lshl_b32 s5, s21, 7
	s_max_i32 s23, s21, 1
	s_sub_i32 s25, 0, s5
	s_mul_i32 s26, s4, 0x90
	s_mul_i32 s27, s21, 0xffffff70
	s_branch .LBB207_18
.LBB207_17:                             ;   in Loop: Header=BB207_18 Depth=2
	s_sub_i32 s4, s4, s21
	s_add_i32 s24, s24, s25
	s_add_i32 s26, s26, s27
	s_cmp_lt_i32 s4, s22
	s_cbranch_scc1 .LBB207_14
.LBB207_18:                             ;   Parent Loop BB207_15 Depth=1
                                        ; =>  This Loop Header: Depth=2
                                        ;       Child Loop BB207_19 Depth 3
                                        ;       Child Loop BB207_21 Depth 3
                                        ;         Child Loop BB207_22 Depth 4
                                        ;       Child Loop BB207_26 Depth 3
                                        ;         Child Loop BB207_28 Depth 4
	s_ashr_i32 s5, s4, 31
	v_lshl_add_u64 v[0:1], s[4:5], 4, v[8:9]
	v_mov_b32_e32 v2, v10
	s_mov_b32 s12, s23
.LBB207_19:                             ;   Parent Loop BB207_15 Depth=1
                                        ;     Parent Loop BB207_18 Depth=2
                                        ; =>    This Inner Loop Header: Depth=3
	flat_load_dwordx4 v[12:15], v[0:1]
	s_add_i32 s12, s12, -1
	v_lshl_add_u64 v[0:1], v[0:1], 0, -16
	s_cmp_eq_u32 s12, 0
	s_waitcnt vmcnt(0) lgkmcnt(0)
	v_mul_f64 v[18:19], s[10:11], v[14:15]
	v_mul_f64 v[16:17], s[8:9], v[14:15]
	v_fma_f64 v[14:15], s[8:9], v[12:13], -v[18:19]
	v_fmac_f64_e32 v[16:17], s[10:11], v[12:13]
	ds_write_b128 v2, v[14:17]
	v_add_u32_e32 v2, 16, v2
	s_cbranch_scc0 .LBB207_19
; %bb.20:                               ;   in Loop: Header=BB207_18 Depth=2
	s_cmp_le_i32 s19, s4
	s_mov_b32 s14, s24
	s_mov_b32 s12, s19
	s_cbranch_scc1 .LBB207_24
.LBB207_21:                             ;   Parent Loop BB207_15 Depth=1
                                        ;     Parent Loop BB207_18 Depth=2
                                        ; =>    This Loop Header: Depth=3
                                        ;         Child Loop BB207_22 Depth 4
	s_ashr_i32 s13, s12, 31
	v_lshl_add_u64 v[0:1], s[12:13], 4, v[4:5]
	flat_load_dwordx4 v[0:3], v[0:1]
	v_mov_b32_e32 v11, v10
	s_mov_b32 s13, s14
	s_mov_b32 s15, s23
.LBB207_22:                             ;   Parent Loop BB207_15 Depth=1
                                        ;     Parent Loop BB207_18 Depth=2
                                        ;       Parent Loop BB207_21 Depth=3
                                        ; =>      This Inner Loop Header: Depth=4
	v_mov_b32_e32 v16, s13
	ds_read_b128 v[16:19], v16
	ds_read_b128 v[12:15], v11
	s_add_i32 s15, s15, -1
	s_addk_i32 s13, 0xff80
	s_cmp_eq_u32 s15, 0
	s_waitcnt vmcnt(0) lgkmcnt(0)
	v_mul_f64 v[20:21], v[2:3], v[18:19]
	v_mul_f64 v[18:19], v[0:1], v[18:19]
	v_fma_f64 v[20:21], v[0:1], v[16:17], -v[20:21]
	v_fmac_f64_e32 v[18:19], v[2:3], v[16:17]
	v_add_f64 v[12:13], v[12:13], -v[20:21]
	v_add_f64 v[14:15], v[14:15], -v[18:19]
	ds_write_b128 v11, v[12:15]
	v_add_u32_e32 v11, 16, v11
	s_cbranch_scc0 .LBB207_22
; %bb.23:                               ;   in Loop: Header=BB207_21 Depth=3
	s_add_i32 s12, s12, -1
	s_add_i32 s14, s14, -16
	s_cmp_le_i32 s12, s4
	s_cbranch_scc0 .LBB207_21
.LBB207_24:                             ;   in Loop: Header=BB207_18 Depth=2
	s_mov_b32 s28, 0
	s_mov_b32 s29, s26
	s_branch .LBB207_26
.LBB207_25:                             ;   in Loop: Header=BB207_26 Depth=3
	s_mulk_i32 s14, 0x90
	v_mov_b32_e32 v12, s14
	ds_read_b128 v[12:15], v12
	s_add_i32 s28, s28, 1
	s_addk_i32 s29, 0xff80
	v_lshl_add_u64 v[20:21], s[12:13], 4, v[4:5]
	s_cmp_eq_u32 s28, s23
	s_waitcnt lgkmcnt(0)
	v_mul_f64 v[16:17], v[14:15], v[2:3]
	v_mul_f64 v[18:19], v[12:13], v[2:3]
	v_fma_f64 v[16:17], v[12:13], v[0:1], -v[16:17]
	v_fmac_f64_e32 v[18:19], v[14:15], v[0:1]
	ds_write_b128 v11, v[16:19]
	flat_store_dwordx4 v[20:21], v[16:19]
	s_cbranch_scc1 .LBB207_17
.LBB207_26:                             ;   Parent Loop BB207_15 Depth=1
                                        ;     Parent Loop BB207_18 Depth=2
                                        ; =>    This Loop Header: Depth=3
                                        ;         Child Loop BB207_28 Depth 4
	s_cmp_lg_u32 s28, 0
	v_lshl_add_u32 v11, s28, 4, v10
	s_cbranch_scc0 .LBB207_30
; %bb.27:                               ;   in Loop: Header=BB207_26 Depth=3
	ds_read_b128 v[0:3], v11
	v_mov_b32_e32 v12, v10
	s_mov_b32 s12, s29
	s_mov_b32 s13, s28
.LBB207_28:                             ;   Parent Loop BB207_15 Depth=1
                                        ;     Parent Loop BB207_18 Depth=2
                                        ;       Parent Loop BB207_26 Depth=3
                                        ; =>      This Inner Loop Header: Depth=4
	v_mov_b32_e32 v13, s12
	ds_read_b128 v[14:17], v12
	ds_read_b128 v[18:21], v13
	s_add_i32 s13, s13, -1
	s_add_i32 s12, s12, -16
	v_add_u32_e32 v12, 16, v12
	s_cmp_eq_u32 s13, 0
	s_waitcnt lgkmcnt(0)
	v_mul_f64 v[22:23], v[20:21], v[16:17]
	v_mul_f64 v[16:17], v[18:19], v[16:17]
	v_fma_f64 v[18:19], v[18:19], v[14:15], -v[22:23]
	v_fmac_f64_e32 v[16:17], v[20:21], v[14:15]
	v_add_f64 v[0:1], v[0:1], -v[18:19]
	v_add_f64 v[2:3], v[2:3], -v[16:17]
	ds_write_b128 v11, v[0:3]
	s_cbranch_scc0 .LBB207_28
; %bb.29:                               ;   in Loop: Header=BB207_26 Depth=3
	s_sub_i32 s14, s4, s28
	s_ashr_i32 s15, s14, 31
	s_mov_b64 s[12:13], s[14:15]
	s_branch .LBB207_25
.LBB207_30:                             ;   in Loop: Header=BB207_26 Depth=3
                                        ; implicit-def: $vgpr0_vgpr1
                                        ; implicit-def: $sgpr14
                                        ; implicit-def: $sgpr12_sgpr13
	s_cbranch_execz .LBB207_25
; %bb.31:                               ;   in Loop: Header=BB207_26 Depth=3
	ds_read_b128 v[0:3], v10
	s_mov_b64 s[12:13], s[4:5]
	s_mov_b32 s14, s4
	s_branch .LBB207_25
.LBB207_32:
	s_mov_b64 s[2:3], 0
.LBB207_33:
	s_and_b64 vcc, exec, s[2:3]
	s_cbranch_vccz .LBB207_54
; %bb.34:
	s_add_u32 s0, s6, s0
	s_addc_u32 s1, s7, s1
	v_lshl_add_u64 v[6:7], v[6:7], 4, s[0:1]
	s_mov_b32 s1, 0
	s_mov_b32 s2, s1
	;; [unrolled: 1-line block ×3, first 2 shown]
	s_branch .LBB207_36
.LBB207_35:                             ;   in Loop: Header=BB207_36 Depth=1
	s_cmp_ge_i32 s2, s18
	s_cselect_b64 s[6:7], -1, 0
	s_add_i32 s4, s4, 1
	s_cmp_eq_u32 s4, 3
	s_cselect_b64 s[12:13], -1, 0
	s_or_b64 s[6:7], s[6:7], s[12:13]
	s_and_b64 vcc, exec, s[6:7]
	s_cbranch_vccnz .LBB207_54
.LBB207_36:                             ; =>This Loop Header: Depth=1
                                        ;     Child Loop BB207_39 Depth 2
                                        ;       Child Loop BB207_40 Depth 3
                                        ;       Child Loop BB207_43 Depth 3
                                        ;         Child Loop BB207_44 Depth 4
                                        ;       Child Loop BB207_48 Depth 3
                                        ;         Child Loop BB207_50 Depth 4
	s_mov_b32 s5, s1
	s_lshl_b64 s[6:7], s[4:5], 2
	s_getpc_b64 s[12:13]
	s_add_u32 s12, s12, __const._ZL30rocblas_trsm_small_left_deviceILi8ELi8ELb1E19rocblas_complex_numIdES1_PKPKS1_PKPS1_Ev13rocblas_fill_18rocblas_operation_17rocblas_diagonal_iiT3_T4_lilT5_lili.step_sizes@rel32@lo+4
	s_addc_u32 s13, s13, __const._ZL30rocblas_trsm_small_left_deviceILi8ELi8ELb1E19rocblas_complex_numIdES1_PKPKS1_PKPS1_Ev13rocblas_fill_18rocblas_operation_17rocblas_diagonal_iiT3_T4_lilT5_lili.step_sizes@rel32@hi+12
	s_add_u32 s6, s12, s6
	s_addc_u32 s7, s13, s7
	s_load_dword s6, s[6:7], 0x0
	s_waitcnt lgkmcnt(0)
	s_add_i32 s5, s6, -1
	s_add_i32 s0, s5, s2
	s_cmp_ge_i32 s0, s18
	s_cbranch_scc1 .LBB207_35
; %bb.37:                               ;   in Loop: Header=BB207_36 Depth=1
	s_ashr_i32 s3, s2, 31
	s_ashr_i32 s7, s6, 31
	s_max_i32 s16, s6, 1
	v_lshl_add_u64 v[8:9], s[2:3], 4, v[6:7]
	s_lshl_b64 s[12:13], s[6:7], 4
	s_lshl_b32 s3, s2, 4
	s_lshl_b32 s7, s6, 4
	s_mul_i32 s17, s2, 0x90
	s_mul_i32 s19, s6, 0x90
	s_branch .LBB207_39
.LBB207_38:                             ;   in Loop: Header=BB207_39 Depth=2
	s_add_i32 s2, s2, s6
	s_add_i32 s0, s5, s2
	;; [unrolled: 1-line block ×4, first 2 shown]
	s_cmp_ge_i32 s0, s18
	v_lshl_add_u64 v[8:9], v[8:9], 0, s[12:13]
	s_cbranch_scc1 .LBB207_35
.LBB207_39:                             ;   Parent Loop BB207_36 Depth=1
                                        ; =>  This Loop Header: Depth=2
                                        ;       Child Loop BB207_40 Depth 3
                                        ;       Child Loop BB207_43 Depth 3
                                        ;         Child Loop BB207_44 Depth 4
                                        ;       Child Loop BB207_48 Depth 3
                                        ;         Child Loop BB207_50 Depth 4
	v_mov_b32_e32 v2, v10
	v_mov_b64_e32 v[0:1], v[8:9]
	s_mov_b32 s0, s16
.LBB207_40:                             ;   Parent Loop BB207_36 Depth=1
                                        ;     Parent Loop BB207_39 Depth=2
                                        ; =>    This Inner Loop Header: Depth=3
	flat_load_dwordx4 v[12:15], v[0:1]
	s_add_i32 s0, s0, -1
	v_lshl_add_u64 v[0:1], v[0:1], 0, 16
	s_cmp_eq_u32 s0, 0
	s_waitcnt vmcnt(0) lgkmcnt(0)
	v_mul_f64 v[18:19], s[10:11], v[14:15]
	v_mul_f64 v[16:17], s[8:9], v[14:15]
	v_fma_f64 v[14:15], s[8:9], v[12:13], -v[18:19]
	v_fmac_f64_e32 v[16:17], s[10:11], v[12:13]
	ds_write_b128 v2, v[14:17]
	v_add_u32_e32 v2, 16, v2
	s_cbranch_scc0 .LBB207_40
; %bb.41:                               ;   in Loop: Header=BB207_39 Depth=2
	s_cmp_lt_i32 s2, 1
	s_cbranch_scc1 .LBB207_46
; %bb.42:                               ;   in Loop: Header=BB207_39 Depth=2
	s_mov_b32 s0, 0
	s_mov_b32 s14, s3
.LBB207_43:                             ;   Parent Loop BB207_36 Depth=1
                                        ;     Parent Loop BB207_39 Depth=2
                                        ; =>    This Loop Header: Depth=3
                                        ;         Child Loop BB207_44 Depth 4
	v_lshl_add_u64 v[0:1], s[0:1], 4, v[4:5]
	flat_load_dwordx4 v[0:3], v[0:1]
	v_mov_b32_e32 v11, v10
	s_mov_b32 s15, s14
	s_mov_b32 s20, s16
.LBB207_44:                             ;   Parent Loop BB207_36 Depth=1
                                        ;     Parent Loop BB207_39 Depth=2
                                        ;       Parent Loop BB207_43 Depth=3
                                        ; =>      This Inner Loop Header: Depth=4
	v_mov_b32_e32 v16, s15
	ds_read_b128 v[16:19], v16
	ds_read_b128 v[12:15], v11
	s_add_i32 s20, s20, -1
	s_add_i32 s15, s15, 16
	s_cmp_eq_u32 s20, 0
	s_waitcnt vmcnt(0) lgkmcnt(0)
	v_mul_f64 v[20:21], v[2:3], v[18:19]
	v_mul_f64 v[18:19], v[0:1], v[18:19]
	v_fma_f64 v[20:21], v[0:1], v[16:17], -v[20:21]
	v_fmac_f64_e32 v[18:19], v[2:3], v[16:17]
	v_add_f64 v[12:13], v[12:13], -v[20:21]
	v_add_f64 v[14:15], v[14:15], -v[18:19]
	ds_write_b128 v11, v[12:15]
	v_add_u32_e32 v11, 16, v11
	s_cbranch_scc0 .LBB207_44
; %bb.45:                               ;   in Loop: Header=BB207_43 Depth=3
	s_add_i32 s0, s0, 1
	s_addk_i32 s14, 0x80
	s_cmp_eq_u32 s0, s2
	s_cbranch_scc0 .LBB207_43
.LBB207_46:                             ;   in Loop: Header=BB207_39 Depth=2
	s_mov_b32 s0, 0
	s_mov_b32 s20, s17
	s_branch .LBB207_48
.LBB207_47:                             ;   in Loop: Header=BB207_48 Depth=3
	s_add_i32 s14, s0, s2
	s_mul_i32 s15, s14, 0x90
	v_mov_b32_e32 v12, s15
	ds_read_b128 v[12:15], v12
	s_ashr_i32 s15, s14, 31
	s_add_i32 s0, s0, 1
	s_add_i32 s20, s20, 16
	v_lshl_add_u64 v[20:21], s[14:15], 4, v[4:5]
	s_waitcnt lgkmcnt(0)
	v_mul_f64 v[16:17], v[14:15], v[2:3]
	v_mul_f64 v[18:19], v[12:13], v[2:3]
	v_fma_f64 v[16:17], v[12:13], v[0:1], -v[16:17]
	v_fmac_f64_e32 v[18:19], v[14:15], v[0:1]
	s_cmp_eq_u32 s0, s16
	ds_write_b128 v11, v[16:19]
	flat_store_dwordx4 v[20:21], v[16:19]
	s_cbranch_scc1 .LBB207_38
.LBB207_48:                             ;   Parent Loop BB207_36 Depth=1
                                        ;     Parent Loop BB207_39 Depth=2
                                        ; =>    This Loop Header: Depth=3
                                        ;         Child Loop BB207_50 Depth 4
	s_cmp_lg_u32 s0, 0
	v_lshl_add_u32 v11, s0, 4, v10
	s_cbranch_scc0 .LBB207_52
; %bb.49:                               ;   in Loop: Header=BB207_48 Depth=3
	ds_read_b128 v[0:3], v11
	v_mov_b32_e32 v12, v10
	s_mov_b32 s14, s20
	s_mov_b32 s15, s0
.LBB207_50:                             ;   Parent Loop BB207_36 Depth=1
                                        ;     Parent Loop BB207_39 Depth=2
                                        ;       Parent Loop BB207_48 Depth=3
                                        ; =>      This Inner Loop Header: Depth=4
	v_mov_b32_e32 v13, s14
	ds_read_b128 v[14:17], v12
	ds_read_b128 v[18:21], v13
	s_add_i32 s15, s15, -1
	s_addk_i32 s14, 0x80
	v_add_u32_e32 v12, 16, v12
	s_cmp_eq_u32 s15, 0
	s_waitcnt lgkmcnt(0)
	v_mul_f64 v[22:23], v[20:21], v[16:17]
	v_mul_f64 v[16:17], v[18:19], v[16:17]
	v_fma_f64 v[18:19], v[18:19], v[14:15], -v[22:23]
	v_fmac_f64_e32 v[16:17], v[20:21], v[14:15]
	v_add_f64 v[0:1], v[0:1], -v[18:19]
	v_add_f64 v[2:3], v[2:3], -v[16:17]
	ds_write_b128 v11, v[0:3]
	s_cbranch_scc0 .LBB207_50
; %bb.51:                               ;   in Loop: Header=BB207_48 Depth=3
	s_branch .LBB207_47
.LBB207_52:                             ;   in Loop: Header=BB207_48 Depth=3
                                        ; implicit-def: $vgpr0_vgpr1
	s_cbranch_execz .LBB207_47
; %bb.53:                               ;   in Loop: Header=BB207_48 Depth=3
	ds_read_b128 v[0:3], v10
	s_branch .LBB207_47
.LBB207_54:
	s_endpgm
	.section	.rodata,"a",@progbits
	.p2align	6, 0x0
	.amdhsa_kernel _ZL30rocblas_trsm_small_left_deviceILi8ELi8ELb1E19rocblas_complex_numIdES1_PKPKS1_PKPS1_Ev13rocblas_fill_18rocblas_operation_17rocblas_diagonal_iiT3_T4_lilT5_lili
		.amdhsa_group_segment_fixed_size 2048
		.amdhsa_private_segment_fixed_size 0
		.amdhsa_kernarg_size 368
		.amdhsa_user_sgpr_count 4
		.amdhsa_user_sgpr_dispatch_ptr 1
		.amdhsa_user_sgpr_queue_ptr 0
		.amdhsa_user_sgpr_kernarg_segment_ptr 1
		.amdhsa_user_sgpr_dispatch_id 0
		.amdhsa_user_sgpr_kernarg_preload_length 0
		.amdhsa_user_sgpr_kernarg_preload_offset 0
		.amdhsa_user_sgpr_private_segment_size 0
		.amdhsa_uses_dynamic_stack 0
		.amdhsa_enable_private_segment 0
		.amdhsa_system_sgpr_workgroup_id_x 1
		.amdhsa_system_sgpr_workgroup_id_y 0
		.amdhsa_system_sgpr_workgroup_id_z 1
		.amdhsa_system_sgpr_workgroup_info 0
		.amdhsa_system_vgpr_workitem_id 2
		.amdhsa_next_free_vgpr 24
		.amdhsa_next_free_sgpr 30
		.amdhsa_accum_offset 24
		.amdhsa_reserve_vcc 1
		.amdhsa_float_round_mode_32 0
		.amdhsa_float_round_mode_16_64 0
		.amdhsa_float_denorm_mode_32 3
		.amdhsa_float_denorm_mode_16_64 3
		.amdhsa_dx10_clamp 1
		.amdhsa_ieee_mode 1
		.amdhsa_fp16_overflow 0
		.amdhsa_tg_split 0
		.amdhsa_exception_fp_ieee_invalid_op 0
		.amdhsa_exception_fp_denorm_src 0
		.amdhsa_exception_fp_ieee_div_zero 0
		.amdhsa_exception_fp_ieee_overflow 0
		.amdhsa_exception_fp_ieee_underflow 0
		.amdhsa_exception_fp_ieee_inexact 0
		.amdhsa_exception_int_div_zero 0
	.end_amdhsa_kernel
	.section	.text._ZL30rocblas_trsm_small_left_deviceILi8ELi8ELb1E19rocblas_complex_numIdES1_PKPKS1_PKPS1_Ev13rocblas_fill_18rocblas_operation_17rocblas_diagonal_iiT3_T4_lilT5_lili,"axG",@progbits,_ZL30rocblas_trsm_small_left_deviceILi8ELi8ELb1E19rocblas_complex_numIdES1_PKPKS1_PKPS1_Ev13rocblas_fill_18rocblas_operation_17rocblas_diagonal_iiT3_T4_lilT5_lili,comdat
.Lfunc_end207:
	.size	_ZL30rocblas_trsm_small_left_deviceILi8ELi8ELb1E19rocblas_complex_numIdES1_PKPKS1_PKPS1_Ev13rocblas_fill_18rocblas_operation_17rocblas_diagonal_iiT3_T4_lilT5_lili, .Lfunc_end207-_ZL30rocblas_trsm_small_left_deviceILi8ELi8ELb1E19rocblas_complex_numIdES1_PKPKS1_PKPS1_Ev13rocblas_fill_18rocblas_operation_17rocblas_diagonal_iiT3_T4_lilT5_lili
                                        ; -- End function
	.set _ZL30rocblas_trsm_small_left_deviceILi8ELi8ELb1E19rocblas_complex_numIdES1_PKPKS1_PKPS1_Ev13rocblas_fill_18rocblas_operation_17rocblas_diagonal_iiT3_T4_lilT5_lili.num_vgpr, 24
	.set _ZL30rocblas_trsm_small_left_deviceILi8ELi8ELb1E19rocblas_complex_numIdES1_PKPKS1_PKPS1_Ev13rocblas_fill_18rocblas_operation_17rocblas_diagonal_iiT3_T4_lilT5_lili.num_agpr, 0
	.set _ZL30rocblas_trsm_small_left_deviceILi8ELi8ELb1E19rocblas_complex_numIdES1_PKPKS1_PKPS1_Ev13rocblas_fill_18rocblas_operation_17rocblas_diagonal_iiT3_T4_lilT5_lili.numbered_sgpr, 30
	.set _ZL30rocblas_trsm_small_left_deviceILi8ELi8ELb1E19rocblas_complex_numIdES1_PKPKS1_PKPS1_Ev13rocblas_fill_18rocblas_operation_17rocblas_diagonal_iiT3_T4_lilT5_lili.num_named_barrier, 0
	.set _ZL30rocblas_trsm_small_left_deviceILi8ELi8ELb1E19rocblas_complex_numIdES1_PKPKS1_PKPS1_Ev13rocblas_fill_18rocblas_operation_17rocblas_diagonal_iiT3_T4_lilT5_lili.private_seg_size, 0
	.set _ZL30rocblas_trsm_small_left_deviceILi8ELi8ELb1E19rocblas_complex_numIdES1_PKPKS1_PKPS1_Ev13rocblas_fill_18rocblas_operation_17rocblas_diagonal_iiT3_T4_lilT5_lili.uses_vcc, 1
	.set _ZL30rocblas_trsm_small_left_deviceILi8ELi8ELb1E19rocblas_complex_numIdES1_PKPKS1_PKPS1_Ev13rocblas_fill_18rocblas_operation_17rocblas_diagonal_iiT3_T4_lilT5_lili.uses_flat_scratch, 0
	.set _ZL30rocblas_trsm_small_left_deviceILi8ELi8ELb1E19rocblas_complex_numIdES1_PKPKS1_PKPS1_Ev13rocblas_fill_18rocblas_operation_17rocblas_diagonal_iiT3_T4_lilT5_lili.has_dyn_sized_stack, 0
	.set _ZL30rocblas_trsm_small_left_deviceILi8ELi8ELb1E19rocblas_complex_numIdES1_PKPKS1_PKPS1_Ev13rocblas_fill_18rocblas_operation_17rocblas_diagonal_iiT3_T4_lilT5_lili.has_recursion, 0
	.set _ZL30rocblas_trsm_small_left_deviceILi8ELi8ELb1E19rocblas_complex_numIdES1_PKPKS1_PKPS1_Ev13rocblas_fill_18rocblas_operation_17rocblas_diagonal_iiT3_T4_lilT5_lili.has_indirect_call, 0
	.section	.AMDGPU.csdata,"",@progbits
; Kernel info:
; codeLenInByte = 2312
; TotalNumSgprs: 36
; NumVgprs: 24
; NumAgprs: 0
; TotalNumVgprs: 24
; ScratchSize: 0
; MemoryBound: 0
; FloatMode: 240
; IeeeMode: 1
; LDSByteSize: 2048 bytes/workgroup (compile time only)
; SGPRBlocks: 4
; VGPRBlocks: 2
; NumSGPRsForWavesPerEU: 36
; NumVGPRsForWavesPerEU: 24
; AccumOffset: 24
; Occupancy: 8
; WaveLimiterHint : 1
; COMPUTE_PGM_RSRC2:SCRATCH_EN: 0
; COMPUTE_PGM_RSRC2:USER_SGPR: 4
; COMPUTE_PGM_RSRC2:TRAP_HANDLER: 0
; COMPUTE_PGM_RSRC2:TGID_X_EN: 1
; COMPUTE_PGM_RSRC2:TGID_Y_EN: 0
; COMPUTE_PGM_RSRC2:TGID_Z_EN: 1
; COMPUTE_PGM_RSRC2:TIDIG_COMP_CNT: 2
; COMPUTE_PGM_RSRC3_GFX90A:ACCUM_OFFSET: 5
; COMPUTE_PGM_RSRC3_GFX90A:TG_SPLIT: 0
	.section	.text._ZL31rocblas_trsm_small_right_deviceI19rocblas_complex_numIdES1_PKPKS1_PKPS1_Li8EEv13rocblas_fill_18rocblas_operation_17rocblas_diagonal_iiT0_T1_lilT2_lili,"axG",@progbits,_ZL31rocblas_trsm_small_right_deviceI19rocblas_complex_numIdES1_PKPKS1_PKPS1_Li8EEv13rocblas_fill_18rocblas_operation_17rocblas_diagonal_iiT0_T1_lilT2_lili,comdat
	.globl	_ZL31rocblas_trsm_small_right_deviceI19rocblas_complex_numIdES1_PKPKS1_PKPS1_Li8EEv13rocblas_fill_18rocblas_operation_17rocblas_diagonal_iiT0_T1_lilT2_lili ; -- Begin function _ZL31rocblas_trsm_small_right_deviceI19rocblas_complex_numIdES1_PKPKS1_PKPS1_Li8EEv13rocblas_fill_18rocblas_operation_17rocblas_diagonal_iiT0_T1_lilT2_lili
	.p2align	8
	.type	_ZL31rocblas_trsm_small_right_deviceI19rocblas_complex_numIdES1_PKPKS1_PKPS1_Li8EEv13rocblas_fill_18rocblas_operation_17rocblas_diagonal_iiT0_T1_lilT2_lili,@function
_ZL31rocblas_trsm_small_right_deviceI19rocblas_complex_numIdES1_PKPKS1_PKPS1_Li8EEv13rocblas_fill_18rocblas_operation_17rocblas_diagonal_iiT0_T1_lilT2_lili: ; @_ZL31rocblas_trsm_small_right_deviceI19rocblas_complex_numIdES1_PKPKS1_PKPS1_Li8EEv13rocblas_fill_18rocblas_operation_17rocblas_diagonal_iiT0_T1_lilT2_lili
; %bb.0:
	s_mov_b32 s20, s3
	s_load_dwordx4 s[16:19], s[0:1], 0x48
	s_load_dwordx4 s[12:15], s[0:1], 0x0
	s_load_dword s24, s[0:1], 0x10
	s_load_dwordx8 s[4:11], s[0:1], 0x18
	s_mov_b32 s21, 0
	s_lshl_b64 s[22:23], s[20:21], 3
	s_waitcnt lgkmcnt(0)
	s_add_u32 s16, s16, s22
	s_addc_u32 s17, s17, s23
	s_load_dwordx2 s[16:17], s[16:17], 0x0
	s_min_i32 s25, s24, 8
	v_cmp_gt_i32_e32 vcc, s25, v0
	s_and_saveexec_b64 s[20:21], vcc
	s_cbranch_execz .LBB208_5
; %bb.1:
	s_load_dword s26, s[0:1], 0x38
	v_lshlrev_b32_e32 v2, 4, v0
	v_mov_b32_e32 v3, 0
	v_mov_b32_e32 v1, v2
	s_mov_b32 s3, s25
	s_waitcnt lgkmcnt(0)
	s_ashr_i32 s27, s26, 31
	s_cmpk_eq_i32 s13, 0x71
	s_cselect_b64 vcc, -1, 0
	s_add_u32 s8, s8, s22
	s_addc_u32 s9, s9, s23
	s_load_dwordx2 s[8:9], s[8:9], 0x0
	s_lshl_b64 s[10:11], s[10:11], 4
	s_waitcnt lgkmcnt(0)
	s_add_u32 s10, s8, s10
	s_addc_u32 s11, s9, s11
	s_lshl_b64 s[8:9], s[26:27], 4
	v_lshl_add_u64 v[4:5], s[10:11], 0, v[2:3]
.LBB208_2:                              ; =>This Inner Loop Header: Depth=1
	flat_load_dwordx4 v[6:9], v[4:5]
	s_add_i32 s3, s3, -1
	v_lshl_add_u64 v[4:5], v[4:5], 0, s[8:9]
	s_cmp_eq_u32 s3, 0
	s_waitcnt vmcnt(0) lgkmcnt(0)
	v_xor_b32_e32 v3, 0x80000000, v9
	v_cndmask_b32_e32 v9, v9, v3, vcc
	ds_write_b128 v1, v[6:9]
	v_add_u32_e32 v1, 0x80, v1
	s_cbranch_scc0 .LBB208_2
; %bb.3:
	s_cmpk_eq_i32 s14, 0x84
	s_cbranch_scc0 .LBB208_5
; %bb.4:
	v_lshl_or_b32 v1, v0, 7, v2
	v_mov_b32_e32 v2, 0
	v_mov_b32_e32 v3, 0x3ff00000
	;; [unrolled: 1-line block ×4, first 2 shown]
	ds_write_b128 v1, v[2:5]
.LBB208_5:
	s_or_b64 exec, exec, s[20:21]
	s_load_dword s3, s[0:1], 0x70
	s_load_dword s8, s[0:1], 0x58
	s_lshl_b64 s[0:1], s[18:19], 4
	s_waitcnt lgkmcnt(0)
	s_add_u32 s9, s16, s0
	s_addc_u32 s10, s17, s1
	s_lshl_b32 s0, s2, 3
	s_add_i32 s3, s3, -1
	s_sub_i32 s0, s15, s0
	s_cmp_ge_u32 s2, s3
	s_cselect_b32 s11, s0, 8
	s_ashr_i32 s3, s2, 31
	s_lshl_b64 s[0:1], s[2:3], 7
	s_add_u32 s2, s9, s0
	s_addc_u32 s3, s10, s1
	v_cmp_gt_i32_e64 s[0:1], s11, v0
	s_and_saveexec_b64 s[10:11], s[0:1]
	s_cbranch_execz .LBB208_9
; %bb.6:
	s_cmp_lt_i32 s24, 1
	s_cbranch_scc1 .LBB208_9
; %bb.7:
	s_ashr_i32 s9, s8, 31
	v_lshlrev_b32_e32 v4, 4, v0
	v_mov_b32_e32 v5, 0
	v_lshl_add_u64 v[2:3], s[2:3], 0, v[4:5]
	s_lshl_b64 s[14:15], s[8:9], 4
	v_or_b32_e32 v1, 0x400, v4
	s_mov_b32 s9, s24
.LBB208_8:                              ; =>This Inner Loop Header: Depth=1
	flat_load_dwordx4 v[4:7], v[2:3]
	s_add_i32 s9, s9, -1
	v_lshl_add_u64 v[2:3], v[2:3], 0, s[14:15]
	s_cmp_lg_u32 s9, 0
	s_waitcnt vmcnt(0) lgkmcnt(0)
	v_mul_f64 v[10:11], s[6:7], v[6:7]
	v_mul_f64 v[8:9], s[4:5], v[6:7]
	v_fma_f64 v[6:7], s[4:5], v[4:5], -v[10:11]
	v_fmac_f64_e32 v[8:9], s[6:7], v[4:5]
	ds_write_b128 v1, v[6:9]
	v_add_u32_e32 v1, 0x80, v1
	s_cbranch_scc1 .LBB208_8
.LBB208_9:
	s_or_b64 exec, exec, s[10:11]
	s_cmpk_eq_i32 s13, 0x6f
	s_cselect_b64 s[4:5], -1, 0
	s_cmpk_lg_i32 s12, 0x79
	s_cselect_b64 s[6:7], -1, 0
	s_cmpk_eq_i32 s12, 0x79
	s_cselect_b64 s[10:11], -1, 0
	s_and_b64 s[10:11], s[10:11], s[4:5]
	s_andn2_b64 vcc, exec, s[10:11]
	s_mov_b64 s[10:11], -1
	s_waitcnt lgkmcnt(0)
	; wave barrier
	s_cbranch_vccz .LBB208_110
; %bb.10:
	s_cmpk_lg_i32 s12, 0x7a
	s_cselect_b64 s[12:13], -1, 0
	s_xor_b64 s[4:5], s[4:5], -1
	s_add_i32 s9, s25, -1
	s_or_b64 s[12:13], s[12:13], s[4:5]
	v_mov_b32_e32 v1, 0x400
	s_cmp_gt_i32 s24, 3
	v_lshl_or_b32 v1, v0, 4, v1
	s_cselect_b64 s[4:5], -1, 0
	s_and_b64 vcc, exec, s[12:13]
	s_cbranch_vccz .LBB208_77
; %bb.11:
	s_andn2_b64 vcc, exec, s[6:7]
	s_mov_b64 s[6:7], -1
	s_cbranch_vccnz .LBB208_44
; %bb.12:
	s_andn2_b64 vcc, exec, s[4:5]
	s_mov_b32 s12, 0
	s_cbranch_vccnz .LBB208_34
; %bb.13:
	v_mov_b32_e32 v2, 0x400
	v_lshl_or_b32 v26, v0, 4, v2
	s_mov_b32 s10, 0
	s_mov_b32 s11, 0
.LBB208_14:                             ; =>This Loop Header: Depth=1
                                        ;     Child Loop BB208_15 Depth 2
	s_lshl_b32 s6, s11, 7
	s_or_b32 s12, s11, 2
	v_add_u32_e32 v30, s6, v1
	s_or_b32 s14, s11, 1
	v_lshl_add_u32 v28, s12, 7, v1
	s_or_b32 s7, s6, 0x180
	v_lshl_add_u32 v29, s14, 7, v1
	ds_read_b128 v[18:21], v30
	ds_read_b128 v[14:17], v29
	v_add_u32_e32 v27, s7, v1
	ds_read_b128 v[6:9], v28
	ds_read_b128 v[2:5], v27
	s_cmp_eq_u32 s11, 0
	v_mov_b32_e32 v10, v26
	s_mov_b32 s7, s10
	s_mov_b32 s13, s11
	s_cbranch_scc1 .LBB208_16
.LBB208_15:                             ;   Parent Loop BB208_14 Depth=1
                                        ; =>  This Inner Loop Header: Depth=2
	v_mov_b32_e32 v11, s7
	ds_read_b128 v[22:25], v10
	ds_read_b128 v[32:35], v11
	ds_read_b128 v[36:39], v11 offset:16
	ds_read_b128 v[40:43], v11 offset:32
	;; [unrolled: 1-line block ×3, first 2 shown]
	s_add_i32 s13, s13, -1
	s_addk_i32 s7, 0x80
	v_add_u32_e32 v10, 0x80, v10
	s_waitcnt lgkmcnt(3)
	v_mul_f64 v[12:13], v[24:25], v[34:35]
	v_mul_f64 v[34:35], v[22:23], v[34:35]
	s_waitcnt lgkmcnt(2)
	v_mul_f64 v[48:49], v[24:25], v[38:39]
	v_mul_f64 v[38:39], v[22:23], v[38:39]
	;; [unrolled: 3-line block ×4, first 2 shown]
	v_fma_f64 v[12:13], v[22:23], v[32:33], -v[12:13]
	v_fmac_f64_e32 v[34:35], v[24:25], v[32:33]
	v_fma_f64 v[32:33], v[22:23], v[36:37], -v[48:49]
	v_fmac_f64_e32 v[38:39], v[24:25], v[36:37]
	;; [unrolled: 2-line block ×4, first 2 shown]
	s_cmp_eq_u32 s13, 0
	v_add_f64 v[18:19], v[18:19], -v[12:13]
	v_add_f64 v[20:21], v[20:21], -v[34:35]
	;; [unrolled: 1-line block ×8, first 2 shown]
	s_cbranch_scc0 .LBB208_15
.LBB208_16:                             ;   in Loop: Header=BB208_14 Depth=1
	s_lshl_b32 s13, s11, 4
	s_add_i32 s15, s13, s6
	v_mov_b32_e32 v10, s15
	ds_read_b128 v[22:25], v10
	s_mov_b64 s[6:7], -1
                                        ; implicit-def: $vgpr12_vgpr13
	s_waitcnt lgkmcnt(0)
	v_cmp_ngt_f64_e64 s[16:17], |v[22:23]|, |v[24:25]|
	s_and_b64 vcc, exec, s[16:17]
	s_cbranch_vccz .LBB208_18
; %bb.17:                               ;   in Loop: Header=BB208_14 Depth=1
	v_div_scale_f64 v[10:11], s[6:7], v[24:25], v[24:25], v[22:23]
	v_rcp_f64_e32 v[12:13], v[10:11]
	v_div_scale_f64 v[32:33], vcc, v[22:23], v[24:25], v[22:23]
	v_fma_f64 v[34:35], -v[10:11], v[12:13], 1.0
	v_fmac_f64_e32 v[12:13], v[12:13], v[34:35]
	v_fma_f64 v[34:35], -v[10:11], v[12:13], 1.0
	v_fmac_f64_e32 v[12:13], v[12:13], v[34:35]
	v_mul_f64 v[34:35], v[32:33], v[12:13]
	v_fma_f64 v[10:11], -v[10:11], v[34:35], v[32:33]
	v_div_fmas_f64 v[10:11], v[10:11], v[12:13], v[34:35]
	v_div_fixup_f64 v[12:13], v[10:11], v[24:25], v[22:23]
	v_fma_f64 v[10:11], v[22:23], v[12:13], v[24:25]
	v_div_scale_f64 v[32:33], s[6:7], v[10:11], v[10:11], 1.0
	v_rcp_f64_e32 v[34:35], v[32:33]
	s_mov_b64 s[6:7], 0
	v_fma_f64 v[36:37], -v[32:33], v[34:35], 1.0
	v_fmac_f64_e32 v[34:35], v[34:35], v[36:37]
	v_fma_f64 v[36:37], -v[32:33], v[34:35], 1.0
	v_fmac_f64_e32 v[34:35], v[34:35], v[36:37]
	v_div_scale_f64 v[36:37], vcc, 1.0, v[10:11], 1.0
	v_mul_f64 v[38:39], v[36:37], v[34:35]
	v_fma_f64 v[32:33], -v[32:33], v[38:39], v[36:37]
	s_nop 1
	v_div_fmas_f64 v[32:33], v[32:33], v[34:35], v[38:39]
	v_div_fixup_f64 v[32:33], v[32:33], v[10:11], 1.0
	v_fma_f64 v[10:11], v[18:19], v[12:13], v[20:21]
	v_fma_f64 v[12:13], v[20:21], v[12:13], -v[18:19]
	v_mul_f64 v[10:11], v[10:11], v[32:33]
	v_mul_f64 v[12:13], v[12:13], v[32:33]
.LBB208_18:                             ;   in Loop: Header=BB208_14 Depth=1
	s_andn2_b64 vcc, exec, s[6:7]
	s_cbranch_vccnz .LBB208_20
; %bb.19:                               ;   in Loop: Header=BB208_14 Depth=1
	v_div_scale_f64 v[10:11], s[6:7], v[22:23], v[22:23], v[24:25]
	v_rcp_f64_e32 v[12:13], v[10:11]
	v_div_scale_f64 v[32:33], vcc, v[24:25], v[22:23], v[24:25]
	v_fma_f64 v[34:35], -v[10:11], v[12:13], 1.0
	v_fmac_f64_e32 v[12:13], v[12:13], v[34:35]
	v_fma_f64 v[34:35], -v[10:11], v[12:13], 1.0
	v_fmac_f64_e32 v[12:13], v[12:13], v[34:35]
	v_mul_f64 v[34:35], v[32:33], v[12:13]
	v_fma_f64 v[10:11], -v[10:11], v[34:35], v[32:33]
	v_div_fmas_f64 v[10:11], v[10:11], v[12:13], v[34:35]
	v_div_fixup_f64 v[12:13], v[10:11], v[22:23], v[24:25]
	v_fmac_f64_e32 v[22:23], v[24:25], v[12:13]
	v_div_scale_f64 v[10:11], s[6:7], v[22:23], v[22:23], 1.0
	v_rcp_f64_e32 v[24:25], v[10:11]
	s_nop 0
	v_fma_f64 v[32:33], -v[10:11], v[24:25], 1.0
	v_fmac_f64_e32 v[24:25], v[24:25], v[32:33]
	v_fma_f64 v[32:33], -v[10:11], v[24:25], 1.0
	v_fmac_f64_e32 v[24:25], v[24:25], v[32:33]
	v_div_scale_f64 v[32:33], vcc, 1.0, v[22:23], 1.0
	v_mul_f64 v[34:35], v[32:33], v[24:25]
	v_fma_f64 v[10:11], -v[10:11], v[34:35], v[32:33]
	s_nop 1
	v_div_fmas_f64 v[10:11], v[10:11], v[24:25], v[34:35]
	v_div_fixup_f64 v[22:23], v[10:11], v[22:23], 1.0
	v_fma_f64 v[10:11], v[20:21], v[12:13], v[18:19]
	v_fma_f64 v[12:13], -v[18:19], v[12:13], v[20:21]
	v_mul_f64 v[10:11], v[10:11], v[22:23]
	v_mul_f64 v[12:13], v[12:13], v[22:23]
.LBB208_20:                             ;   in Loop: Header=BB208_14 Depth=1
	v_mov_b32_e32 v18, s15
	ds_read_b128 v[22:25], v18 offset:16
	ds_read_b128 v[18:21], v18 offset:144
	ds_write_b128 v30, v[10:13]
	s_mov_b64 s[6:7], -1
	s_waitcnt lgkmcnt(2)
	v_mul_f64 v[30:31], v[12:13], v[24:25]
	v_mul_f64 v[24:25], v[10:11], v[24:25]
	v_fma_f64 v[30:31], v[10:11], v[22:23], -v[30:31]
	v_fmac_f64_e32 v[24:25], v[12:13], v[22:23]
	s_waitcnt lgkmcnt(1)
	v_cmp_ngt_f64_e64 s[16:17], |v[18:19]|, |v[20:21]|
	v_add_f64 v[22:23], v[14:15], -v[30:31]
	v_add_f64 v[24:25], v[16:17], -v[24:25]
	s_and_b64 vcc, exec, s[16:17]
                                        ; implicit-def: $vgpr16_vgpr17
	s_cbranch_vccz .LBB208_22
; %bb.21:                               ;   in Loop: Header=BB208_14 Depth=1
	v_div_scale_f64 v[14:15], s[6:7], v[20:21], v[20:21], v[18:19]
	v_rcp_f64_e32 v[16:17], v[14:15]
	v_div_scale_f64 v[30:31], vcc, v[18:19], v[20:21], v[18:19]
	v_fma_f64 v[32:33], -v[14:15], v[16:17], 1.0
	v_fmac_f64_e32 v[16:17], v[16:17], v[32:33]
	v_fma_f64 v[32:33], -v[14:15], v[16:17], 1.0
	v_fmac_f64_e32 v[16:17], v[16:17], v[32:33]
	v_mul_f64 v[32:33], v[30:31], v[16:17]
	v_fma_f64 v[14:15], -v[14:15], v[32:33], v[30:31]
	v_div_fmas_f64 v[14:15], v[14:15], v[16:17], v[32:33]
	v_div_fixup_f64 v[16:17], v[14:15], v[20:21], v[18:19]
	v_fma_f64 v[14:15], v[18:19], v[16:17], v[20:21]
	v_div_scale_f64 v[30:31], s[6:7], v[14:15], v[14:15], 1.0
	v_rcp_f64_e32 v[32:33], v[30:31]
	s_mov_b64 s[6:7], 0
	v_fma_f64 v[34:35], -v[30:31], v[32:33], 1.0
	v_fmac_f64_e32 v[32:33], v[32:33], v[34:35]
	v_fma_f64 v[34:35], -v[30:31], v[32:33], 1.0
	v_fmac_f64_e32 v[32:33], v[32:33], v[34:35]
	v_div_scale_f64 v[34:35], vcc, 1.0, v[14:15], 1.0
	v_mul_f64 v[36:37], v[34:35], v[32:33]
	v_fma_f64 v[30:31], -v[30:31], v[36:37], v[34:35]
	s_nop 1
	v_div_fmas_f64 v[30:31], v[30:31], v[32:33], v[36:37]
	v_div_fixup_f64 v[30:31], v[30:31], v[14:15], 1.0
	v_fma_f64 v[14:15], v[16:17], v[22:23], v[24:25]
	v_fma_f64 v[16:17], v[16:17], v[24:25], -v[22:23]
	v_mul_f64 v[14:15], v[14:15], v[30:31]
	v_mul_f64 v[16:17], v[16:17], v[30:31]
.LBB208_22:                             ;   in Loop: Header=BB208_14 Depth=1
	s_andn2_b64 vcc, exec, s[6:7]
	s_cbranch_vccnz .LBB208_24
; %bb.23:                               ;   in Loop: Header=BB208_14 Depth=1
	v_div_scale_f64 v[14:15], s[6:7], v[18:19], v[18:19], v[20:21]
	v_rcp_f64_e32 v[16:17], v[14:15]
	v_div_scale_f64 v[30:31], vcc, v[20:21], v[18:19], v[20:21]
	v_fma_f64 v[32:33], -v[14:15], v[16:17], 1.0
	v_fmac_f64_e32 v[16:17], v[16:17], v[32:33]
	v_fma_f64 v[32:33], -v[14:15], v[16:17], 1.0
	v_fmac_f64_e32 v[16:17], v[16:17], v[32:33]
	v_mul_f64 v[32:33], v[30:31], v[16:17]
	v_fma_f64 v[14:15], -v[14:15], v[32:33], v[30:31]
	v_div_fmas_f64 v[14:15], v[14:15], v[16:17], v[32:33]
	v_div_fixup_f64 v[16:17], v[14:15], v[18:19], v[20:21]
	v_fmac_f64_e32 v[18:19], v[20:21], v[16:17]
	v_div_scale_f64 v[14:15], s[6:7], v[18:19], v[18:19], 1.0
	v_rcp_f64_e32 v[20:21], v[14:15]
	s_nop 0
	v_fma_f64 v[30:31], -v[14:15], v[20:21], 1.0
	v_fmac_f64_e32 v[20:21], v[20:21], v[30:31]
	v_fma_f64 v[30:31], -v[14:15], v[20:21], 1.0
	v_fmac_f64_e32 v[20:21], v[20:21], v[30:31]
	v_div_scale_f64 v[30:31], vcc, 1.0, v[18:19], 1.0
	v_mul_f64 v[32:33], v[30:31], v[20:21]
	v_fma_f64 v[14:15], -v[14:15], v[32:33], v[30:31]
	s_nop 1
	v_div_fmas_f64 v[14:15], v[14:15], v[20:21], v[32:33]
	v_div_fixup_f64 v[18:19], v[14:15], v[18:19], 1.0
	v_fma_f64 v[14:15], v[16:17], v[24:25], v[22:23]
	v_fma_f64 v[16:17], -v[16:17], v[22:23], v[24:25]
	v_mul_f64 v[14:15], v[14:15], v[18:19]
	v_mul_f64 v[16:17], v[16:17], v[18:19]
.LBB208_24:                             ;   in Loop: Header=BB208_14 Depth=1
	v_mov_b32_e32 v18, s15
	ds_read_b128 v[22:25], v18 offset:32
	s_add_i32 s16, s15, 0x90
	s_lshl_b32 s6, s14, 4
	s_sub_i32 s14, s16, s6
	s_add_i32 s14, s14, s13
	ds_write_b128 v29, v[14:17]
	s_waitcnt lgkmcnt(1)
	v_mul_f64 v[30:31], v[12:13], v[24:25]
	v_mov_b32_e32 v29, s14
	ds_read_b128 v[18:21], v18 offset:288
	v_fma_f64 v[34:35], v[10:11], v[22:23], -v[30:31]
	ds_read_b128 v[30:33], v29 offset:32
	v_mul_f64 v[24:25], v[10:11], v[24:25]
	v_fmac_f64_e32 v[24:25], v[12:13], v[22:23]
	v_add_f64 v[8:9], v[8:9], -v[24:25]
	v_add_f64 v[6:7], v[6:7], -v[34:35]
	s_waitcnt lgkmcnt(0)
	v_mul_f64 v[22:23], v[16:17], v[32:33]
	v_mul_f64 v[24:25], v[14:15], v[32:33]
	v_fma_f64 v[22:23], v[14:15], v[30:31], -v[22:23]
	v_fmac_f64_e32 v[24:25], v[16:17], v[30:31]
	v_cmp_ngt_f64_e64 s[18:19], |v[18:19]|, |v[20:21]|
	v_add_f64 v[6:7], v[6:7], -v[22:23]
	v_add_f64 v[8:9], v[8:9], -v[24:25]
	s_mov_b64 s[6:7], -1
	s_and_b64 vcc, exec, s[18:19]
                                        ; implicit-def: $vgpr24_vgpr25
	s_cbranch_vccz .LBB208_26
; %bb.25:                               ;   in Loop: Header=BB208_14 Depth=1
	v_div_scale_f64 v[22:23], s[6:7], v[20:21], v[20:21], v[18:19]
	v_rcp_f64_e32 v[24:25], v[22:23]
	v_div_scale_f64 v[30:31], vcc, v[18:19], v[20:21], v[18:19]
	v_fma_f64 v[32:33], -v[22:23], v[24:25], 1.0
	v_fmac_f64_e32 v[24:25], v[24:25], v[32:33]
	v_fma_f64 v[32:33], -v[22:23], v[24:25], 1.0
	v_fmac_f64_e32 v[24:25], v[24:25], v[32:33]
	v_mul_f64 v[32:33], v[30:31], v[24:25]
	v_fma_f64 v[22:23], -v[22:23], v[32:33], v[30:31]
	v_div_fmas_f64 v[22:23], v[22:23], v[24:25], v[32:33]
	v_div_fixup_f64 v[24:25], v[22:23], v[20:21], v[18:19]
	v_fma_f64 v[22:23], v[18:19], v[24:25], v[20:21]
	v_div_scale_f64 v[30:31], s[6:7], v[22:23], v[22:23], 1.0
	v_rcp_f64_e32 v[32:33], v[30:31]
	s_mov_b64 s[6:7], 0
	v_fma_f64 v[34:35], -v[30:31], v[32:33], 1.0
	v_fmac_f64_e32 v[32:33], v[32:33], v[34:35]
	v_fma_f64 v[34:35], -v[30:31], v[32:33], 1.0
	v_fmac_f64_e32 v[32:33], v[32:33], v[34:35]
	v_div_scale_f64 v[34:35], vcc, 1.0, v[22:23], 1.0
	v_mul_f64 v[36:37], v[34:35], v[32:33]
	v_fma_f64 v[30:31], -v[30:31], v[36:37], v[34:35]
	s_nop 1
	v_div_fmas_f64 v[30:31], v[30:31], v[32:33], v[36:37]
	v_div_fixup_f64 v[30:31], v[30:31], v[22:23], 1.0
	v_fma_f64 v[22:23], v[24:25], v[6:7], v[8:9]
	v_fma_f64 v[24:25], v[24:25], v[8:9], -v[6:7]
	v_mul_f64 v[22:23], v[22:23], v[30:31]
	v_mul_f64 v[24:25], v[24:25], v[30:31]
.LBB208_26:                             ;   in Loop: Header=BB208_14 Depth=1
	s_andn2_b64 vcc, exec, s[6:7]
	s_cbranch_vccnz .LBB208_28
; %bb.27:                               ;   in Loop: Header=BB208_14 Depth=1
	v_div_scale_f64 v[22:23], s[6:7], v[18:19], v[18:19], v[20:21]
	v_rcp_f64_e32 v[24:25], v[22:23]
	v_div_scale_f64 v[30:31], vcc, v[20:21], v[18:19], v[20:21]
	v_fma_f64 v[32:33], -v[22:23], v[24:25], 1.0
	v_fmac_f64_e32 v[24:25], v[24:25], v[32:33]
	v_fma_f64 v[32:33], -v[22:23], v[24:25], 1.0
	v_fmac_f64_e32 v[24:25], v[24:25], v[32:33]
	v_mul_f64 v[32:33], v[30:31], v[24:25]
	v_fma_f64 v[22:23], -v[22:23], v[32:33], v[30:31]
	v_div_fmas_f64 v[22:23], v[22:23], v[24:25], v[32:33]
	v_div_fixup_f64 v[24:25], v[22:23], v[18:19], v[20:21]
	v_fmac_f64_e32 v[18:19], v[20:21], v[24:25]
	v_div_scale_f64 v[20:21], s[6:7], v[18:19], v[18:19], 1.0
	v_rcp_f64_e32 v[22:23], v[20:21]
	s_nop 0
	v_fma_f64 v[30:31], -v[20:21], v[22:23], 1.0
	v_fmac_f64_e32 v[22:23], v[22:23], v[30:31]
	v_fma_f64 v[30:31], -v[20:21], v[22:23], 1.0
	v_fmac_f64_e32 v[22:23], v[22:23], v[30:31]
	v_div_scale_f64 v[30:31], vcc, 1.0, v[18:19], 1.0
	v_mul_f64 v[32:33], v[30:31], v[22:23]
	v_fma_f64 v[20:21], -v[20:21], v[32:33], v[30:31]
	s_nop 1
	v_div_fmas_f64 v[20:21], v[20:21], v[22:23], v[32:33]
	v_div_fixup_f64 v[18:19], v[20:21], v[18:19], 1.0
	v_fma_f64 v[20:21], v[24:25], v[8:9], v[6:7]
	v_fma_f64 v[6:7], -v[24:25], v[6:7], v[8:9]
	v_mul_f64 v[22:23], v[20:21], v[18:19]
	v_mul_f64 v[24:25], v[6:7], v[18:19]
.LBB208_28:                             ;   in Loop: Header=BB208_14 Depth=1
	v_mov_b32_e32 v6, s15
	ds_read_b128 v[18:21], v6 offset:48
	s_lshl_b32 s6, s12, 4
	ds_write_b128 v28, v[22:25]
	s_sub_i32 s6, s16, s6
	s_add_i32 s6, s6, s13
	s_waitcnt lgkmcnt(1)
	v_mul_f64 v[28:29], v[12:13], v[20:21]
	v_fma_f64 v[28:29], v[10:11], v[18:19], -v[28:29]
	v_mul_f64 v[20:21], v[10:11], v[20:21]
	v_fmac_f64_e32 v[20:21], v[12:13], v[18:19]
	v_add_f64 v[18:19], v[2:3], -v[28:29]
	v_mov_b32_e32 v2, s14
	ds_read_b128 v[6:9], v6 offset:432
	ds_read_b128 v[10:13], v2 offset:48
	v_mov_b32_e32 v2, s6
	v_add_f64 v[20:21], v[4:5], -v[20:21]
	ds_read_b128 v[2:5], v2 offset:192
	s_waitcnt lgkmcnt(2)
	v_cmp_ngt_f64_e64 s[12:13], |v[6:7]|, |v[8:9]|
	s_waitcnt lgkmcnt(1)
	v_mul_f64 v[28:29], v[16:17], v[12:13]
	v_mul_f64 v[12:13], v[14:15], v[12:13]
	v_fma_f64 v[28:29], v[14:15], v[10:11], -v[28:29]
	v_fmac_f64_e32 v[12:13], v[16:17], v[10:11]
	s_waitcnt lgkmcnt(0)
	v_mul_f64 v[14:15], v[24:25], v[4:5]
	v_mul_f64 v[4:5], v[22:23], v[4:5]
	v_add_f64 v[10:11], v[18:19], -v[28:29]
	v_add_f64 v[12:13], v[20:21], -v[12:13]
	v_fma_f64 v[14:15], v[22:23], v[2:3], -v[14:15]
	v_fmac_f64_e32 v[4:5], v[24:25], v[2:3]
	v_add_f64 v[10:11], v[10:11], -v[14:15]
	v_add_f64 v[12:13], v[12:13], -v[4:5]
	s_mov_b64 s[6:7], -1
	s_and_b64 vcc, exec, s[12:13]
                                        ; implicit-def: $vgpr4_vgpr5
	s_cbranch_vccz .LBB208_30
; %bb.29:                               ;   in Loop: Header=BB208_14 Depth=1
	v_div_scale_f64 v[2:3], s[6:7], v[8:9], v[8:9], v[6:7]
	v_rcp_f64_e32 v[4:5], v[2:3]
	v_div_scale_f64 v[14:15], vcc, v[6:7], v[8:9], v[6:7]
	v_fma_f64 v[16:17], -v[2:3], v[4:5], 1.0
	v_fmac_f64_e32 v[4:5], v[4:5], v[16:17]
	v_fma_f64 v[16:17], -v[2:3], v[4:5], 1.0
	v_fmac_f64_e32 v[4:5], v[4:5], v[16:17]
	v_mul_f64 v[16:17], v[14:15], v[4:5]
	v_fma_f64 v[2:3], -v[2:3], v[16:17], v[14:15]
	v_div_fmas_f64 v[2:3], v[2:3], v[4:5], v[16:17]
	v_div_fixup_f64 v[4:5], v[2:3], v[8:9], v[6:7]
	v_fma_f64 v[2:3], v[6:7], v[4:5], v[8:9]
	v_div_scale_f64 v[14:15], s[6:7], v[2:3], v[2:3], 1.0
	v_rcp_f64_e32 v[16:17], v[14:15]
	s_mov_b64 s[6:7], 0
	v_fma_f64 v[18:19], -v[14:15], v[16:17], 1.0
	v_fmac_f64_e32 v[16:17], v[16:17], v[18:19]
	v_fma_f64 v[18:19], -v[14:15], v[16:17], 1.0
	v_fmac_f64_e32 v[16:17], v[16:17], v[18:19]
	v_div_scale_f64 v[18:19], vcc, 1.0, v[2:3], 1.0
	v_mul_f64 v[20:21], v[18:19], v[16:17]
	v_fma_f64 v[14:15], -v[14:15], v[20:21], v[18:19]
	s_nop 1
	v_div_fmas_f64 v[14:15], v[14:15], v[16:17], v[20:21]
	v_div_fixup_f64 v[14:15], v[14:15], v[2:3], 1.0
	v_fma_f64 v[2:3], v[4:5], v[10:11], v[12:13]
	v_fma_f64 v[4:5], v[4:5], v[12:13], -v[10:11]
	v_mul_f64 v[2:3], v[2:3], v[14:15]
	v_mul_f64 v[4:5], v[4:5], v[14:15]
.LBB208_30:                             ;   in Loop: Header=BB208_14 Depth=1
	s_andn2_b64 vcc, exec, s[6:7]
	s_cbranch_vccnz .LBB208_32
; %bb.31:                               ;   in Loop: Header=BB208_14 Depth=1
	v_div_scale_f64 v[2:3], s[6:7], v[6:7], v[6:7], v[8:9]
	v_rcp_f64_e32 v[4:5], v[2:3]
	v_div_scale_f64 v[14:15], vcc, v[8:9], v[6:7], v[8:9]
	v_fma_f64 v[16:17], -v[2:3], v[4:5], 1.0
	v_fmac_f64_e32 v[4:5], v[4:5], v[16:17]
	v_fma_f64 v[16:17], -v[2:3], v[4:5], 1.0
	v_fmac_f64_e32 v[4:5], v[4:5], v[16:17]
	v_mul_f64 v[16:17], v[14:15], v[4:5]
	v_fma_f64 v[2:3], -v[2:3], v[16:17], v[14:15]
	v_div_fmas_f64 v[2:3], v[2:3], v[4:5], v[16:17]
	v_div_fixup_f64 v[4:5], v[2:3], v[6:7], v[8:9]
	v_fmac_f64_e32 v[6:7], v[8:9], v[4:5]
	v_div_scale_f64 v[2:3], s[6:7], v[6:7], v[6:7], 1.0
	v_rcp_f64_e32 v[8:9], v[2:3]
	s_nop 0
	v_fma_f64 v[14:15], -v[2:3], v[8:9], 1.0
	v_fmac_f64_e32 v[8:9], v[8:9], v[14:15]
	v_fma_f64 v[14:15], -v[2:3], v[8:9], 1.0
	v_fmac_f64_e32 v[8:9], v[8:9], v[14:15]
	v_div_scale_f64 v[14:15], vcc, 1.0, v[6:7], 1.0
	v_mul_f64 v[16:17], v[14:15], v[8:9]
	v_fma_f64 v[2:3], -v[2:3], v[16:17], v[14:15]
	s_nop 1
	v_div_fmas_f64 v[2:3], v[2:3], v[8:9], v[16:17]
	v_div_fixup_f64 v[6:7], v[2:3], v[6:7], 1.0
	v_fma_f64 v[2:3], v[4:5], v[12:13], v[10:11]
	v_fma_f64 v[4:5], -v[4:5], v[10:11], v[12:13]
	v_mul_f64 v[2:3], v[2:3], v[6:7]
	v_mul_f64 v[4:5], v[4:5], v[6:7]
.LBB208_32:                             ;   in Loop: Header=BB208_14 Depth=1
	s_add_i32 s12, s11, 4
	s_add_i32 s6, s11, 7
	;; [unrolled: 1-line block ×3, first 2 shown]
	s_cmp_ge_i32 s6, s25
	ds_write_b128 v27, v[2:5]
	s_cbranch_scc1 .LBB208_34
; %bb.33:                               ;   in Loop: Header=BB208_14 Depth=1
	s_mov_b32 s11, s12
	s_branch .LBB208_14
.LBB208_34:
	s_cmp_ge_i32 s12, s25
	s_cbranch_scc1 .LBB208_43
; %bb.35:
	v_mov_b32_e32 v2, 0x400
	s_lshl_b32 s10, s12, 4
	v_lshl_or_b32 v14, v0, 4, v2
	s_branch .LBB208_37
.LBB208_36:                             ;   in Loop: Header=BB208_37 Depth=1
	s_add_i32 s12, s12, 1
	s_add_i32 s10, s10, 16
	s_cmp_ge_i32 s12, s25
	ds_write_b128 v15, v[10:13]
	s_cbranch_scc1 .LBB208_43
.LBB208_37:                             ; =>This Loop Header: Depth=1
                                        ;     Child Loop BB208_38 Depth 2
	s_lshl_b32 s6, s12, 7
	v_add_u32_e32 v15, s6, v1
	ds_read_b128 v[2:5], v15
	s_cmp_eq_u32 s12, 0
	v_mov_b32_e32 v6, v14
	s_mov_b32 s7, s10
	s_mov_b32 s11, s12
	s_cbranch_scc1 .LBB208_39
.LBB208_38:                             ;   Parent Loop BB208_37 Depth=1
                                        ; =>  This Inner Loop Header: Depth=2
	v_mov_b32_e32 v7, s7
	ds_read_b128 v[8:11], v6
	ds_read_b128 v[16:19], v7
	s_add_i32 s11, s11, -1
	s_addk_i32 s7, 0x80
	v_add_u32_e32 v6, 0x80, v6
	s_cmp_eq_u32 s11, 0
	s_waitcnt lgkmcnt(0)
	v_mul_f64 v[12:13], v[18:19], v[10:11]
	v_mul_f64 v[10:11], v[16:17], v[10:11]
	v_fma_f64 v[12:13], v[16:17], v[8:9], -v[12:13]
	v_fmac_f64_e32 v[10:11], v[18:19], v[8:9]
	v_add_f64 v[2:3], v[2:3], -v[12:13]
	v_add_f64 v[4:5], v[4:5], -v[10:11]
	s_cbranch_scc0 .LBB208_38
.LBB208_39:                             ;   in Loop: Header=BB208_37 Depth=1
	s_lshl_b32 s7, s12, 4
	s_add_i32 s6, s7, s6
	v_mov_b32_e32 v6, s6
	ds_read_b128 v[6:9], v6
	s_mov_b64 s[6:7], -1
                                        ; implicit-def: $vgpr10_vgpr11
	s_waitcnt lgkmcnt(0)
	v_cmp_ngt_f64_e64 s[14:15], |v[6:7]|, |v[8:9]|
	s_and_b64 vcc, exec, s[14:15]
	s_cbranch_vccz .LBB208_41
; %bb.40:                               ;   in Loop: Header=BB208_37 Depth=1
	v_div_scale_f64 v[10:11], s[6:7], v[8:9], v[8:9], v[6:7]
	v_rcp_f64_e32 v[12:13], v[10:11]
	v_div_scale_f64 v[16:17], vcc, v[6:7], v[8:9], v[6:7]
	v_fma_f64 v[18:19], -v[10:11], v[12:13], 1.0
	v_fmac_f64_e32 v[12:13], v[12:13], v[18:19]
	v_fma_f64 v[18:19], -v[10:11], v[12:13], 1.0
	v_fmac_f64_e32 v[12:13], v[12:13], v[18:19]
	v_mul_f64 v[18:19], v[16:17], v[12:13]
	v_fma_f64 v[10:11], -v[10:11], v[18:19], v[16:17]
	v_div_fmas_f64 v[10:11], v[10:11], v[12:13], v[18:19]
	v_div_fixup_f64 v[12:13], v[10:11], v[8:9], v[6:7]
	v_fma_f64 v[10:11], v[6:7], v[12:13], v[8:9]
	v_div_scale_f64 v[16:17], s[6:7], v[10:11], v[10:11], 1.0
	v_rcp_f64_e32 v[18:19], v[16:17]
	s_mov_b64 s[6:7], 0
	v_fma_f64 v[20:21], -v[16:17], v[18:19], 1.0
	v_fmac_f64_e32 v[18:19], v[18:19], v[20:21]
	v_fma_f64 v[20:21], -v[16:17], v[18:19], 1.0
	v_fmac_f64_e32 v[18:19], v[18:19], v[20:21]
	v_div_scale_f64 v[20:21], vcc, 1.0, v[10:11], 1.0
	v_mul_f64 v[22:23], v[20:21], v[18:19]
	v_fma_f64 v[16:17], -v[16:17], v[22:23], v[20:21]
	s_nop 1
	v_div_fmas_f64 v[16:17], v[16:17], v[18:19], v[22:23]
	v_div_fixup_f64 v[16:17], v[16:17], v[10:11], 1.0
	v_fma_f64 v[10:11], v[2:3], v[12:13], v[4:5]
	v_fma_f64 v[12:13], v[4:5], v[12:13], -v[2:3]
	v_mul_f64 v[10:11], v[10:11], v[16:17]
	v_mul_f64 v[12:13], v[12:13], v[16:17]
.LBB208_41:                             ;   in Loop: Header=BB208_37 Depth=1
	s_andn2_b64 vcc, exec, s[6:7]
	s_cbranch_vccnz .LBB208_36
; %bb.42:                               ;   in Loop: Header=BB208_37 Depth=1
	v_div_scale_f64 v[10:11], s[6:7], v[6:7], v[6:7], v[8:9]
	v_rcp_f64_e32 v[12:13], v[10:11]
	v_div_scale_f64 v[16:17], vcc, v[8:9], v[6:7], v[8:9]
	v_fma_f64 v[18:19], -v[10:11], v[12:13], 1.0
	v_fmac_f64_e32 v[12:13], v[12:13], v[18:19]
	v_fma_f64 v[18:19], -v[10:11], v[12:13], 1.0
	v_fmac_f64_e32 v[12:13], v[12:13], v[18:19]
	v_mul_f64 v[18:19], v[16:17], v[12:13]
	v_fma_f64 v[10:11], -v[10:11], v[18:19], v[16:17]
	v_div_fmas_f64 v[10:11], v[10:11], v[12:13], v[18:19]
	v_div_fixup_f64 v[12:13], v[10:11], v[6:7], v[8:9]
	v_fmac_f64_e32 v[6:7], v[8:9], v[12:13]
	v_div_scale_f64 v[8:9], s[6:7], v[6:7], v[6:7], 1.0
	v_rcp_f64_e32 v[10:11], v[8:9]
	s_nop 0
	v_fma_f64 v[16:17], -v[8:9], v[10:11], 1.0
	v_fmac_f64_e32 v[10:11], v[10:11], v[16:17]
	v_fma_f64 v[16:17], -v[8:9], v[10:11], 1.0
	v_fmac_f64_e32 v[10:11], v[10:11], v[16:17]
	v_div_scale_f64 v[16:17], vcc, 1.0, v[6:7], 1.0
	v_mul_f64 v[18:19], v[16:17], v[10:11]
	v_fma_f64 v[8:9], -v[8:9], v[18:19], v[16:17]
	s_nop 1
	v_div_fmas_f64 v[8:9], v[8:9], v[10:11], v[18:19]
	v_div_fixup_f64 v[6:7], v[8:9], v[6:7], 1.0
	v_fma_f64 v[8:9], v[4:5], v[12:13], v[2:3]
	v_fma_f64 v[2:3], -v[2:3], v[12:13], v[4:5]
	v_mul_f64 v[10:11], v[8:9], v[6:7]
	v_mul_f64 v[12:13], v[2:3], v[6:7]
	s_branch .LBB208_36
.LBB208_43:
	s_mov_b64 s[6:7], 0
.LBB208_44:
	s_and_b64 vcc, exec, s[6:7]
	s_cbranch_vccz .LBB208_76
; %bb.45:
	s_andn2_b64 vcc, exec, s[4:5]
	s_mov_b32 s12, s9
	s_cbranch_vccnz .LBB208_67
; %bb.46:
	v_lshlrev_b32_e32 v2, 4, v0
	s_mul_i32 s6, s25, 0x90
	v_lshl_or_b32 v2, s25, 7, v2
	s_add_i32 s10, s6, 0xffffff40
	v_add_u32_e32 v26, 0x380, v2
	s_mov_b32 s11, s9
.LBB208_47:                             ; =>This Loop Header: Depth=1
                                        ;     Child Loop BB208_48 Depth 2
	s_add_i32 s14, s11, -2
	s_add_i32 s12, s11, -3
	v_lshl_add_u32 v30, s11, 7, v1
	s_add_i32 s13, s11, -1
	v_lshl_add_u32 v28, s14, 7, v1
	s_lshl_b32 s6, s12, 7
	v_lshl_add_u32 v29, s13, 7, v1
	ds_read_b128 v[18:21], v30
	ds_read_b128 v[14:17], v29
	v_add_u32_e32 v27, s6, v1
	ds_read_b128 v[6:9], v28
	ds_read_b128 v[2:5], v27
	s_cmp_le_i32 s9, s11
	v_mov_b32_e32 v10, v26
	s_mov_b32 s6, s10
	s_mov_b32 s7, s9
	s_cbranch_scc1 .LBB208_49
.LBB208_48:                             ;   Parent Loop BB208_47 Depth=1
                                        ; =>  This Inner Loop Header: Depth=2
	v_mov_b32_e32 v11, s6
	ds_read_b128 v[22:25], v10
	ds_read_b128 v[32:35], v11 offset:48
	ds_read_b128 v[36:39], v11 offset:32
	ds_read_b128 v[40:43], v11
	ds_read_b128 v[44:47], v11 offset:16
	s_add_i32 s7, s7, -1
	s_addk_i32 s6, 0xff80
	v_add_u32_e32 v10, 0xffffff80, v10
	s_waitcnt lgkmcnt(3)
	v_mul_f64 v[12:13], v[24:25], v[34:35]
	v_mul_f64 v[34:35], v[22:23], v[34:35]
	s_waitcnt lgkmcnt(2)
	v_mul_f64 v[48:49], v[24:25], v[38:39]
	v_mul_f64 v[38:39], v[22:23], v[38:39]
	;; [unrolled: 3-line block ×3, first 2 shown]
	v_mul_f64 v[52:53], v[24:25], v[42:43]
	v_mul_f64 v[42:43], v[22:23], v[42:43]
	v_fma_f64 v[12:13], v[22:23], v[32:33], -v[12:13]
	v_fmac_f64_e32 v[34:35], v[24:25], v[32:33]
	v_fma_f64 v[32:33], v[22:23], v[36:37], -v[48:49]
	v_fmac_f64_e32 v[38:39], v[24:25], v[36:37]
	v_fma_f64 v[36:37], v[22:23], v[44:45], -v[50:51]
	v_fmac_f64_e32 v[46:47], v[24:25], v[44:45]
	v_fma_f64 v[22:23], v[22:23], v[40:41], -v[52:53]
	v_fmac_f64_e32 v[42:43], v[24:25], v[40:41]
	s_cmp_le_i32 s7, s11
	v_add_f64 v[18:19], v[18:19], -v[12:13]
	v_add_f64 v[20:21], v[20:21], -v[34:35]
	;; [unrolled: 1-line block ×8, first 2 shown]
	s_cbranch_scc0 .LBB208_48
.LBB208_49:                             ;   in Loop: Header=BB208_47 Depth=1
	s_lshl_b32 s16, s11, 4
	s_lshl_b32 s6, s11, 7
	s_add_i32 s15, s16, s6
	v_mov_b32_e32 v10, s15
	ds_read_b128 v[22:25], v10
	s_mov_b64 s[6:7], -1
                                        ; implicit-def: $vgpr12_vgpr13
	s_waitcnt lgkmcnt(0)
	v_cmp_ngt_f64_e64 s[18:19], |v[22:23]|, |v[24:25]|
	s_and_b64 vcc, exec, s[18:19]
	s_cbranch_vccz .LBB208_51
; %bb.50:                               ;   in Loop: Header=BB208_47 Depth=1
	v_div_scale_f64 v[10:11], s[6:7], v[24:25], v[24:25], v[22:23]
	v_rcp_f64_e32 v[12:13], v[10:11]
	v_div_scale_f64 v[32:33], vcc, v[22:23], v[24:25], v[22:23]
	v_fma_f64 v[34:35], -v[10:11], v[12:13], 1.0
	v_fmac_f64_e32 v[12:13], v[12:13], v[34:35]
	v_fma_f64 v[34:35], -v[10:11], v[12:13], 1.0
	v_fmac_f64_e32 v[12:13], v[12:13], v[34:35]
	v_mul_f64 v[34:35], v[32:33], v[12:13]
	v_fma_f64 v[10:11], -v[10:11], v[34:35], v[32:33]
	v_div_fmas_f64 v[10:11], v[10:11], v[12:13], v[34:35]
	v_div_fixup_f64 v[12:13], v[10:11], v[24:25], v[22:23]
	v_fma_f64 v[10:11], v[22:23], v[12:13], v[24:25]
	v_div_scale_f64 v[32:33], s[6:7], v[10:11], v[10:11], 1.0
	v_rcp_f64_e32 v[34:35], v[32:33]
	s_mov_b64 s[6:7], 0
	v_fma_f64 v[36:37], -v[32:33], v[34:35], 1.0
	v_fmac_f64_e32 v[34:35], v[34:35], v[36:37]
	v_fma_f64 v[36:37], -v[32:33], v[34:35], 1.0
	v_fmac_f64_e32 v[34:35], v[34:35], v[36:37]
	v_div_scale_f64 v[36:37], vcc, 1.0, v[10:11], 1.0
	v_mul_f64 v[38:39], v[36:37], v[34:35]
	v_fma_f64 v[32:33], -v[32:33], v[38:39], v[36:37]
	s_nop 1
	v_div_fmas_f64 v[32:33], v[32:33], v[34:35], v[38:39]
	v_div_fixup_f64 v[32:33], v[32:33], v[10:11], 1.0
	v_fma_f64 v[10:11], v[18:19], v[12:13], v[20:21]
	v_fma_f64 v[12:13], v[20:21], v[12:13], -v[18:19]
	v_mul_f64 v[10:11], v[10:11], v[32:33]
	v_mul_f64 v[12:13], v[12:13], v[32:33]
.LBB208_51:                             ;   in Loop: Header=BB208_47 Depth=1
	s_andn2_b64 vcc, exec, s[6:7]
	s_cbranch_vccnz .LBB208_53
; %bb.52:                               ;   in Loop: Header=BB208_47 Depth=1
	v_div_scale_f64 v[10:11], s[6:7], v[22:23], v[22:23], v[24:25]
	v_rcp_f64_e32 v[12:13], v[10:11]
	v_div_scale_f64 v[32:33], vcc, v[24:25], v[22:23], v[24:25]
	v_fma_f64 v[34:35], -v[10:11], v[12:13], 1.0
	v_fmac_f64_e32 v[12:13], v[12:13], v[34:35]
	v_fma_f64 v[34:35], -v[10:11], v[12:13], 1.0
	v_fmac_f64_e32 v[12:13], v[12:13], v[34:35]
	v_mul_f64 v[34:35], v[32:33], v[12:13]
	v_fma_f64 v[10:11], -v[10:11], v[34:35], v[32:33]
	v_div_fmas_f64 v[10:11], v[10:11], v[12:13], v[34:35]
	v_div_fixup_f64 v[12:13], v[10:11], v[22:23], v[24:25]
	v_fmac_f64_e32 v[22:23], v[24:25], v[12:13]
	v_div_scale_f64 v[10:11], s[6:7], v[22:23], v[22:23], 1.0
	v_rcp_f64_e32 v[24:25], v[10:11]
	s_nop 0
	v_fma_f64 v[32:33], -v[10:11], v[24:25], 1.0
	v_fmac_f64_e32 v[24:25], v[24:25], v[32:33]
	v_fma_f64 v[32:33], -v[10:11], v[24:25], 1.0
	v_fmac_f64_e32 v[24:25], v[24:25], v[32:33]
	v_div_scale_f64 v[32:33], vcc, 1.0, v[22:23], 1.0
	v_mul_f64 v[34:35], v[32:33], v[24:25]
	v_fma_f64 v[10:11], -v[10:11], v[34:35], v[32:33]
	s_nop 1
	v_div_fmas_f64 v[10:11], v[10:11], v[24:25], v[34:35]
	v_div_fixup_f64 v[22:23], v[10:11], v[22:23], 1.0
	v_fma_f64 v[10:11], v[20:21], v[12:13], v[18:19]
	v_fma_f64 v[12:13], -v[18:19], v[12:13], v[20:21]
	v_mul_f64 v[10:11], v[10:11], v[22:23]
	v_mul_f64 v[12:13], v[12:13], v[22:23]
.LBB208_53:                             ;   in Loop: Header=BB208_47 Depth=1
	s_lshl_b32 s6, s13, 7
	s_add_i32 s17, s16, s6
	s_add_i32 s6, s15, -16
	v_mov_b32_e32 v18, s6
	s_add_i32 s17, s17, -16
	ds_read_b128 v[22:25], v18
	v_mov_b32_e32 v18, s17
	ds_read_b128 v[18:21], v18
	ds_write_b128 v30, v[10:13]
	s_mov_b64 s[6:7], -1
	s_waitcnt lgkmcnt(2)
	v_mul_f64 v[30:31], v[12:13], v[24:25]
	v_mul_f64 v[24:25], v[10:11], v[24:25]
	v_fma_f64 v[30:31], v[10:11], v[22:23], -v[30:31]
	v_fmac_f64_e32 v[24:25], v[12:13], v[22:23]
	s_waitcnt lgkmcnt(1)
	v_cmp_ngt_f64_e64 s[18:19], |v[18:19]|, |v[20:21]|
	v_add_f64 v[22:23], v[14:15], -v[30:31]
	v_add_f64 v[24:25], v[16:17], -v[24:25]
	s_and_b64 vcc, exec, s[18:19]
                                        ; implicit-def: $vgpr16_vgpr17
	s_cbranch_vccz .LBB208_55
; %bb.54:                               ;   in Loop: Header=BB208_47 Depth=1
	v_div_scale_f64 v[14:15], s[6:7], v[20:21], v[20:21], v[18:19]
	v_rcp_f64_e32 v[16:17], v[14:15]
	v_div_scale_f64 v[30:31], vcc, v[18:19], v[20:21], v[18:19]
	v_fma_f64 v[32:33], -v[14:15], v[16:17], 1.0
	v_fmac_f64_e32 v[16:17], v[16:17], v[32:33]
	v_fma_f64 v[32:33], -v[14:15], v[16:17], 1.0
	v_fmac_f64_e32 v[16:17], v[16:17], v[32:33]
	v_mul_f64 v[32:33], v[30:31], v[16:17]
	v_fma_f64 v[14:15], -v[14:15], v[32:33], v[30:31]
	v_div_fmas_f64 v[14:15], v[14:15], v[16:17], v[32:33]
	v_div_fixup_f64 v[16:17], v[14:15], v[20:21], v[18:19]
	v_fma_f64 v[14:15], v[18:19], v[16:17], v[20:21]
	v_div_scale_f64 v[30:31], s[6:7], v[14:15], v[14:15], 1.0
	v_rcp_f64_e32 v[32:33], v[30:31]
	s_mov_b64 s[6:7], 0
	v_fma_f64 v[34:35], -v[30:31], v[32:33], 1.0
	v_fmac_f64_e32 v[32:33], v[32:33], v[34:35]
	v_fma_f64 v[34:35], -v[30:31], v[32:33], 1.0
	v_fmac_f64_e32 v[32:33], v[32:33], v[34:35]
	v_div_scale_f64 v[34:35], vcc, 1.0, v[14:15], 1.0
	v_mul_f64 v[36:37], v[34:35], v[32:33]
	v_fma_f64 v[30:31], -v[30:31], v[36:37], v[34:35]
	s_nop 1
	v_div_fmas_f64 v[30:31], v[30:31], v[32:33], v[36:37]
	v_div_fixup_f64 v[30:31], v[30:31], v[14:15], 1.0
	v_fma_f64 v[14:15], v[16:17], v[22:23], v[24:25]
	v_fma_f64 v[16:17], v[16:17], v[24:25], -v[22:23]
	v_mul_f64 v[14:15], v[14:15], v[30:31]
	v_mul_f64 v[16:17], v[16:17], v[30:31]
.LBB208_55:                             ;   in Loop: Header=BB208_47 Depth=1
	s_andn2_b64 vcc, exec, s[6:7]
	s_cbranch_vccnz .LBB208_57
; %bb.56:                               ;   in Loop: Header=BB208_47 Depth=1
	v_div_scale_f64 v[14:15], s[6:7], v[18:19], v[18:19], v[20:21]
	v_rcp_f64_e32 v[16:17], v[14:15]
	v_div_scale_f64 v[30:31], vcc, v[20:21], v[18:19], v[20:21]
	v_fma_f64 v[32:33], -v[14:15], v[16:17], 1.0
	v_fmac_f64_e32 v[16:17], v[16:17], v[32:33]
	v_fma_f64 v[32:33], -v[14:15], v[16:17], 1.0
	v_fmac_f64_e32 v[16:17], v[16:17], v[32:33]
	v_mul_f64 v[32:33], v[30:31], v[16:17]
	v_fma_f64 v[14:15], -v[14:15], v[32:33], v[30:31]
	v_div_fmas_f64 v[14:15], v[14:15], v[16:17], v[32:33]
	v_div_fixup_f64 v[16:17], v[14:15], v[18:19], v[20:21]
	v_fmac_f64_e32 v[18:19], v[20:21], v[16:17]
	v_div_scale_f64 v[14:15], s[6:7], v[18:19], v[18:19], 1.0
	v_rcp_f64_e32 v[20:21], v[14:15]
	s_nop 0
	v_fma_f64 v[30:31], -v[14:15], v[20:21], 1.0
	v_fmac_f64_e32 v[20:21], v[20:21], v[30:31]
	v_fma_f64 v[30:31], -v[14:15], v[20:21], 1.0
	v_fmac_f64_e32 v[20:21], v[20:21], v[30:31]
	v_div_scale_f64 v[30:31], vcc, 1.0, v[18:19], 1.0
	v_mul_f64 v[32:33], v[30:31], v[20:21]
	v_fma_f64 v[14:15], -v[14:15], v[32:33], v[30:31]
	s_nop 1
	v_div_fmas_f64 v[14:15], v[14:15], v[20:21], v[32:33]
	v_div_fixup_f64 v[18:19], v[14:15], v[18:19], 1.0
	v_fma_f64 v[14:15], v[16:17], v[24:25], v[22:23]
	v_fma_f64 v[16:17], -v[16:17], v[22:23], v[24:25]
	v_mul_f64 v[14:15], v[14:15], v[18:19]
	v_mul_f64 v[16:17], v[16:17], v[18:19]
.LBB208_57:                             ;   in Loop: Header=BB208_47 Depth=1
	s_sub_i32 s7, s15, 32
	s_lshl_b32 s6, s14, 7
	v_mov_b32_e32 v18, s7
	s_lshl_b32 s7, s13, 4
	s_add_i32 s6, s16, s6
	s_sub_i32 s16, s17, s7
	s_lshl_b32 s13, s14, 4
	ds_read_b128 v[18:21], v18
	s_add_i32 s7, s16, s13
	v_mov_b32_e32 v22, s7
	ds_read_b128 v[22:25], v22
	s_sub_i32 s14, s6, 32
	s_waitcnt lgkmcnt(1)
	v_mul_f64 v[30:31], v[12:13], v[20:21]
	v_fma_f64 v[30:31], v[10:11], v[18:19], -v[30:31]
	v_mul_f64 v[20:21], v[10:11], v[20:21]
	v_fmac_f64_e32 v[20:21], v[12:13], v[18:19]
	v_add_f64 v[18:19], v[6:7], -v[30:31]
	s_waitcnt lgkmcnt(0)
	v_mul_f64 v[6:7], v[16:17], v[24:25]
	v_fma_f64 v[30:31], v[14:15], v[22:23], -v[6:7]
	v_mov_b32_e32 v6, s14
	v_add_f64 v[20:21], v[8:9], -v[20:21]
	ds_read_b128 v[6:9], v6
	v_mul_f64 v[24:25], v[14:15], v[24:25]
	v_fmac_f64_e32 v[24:25], v[16:17], v[22:23]
	v_add_f64 v[22:23], v[18:19], -v[30:31]
	v_add_f64 v[24:25], v[20:21], -v[24:25]
	s_waitcnt lgkmcnt(0)
	v_cmp_ngt_f64_e64 s[18:19], |v[6:7]|, |v[8:9]|
	s_mov_b64 s[6:7], -1
	s_and_b64 vcc, exec, s[18:19]
	ds_write_b128 v29, v[14:17]
                                        ; implicit-def: $vgpr20_vgpr21
	s_cbranch_vccz .LBB208_59
; %bb.58:                               ;   in Loop: Header=BB208_47 Depth=1
	v_div_scale_f64 v[18:19], s[6:7], v[8:9], v[8:9], v[6:7]
	v_rcp_f64_e32 v[20:21], v[18:19]
	v_div_scale_f64 v[30:31], vcc, v[6:7], v[8:9], v[6:7]
	v_fma_f64 v[32:33], -v[18:19], v[20:21], 1.0
	v_fmac_f64_e32 v[20:21], v[20:21], v[32:33]
	v_fma_f64 v[32:33], -v[18:19], v[20:21], 1.0
	v_fmac_f64_e32 v[20:21], v[20:21], v[32:33]
	v_mul_f64 v[32:33], v[30:31], v[20:21]
	v_fma_f64 v[18:19], -v[18:19], v[32:33], v[30:31]
	v_div_fmas_f64 v[18:19], v[18:19], v[20:21], v[32:33]
	v_div_fixup_f64 v[20:21], v[18:19], v[8:9], v[6:7]
	v_fma_f64 v[18:19], v[6:7], v[20:21], v[8:9]
	v_div_scale_f64 v[30:31], s[6:7], v[18:19], v[18:19], 1.0
	v_rcp_f64_e32 v[32:33], v[30:31]
	s_mov_b64 s[6:7], 0
	v_fma_f64 v[34:35], -v[30:31], v[32:33], 1.0
	v_fmac_f64_e32 v[32:33], v[32:33], v[34:35]
	v_fma_f64 v[34:35], -v[30:31], v[32:33], 1.0
	v_fmac_f64_e32 v[32:33], v[32:33], v[34:35]
	v_div_scale_f64 v[34:35], vcc, 1.0, v[18:19], 1.0
	v_mul_f64 v[36:37], v[34:35], v[32:33]
	v_fma_f64 v[30:31], -v[30:31], v[36:37], v[34:35]
	s_nop 1
	v_div_fmas_f64 v[30:31], v[30:31], v[32:33], v[36:37]
	v_div_fixup_f64 v[30:31], v[30:31], v[18:19], 1.0
	v_fma_f64 v[18:19], v[20:21], v[22:23], v[24:25]
	v_fma_f64 v[20:21], v[20:21], v[24:25], -v[22:23]
	v_mul_f64 v[18:19], v[18:19], v[30:31]
	v_mul_f64 v[20:21], v[20:21], v[30:31]
.LBB208_59:                             ;   in Loop: Header=BB208_47 Depth=1
	s_andn2_b64 vcc, exec, s[6:7]
	s_cbranch_vccnz .LBB208_61
; %bb.60:                               ;   in Loop: Header=BB208_47 Depth=1
	v_div_scale_f64 v[18:19], s[6:7], v[6:7], v[6:7], v[8:9]
	v_rcp_f64_e32 v[20:21], v[18:19]
	v_div_scale_f64 v[30:31], vcc, v[8:9], v[6:7], v[8:9]
	v_fma_f64 v[32:33], -v[18:19], v[20:21], 1.0
	v_fmac_f64_e32 v[20:21], v[20:21], v[32:33]
	v_fma_f64 v[32:33], -v[18:19], v[20:21], 1.0
	v_fmac_f64_e32 v[20:21], v[20:21], v[32:33]
	v_mul_f64 v[32:33], v[30:31], v[20:21]
	v_fma_f64 v[18:19], -v[18:19], v[32:33], v[30:31]
	v_div_fmas_f64 v[18:19], v[18:19], v[20:21], v[32:33]
	v_div_fixup_f64 v[20:21], v[18:19], v[6:7], v[8:9]
	v_fmac_f64_e32 v[6:7], v[8:9], v[20:21]
	v_div_scale_f64 v[8:9], s[6:7], v[6:7], v[6:7], 1.0
	v_rcp_f64_e32 v[18:19], v[8:9]
	s_nop 0
	v_fma_f64 v[30:31], -v[8:9], v[18:19], 1.0
	v_fmac_f64_e32 v[18:19], v[18:19], v[30:31]
	v_fma_f64 v[30:31], -v[8:9], v[18:19], 1.0
	v_fmac_f64_e32 v[18:19], v[18:19], v[30:31]
	v_div_scale_f64 v[30:31], vcc, 1.0, v[6:7], 1.0
	v_mul_f64 v[32:33], v[30:31], v[18:19]
	v_fma_f64 v[8:9], -v[8:9], v[32:33], v[30:31]
	s_nop 1
	v_div_fmas_f64 v[8:9], v[8:9], v[18:19], v[32:33]
	v_div_fixup_f64 v[6:7], v[8:9], v[6:7], 1.0
	v_fma_f64 v[8:9], v[20:21], v[24:25], v[22:23]
	v_mul_f64 v[18:19], v[8:9], v[6:7]
	v_fma_f64 v[8:9], -v[20:21], v[22:23], v[24:25]
	v_mul_f64 v[20:21], v[8:9], v[6:7]
.LBB208_61:                             ;   in Loop: Header=BB208_47 Depth=1
	s_sub_i32 s6, s15, 48
	v_mov_b32_e32 v6, s6
	s_lshl_b32 s6, s12, 4
	s_add_i32 s7, s16, s6
	ds_read_b128 v[6:9], v6
	v_mov_b32_e32 v22, s7
	ds_read_b128 v[22:25], v22
	ds_write_b128 v28, v[18:21]
	s_sub_i32 s7, s14, s13
	s_waitcnt lgkmcnt(2)
	v_mul_f64 v[28:29], v[12:13], v[8:9]
	v_mul_f64 v[8:9], v[10:11], v[8:9]
	v_fma_f64 v[28:29], v[10:11], v[6:7], -v[28:29]
	v_fmac_f64_e32 v[8:9], v[12:13], v[6:7]
	s_waitcnt lgkmcnt(1)
	v_mul_f64 v[6:7], v[16:17], v[24:25]
	v_add_f64 v[2:3], v[2:3], -v[28:29]
	v_fma_f64 v[6:7], v[14:15], v[22:23], -v[6:7]
	s_add_i32 s6, s7, s6
	v_mul_f64 v[10:11], v[14:15], v[24:25]
	v_add_f64 v[12:13], v[2:3], -v[6:7]
	v_mov_b32_e32 v2, s6
	s_add_i32 s6, s14, 0xffffff70
	v_add_f64 v[4:5], v[4:5], -v[8:9]
	v_fmac_f64_e32 v[10:11], v[16:17], v[22:23]
	ds_read_b128 v[6:9], v2
	v_mov_b32_e32 v2, s6
	v_add_f64 v[14:15], v[4:5], -v[10:11]
	ds_read_b128 v[2:5], v2
	s_mov_b64 s[6:7], -1
	s_waitcnt lgkmcnt(1)
	v_mul_f64 v[10:11], v[20:21], v[8:9]
	v_mul_f64 v[8:9], v[18:19], v[8:9]
	v_fma_f64 v[10:11], v[18:19], v[6:7], -v[10:11]
	v_fmac_f64_e32 v[8:9], v[20:21], v[6:7]
	s_waitcnt lgkmcnt(0)
	v_cmp_ngt_f64_e64 s[12:13], |v[2:3]|, |v[4:5]|
	v_add_f64 v[10:11], v[12:13], -v[10:11]
	v_add_f64 v[12:13], v[14:15], -v[8:9]
	s_and_b64 vcc, exec, s[12:13]
                                        ; implicit-def: $vgpr8_vgpr9
	s_cbranch_vccz .LBB208_63
; %bb.62:                               ;   in Loop: Header=BB208_47 Depth=1
	v_div_scale_f64 v[6:7], s[6:7], v[4:5], v[4:5], v[2:3]
	v_rcp_f64_e32 v[8:9], v[6:7]
	v_div_scale_f64 v[14:15], vcc, v[2:3], v[4:5], v[2:3]
	v_fma_f64 v[16:17], -v[6:7], v[8:9], 1.0
	v_fmac_f64_e32 v[8:9], v[8:9], v[16:17]
	v_fma_f64 v[16:17], -v[6:7], v[8:9], 1.0
	v_fmac_f64_e32 v[8:9], v[8:9], v[16:17]
	v_mul_f64 v[16:17], v[14:15], v[8:9]
	v_fma_f64 v[6:7], -v[6:7], v[16:17], v[14:15]
	v_div_fmas_f64 v[6:7], v[6:7], v[8:9], v[16:17]
	v_div_fixup_f64 v[8:9], v[6:7], v[4:5], v[2:3]
	v_fma_f64 v[6:7], v[2:3], v[8:9], v[4:5]
	v_div_scale_f64 v[14:15], s[6:7], v[6:7], v[6:7], 1.0
	v_rcp_f64_e32 v[16:17], v[14:15]
	s_mov_b64 s[6:7], 0
	v_fma_f64 v[18:19], -v[14:15], v[16:17], 1.0
	v_fmac_f64_e32 v[16:17], v[16:17], v[18:19]
	v_fma_f64 v[18:19], -v[14:15], v[16:17], 1.0
	v_fmac_f64_e32 v[16:17], v[16:17], v[18:19]
	v_div_scale_f64 v[18:19], vcc, 1.0, v[6:7], 1.0
	v_mul_f64 v[20:21], v[18:19], v[16:17]
	v_fma_f64 v[14:15], -v[14:15], v[20:21], v[18:19]
	s_nop 1
	v_div_fmas_f64 v[14:15], v[14:15], v[16:17], v[20:21]
	v_div_fixup_f64 v[14:15], v[14:15], v[6:7], 1.0
	v_fma_f64 v[6:7], v[8:9], v[10:11], v[12:13]
	v_fma_f64 v[8:9], v[8:9], v[12:13], -v[10:11]
	v_mul_f64 v[6:7], v[6:7], v[14:15]
	v_mul_f64 v[8:9], v[8:9], v[14:15]
.LBB208_63:                             ;   in Loop: Header=BB208_47 Depth=1
	s_andn2_b64 vcc, exec, s[6:7]
	s_cbranch_vccnz .LBB208_65
; %bb.64:                               ;   in Loop: Header=BB208_47 Depth=1
	v_div_scale_f64 v[6:7], s[6:7], v[2:3], v[2:3], v[4:5]
	v_rcp_f64_e32 v[8:9], v[6:7]
	v_div_scale_f64 v[14:15], vcc, v[4:5], v[2:3], v[4:5]
	v_fma_f64 v[16:17], -v[6:7], v[8:9], 1.0
	v_fmac_f64_e32 v[8:9], v[8:9], v[16:17]
	v_fma_f64 v[16:17], -v[6:7], v[8:9], 1.0
	v_fmac_f64_e32 v[8:9], v[8:9], v[16:17]
	v_mul_f64 v[16:17], v[14:15], v[8:9]
	v_fma_f64 v[6:7], -v[6:7], v[16:17], v[14:15]
	v_div_fmas_f64 v[6:7], v[6:7], v[8:9], v[16:17]
	v_div_fixup_f64 v[8:9], v[6:7], v[2:3], v[4:5]
	v_fmac_f64_e32 v[2:3], v[4:5], v[8:9]
	v_div_scale_f64 v[4:5], s[6:7], v[2:3], v[2:3], 1.0
	v_rcp_f64_e32 v[6:7], v[4:5]
	s_nop 0
	v_fma_f64 v[14:15], -v[4:5], v[6:7], 1.0
	v_fmac_f64_e32 v[6:7], v[6:7], v[14:15]
	v_fma_f64 v[14:15], -v[4:5], v[6:7], 1.0
	v_fmac_f64_e32 v[6:7], v[6:7], v[14:15]
	v_div_scale_f64 v[14:15], vcc, 1.0, v[2:3], 1.0
	v_mul_f64 v[16:17], v[14:15], v[6:7]
	v_fma_f64 v[4:5], -v[4:5], v[16:17], v[14:15]
	s_nop 1
	v_div_fmas_f64 v[4:5], v[4:5], v[6:7], v[16:17]
	v_div_fixup_f64 v[2:3], v[4:5], v[2:3], 1.0
	v_fma_f64 v[4:5], v[8:9], v[12:13], v[10:11]
	v_mul_f64 v[6:7], v[4:5], v[2:3]
	v_fma_f64 v[4:5], -v[8:9], v[10:11], v[12:13]
	v_mul_f64 v[8:9], v[4:5], v[2:3]
.LBB208_65:                             ;   in Loop: Header=BB208_47 Depth=1
	s_add_i32 s12, s11, -4
	s_sub_i32 s10, s10, 64
	s_cmp_lt_i32 s11, 7
	ds_write_b128 v27, v[6:9]
	s_cbranch_scc1 .LBB208_67
; %bb.66:                               ;   in Loop: Header=BB208_47 Depth=1
	s_mov_b32 s11, s12
	s_branch .LBB208_47
.LBB208_67:
	s_cmp_lt_i32 s12, 0
	s_cbranch_scc1 .LBB208_76
; %bb.68:
	s_lshl_b32 s6, s25, 7
	s_lshl_b32 s7, s12, 4
	s_add_i32 s7, s6, s7
	v_lshl_or_b32 v2, v0, 4, s6
	s_add_i32 s10, s7, 0xffffff80
	v_add_u32_e32 v14, 0x380, v2
	s_branch .LBB208_70
.LBB208_69:                             ;   in Loop: Header=BB208_70 Depth=1
	v_sub_co_u32_e64 v2, s[6:7], s12, 1
	s_nop 0
	v_readfirstlane_b32 s12, v2
	s_add_i32 s10, s10, -16
	s_and_b64 vcc, exec, s[6:7]
	ds_write_b128 v15, v[10:13]
	s_cbranch_vccnz .LBB208_76
.LBB208_70:                             ; =>This Loop Header: Depth=1
                                        ;     Child Loop BB208_71 Depth 2
	s_lshl_b32 s6, s12, 7
	v_add_u32_e32 v15, s6, v1
	ds_read_b128 v[2:5], v15
	s_cmp_le_i32 s9, s12
	v_mov_b32_e32 v6, v14
	s_mov_b32 s7, s10
	s_mov_b32 s11, s9
	s_cbranch_scc1 .LBB208_72
.LBB208_71:                             ;   Parent Loop BB208_70 Depth=1
                                        ; =>  This Inner Loop Header: Depth=2
	v_mov_b32_e32 v7, s7
	ds_read_b128 v[8:11], v6
	ds_read_b128 v[16:19], v7
	s_add_i32 s11, s11, -1
	s_addk_i32 s7, 0xff80
	v_add_u32_e32 v6, 0xffffff80, v6
	s_cmp_le_u32 s11, s12
	s_waitcnt lgkmcnt(0)
	v_mul_f64 v[12:13], v[18:19], v[10:11]
	v_mul_f64 v[10:11], v[16:17], v[10:11]
	v_fma_f64 v[12:13], v[16:17], v[8:9], -v[12:13]
	v_fmac_f64_e32 v[10:11], v[18:19], v[8:9]
	v_add_f64 v[2:3], v[2:3], -v[12:13]
	v_add_f64 v[4:5], v[4:5], -v[10:11]
	s_cbranch_scc0 .LBB208_71
.LBB208_72:                             ;   in Loop: Header=BB208_70 Depth=1
	s_lshl_b32 s7, s12, 4
	s_add_i32 s6, s7, s6
	v_mov_b32_e32 v6, s6
	ds_read_b128 v[6:9], v6
	s_mov_b64 s[6:7], -1
                                        ; implicit-def: $vgpr10_vgpr11
	s_waitcnt lgkmcnt(0)
	v_cmp_ngt_f64_e64 s[14:15], |v[6:7]|, |v[8:9]|
	s_and_b64 vcc, exec, s[14:15]
	s_cbranch_vccz .LBB208_74
; %bb.73:                               ;   in Loop: Header=BB208_70 Depth=1
	v_div_scale_f64 v[10:11], s[6:7], v[8:9], v[8:9], v[6:7]
	v_rcp_f64_e32 v[12:13], v[10:11]
	v_div_scale_f64 v[16:17], vcc, v[6:7], v[8:9], v[6:7]
	v_fma_f64 v[18:19], -v[10:11], v[12:13], 1.0
	v_fmac_f64_e32 v[12:13], v[12:13], v[18:19]
	v_fma_f64 v[18:19], -v[10:11], v[12:13], 1.0
	v_fmac_f64_e32 v[12:13], v[12:13], v[18:19]
	v_mul_f64 v[18:19], v[16:17], v[12:13]
	v_fma_f64 v[10:11], -v[10:11], v[18:19], v[16:17]
	v_div_fmas_f64 v[10:11], v[10:11], v[12:13], v[18:19]
	v_div_fixup_f64 v[12:13], v[10:11], v[8:9], v[6:7]
	v_fma_f64 v[10:11], v[6:7], v[12:13], v[8:9]
	v_div_scale_f64 v[16:17], s[6:7], v[10:11], v[10:11], 1.0
	v_rcp_f64_e32 v[18:19], v[16:17]
	s_mov_b64 s[6:7], 0
	v_fma_f64 v[20:21], -v[16:17], v[18:19], 1.0
	v_fmac_f64_e32 v[18:19], v[18:19], v[20:21]
	v_fma_f64 v[20:21], -v[16:17], v[18:19], 1.0
	v_fmac_f64_e32 v[18:19], v[18:19], v[20:21]
	v_div_scale_f64 v[20:21], vcc, 1.0, v[10:11], 1.0
	v_mul_f64 v[22:23], v[20:21], v[18:19]
	v_fma_f64 v[16:17], -v[16:17], v[22:23], v[20:21]
	s_nop 1
	v_div_fmas_f64 v[16:17], v[16:17], v[18:19], v[22:23]
	v_div_fixup_f64 v[16:17], v[16:17], v[10:11], 1.0
	v_fma_f64 v[10:11], v[2:3], v[12:13], v[4:5]
	v_fma_f64 v[12:13], v[4:5], v[12:13], -v[2:3]
	v_mul_f64 v[10:11], v[10:11], v[16:17]
	v_mul_f64 v[12:13], v[12:13], v[16:17]
.LBB208_74:                             ;   in Loop: Header=BB208_70 Depth=1
	s_andn2_b64 vcc, exec, s[6:7]
	s_cbranch_vccnz .LBB208_69
; %bb.75:                               ;   in Loop: Header=BB208_70 Depth=1
	v_div_scale_f64 v[10:11], s[6:7], v[6:7], v[6:7], v[8:9]
	v_rcp_f64_e32 v[12:13], v[10:11]
	v_div_scale_f64 v[16:17], vcc, v[8:9], v[6:7], v[8:9]
	v_fma_f64 v[18:19], -v[10:11], v[12:13], 1.0
	v_fmac_f64_e32 v[12:13], v[12:13], v[18:19]
	v_fma_f64 v[18:19], -v[10:11], v[12:13], 1.0
	v_fmac_f64_e32 v[12:13], v[12:13], v[18:19]
	v_mul_f64 v[18:19], v[16:17], v[12:13]
	v_fma_f64 v[10:11], -v[10:11], v[18:19], v[16:17]
	v_div_fmas_f64 v[10:11], v[10:11], v[12:13], v[18:19]
	v_div_fixup_f64 v[12:13], v[10:11], v[6:7], v[8:9]
	v_fmac_f64_e32 v[6:7], v[8:9], v[12:13]
	v_div_scale_f64 v[8:9], s[6:7], v[6:7], v[6:7], 1.0
	v_rcp_f64_e32 v[10:11], v[8:9]
	s_nop 0
	v_fma_f64 v[16:17], -v[8:9], v[10:11], 1.0
	v_fmac_f64_e32 v[10:11], v[10:11], v[16:17]
	v_fma_f64 v[16:17], -v[8:9], v[10:11], 1.0
	v_fmac_f64_e32 v[10:11], v[10:11], v[16:17]
	v_div_scale_f64 v[16:17], vcc, 1.0, v[6:7], 1.0
	v_mul_f64 v[18:19], v[16:17], v[10:11]
	v_fma_f64 v[8:9], -v[8:9], v[18:19], v[16:17]
	s_nop 1
	v_div_fmas_f64 v[8:9], v[8:9], v[10:11], v[18:19]
	v_div_fixup_f64 v[6:7], v[8:9], v[6:7], 1.0
	v_fma_f64 v[8:9], v[4:5], v[12:13], v[2:3]
	v_fma_f64 v[2:3], -v[2:3], v[12:13], v[4:5]
	v_mul_f64 v[10:11], v[8:9], v[6:7]
	v_mul_f64 v[12:13], v[2:3], v[6:7]
	s_branch .LBB208_69
.LBB208_76:
	s_mov_b64 s[10:11], 0
.LBB208_77:
	s_andn2_b64 vcc, exec, s[10:11]
	s_cbranch_vccnz .LBB208_109
; %bb.78:
	s_andn2_b64 vcc, exec, s[4:5]
	s_mov_b32 s10, s9
	s_cbranch_vccnz .LBB208_100
; %bb.79:
	v_lshlrev_b32_e32 v2, 4, v0
	v_lshl_or_b32 v2, s25, 7, v2
	s_mul_i32 s4, s25, 0x90
	v_add_u32_e32 v26, 0x380, v2
	s_add_i32 s6, s4, 0xfffffdf0
	s_mov_b32 s7, s9
.LBB208_80:                             ; =>This Loop Header: Depth=1
                                        ;     Child Loop BB208_81 Depth 2
	s_add_i32 s11, s7, -2
	v_lshl_add_u32 v30, s7, 7, v1
	s_add_i32 s13, s7, -1
	v_lshl_add_u32 v28, s11, 7, v1
	;; [unrolled: 2-line block ×3, first 2 shown]
	ds_read_b128 v[18:21], v30
	ds_read_b128 v[14:17], v29
	v_lshl_add_u32 v27, s10, 7, v1
	ds_read_b128 v[6:9], v28
	ds_read_b128 v[2:5], v27
	s_cmp_le_i32 s9, s7
	s_mov_b32 s4, s6
	v_mov_b32_e32 v10, v26
	s_mov_b32 s5, s9
	s_cbranch_scc1 .LBB208_82
.LBB208_81:                             ;   Parent Loop BB208_80 Depth=1
                                        ; =>  This Inner Loop Header: Depth=2
	v_mov_b32_e32 v11, s4
	ds_read_b128 v[22:25], v10
	ds_read_b128 v[32:35], v11 offset:384
	ds_read_b128 v[36:39], v11 offset:256
	;; [unrolled: 1-line block ×3, first 2 shown]
	ds_read_b128 v[44:47], v11
	s_add_i32 s5, s5, -1
	s_add_i32 s4, s4, -16
	v_add_u32_e32 v10, 0xffffff80, v10
	s_waitcnt lgkmcnt(3)
	v_mul_f64 v[12:13], v[24:25], v[34:35]
	v_mul_f64 v[34:35], v[22:23], v[34:35]
	s_waitcnt lgkmcnt(2)
	v_mul_f64 v[48:49], v[24:25], v[38:39]
	v_mul_f64 v[38:39], v[22:23], v[38:39]
	;; [unrolled: 3-line block ×4, first 2 shown]
	v_fma_f64 v[12:13], v[22:23], v[32:33], -v[12:13]
	v_fmac_f64_e32 v[34:35], v[24:25], v[32:33]
	v_fma_f64 v[32:33], v[22:23], v[36:37], -v[48:49]
	v_fmac_f64_e32 v[38:39], v[24:25], v[36:37]
	;; [unrolled: 2-line block ×4, first 2 shown]
	s_cmp_le_i32 s5, s7
	v_add_f64 v[18:19], v[18:19], -v[12:13]
	v_add_f64 v[20:21], v[20:21], -v[34:35]
	;; [unrolled: 1-line block ×8, first 2 shown]
	s_cbranch_scc0 .LBB208_81
.LBB208_82:                             ;   in Loop: Header=BB208_80 Depth=1
	s_mul_i32 s4, s7, 0x90
	v_mov_b32_e32 v10, s4
	ds_read_b128 v[22:25], v10
	s_lshl_b32 s14, s13, 3
	s_lshl_b32 s15, s11, 3
	;; [unrolled: 1-line block ×3, first 2 shown]
	s_mov_b64 s[4:5], -1
	s_waitcnt lgkmcnt(0)
	v_cmp_ngt_f64_e64 s[16:17], |v[22:23]|, |v[24:25]|
	s_and_b64 vcc, exec, s[16:17]
                                        ; implicit-def: $vgpr12_vgpr13
	s_cbranch_vccz .LBB208_84
; %bb.83:                               ;   in Loop: Header=BB208_80 Depth=1
	v_div_scale_f64 v[10:11], s[4:5], v[24:25], v[24:25], v[22:23]
	v_rcp_f64_e32 v[12:13], v[10:11]
	v_div_scale_f64 v[32:33], vcc, v[22:23], v[24:25], v[22:23]
	v_fma_f64 v[34:35], -v[10:11], v[12:13], 1.0
	v_fmac_f64_e32 v[12:13], v[12:13], v[34:35]
	v_fma_f64 v[34:35], -v[10:11], v[12:13], 1.0
	v_fmac_f64_e32 v[12:13], v[12:13], v[34:35]
	v_mul_f64 v[34:35], v[32:33], v[12:13]
	v_fma_f64 v[10:11], -v[10:11], v[34:35], v[32:33]
	v_div_fmas_f64 v[10:11], v[10:11], v[12:13], v[34:35]
	v_div_fixup_f64 v[12:13], v[10:11], v[24:25], v[22:23]
	v_fma_f64 v[10:11], v[22:23], v[12:13], v[24:25]
	v_div_scale_f64 v[32:33], s[4:5], v[10:11], v[10:11], 1.0
	v_rcp_f64_e32 v[34:35], v[32:33]
	s_mov_b64 s[4:5], 0
	v_fma_f64 v[36:37], -v[32:33], v[34:35], 1.0
	v_fmac_f64_e32 v[34:35], v[34:35], v[36:37]
	v_fma_f64 v[36:37], -v[32:33], v[34:35], 1.0
	v_fmac_f64_e32 v[34:35], v[34:35], v[36:37]
	v_div_scale_f64 v[36:37], vcc, 1.0, v[10:11], 1.0
	v_mul_f64 v[38:39], v[36:37], v[34:35]
	v_fma_f64 v[32:33], -v[32:33], v[38:39], v[36:37]
	s_nop 1
	v_div_fmas_f64 v[32:33], v[32:33], v[34:35], v[38:39]
	v_div_fixup_f64 v[32:33], v[32:33], v[10:11], 1.0
	v_fma_f64 v[10:11], v[18:19], v[12:13], v[20:21]
	v_fma_f64 v[12:13], v[20:21], v[12:13], -v[18:19]
	v_mul_f64 v[10:11], v[10:11], v[32:33]
	v_mul_f64 v[12:13], v[12:13], v[32:33]
.LBB208_84:                             ;   in Loop: Header=BB208_80 Depth=1
	s_andn2_b64 vcc, exec, s[4:5]
	s_cbranch_vccnz .LBB208_86
; %bb.85:                               ;   in Loop: Header=BB208_80 Depth=1
	v_div_scale_f64 v[10:11], s[4:5], v[22:23], v[22:23], v[24:25]
	v_rcp_f64_e32 v[12:13], v[10:11]
	v_div_scale_f64 v[32:33], vcc, v[24:25], v[22:23], v[24:25]
	v_fma_f64 v[34:35], -v[10:11], v[12:13], 1.0
	v_fmac_f64_e32 v[12:13], v[12:13], v[34:35]
	v_fma_f64 v[34:35], -v[10:11], v[12:13], 1.0
	v_fmac_f64_e32 v[12:13], v[12:13], v[34:35]
	v_mul_f64 v[34:35], v[32:33], v[12:13]
	v_fma_f64 v[10:11], -v[10:11], v[34:35], v[32:33]
	v_div_fmas_f64 v[10:11], v[10:11], v[12:13], v[34:35]
	v_div_fixup_f64 v[12:13], v[10:11], v[22:23], v[24:25]
	v_fmac_f64_e32 v[22:23], v[24:25], v[12:13]
	v_div_scale_f64 v[10:11], s[4:5], v[22:23], v[22:23], 1.0
	v_rcp_f64_e32 v[24:25], v[10:11]
	s_nop 0
	v_fma_f64 v[32:33], -v[10:11], v[24:25], 1.0
	v_fmac_f64_e32 v[24:25], v[24:25], v[32:33]
	v_fma_f64 v[32:33], -v[10:11], v[24:25], 1.0
	v_fmac_f64_e32 v[24:25], v[24:25], v[32:33]
	v_div_scale_f64 v[32:33], vcc, 1.0, v[22:23], 1.0
	v_mul_f64 v[34:35], v[32:33], v[24:25]
	v_fma_f64 v[10:11], -v[10:11], v[34:35], v[32:33]
	s_nop 1
	v_div_fmas_f64 v[10:11], v[10:11], v[24:25], v[34:35]
	v_div_fixup_f64 v[22:23], v[10:11], v[22:23], 1.0
	v_fma_f64 v[10:11], v[20:21], v[12:13], v[18:19]
	v_fma_f64 v[12:13], -v[18:19], v[12:13], v[20:21]
	v_mul_f64 v[10:11], v[10:11], v[22:23]
	v_mul_f64 v[12:13], v[12:13], v[22:23]
.LBB208_86:                             ;   in Loop: Header=BB208_80 Depth=1
	s_lshl_b32 s4, s14, 4
	s_lshl_b32 s14, s7, 4
	s_add_i32 s5, s4, s14
	v_mov_b32_e32 v18, s5
	s_lshl_b32 s5, s13, 4
	s_add_i32 s4, s4, s5
	ds_read_b128 v[22:25], v18
	v_mov_b32_e32 v18, s4
	ds_read_b128 v[18:21], v18
	ds_write_b128 v30, v[10:13]
	s_mov_b64 s[4:5], -1
	s_waitcnt lgkmcnt(2)
	v_mul_f64 v[30:31], v[12:13], v[24:25]
	v_mul_f64 v[24:25], v[10:11], v[24:25]
	v_fma_f64 v[30:31], v[10:11], v[22:23], -v[30:31]
	v_fmac_f64_e32 v[24:25], v[12:13], v[22:23]
	s_waitcnt lgkmcnt(1)
	v_cmp_ngt_f64_e64 s[16:17], |v[18:19]|, |v[20:21]|
	v_add_f64 v[22:23], v[14:15], -v[30:31]
	v_add_f64 v[24:25], v[16:17], -v[24:25]
	s_and_b64 vcc, exec, s[16:17]
                                        ; implicit-def: $vgpr16_vgpr17
	s_cbranch_vccz .LBB208_88
; %bb.87:                               ;   in Loop: Header=BB208_80 Depth=1
	v_div_scale_f64 v[14:15], s[4:5], v[20:21], v[20:21], v[18:19]
	v_rcp_f64_e32 v[16:17], v[14:15]
	v_div_scale_f64 v[30:31], vcc, v[18:19], v[20:21], v[18:19]
	v_fma_f64 v[32:33], -v[14:15], v[16:17], 1.0
	v_fmac_f64_e32 v[16:17], v[16:17], v[32:33]
	v_fma_f64 v[32:33], -v[14:15], v[16:17], 1.0
	v_fmac_f64_e32 v[16:17], v[16:17], v[32:33]
	v_mul_f64 v[32:33], v[30:31], v[16:17]
	v_fma_f64 v[14:15], -v[14:15], v[32:33], v[30:31]
	v_div_fmas_f64 v[14:15], v[14:15], v[16:17], v[32:33]
	v_div_fixup_f64 v[16:17], v[14:15], v[20:21], v[18:19]
	v_fma_f64 v[14:15], v[18:19], v[16:17], v[20:21]
	v_div_scale_f64 v[30:31], s[4:5], v[14:15], v[14:15], 1.0
	v_rcp_f64_e32 v[32:33], v[30:31]
	s_mov_b64 s[4:5], 0
	v_fma_f64 v[34:35], -v[30:31], v[32:33], 1.0
	v_fmac_f64_e32 v[32:33], v[32:33], v[34:35]
	v_fma_f64 v[34:35], -v[30:31], v[32:33], 1.0
	v_fmac_f64_e32 v[32:33], v[32:33], v[34:35]
	v_div_scale_f64 v[34:35], vcc, 1.0, v[14:15], 1.0
	v_mul_f64 v[36:37], v[34:35], v[32:33]
	v_fma_f64 v[30:31], -v[30:31], v[36:37], v[34:35]
	s_nop 1
	v_div_fmas_f64 v[30:31], v[30:31], v[32:33], v[36:37]
	v_div_fixup_f64 v[30:31], v[30:31], v[14:15], 1.0
	v_fma_f64 v[14:15], v[16:17], v[22:23], v[24:25]
	v_fma_f64 v[16:17], v[16:17], v[24:25], -v[22:23]
	v_mul_f64 v[14:15], v[14:15], v[30:31]
	v_mul_f64 v[16:17], v[16:17], v[30:31]
.LBB208_88:                             ;   in Loop: Header=BB208_80 Depth=1
	s_andn2_b64 vcc, exec, s[4:5]
	s_cbranch_vccnz .LBB208_90
; %bb.89:                               ;   in Loop: Header=BB208_80 Depth=1
	v_div_scale_f64 v[14:15], s[4:5], v[18:19], v[18:19], v[20:21]
	v_rcp_f64_e32 v[16:17], v[14:15]
	v_div_scale_f64 v[30:31], vcc, v[20:21], v[18:19], v[20:21]
	v_fma_f64 v[32:33], -v[14:15], v[16:17], 1.0
	v_fmac_f64_e32 v[16:17], v[16:17], v[32:33]
	v_fma_f64 v[32:33], -v[14:15], v[16:17], 1.0
	v_fmac_f64_e32 v[16:17], v[16:17], v[32:33]
	v_mul_f64 v[32:33], v[30:31], v[16:17]
	v_fma_f64 v[14:15], -v[14:15], v[32:33], v[30:31]
	v_div_fmas_f64 v[14:15], v[14:15], v[16:17], v[32:33]
	v_div_fixup_f64 v[16:17], v[14:15], v[18:19], v[20:21]
	v_fmac_f64_e32 v[18:19], v[20:21], v[16:17]
	v_div_scale_f64 v[14:15], s[4:5], v[18:19], v[18:19], 1.0
	v_rcp_f64_e32 v[20:21], v[14:15]
	s_nop 0
	v_fma_f64 v[30:31], -v[14:15], v[20:21], 1.0
	v_fmac_f64_e32 v[20:21], v[20:21], v[30:31]
	v_fma_f64 v[30:31], -v[14:15], v[20:21], 1.0
	v_fmac_f64_e32 v[20:21], v[20:21], v[30:31]
	v_div_scale_f64 v[30:31], vcc, 1.0, v[18:19], 1.0
	v_mul_f64 v[32:33], v[30:31], v[20:21]
	v_fma_f64 v[14:15], -v[14:15], v[32:33], v[30:31]
	s_nop 1
	v_div_fmas_f64 v[14:15], v[14:15], v[20:21], v[32:33]
	v_div_fixup_f64 v[18:19], v[14:15], v[18:19], 1.0
	v_fma_f64 v[14:15], v[16:17], v[24:25], v[22:23]
	v_fma_f64 v[16:17], -v[16:17], v[22:23], v[24:25]
	v_mul_f64 v[14:15], v[14:15], v[18:19]
	v_mul_f64 v[16:17], v[16:17], v[18:19]
.LBB208_90:                             ;   in Loop: Header=BB208_80 Depth=1
	s_lshl_b32 s4, s15, 4
	s_add_i32 s5, s4, s14
	v_mov_b32_e32 v18, s5
	ds_read_b128 v[18:21], v18
	s_add_i32 s5, s5, -16
	v_mov_b32_e32 v22, s5
	ds_read_b128 v[22:25], v22
	s_lshl_b32 s5, s11, 4
	s_waitcnt lgkmcnt(1)
	v_mul_f64 v[30:31], v[12:13], v[20:21]
	v_fma_f64 v[30:31], v[10:11], v[18:19], -v[30:31]
	v_mul_f64 v[20:21], v[10:11], v[20:21]
	v_fmac_f64_e32 v[20:21], v[12:13], v[18:19]
	v_add_f64 v[18:19], v[6:7], -v[30:31]
	s_waitcnt lgkmcnt(0)
	v_mul_f64 v[6:7], v[16:17], v[24:25]
	s_add_i32 s4, s4, s5
	v_fma_f64 v[30:31], v[14:15], v[22:23], -v[6:7]
	v_mov_b32_e32 v6, s4
	v_add_f64 v[20:21], v[8:9], -v[20:21]
	ds_read_b128 v[6:9], v6
	v_mul_f64 v[24:25], v[14:15], v[24:25]
	v_fmac_f64_e32 v[24:25], v[16:17], v[22:23]
	v_add_f64 v[22:23], v[18:19], -v[30:31]
	v_add_f64 v[24:25], v[20:21], -v[24:25]
	s_waitcnt lgkmcnt(0)
	v_cmp_ngt_f64_e64 s[16:17], |v[6:7]|, |v[8:9]|
	s_mov_b64 s[4:5], -1
	s_and_b64 vcc, exec, s[16:17]
	ds_write_b128 v29, v[14:17]
                                        ; implicit-def: $vgpr20_vgpr21
	s_cbranch_vccz .LBB208_92
; %bb.91:                               ;   in Loop: Header=BB208_80 Depth=1
	v_div_scale_f64 v[18:19], s[4:5], v[8:9], v[8:9], v[6:7]
	v_rcp_f64_e32 v[20:21], v[18:19]
	v_div_scale_f64 v[30:31], vcc, v[6:7], v[8:9], v[6:7]
	v_fma_f64 v[32:33], -v[18:19], v[20:21], 1.0
	v_fmac_f64_e32 v[20:21], v[20:21], v[32:33]
	v_fma_f64 v[32:33], -v[18:19], v[20:21], 1.0
	v_fmac_f64_e32 v[20:21], v[20:21], v[32:33]
	v_mul_f64 v[32:33], v[30:31], v[20:21]
	v_fma_f64 v[18:19], -v[18:19], v[32:33], v[30:31]
	v_div_fmas_f64 v[18:19], v[18:19], v[20:21], v[32:33]
	v_div_fixup_f64 v[20:21], v[18:19], v[8:9], v[6:7]
	v_fma_f64 v[18:19], v[6:7], v[20:21], v[8:9]
	v_div_scale_f64 v[30:31], s[4:5], v[18:19], v[18:19], 1.0
	v_rcp_f64_e32 v[32:33], v[30:31]
	s_mov_b64 s[4:5], 0
	v_fma_f64 v[34:35], -v[30:31], v[32:33], 1.0
	v_fmac_f64_e32 v[32:33], v[32:33], v[34:35]
	v_fma_f64 v[34:35], -v[30:31], v[32:33], 1.0
	v_fmac_f64_e32 v[32:33], v[32:33], v[34:35]
	v_div_scale_f64 v[34:35], vcc, 1.0, v[18:19], 1.0
	v_mul_f64 v[36:37], v[34:35], v[32:33]
	v_fma_f64 v[30:31], -v[30:31], v[36:37], v[34:35]
	s_nop 1
	v_div_fmas_f64 v[30:31], v[30:31], v[32:33], v[36:37]
	v_div_fixup_f64 v[30:31], v[30:31], v[18:19], 1.0
	v_fma_f64 v[18:19], v[20:21], v[22:23], v[24:25]
	v_fma_f64 v[20:21], v[20:21], v[24:25], -v[22:23]
	v_mul_f64 v[18:19], v[18:19], v[30:31]
	v_mul_f64 v[20:21], v[20:21], v[30:31]
.LBB208_92:                             ;   in Loop: Header=BB208_80 Depth=1
	s_andn2_b64 vcc, exec, s[4:5]
	s_cbranch_vccnz .LBB208_94
; %bb.93:                               ;   in Loop: Header=BB208_80 Depth=1
	v_div_scale_f64 v[18:19], s[4:5], v[6:7], v[6:7], v[8:9]
	v_rcp_f64_e32 v[20:21], v[18:19]
	v_div_scale_f64 v[30:31], vcc, v[8:9], v[6:7], v[8:9]
	v_fma_f64 v[32:33], -v[18:19], v[20:21], 1.0
	v_fmac_f64_e32 v[20:21], v[20:21], v[32:33]
	v_fma_f64 v[32:33], -v[18:19], v[20:21], 1.0
	v_fmac_f64_e32 v[20:21], v[20:21], v[32:33]
	v_mul_f64 v[32:33], v[30:31], v[20:21]
	v_fma_f64 v[18:19], -v[18:19], v[32:33], v[30:31]
	v_div_fmas_f64 v[18:19], v[18:19], v[20:21], v[32:33]
	v_div_fixup_f64 v[20:21], v[18:19], v[6:7], v[8:9]
	v_fmac_f64_e32 v[6:7], v[8:9], v[20:21]
	v_div_scale_f64 v[8:9], s[4:5], v[6:7], v[6:7], 1.0
	v_rcp_f64_e32 v[18:19], v[8:9]
	s_nop 0
	v_fma_f64 v[30:31], -v[8:9], v[18:19], 1.0
	v_fmac_f64_e32 v[18:19], v[18:19], v[30:31]
	v_fma_f64 v[30:31], -v[8:9], v[18:19], 1.0
	v_fmac_f64_e32 v[18:19], v[18:19], v[30:31]
	v_div_scale_f64 v[30:31], vcc, 1.0, v[6:7], 1.0
	v_mul_f64 v[32:33], v[30:31], v[18:19]
	v_fma_f64 v[8:9], -v[8:9], v[32:33], v[30:31]
	s_nop 1
	v_div_fmas_f64 v[8:9], v[8:9], v[18:19], v[32:33]
	v_div_fixup_f64 v[6:7], v[8:9], v[6:7], 1.0
	v_fma_f64 v[8:9], v[20:21], v[24:25], v[22:23]
	v_mul_f64 v[18:19], v[8:9], v[6:7]
	v_fma_f64 v[8:9], -v[20:21], v[22:23], v[24:25]
	v_mul_f64 v[20:21], v[8:9], v[6:7]
.LBB208_94:                             ;   in Loop: Header=BB208_80 Depth=1
	s_lshl_b32 s4, s12, 4
	s_add_i32 s5, s4, s14
	v_mov_b32_e32 v6, s5
	s_add_i32 s11, s5, -16
	ds_read_b128 v[6:9], v6
	v_mov_b32_e32 v22, s11
	ds_read_b128 v[22:25], v22
	ds_write_b128 v28, v[18:21]
	s_sub_i32 s5, s5, 32
	s_waitcnt lgkmcnt(2)
	v_mul_f64 v[28:29], v[12:13], v[8:9]
	v_mul_f64 v[8:9], v[10:11], v[8:9]
	v_fma_f64 v[28:29], v[10:11], v[6:7], -v[28:29]
	v_fmac_f64_e32 v[8:9], v[12:13], v[6:7]
	s_waitcnt lgkmcnt(1)
	v_mul_f64 v[6:7], v[16:17], v[24:25]
	v_add_f64 v[2:3], v[2:3], -v[28:29]
	v_fma_f64 v[6:7], v[14:15], v[22:23], -v[6:7]
	v_add_f64 v[4:5], v[4:5], -v[8:9]
	v_mul_f64 v[8:9], v[14:15], v[24:25]
	v_add_f64 v[10:11], v[2:3], -v[6:7]
	v_mov_b32_e32 v2, s5
	s_lshl_b32 s5, s10, 4
	v_fmac_f64_e32 v[8:9], v[16:17], v[22:23]
	s_add_i32 s4, s4, s5
	v_add_f64 v[12:13], v[4:5], -v[8:9]
	ds_read_b128 v[6:9], v2
	v_mov_b32_e32 v2, s4
	ds_read_b128 v[2:5], v2
	s_mov_b64 s[4:5], -1
	s_waitcnt lgkmcnt(1)
	v_mul_f64 v[14:15], v[20:21], v[8:9]
	v_mul_f64 v[8:9], v[18:19], v[8:9]
	v_fma_f64 v[14:15], v[18:19], v[6:7], -v[14:15]
	v_fmac_f64_e32 v[8:9], v[20:21], v[6:7]
	s_waitcnt lgkmcnt(0)
	v_cmp_ngt_f64_e64 s[10:11], |v[2:3]|, |v[4:5]|
	v_add_f64 v[10:11], v[10:11], -v[14:15]
	v_add_f64 v[12:13], v[12:13], -v[8:9]
	s_and_b64 vcc, exec, s[10:11]
                                        ; implicit-def: $vgpr8_vgpr9
	s_cbranch_vccz .LBB208_96
; %bb.95:                               ;   in Loop: Header=BB208_80 Depth=1
	v_div_scale_f64 v[6:7], s[4:5], v[4:5], v[4:5], v[2:3]
	v_rcp_f64_e32 v[8:9], v[6:7]
	v_div_scale_f64 v[14:15], vcc, v[2:3], v[4:5], v[2:3]
	v_fma_f64 v[16:17], -v[6:7], v[8:9], 1.0
	v_fmac_f64_e32 v[8:9], v[8:9], v[16:17]
	v_fma_f64 v[16:17], -v[6:7], v[8:9], 1.0
	v_fmac_f64_e32 v[8:9], v[8:9], v[16:17]
	v_mul_f64 v[16:17], v[14:15], v[8:9]
	v_fma_f64 v[6:7], -v[6:7], v[16:17], v[14:15]
	v_div_fmas_f64 v[6:7], v[6:7], v[8:9], v[16:17]
	v_div_fixup_f64 v[8:9], v[6:7], v[4:5], v[2:3]
	v_fma_f64 v[6:7], v[2:3], v[8:9], v[4:5]
	v_div_scale_f64 v[14:15], s[4:5], v[6:7], v[6:7], 1.0
	v_rcp_f64_e32 v[16:17], v[14:15]
	s_mov_b64 s[4:5], 0
	v_fma_f64 v[18:19], -v[14:15], v[16:17], 1.0
	v_fmac_f64_e32 v[16:17], v[16:17], v[18:19]
	v_fma_f64 v[18:19], -v[14:15], v[16:17], 1.0
	v_fmac_f64_e32 v[16:17], v[16:17], v[18:19]
	v_div_scale_f64 v[18:19], vcc, 1.0, v[6:7], 1.0
	v_mul_f64 v[20:21], v[18:19], v[16:17]
	v_fma_f64 v[14:15], -v[14:15], v[20:21], v[18:19]
	s_nop 1
	v_div_fmas_f64 v[14:15], v[14:15], v[16:17], v[20:21]
	v_div_fixup_f64 v[14:15], v[14:15], v[6:7], 1.0
	v_fma_f64 v[6:7], v[8:9], v[10:11], v[12:13]
	v_fma_f64 v[8:9], v[8:9], v[12:13], -v[10:11]
	v_mul_f64 v[6:7], v[6:7], v[14:15]
	v_mul_f64 v[8:9], v[8:9], v[14:15]
.LBB208_96:                             ;   in Loop: Header=BB208_80 Depth=1
	s_andn2_b64 vcc, exec, s[4:5]
	s_cbranch_vccnz .LBB208_98
; %bb.97:                               ;   in Loop: Header=BB208_80 Depth=1
	v_div_scale_f64 v[6:7], s[4:5], v[2:3], v[2:3], v[4:5]
	v_rcp_f64_e32 v[8:9], v[6:7]
	v_div_scale_f64 v[14:15], vcc, v[4:5], v[2:3], v[4:5]
	v_fma_f64 v[16:17], -v[6:7], v[8:9], 1.0
	v_fmac_f64_e32 v[8:9], v[8:9], v[16:17]
	v_fma_f64 v[16:17], -v[6:7], v[8:9], 1.0
	v_fmac_f64_e32 v[8:9], v[8:9], v[16:17]
	v_mul_f64 v[16:17], v[14:15], v[8:9]
	v_fma_f64 v[6:7], -v[6:7], v[16:17], v[14:15]
	v_div_fmas_f64 v[6:7], v[6:7], v[8:9], v[16:17]
	v_div_fixup_f64 v[8:9], v[6:7], v[2:3], v[4:5]
	v_fmac_f64_e32 v[2:3], v[4:5], v[8:9]
	v_div_scale_f64 v[4:5], s[4:5], v[2:3], v[2:3], 1.0
	v_rcp_f64_e32 v[6:7], v[4:5]
	s_nop 0
	v_fma_f64 v[14:15], -v[4:5], v[6:7], 1.0
	v_fmac_f64_e32 v[6:7], v[6:7], v[14:15]
	v_fma_f64 v[14:15], -v[4:5], v[6:7], 1.0
	v_fmac_f64_e32 v[6:7], v[6:7], v[14:15]
	v_div_scale_f64 v[14:15], vcc, 1.0, v[2:3], 1.0
	v_mul_f64 v[16:17], v[14:15], v[6:7]
	v_fma_f64 v[4:5], -v[4:5], v[16:17], v[14:15]
	s_nop 1
	v_div_fmas_f64 v[4:5], v[4:5], v[6:7], v[16:17]
	v_div_fixup_f64 v[2:3], v[4:5], v[2:3], 1.0
	v_fma_f64 v[4:5], v[8:9], v[12:13], v[10:11]
	v_mul_f64 v[6:7], v[4:5], v[2:3]
	v_fma_f64 v[4:5], -v[8:9], v[10:11], v[12:13]
	v_mul_f64 v[8:9], v[4:5], v[2:3]
.LBB208_98:                             ;   in Loop: Header=BB208_80 Depth=1
	s_add_i32 s10, s7, -4
	s_addk_i32 s6, 0xfe00
	s_cmp_lt_i32 s7, 7
	ds_write_b128 v27, v[6:9]
	s_cbranch_scc1 .LBB208_100
; %bb.99:                               ;   in Loop: Header=BB208_80 Depth=1
	s_mov_b32 s7, s10
	s_branch .LBB208_80
.LBB208_100:
	s_cmp_lt_i32 s10, 0
	s_cbranch_scc1 .LBB208_109
; %bb.101:
	v_lshlrev_b32_e32 v2, 4, v0
	s_lshl_b32 s4, s10, 7
	s_lshl_b32 s5, s25, 4
	v_lshl_or_b32 v2, s25, 7, v2
	s_add_i32 s4, s4, s5
	v_add_u32_e32 v14, 0x380, v2
	s_add_i32 s6, s4, -16
	s_branch .LBB208_103
.LBB208_102:                            ;   in Loop: Header=BB208_103 Depth=1
	v_sub_co_u32_e64 v2, s[4:5], s10, 1
	s_nop 0
	v_readfirstlane_b32 s10, v2
	s_addk_i32 s6, 0xff80
	s_and_b64 vcc, exec, s[4:5]
	ds_write_b128 v15, v[10:13]
	s_cbranch_vccnz .LBB208_109
.LBB208_103:                            ; =>This Loop Header: Depth=1
                                        ;     Child Loop BB208_104 Depth 2
	v_lshl_add_u32 v15, s10, 7, v1
	ds_read_b128 v[2:5], v15
	s_cmp_le_i32 s9, s10
	s_mov_b32 s4, s6
	v_mov_b32_e32 v6, v14
	s_mov_b32 s5, s9
	s_cbranch_scc1 .LBB208_105
.LBB208_104:                            ;   Parent Loop BB208_103 Depth=1
                                        ; =>  This Inner Loop Header: Depth=2
	v_mov_b32_e32 v7, s4
	ds_read_b128 v[8:11], v6
	ds_read_b128 v[16:19], v7
	s_add_i32 s5, s5, -1
	s_add_i32 s4, s4, -16
	v_add_u32_e32 v6, 0xffffff80, v6
	s_cmp_le_u32 s5, s10
	s_waitcnt lgkmcnt(0)
	v_mul_f64 v[12:13], v[18:19], v[10:11]
	v_mul_f64 v[10:11], v[16:17], v[10:11]
	v_fma_f64 v[12:13], v[16:17], v[8:9], -v[12:13]
	v_fmac_f64_e32 v[10:11], v[18:19], v[8:9]
	v_add_f64 v[2:3], v[2:3], -v[12:13]
	v_add_f64 v[4:5], v[4:5], -v[10:11]
	s_cbranch_scc0 .LBB208_104
.LBB208_105:                            ;   in Loop: Header=BB208_103 Depth=1
	s_mul_i32 s4, s10, 0x90
	v_mov_b32_e32 v6, s4
	ds_read_b128 v[6:9], v6
	s_mov_b64 s[4:5], -1
                                        ; implicit-def: $vgpr10_vgpr11
	s_waitcnt lgkmcnt(0)
	v_cmp_ngt_f64_e64 s[12:13], |v[6:7]|, |v[8:9]|
	s_and_b64 vcc, exec, s[12:13]
	s_cbranch_vccz .LBB208_107
; %bb.106:                              ;   in Loop: Header=BB208_103 Depth=1
	v_div_scale_f64 v[10:11], s[4:5], v[8:9], v[8:9], v[6:7]
	v_rcp_f64_e32 v[12:13], v[10:11]
	v_div_scale_f64 v[16:17], vcc, v[6:7], v[8:9], v[6:7]
	v_fma_f64 v[18:19], -v[10:11], v[12:13], 1.0
	v_fmac_f64_e32 v[12:13], v[12:13], v[18:19]
	v_fma_f64 v[18:19], -v[10:11], v[12:13], 1.0
	v_fmac_f64_e32 v[12:13], v[12:13], v[18:19]
	v_mul_f64 v[18:19], v[16:17], v[12:13]
	v_fma_f64 v[10:11], -v[10:11], v[18:19], v[16:17]
	v_div_fmas_f64 v[10:11], v[10:11], v[12:13], v[18:19]
	v_div_fixup_f64 v[12:13], v[10:11], v[8:9], v[6:7]
	v_fma_f64 v[10:11], v[6:7], v[12:13], v[8:9]
	v_div_scale_f64 v[16:17], s[4:5], v[10:11], v[10:11], 1.0
	v_rcp_f64_e32 v[18:19], v[16:17]
	s_mov_b64 s[4:5], 0
	v_fma_f64 v[20:21], -v[16:17], v[18:19], 1.0
	v_fmac_f64_e32 v[18:19], v[18:19], v[20:21]
	v_fma_f64 v[20:21], -v[16:17], v[18:19], 1.0
	v_fmac_f64_e32 v[18:19], v[18:19], v[20:21]
	v_div_scale_f64 v[20:21], vcc, 1.0, v[10:11], 1.0
	v_mul_f64 v[22:23], v[20:21], v[18:19]
	v_fma_f64 v[16:17], -v[16:17], v[22:23], v[20:21]
	s_nop 1
	v_div_fmas_f64 v[16:17], v[16:17], v[18:19], v[22:23]
	v_div_fixup_f64 v[16:17], v[16:17], v[10:11], 1.0
	v_fma_f64 v[10:11], v[2:3], v[12:13], v[4:5]
	v_fma_f64 v[12:13], v[4:5], v[12:13], -v[2:3]
	v_mul_f64 v[10:11], v[10:11], v[16:17]
	v_mul_f64 v[12:13], v[12:13], v[16:17]
.LBB208_107:                            ;   in Loop: Header=BB208_103 Depth=1
	s_andn2_b64 vcc, exec, s[4:5]
	s_cbranch_vccnz .LBB208_102
; %bb.108:                              ;   in Loop: Header=BB208_103 Depth=1
	v_div_scale_f64 v[10:11], s[4:5], v[6:7], v[6:7], v[8:9]
	v_rcp_f64_e32 v[12:13], v[10:11]
	v_div_scale_f64 v[16:17], vcc, v[8:9], v[6:7], v[8:9]
	v_fma_f64 v[18:19], -v[10:11], v[12:13], 1.0
	v_fmac_f64_e32 v[12:13], v[12:13], v[18:19]
	v_fma_f64 v[18:19], -v[10:11], v[12:13], 1.0
	v_fmac_f64_e32 v[12:13], v[12:13], v[18:19]
	v_mul_f64 v[18:19], v[16:17], v[12:13]
	v_fma_f64 v[10:11], -v[10:11], v[18:19], v[16:17]
	v_div_fmas_f64 v[10:11], v[10:11], v[12:13], v[18:19]
	v_div_fixup_f64 v[12:13], v[10:11], v[6:7], v[8:9]
	v_fmac_f64_e32 v[6:7], v[8:9], v[12:13]
	v_div_scale_f64 v[8:9], s[4:5], v[6:7], v[6:7], 1.0
	v_rcp_f64_e32 v[10:11], v[8:9]
	s_nop 0
	v_fma_f64 v[16:17], -v[8:9], v[10:11], 1.0
	v_fmac_f64_e32 v[10:11], v[10:11], v[16:17]
	v_fma_f64 v[16:17], -v[8:9], v[10:11], 1.0
	v_fmac_f64_e32 v[10:11], v[10:11], v[16:17]
	v_div_scale_f64 v[16:17], vcc, 1.0, v[6:7], 1.0
	v_mul_f64 v[18:19], v[16:17], v[10:11]
	v_fma_f64 v[8:9], -v[8:9], v[18:19], v[16:17]
	s_nop 1
	v_div_fmas_f64 v[8:9], v[8:9], v[10:11], v[18:19]
	v_div_fixup_f64 v[6:7], v[8:9], v[6:7], 1.0
	v_fma_f64 v[8:9], v[4:5], v[12:13], v[2:3]
	v_fma_f64 v[2:3], -v[2:3], v[12:13], v[4:5]
	v_mul_f64 v[10:11], v[8:9], v[6:7]
	v_mul_f64 v[12:13], v[2:3], v[6:7]
	s_branch .LBB208_102
.LBB208_109:
	s_mov_b64 s[10:11], 0
.LBB208_110:
	s_andn2_b64 vcc, exec, s[10:11]
	s_cbranch_vccnz .LBB208_142
; %bb.111:
	v_mov_b32_e32 v1, 0x400
	v_lshl_or_b32 v1, v0, 4, v1
	s_cmp_lt_i32 s24, 4
	s_mov_b32 s9, 0
	s_cbranch_scc1 .LBB208_133
; %bb.112:
	s_mov_b32 s6, 0
	s_mov_b32 s7, 0
.LBB208_113:                            ; =>This Loop Header: Depth=1
                                        ;     Child Loop BB208_114 Depth 2
	s_or_b32 s10, s7, 2
	s_or_b32 s9, s7, 3
	v_lshl_add_u32 v29, s7, 7, v1
	s_or_b32 s12, s7, 1
	v_lshl_add_u32 v27, s10, 7, v1
	v_lshl_add_u32 v28, s12, 7, v1
	ds_read_b128 v[18:21], v29
	ds_read_b128 v[14:17], v28
	v_lshl_add_u32 v26, s9, 7, v1
	ds_read_b128 v[6:9], v27
	ds_read_b128 v[2:5], v26
	s_cmp_eq_u32 s7, 0
	s_mov_b32 s4, s6
	v_mov_b32_e32 v10, v1
	s_mov_b32 s5, s7
	s_cbranch_scc1 .LBB208_115
.LBB208_114:                            ;   Parent Loop BB208_113 Depth=1
                                        ; =>  This Inner Loop Header: Depth=2
	v_mov_b32_e32 v11, s4
	ds_read_b128 v[22:25], v10
	ds_read_b128 v[30:33], v11
	ds_read_b128 v[34:37], v11 offset:128
	ds_read_b128 v[38:41], v11 offset:256
	;; [unrolled: 1-line block ×3, first 2 shown]
	s_add_i32 s5, s5, -1
	s_add_i32 s4, s4, 16
	v_add_u32_e32 v10, 0x80, v10
	s_waitcnt lgkmcnt(3)
	v_mul_f64 v[12:13], v[24:25], v[32:33]
	v_mul_f64 v[32:33], v[22:23], v[32:33]
	s_waitcnt lgkmcnt(2)
	v_mul_f64 v[46:47], v[24:25], v[36:37]
	v_mul_f64 v[36:37], v[22:23], v[36:37]
	;; [unrolled: 3-line block ×4, first 2 shown]
	v_fma_f64 v[12:13], v[22:23], v[30:31], -v[12:13]
	v_fmac_f64_e32 v[32:33], v[24:25], v[30:31]
	v_fma_f64 v[30:31], v[22:23], v[34:35], -v[46:47]
	v_fmac_f64_e32 v[36:37], v[24:25], v[34:35]
	;; [unrolled: 2-line block ×4, first 2 shown]
	s_cmp_eq_u32 s5, 0
	v_add_f64 v[18:19], v[18:19], -v[12:13]
	v_add_f64 v[20:21], v[20:21], -v[32:33]
	;; [unrolled: 1-line block ×8, first 2 shown]
	s_cbranch_scc0 .LBB208_114
.LBB208_115:                            ;   in Loop: Header=BB208_113 Depth=1
	s_mul_i32 s4, s7, 0x90
	v_mov_b32_e32 v10, s4
	ds_read_b128 v[22:25], v10
	s_lshl_b32 s13, s12, 3
	s_lshl_b32 s14, s10, 3
	;; [unrolled: 1-line block ×3, first 2 shown]
	s_mov_b64 s[4:5], -1
	s_waitcnt lgkmcnt(0)
	v_cmp_ngt_f64_e64 s[16:17], |v[22:23]|, |v[24:25]|
	s_and_b64 vcc, exec, s[16:17]
                                        ; implicit-def: $vgpr12_vgpr13
	s_cbranch_vccz .LBB208_117
; %bb.116:                              ;   in Loop: Header=BB208_113 Depth=1
	v_div_scale_f64 v[10:11], s[4:5], v[24:25], v[24:25], v[22:23]
	v_rcp_f64_e32 v[12:13], v[10:11]
	v_div_scale_f64 v[30:31], vcc, v[22:23], v[24:25], v[22:23]
	v_fma_f64 v[32:33], -v[10:11], v[12:13], 1.0
	v_fmac_f64_e32 v[12:13], v[12:13], v[32:33]
	v_fma_f64 v[32:33], -v[10:11], v[12:13], 1.0
	v_fmac_f64_e32 v[12:13], v[12:13], v[32:33]
	v_mul_f64 v[32:33], v[30:31], v[12:13]
	v_fma_f64 v[10:11], -v[10:11], v[32:33], v[30:31]
	v_div_fmas_f64 v[10:11], v[10:11], v[12:13], v[32:33]
	v_div_fixup_f64 v[12:13], v[10:11], v[24:25], v[22:23]
	v_fma_f64 v[10:11], v[22:23], v[12:13], v[24:25]
	v_div_scale_f64 v[30:31], s[4:5], v[10:11], v[10:11], 1.0
	v_rcp_f64_e32 v[32:33], v[30:31]
	s_mov_b64 s[4:5], 0
	v_fma_f64 v[34:35], -v[30:31], v[32:33], 1.0
	v_fmac_f64_e32 v[32:33], v[32:33], v[34:35]
	v_fma_f64 v[34:35], -v[30:31], v[32:33], 1.0
	v_fmac_f64_e32 v[32:33], v[32:33], v[34:35]
	v_div_scale_f64 v[34:35], vcc, 1.0, v[10:11], 1.0
	v_mul_f64 v[36:37], v[34:35], v[32:33]
	v_fma_f64 v[30:31], -v[30:31], v[36:37], v[34:35]
	s_nop 1
	v_div_fmas_f64 v[30:31], v[30:31], v[32:33], v[36:37]
	v_div_fixup_f64 v[30:31], v[30:31], v[10:11], 1.0
	v_fma_f64 v[10:11], v[18:19], v[12:13], v[20:21]
	v_fma_f64 v[12:13], v[20:21], v[12:13], -v[18:19]
	v_mul_f64 v[10:11], v[10:11], v[30:31]
	v_mul_f64 v[12:13], v[12:13], v[30:31]
.LBB208_117:                            ;   in Loop: Header=BB208_113 Depth=1
	s_andn2_b64 vcc, exec, s[4:5]
	s_cbranch_vccnz .LBB208_119
; %bb.118:                              ;   in Loop: Header=BB208_113 Depth=1
	v_div_scale_f64 v[10:11], s[4:5], v[22:23], v[22:23], v[24:25]
	v_rcp_f64_e32 v[12:13], v[10:11]
	v_div_scale_f64 v[30:31], vcc, v[24:25], v[22:23], v[24:25]
	v_fma_f64 v[32:33], -v[10:11], v[12:13], 1.0
	v_fmac_f64_e32 v[12:13], v[12:13], v[32:33]
	v_fma_f64 v[32:33], -v[10:11], v[12:13], 1.0
	v_fmac_f64_e32 v[12:13], v[12:13], v[32:33]
	v_mul_f64 v[32:33], v[30:31], v[12:13]
	v_fma_f64 v[10:11], -v[10:11], v[32:33], v[30:31]
	v_div_fmas_f64 v[10:11], v[10:11], v[12:13], v[32:33]
	v_div_fixup_f64 v[12:13], v[10:11], v[22:23], v[24:25]
	v_fmac_f64_e32 v[22:23], v[24:25], v[12:13]
	v_div_scale_f64 v[10:11], s[4:5], v[22:23], v[22:23], 1.0
	v_rcp_f64_e32 v[24:25], v[10:11]
	s_nop 0
	v_fma_f64 v[30:31], -v[10:11], v[24:25], 1.0
	v_fmac_f64_e32 v[24:25], v[24:25], v[30:31]
	v_fma_f64 v[30:31], -v[10:11], v[24:25], 1.0
	v_fmac_f64_e32 v[24:25], v[24:25], v[30:31]
	v_div_scale_f64 v[30:31], vcc, 1.0, v[22:23], 1.0
	v_mul_f64 v[32:33], v[30:31], v[24:25]
	v_fma_f64 v[10:11], -v[10:11], v[32:33], v[30:31]
	s_nop 1
	v_div_fmas_f64 v[10:11], v[10:11], v[24:25], v[32:33]
	v_div_fixup_f64 v[22:23], v[10:11], v[22:23], 1.0
	v_fma_f64 v[10:11], v[20:21], v[12:13], v[18:19]
	v_fma_f64 v[12:13], -v[18:19], v[12:13], v[20:21]
	v_mul_f64 v[10:11], v[10:11], v[22:23]
	v_mul_f64 v[12:13], v[12:13], v[22:23]
.LBB208_119:                            ;   in Loop: Header=BB208_113 Depth=1
	s_lshl_b32 s4, s13, 4
	s_lshl_b32 s13, s7, 4
	s_add_i32 s5, s4, s13
	v_mov_b32_e32 v18, s5
	s_lshl_b32 s5, s12, 4
	s_add_i32 s4, s4, s5
	ds_read_b128 v[22:25], v18
	v_mov_b32_e32 v18, s4
	ds_read_b128 v[18:21], v18
	s_mov_b64 s[4:5], -1
	ds_write_b128 v29, v[10:13]
	s_waitcnt lgkmcnt(2)
	v_mul_f64 v[30:31], v[12:13], v[24:25]
	v_mul_f64 v[24:25], v[10:11], v[24:25]
	v_fma_f64 v[30:31], v[10:11], v[22:23], -v[30:31]
	v_fmac_f64_e32 v[24:25], v[12:13], v[22:23]
	s_waitcnt lgkmcnt(1)
	v_cmp_ngt_f64_e64 s[16:17], |v[18:19]|, |v[20:21]|
	v_add_f64 v[22:23], v[14:15], -v[30:31]
	v_add_f64 v[24:25], v[16:17], -v[24:25]
	s_and_b64 vcc, exec, s[16:17]
                                        ; implicit-def: $vgpr16_vgpr17
	s_cbranch_vccz .LBB208_121
; %bb.120:                              ;   in Loop: Header=BB208_113 Depth=1
	v_div_scale_f64 v[14:15], s[4:5], v[20:21], v[20:21], v[18:19]
	v_rcp_f64_e32 v[16:17], v[14:15]
	v_div_scale_f64 v[30:31], vcc, v[18:19], v[20:21], v[18:19]
	v_fma_f64 v[32:33], -v[14:15], v[16:17], 1.0
	v_fmac_f64_e32 v[16:17], v[16:17], v[32:33]
	v_fma_f64 v[32:33], -v[14:15], v[16:17], 1.0
	v_fmac_f64_e32 v[16:17], v[16:17], v[32:33]
	v_mul_f64 v[32:33], v[30:31], v[16:17]
	v_fma_f64 v[14:15], -v[14:15], v[32:33], v[30:31]
	v_div_fmas_f64 v[14:15], v[14:15], v[16:17], v[32:33]
	v_div_fixup_f64 v[16:17], v[14:15], v[20:21], v[18:19]
	v_fma_f64 v[14:15], v[18:19], v[16:17], v[20:21]
	v_div_scale_f64 v[30:31], s[4:5], v[14:15], v[14:15], 1.0
	v_rcp_f64_e32 v[32:33], v[30:31]
	s_mov_b64 s[4:5], 0
	v_fma_f64 v[34:35], -v[30:31], v[32:33], 1.0
	v_fmac_f64_e32 v[32:33], v[32:33], v[34:35]
	v_fma_f64 v[34:35], -v[30:31], v[32:33], 1.0
	v_fmac_f64_e32 v[32:33], v[32:33], v[34:35]
	v_div_scale_f64 v[34:35], vcc, 1.0, v[14:15], 1.0
	v_mul_f64 v[36:37], v[34:35], v[32:33]
	v_fma_f64 v[30:31], -v[30:31], v[36:37], v[34:35]
	s_nop 1
	v_div_fmas_f64 v[30:31], v[30:31], v[32:33], v[36:37]
	v_div_fixup_f64 v[30:31], v[30:31], v[14:15], 1.0
	v_fma_f64 v[14:15], v[16:17], v[22:23], v[24:25]
	v_fma_f64 v[16:17], v[16:17], v[24:25], -v[22:23]
	v_mul_f64 v[14:15], v[14:15], v[30:31]
	v_mul_f64 v[16:17], v[16:17], v[30:31]
.LBB208_121:                            ;   in Loop: Header=BB208_113 Depth=1
	s_andn2_b64 vcc, exec, s[4:5]
	s_cbranch_vccnz .LBB208_123
; %bb.122:                              ;   in Loop: Header=BB208_113 Depth=1
	v_div_scale_f64 v[14:15], s[4:5], v[18:19], v[18:19], v[20:21]
	v_rcp_f64_e32 v[16:17], v[14:15]
	v_div_scale_f64 v[30:31], vcc, v[20:21], v[18:19], v[20:21]
	v_fma_f64 v[32:33], -v[14:15], v[16:17], 1.0
	v_fmac_f64_e32 v[16:17], v[16:17], v[32:33]
	v_fma_f64 v[32:33], -v[14:15], v[16:17], 1.0
	v_fmac_f64_e32 v[16:17], v[16:17], v[32:33]
	v_mul_f64 v[32:33], v[30:31], v[16:17]
	v_fma_f64 v[14:15], -v[14:15], v[32:33], v[30:31]
	v_div_fmas_f64 v[14:15], v[14:15], v[16:17], v[32:33]
	v_div_fixup_f64 v[16:17], v[14:15], v[18:19], v[20:21]
	v_fmac_f64_e32 v[18:19], v[20:21], v[16:17]
	v_div_scale_f64 v[14:15], s[4:5], v[18:19], v[18:19], 1.0
	v_rcp_f64_e32 v[20:21], v[14:15]
	s_nop 0
	v_fma_f64 v[30:31], -v[14:15], v[20:21], 1.0
	v_fmac_f64_e32 v[20:21], v[20:21], v[30:31]
	v_fma_f64 v[30:31], -v[14:15], v[20:21], 1.0
	v_fmac_f64_e32 v[20:21], v[20:21], v[30:31]
	v_div_scale_f64 v[30:31], vcc, 1.0, v[18:19], 1.0
	v_mul_f64 v[32:33], v[30:31], v[20:21]
	v_fma_f64 v[14:15], -v[14:15], v[32:33], v[30:31]
	s_nop 1
	v_div_fmas_f64 v[14:15], v[14:15], v[20:21], v[32:33]
	v_div_fixup_f64 v[18:19], v[14:15], v[18:19], 1.0
	v_fma_f64 v[14:15], v[16:17], v[24:25], v[22:23]
	v_fma_f64 v[16:17], -v[16:17], v[22:23], v[24:25]
	v_mul_f64 v[14:15], v[14:15], v[18:19]
	v_mul_f64 v[16:17], v[16:17], v[18:19]
.LBB208_123:                            ;   in Loop: Header=BB208_113 Depth=1
	s_lshl_b32 s4, s14, 4
	s_add_i32 s5, s4, s13
	v_mov_b32_e32 v22, s5
	ds_read_b128 v[18:21], v22
	ds_read_b128 v[22:25], v22 offset:16
	ds_write_b128 v28, v[14:17]
	s_lshl_b32 s5, s10, 4
	s_add_i32 s4, s4, s5
	s_waitcnt lgkmcnt(2)
	v_mul_f64 v[28:29], v[12:13], v[20:21]
	v_mul_f64 v[20:21], v[10:11], v[20:21]
	v_fma_f64 v[28:29], v[10:11], v[18:19], -v[28:29]
	v_fmac_f64_e32 v[20:21], v[12:13], v[18:19]
	v_add_f64 v[18:19], v[6:7], -v[28:29]
	s_waitcnt lgkmcnt(1)
	v_mul_f64 v[6:7], v[16:17], v[24:25]
	v_fma_f64 v[28:29], v[14:15], v[22:23], -v[6:7]
	v_mov_b32_e32 v6, s4
	v_add_f64 v[20:21], v[8:9], -v[20:21]
	ds_read_b128 v[6:9], v6
	v_mul_f64 v[24:25], v[14:15], v[24:25]
	v_fmac_f64_e32 v[24:25], v[16:17], v[22:23]
	v_add_f64 v[22:23], v[18:19], -v[28:29]
	v_add_f64 v[24:25], v[20:21], -v[24:25]
	s_waitcnt lgkmcnt(0)
	v_cmp_ngt_f64_e64 s[14:15], |v[6:7]|, |v[8:9]|
	s_mov_b64 s[4:5], -1
	s_and_b64 vcc, exec, s[14:15]
                                        ; implicit-def: $vgpr20_vgpr21
	s_cbranch_vccz .LBB208_125
; %bb.124:                              ;   in Loop: Header=BB208_113 Depth=1
	v_div_scale_f64 v[18:19], s[4:5], v[8:9], v[8:9], v[6:7]
	v_rcp_f64_e32 v[20:21], v[18:19]
	v_div_scale_f64 v[28:29], vcc, v[6:7], v[8:9], v[6:7]
	v_fma_f64 v[30:31], -v[18:19], v[20:21], 1.0
	v_fmac_f64_e32 v[20:21], v[20:21], v[30:31]
	v_fma_f64 v[30:31], -v[18:19], v[20:21], 1.0
	v_fmac_f64_e32 v[20:21], v[20:21], v[30:31]
	v_mul_f64 v[30:31], v[28:29], v[20:21]
	v_fma_f64 v[18:19], -v[18:19], v[30:31], v[28:29]
	v_div_fmas_f64 v[18:19], v[18:19], v[20:21], v[30:31]
	v_div_fixup_f64 v[20:21], v[18:19], v[8:9], v[6:7]
	v_fma_f64 v[18:19], v[6:7], v[20:21], v[8:9]
	v_div_scale_f64 v[28:29], s[4:5], v[18:19], v[18:19], 1.0
	v_rcp_f64_e32 v[30:31], v[28:29]
	s_mov_b64 s[4:5], 0
	v_fma_f64 v[32:33], -v[28:29], v[30:31], 1.0
	v_fmac_f64_e32 v[30:31], v[30:31], v[32:33]
	v_fma_f64 v[32:33], -v[28:29], v[30:31], 1.0
	v_fmac_f64_e32 v[30:31], v[30:31], v[32:33]
	v_div_scale_f64 v[32:33], vcc, 1.0, v[18:19], 1.0
	v_mul_f64 v[34:35], v[32:33], v[30:31]
	v_fma_f64 v[28:29], -v[28:29], v[34:35], v[32:33]
	s_nop 1
	v_div_fmas_f64 v[28:29], v[28:29], v[30:31], v[34:35]
	v_div_fixup_f64 v[28:29], v[28:29], v[18:19], 1.0
	v_fma_f64 v[18:19], v[20:21], v[22:23], v[24:25]
	v_fma_f64 v[20:21], v[20:21], v[24:25], -v[22:23]
	v_mul_f64 v[18:19], v[18:19], v[28:29]
	v_mul_f64 v[20:21], v[20:21], v[28:29]
.LBB208_125:                            ;   in Loop: Header=BB208_113 Depth=1
	s_andn2_b64 vcc, exec, s[4:5]
	s_cbranch_vccnz .LBB208_127
; %bb.126:                              ;   in Loop: Header=BB208_113 Depth=1
	v_div_scale_f64 v[18:19], s[4:5], v[6:7], v[6:7], v[8:9]
	v_rcp_f64_e32 v[20:21], v[18:19]
	v_div_scale_f64 v[28:29], vcc, v[8:9], v[6:7], v[8:9]
	v_fma_f64 v[30:31], -v[18:19], v[20:21], 1.0
	v_fmac_f64_e32 v[20:21], v[20:21], v[30:31]
	v_fma_f64 v[30:31], -v[18:19], v[20:21], 1.0
	v_fmac_f64_e32 v[20:21], v[20:21], v[30:31]
	v_mul_f64 v[30:31], v[28:29], v[20:21]
	v_fma_f64 v[18:19], -v[18:19], v[30:31], v[28:29]
	v_div_fmas_f64 v[18:19], v[18:19], v[20:21], v[30:31]
	v_div_fixup_f64 v[20:21], v[18:19], v[6:7], v[8:9]
	v_fmac_f64_e32 v[6:7], v[8:9], v[20:21]
	v_div_scale_f64 v[8:9], s[4:5], v[6:7], v[6:7], 1.0
	v_rcp_f64_e32 v[18:19], v[8:9]
	s_nop 0
	v_fma_f64 v[28:29], -v[8:9], v[18:19], 1.0
	v_fmac_f64_e32 v[18:19], v[18:19], v[28:29]
	v_fma_f64 v[28:29], -v[8:9], v[18:19], 1.0
	v_fmac_f64_e32 v[18:19], v[18:19], v[28:29]
	v_div_scale_f64 v[28:29], vcc, 1.0, v[6:7], 1.0
	v_mul_f64 v[30:31], v[28:29], v[18:19]
	v_fma_f64 v[8:9], -v[8:9], v[30:31], v[28:29]
	s_nop 1
	v_div_fmas_f64 v[8:9], v[8:9], v[18:19], v[30:31]
	v_div_fixup_f64 v[6:7], v[8:9], v[6:7], 1.0
	v_fma_f64 v[8:9], v[20:21], v[24:25], v[22:23]
	v_mul_f64 v[18:19], v[8:9], v[6:7]
	v_fma_f64 v[8:9], -v[20:21], v[22:23], v[24:25]
	v_mul_f64 v[20:21], v[8:9], v[6:7]
.LBB208_127:                            ;   in Loop: Header=BB208_113 Depth=1
	s_lshl_b32 s4, s11, 4
	s_add_i32 s5, s4, s13
	v_mov_b32_e32 v28, s5
	ds_read_b128 v[6:9], v28
	ds_write_b128 v27, v[18:21]
	ds_read_b128 v[22:25], v28 offset:16
	ds_read_b128 v[28:31], v28 offset:32
	s_lshl_b32 s5, s9, 4
	s_add_i32 s4, s4, s5
	s_waitcnt lgkmcnt(3)
	v_mul_f64 v[32:33], v[12:13], v[8:9]
	v_mul_f64 v[8:9], v[10:11], v[8:9]
	v_fma_f64 v[10:11], v[10:11], v[6:7], -v[32:33]
	v_fmac_f64_e32 v[8:9], v[12:13], v[6:7]
	s_waitcnt lgkmcnt(1)
	v_mul_f64 v[6:7], v[16:17], v[24:25]
	v_add_f64 v[2:3], v[2:3], -v[10:11]
	v_add_f64 v[4:5], v[4:5], -v[8:9]
	v_fma_f64 v[6:7], v[14:15], v[22:23], -v[6:7]
	v_mul_f64 v[8:9], v[14:15], v[24:25]
	v_fmac_f64_e32 v[8:9], v[16:17], v[22:23]
	v_add_f64 v[6:7], v[2:3], -v[6:7]
	v_mov_b32_e32 v2, s4
	v_add_f64 v[8:9], v[4:5], -v[8:9]
	ds_read_b128 v[2:5], v2
	s_waitcnt lgkmcnt(1)
	v_mul_f64 v[10:11], v[20:21], v[30:31]
	v_mul_f64 v[12:13], v[18:19], v[30:31]
	v_fma_f64 v[10:11], v[18:19], v[28:29], -v[10:11]
	v_fmac_f64_e32 v[12:13], v[20:21], v[28:29]
	s_waitcnt lgkmcnt(0)
	v_cmp_ngt_f64_e64 s[10:11], |v[2:3]|, |v[4:5]|
	v_add_f64 v[10:11], v[6:7], -v[10:11]
	v_add_f64 v[12:13], v[8:9], -v[12:13]
	s_mov_b64 s[4:5], -1
	s_and_b64 vcc, exec, s[10:11]
                                        ; implicit-def: $vgpr8_vgpr9
	s_cbranch_vccz .LBB208_129
; %bb.128:                              ;   in Loop: Header=BB208_113 Depth=1
	v_div_scale_f64 v[6:7], s[4:5], v[4:5], v[4:5], v[2:3]
	v_rcp_f64_e32 v[8:9], v[6:7]
	v_div_scale_f64 v[14:15], vcc, v[2:3], v[4:5], v[2:3]
	v_fma_f64 v[16:17], -v[6:7], v[8:9], 1.0
	v_fmac_f64_e32 v[8:9], v[8:9], v[16:17]
	v_fma_f64 v[16:17], -v[6:7], v[8:9], 1.0
	v_fmac_f64_e32 v[8:9], v[8:9], v[16:17]
	v_mul_f64 v[16:17], v[14:15], v[8:9]
	v_fma_f64 v[6:7], -v[6:7], v[16:17], v[14:15]
	v_div_fmas_f64 v[6:7], v[6:7], v[8:9], v[16:17]
	v_div_fixup_f64 v[8:9], v[6:7], v[4:5], v[2:3]
	v_fma_f64 v[6:7], v[2:3], v[8:9], v[4:5]
	v_div_scale_f64 v[14:15], s[4:5], v[6:7], v[6:7], 1.0
	v_rcp_f64_e32 v[16:17], v[14:15]
	s_mov_b64 s[4:5], 0
	v_fma_f64 v[18:19], -v[14:15], v[16:17], 1.0
	v_fmac_f64_e32 v[16:17], v[16:17], v[18:19]
	v_fma_f64 v[18:19], -v[14:15], v[16:17], 1.0
	v_fmac_f64_e32 v[16:17], v[16:17], v[18:19]
	v_div_scale_f64 v[18:19], vcc, 1.0, v[6:7], 1.0
	v_mul_f64 v[20:21], v[18:19], v[16:17]
	v_fma_f64 v[14:15], -v[14:15], v[20:21], v[18:19]
	s_nop 1
	v_div_fmas_f64 v[14:15], v[14:15], v[16:17], v[20:21]
	v_div_fixup_f64 v[14:15], v[14:15], v[6:7], 1.0
	v_fma_f64 v[6:7], v[8:9], v[10:11], v[12:13]
	v_fma_f64 v[8:9], v[8:9], v[12:13], -v[10:11]
	v_mul_f64 v[6:7], v[6:7], v[14:15]
	v_mul_f64 v[8:9], v[8:9], v[14:15]
.LBB208_129:                            ;   in Loop: Header=BB208_113 Depth=1
	s_andn2_b64 vcc, exec, s[4:5]
	s_cbranch_vccnz .LBB208_131
; %bb.130:                              ;   in Loop: Header=BB208_113 Depth=1
	v_div_scale_f64 v[6:7], s[4:5], v[2:3], v[2:3], v[4:5]
	v_rcp_f64_e32 v[8:9], v[6:7]
	v_div_scale_f64 v[14:15], vcc, v[4:5], v[2:3], v[4:5]
	v_fma_f64 v[16:17], -v[6:7], v[8:9], 1.0
	v_fmac_f64_e32 v[8:9], v[8:9], v[16:17]
	v_fma_f64 v[16:17], -v[6:7], v[8:9], 1.0
	v_fmac_f64_e32 v[8:9], v[8:9], v[16:17]
	v_mul_f64 v[16:17], v[14:15], v[8:9]
	v_fma_f64 v[6:7], -v[6:7], v[16:17], v[14:15]
	v_div_fmas_f64 v[6:7], v[6:7], v[8:9], v[16:17]
	v_div_fixup_f64 v[8:9], v[6:7], v[2:3], v[4:5]
	v_fmac_f64_e32 v[2:3], v[4:5], v[8:9]
	v_div_scale_f64 v[4:5], s[4:5], v[2:3], v[2:3], 1.0
	v_rcp_f64_e32 v[6:7], v[4:5]
	s_nop 0
	v_fma_f64 v[14:15], -v[4:5], v[6:7], 1.0
	v_fmac_f64_e32 v[6:7], v[6:7], v[14:15]
	v_fma_f64 v[14:15], -v[4:5], v[6:7], 1.0
	v_fmac_f64_e32 v[6:7], v[6:7], v[14:15]
	v_div_scale_f64 v[14:15], vcc, 1.0, v[2:3], 1.0
	v_mul_f64 v[16:17], v[14:15], v[6:7]
	v_fma_f64 v[4:5], -v[4:5], v[16:17], v[14:15]
	s_nop 1
	v_div_fmas_f64 v[4:5], v[4:5], v[6:7], v[16:17]
	v_div_fixup_f64 v[2:3], v[4:5], v[2:3], 1.0
	v_fma_f64 v[4:5], v[8:9], v[12:13], v[10:11]
	v_mul_f64 v[6:7], v[4:5], v[2:3]
	v_fma_f64 v[4:5], -v[8:9], v[10:11], v[12:13]
	v_mul_f64 v[8:9], v[4:5], v[2:3]
.LBB208_131:                            ;   in Loop: Header=BB208_113 Depth=1
	s_add_i32 s9, s7, 4
	s_add_i32 s4, s7, 7
	s_addk_i32 s6, 0x200
	s_cmp_ge_i32 s4, s25
	ds_write_b128 v26, v[6:9]
	s_cbranch_scc1 .LBB208_133
; %bb.132:                              ;   in Loop: Header=BB208_113 Depth=1
	s_mov_b32 s7, s9
	s_branch .LBB208_113
.LBB208_133:
	s_cmp_ge_i32 s9, s25
	s_cbranch_scc1 .LBB208_142
; %bb.134:
	v_mov_b32_e32 v2, 0x400
	v_lshl_or_b32 v14, v0, 4, v2
	s_lshl_b32 s6, s9, 7
	s_branch .LBB208_136
.LBB208_135:                            ;   in Loop: Header=BB208_136 Depth=1
	s_add_i32 s9, s9, 1
	s_addk_i32 s6, 0x80
	s_cmp_ge_i32 s9, s25
	ds_write_b128 v15, v[10:13]
	s_cbranch_scc1 .LBB208_142
.LBB208_136:                            ; =>This Loop Header: Depth=1
                                        ;     Child Loop BB208_137 Depth 2
	v_lshl_add_u32 v15, s9, 7, v1
	ds_read_b128 v[2:5], v15
	s_cmp_eq_u32 s9, 0
	s_mov_b32 s4, s6
	v_mov_b32_e32 v6, v14
	s_mov_b32 s5, s9
	s_cbranch_scc1 .LBB208_138
.LBB208_137:                            ;   Parent Loop BB208_136 Depth=1
                                        ; =>  This Inner Loop Header: Depth=2
	v_mov_b32_e32 v7, s4
	ds_read_b128 v[8:11], v6
	ds_read_b128 v[16:19], v7
	s_add_i32 s5, s5, -1
	s_add_i32 s4, s4, 16
	v_add_u32_e32 v6, 0x80, v6
	s_cmp_eq_u32 s5, 0
	s_waitcnt lgkmcnt(0)
	v_mul_f64 v[12:13], v[18:19], v[10:11]
	v_mul_f64 v[10:11], v[16:17], v[10:11]
	v_fma_f64 v[12:13], v[16:17], v[8:9], -v[12:13]
	v_fmac_f64_e32 v[10:11], v[18:19], v[8:9]
	v_add_f64 v[2:3], v[2:3], -v[12:13]
	v_add_f64 v[4:5], v[4:5], -v[10:11]
	s_cbranch_scc0 .LBB208_137
.LBB208_138:                            ;   in Loop: Header=BB208_136 Depth=1
	s_mul_i32 s4, s9, 0x90
	v_mov_b32_e32 v6, s4
	ds_read_b128 v[6:9], v6
	s_mov_b64 s[4:5], -1
                                        ; implicit-def: $vgpr10_vgpr11
	s_waitcnt lgkmcnt(0)
	v_cmp_ngt_f64_e64 s[10:11], |v[6:7]|, |v[8:9]|
	s_and_b64 vcc, exec, s[10:11]
	s_cbranch_vccz .LBB208_140
; %bb.139:                              ;   in Loop: Header=BB208_136 Depth=1
	v_div_scale_f64 v[10:11], s[4:5], v[8:9], v[8:9], v[6:7]
	v_rcp_f64_e32 v[12:13], v[10:11]
	v_div_scale_f64 v[16:17], vcc, v[6:7], v[8:9], v[6:7]
	v_fma_f64 v[18:19], -v[10:11], v[12:13], 1.0
	v_fmac_f64_e32 v[12:13], v[12:13], v[18:19]
	v_fma_f64 v[18:19], -v[10:11], v[12:13], 1.0
	v_fmac_f64_e32 v[12:13], v[12:13], v[18:19]
	v_mul_f64 v[18:19], v[16:17], v[12:13]
	v_fma_f64 v[10:11], -v[10:11], v[18:19], v[16:17]
	v_div_fmas_f64 v[10:11], v[10:11], v[12:13], v[18:19]
	v_div_fixup_f64 v[12:13], v[10:11], v[8:9], v[6:7]
	v_fma_f64 v[10:11], v[6:7], v[12:13], v[8:9]
	v_div_scale_f64 v[16:17], s[4:5], v[10:11], v[10:11], 1.0
	v_rcp_f64_e32 v[18:19], v[16:17]
	s_mov_b64 s[4:5], 0
	v_fma_f64 v[20:21], -v[16:17], v[18:19], 1.0
	v_fmac_f64_e32 v[18:19], v[18:19], v[20:21]
	v_fma_f64 v[20:21], -v[16:17], v[18:19], 1.0
	v_fmac_f64_e32 v[18:19], v[18:19], v[20:21]
	v_div_scale_f64 v[20:21], vcc, 1.0, v[10:11], 1.0
	v_mul_f64 v[22:23], v[20:21], v[18:19]
	v_fma_f64 v[16:17], -v[16:17], v[22:23], v[20:21]
	s_nop 1
	v_div_fmas_f64 v[16:17], v[16:17], v[18:19], v[22:23]
	v_div_fixup_f64 v[16:17], v[16:17], v[10:11], 1.0
	v_fma_f64 v[10:11], v[2:3], v[12:13], v[4:5]
	v_fma_f64 v[12:13], v[4:5], v[12:13], -v[2:3]
	v_mul_f64 v[10:11], v[10:11], v[16:17]
	v_mul_f64 v[12:13], v[12:13], v[16:17]
.LBB208_140:                            ;   in Loop: Header=BB208_136 Depth=1
	s_andn2_b64 vcc, exec, s[4:5]
	s_cbranch_vccnz .LBB208_135
; %bb.141:                              ;   in Loop: Header=BB208_136 Depth=1
	v_div_scale_f64 v[10:11], s[4:5], v[6:7], v[6:7], v[8:9]
	v_rcp_f64_e32 v[12:13], v[10:11]
	v_div_scale_f64 v[16:17], vcc, v[8:9], v[6:7], v[8:9]
	v_fma_f64 v[18:19], -v[10:11], v[12:13], 1.0
	v_fmac_f64_e32 v[12:13], v[12:13], v[18:19]
	v_fma_f64 v[18:19], -v[10:11], v[12:13], 1.0
	v_fmac_f64_e32 v[12:13], v[12:13], v[18:19]
	v_mul_f64 v[18:19], v[16:17], v[12:13]
	v_fma_f64 v[10:11], -v[10:11], v[18:19], v[16:17]
	v_div_fmas_f64 v[10:11], v[10:11], v[12:13], v[18:19]
	v_div_fixup_f64 v[12:13], v[10:11], v[6:7], v[8:9]
	v_fmac_f64_e32 v[6:7], v[8:9], v[12:13]
	v_div_scale_f64 v[8:9], s[4:5], v[6:7], v[6:7], 1.0
	v_rcp_f64_e32 v[10:11], v[8:9]
	s_nop 0
	v_fma_f64 v[16:17], -v[8:9], v[10:11], 1.0
	v_fmac_f64_e32 v[10:11], v[10:11], v[16:17]
	v_fma_f64 v[16:17], -v[8:9], v[10:11], 1.0
	v_fmac_f64_e32 v[10:11], v[10:11], v[16:17]
	v_div_scale_f64 v[16:17], vcc, 1.0, v[6:7], 1.0
	v_mul_f64 v[18:19], v[16:17], v[10:11]
	v_fma_f64 v[8:9], -v[8:9], v[18:19], v[16:17]
	s_nop 1
	v_div_fmas_f64 v[8:9], v[8:9], v[10:11], v[18:19]
	v_div_fixup_f64 v[6:7], v[8:9], v[6:7], 1.0
	v_fma_f64 v[8:9], v[4:5], v[12:13], v[2:3]
	v_fma_f64 v[2:3], -v[2:3], v[12:13], v[4:5]
	v_mul_f64 v[10:11], v[8:9], v[6:7]
	v_mul_f64 v[12:13], v[2:3], v[6:7]
	s_branch .LBB208_135
.LBB208_142:
	s_and_saveexec_b64 s[4:5], s[0:1]
	s_cbranch_execz .LBB208_146
; %bb.143:
	s_cmp_lt_i32 s24, 1
	s_cbranch_scc1 .LBB208_146
; %bb.144:
	s_ashr_i32 s9, s8, 31
	v_lshlrev_b32_e32 v2, 4, v0
	v_mov_b32_e32 v3, 0
	v_lshl_add_u64 v[0:1], s[2:3], 0, v[2:3]
	s_lshl_b64 s[0:1], s[8:9], 4
	v_or_b32_e32 v2, 0x400, v2
.LBB208_145:                            ; =>This Inner Loop Header: Depth=1
	ds_read2_b64 v[4:7], v2 offset1:1
	s_add_i32 s24, s24, -1
	v_add_u32_e32 v2, 0x80, v2
	s_cmp_lg_u32 s24, 0
	s_waitcnt lgkmcnt(0)
	flat_store_dwordx4 v[0:1], v[4:7]
	v_lshl_add_u64 v[0:1], v[0:1], 0, s[0:1]
	s_cbranch_scc1 .LBB208_145
.LBB208_146:
	s_endpgm
	.section	.rodata,"a",@progbits
	.p2align	6, 0x0
	.amdhsa_kernel _ZL31rocblas_trsm_small_right_deviceI19rocblas_complex_numIdES1_PKPKS1_PKPS1_Li8EEv13rocblas_fill_18rocblas_operation_17rocblas_diagonal_iiT0_T1_lilT2_lili
		.amdhsa_group_segment_fixed_size 2048
		.amdhsa_private_segment_fixed_size 0
		.amdhsa_kernarg_size 368
		.amdhsa_user_sgpr_count 2
		.amdhsa_user_sgpr_dispatch_ptr 0
		.amdhsa_user_sgpr_queue_ptr 0
		.amdhsa_user_sgpr_kernarg_segment_ptr 1
		.amdhsa_user_sgpr_dispatch_id 0
		.amdhsa_user_sgpr_kernarg_preload_length 0
		.amdhsa_user_sgpr_kernarg_preload_offset 0
		.amdhsa_user_sgpr_private_segment_size 0
		.amdhsa_uses_dynamic_stack 0
		.amdhsa_enable_private_segment 0
		.amdhsa_system_sgpr_workgroup_id_x 1
		.amdhsa_system_sgpr_workgroup_id_y 0
		.amdhsa_system_sgpr_workgroup_id_z 1
		.amdhsa_system_sgpr_workgroup_info 0
		.amdhsa_system_vgpr_workitem_id 0
		.amdhsa_next_free_vgpr 54
		.amdhsa_next_free_sgpr 28
		.amdhsa_accum_offset 56
		.amdhsa_reserve_vcc 1
		.amdhsa_float_round_mode_32 0
		.amdhsa_float_round_mode_16_64 0
		.amdhsa_float_denorm_mode_32 3
		.amdhsa_float_denorm_mode_16_64 3
		.amdhsa_dx10_clamp 1
		.amdhsa_ieee_mode 1
		.amdhsa_fp16_overflow 0
		.amdhsa_tg_split 0
		.amdhsa_exception_fp_ieee_invalid_op 0
		.amdhsa_exception_fp_denorm_src 0
		.amdhsa_exception_fp_ieee_div_zero 0
		.amdhsa_exception_fp_ieee_overflow 0
		.amdhsa_exception_fp_ieee_underflow 0
		.amdhsa_exception_fp_ieee_inexact 0
		.amdhsa_exception_int_div_zero 0
	.end_amdhsa_kernel
	.section	.text._ZL31rocblas_trsm_small_right_deviceI19rocblas_complex_numIdES1_PKPKS1_PKPS1_Li8EEv13rocblas_fill_18rocblas_operation_17rocblas_diagonal_iiT0_T1_lilT2_lili,"axG",@progbits,_ZL31rocblas_trsm_small_right_deviceI19rocblas_complex_numIdES1_PKPKS1_PKPS1_Li8EEv13rocblas_fill_18rocblas_operation_17rocblas_diagonal_iiT0_T1_lilT2_lili,comdat
.Lfunc_end208:
	.size	_ZL31rocblas_trsm_small_right_deviceI19rocblas_complex_numIdES1_PKPKS1_PKPS1_Li8EEv13rocblas_fill_18rocblas_operation_17rocblas_diagonal_iiT0_T1_lilT2_lili, .Lfunc_end208-_ZL31rocblas_trsm_small_right_deviceI19rocblas_complex_numIdES1_PKPKS1_PKPS1_Li8EEv13rocblas_fill_18rocblas_operation_17rocblas_diagonal_iiT0_T1_lilT2_lili
                                        ; -- End function
	.set _ZL31rocblas_trsm_small_right_deviceI19rocblas_complex_numIdES1_PKPKS1_PKPS1_Li8EEv13rocblas_fill_18rocblas_operation_17rocblas_diagonal_iiT0_T1_lilT2_lili.num_vgpr, 54
	.set _ZL31rocblas_trsm_small_right_deviceI19rocblas_complex_numIdES1_PKPKS1_PKPS1_Li8EEv13rocblas_fill_18rocblas_operation_17rocblas_diagonal_iiT0_T1_lilT2_lili.num_agpr, 0
	.set _ZL31rocblas_trsm_small_right_deviceI19rocblas_complex_numIdES1_PKPKS1_PKPS1_Li8EEv13rocblas_fill_18rocblas_operation_17rocblas_diagonal_iiT0_T1_lilT2_lili.numbered_sgpr, 28
	.set _ZL31rocblas_trsm_small_right_deviceI19rocblas_complex_numIdES1_PKPKS1_PKPS1_Li8EEv13rocblas_fill_18rocblas_operation_17rocblas_diagonal_iiT0_T1_lilT2_lili.num_named_barrier, 0
	.set _ZL31rocblas_trsm_small_right_deviceI19rocblas_complex_numIdES1_PKPKS1_PKPS1_Li8EEv13rocblas_fill_18rocblas_operation_17rocblas_diagonal_iiT0_T1_lilT2_lili.private_seg_size, 0
	.set _ZL31rocblas_trsm_small_right_deviceI19rocblas_complex_numIdES1_PKPKS1_PKPS1_Li8EEv13rocblas_fill_18rocblas_operation_17rocblas_diagonal_iiT0_T1_lilT2_lili.uses_vcc, 1
	.set _ZL31rocblas_trsm_small_right_deviceI19rocblas_complex_numIdES1_PKPKS1_PKPS1_Li8EEv13rocblas_fill_18rocblas_operation_17rocblas_diagonal_iiT0_T1_lilT2_lili.uses_flat_scratch, 0
	.set _ZL31rocblas_trsm_small_right_deviceI19rocblas_complex_numIdES1_PKPKS1_PKPS1_Li8EEv13rocblas_fill_18rocblas_operation_17rocblas_diagonal_iiT0_T1_lilT2_lili.has_dyn_sized_stack, 0
	.set _ZL31rocblas_trsm_small_right_deviceI19rocblas_complex_numIdES1_PKPKS1_PKPS1_Li8EEv13rocblas_fill_18rocblas_operation_17rocblas_diagonal_iiT0_T1_lilT2_lili.has_recursion, 0
	.set _ZL31rocblas_trsm_small_right_deviceI19rocblas_complex_numIdES1_PKPKS1_PKPS1_Li8EEv13rocblas_fill_18rocblas_operation_17rocblas_diagonal_iiT0_T1_lilT2_lili.has_indirect_call, 0
	.section	.AMDGPU.csdata,"",@progbits
; Kernel info:
; codeLenInByte = 13888
; TotalNumSgprs: 34
; NumVgprs: 54
; NumAgprs: 0
; TotalNumVgprs: 54
; ScratchSize: 0
; MemoryBound: 0
; FloatMode: 240
; IeeeMode: 1
; LDSByteSize: 2048 bytes/workgroup (compile time only)
; SGPRBlocks: 4
; VGPRBlocks: 6
; NumSGPRsForWavesPerEU: 34
; NumVGPRsForWavesPerEU: 54
; AccumOffset: 56
; Occupancy: 8
; WaveLimiterHint : 0
; COMPUTE_PGM_RSRC2:SCRATCH_EN: 0
; COMPUTE_PGM_RSRC2:USER_SGPR: 2
; COMPUTE_PGM_RSRC2:TRAP_HANDLER: 0
; COMPUTE_PGM_RSRC2:TGID_X_EN: 1
; COMPUTE_PGM_RSRC2:TGID_Y_EN: 0
; COMPUTE_PGM_RSRC2:TGID_Z_EN: 1
; COMPUTE_PGM_RSRC2:TIDIG_COMP_CNT: 0
; COMPUTE_PGM_RSRC3_GFX90A:ACCUM_OFFSET: 13
; COMPUTE_PGM_RSRC3_GFX90A:TG_SPLIT: 0
	.section	.text._ZL38rocblas_trsm_small_left_device_sharedBILi12ELi12ELb0E19rocblas_complex_numIdES1_PKPKS1_PKPS1_Ev13rocblas_fill_18rocblas_operation_17rocblas_diagonal_iiT3_T4_lilT5_lili,"axG",@progbits,_ZL38rocblas_trsm_small_left_device_sharedBILi12ELi12ELb0E19rocblas_complex_numIdES1_PKPKS1_PKPS1_Ev13rocblas_fill_18rocblas_operation_17rocblas_diagonal_iiT3_T4_lilT5_lili,comdat
	.globl	_ZL38rocblas_trsm_small_left_device_sharedBILi12ELi12ELb0E19rocblas_complex_numIdES1_PKPKS1_PKPS1_Ev13rocblas_fill_18rocblas_operation_17rocblas_diagonal_iiT3_T4_lilT5_lili ; -- Begin function _ZL38rocblas_trsm_small_left_device_sharedBILi12ELi12ELb0E19rocblas_complex_numIdES1_PKPKS1_PKPS1_Ev13rocblas_fill_18rocblas_operation_17rocblas_diagonal_iiT3_T4_lilT5_lili
	.p2align	8
	.type	_ZL38rocblas_trsm_small_left_device_sharedBILi12ELi12ELb0E19rocblas_complex_numIdES1_PKPKS1_PKPS1_Ev13rocblas_fill_18rocblas_operation_17rocblas_diagonal_iiT3_T4_lilT5_lili,@function
_ZL38rocblas_trsm_small_left_device_sharedBILi12ELi12ELb0E19rocblas_complex_numIdES1_PKPKS1_PKPS1_Ev13rocblas_fill_18rocblas_operation_17rocblas_diagonal_iiT3_T4_lilT5_lili: ; @_ZL38rocblas_trsm_small_left_device_sharedBILi12ELi12ELb0E19rocblas_complex_numIdES1_PKPKS1_PKPS1_Ev13rocblas_fill_18rocblas_operation_17rocblas_diagonal_iiT3_T4_lilT5_lili
; %bb.0:
	s_load_dwordx4 s[12:15], s[0:1], 0x4
	s_load_dwordx4 s[16:19], s[0:1], 0x48
	s_load_dwordx8 s[4:11], s[0:1], 0x18
	s_mov_b32 s20, s3
	s_mov_b32 s21, 0
	s_lshl_b64 s[22:23], s[20:21], 3
	s_waitcnt lgkmcnt(0)
	s_add_u32 s16, s16, s22
	s_addc_u32 s17, s17, s23
	s_load_dword s3, s[0:1], 0x70
	s_min_i32 s24, s14, 12
	s_load_dwordx2 s[16:17], s[16:17], 0x0
	v_cmp_gt_i32_e32 vcc, s24, v0
	s_and_saveexec_b64 s[20:21], vcc
	s_cbranch_execz .LBB209_11
; %bb.1:
	s_load_dword s26, s[0:1], 0x38
	v_lshlrev_b32_e32 v2, 4, v0
	v_mov_b32_e32 v3, 0
	v_mov_b32_e32 v1, v2
	s_waitcnt lgkmcnt(0)
	s_ashr_i32 s27, s26, 31
	s_cmpk_eq_i32 s12, 0x71
	s_cselect_b64 vcc, -1, 0
	s_add_u32 s8, s8, s22
	s_addc_u32 s9, s9, s23
	s_load_dwordx2 s[8:9], s[8:9], 0x0
	s_lshl_b64 s[10:11], s[10:11], 4
	s_waitcnt lgkmcnt(0)
	s_add_u32 s10, s8, s10
	s_addc_u32 s11, s9, s11
	s_lshl_b64 s[8:9], s[26:27], 4
	v_lshl_add_u64 v[4:5], s[10:11], 0, v[2:3]
	s_mov_b32 s10, s24
.LBB209_2:                              ; =>This Inner Loop Header: Depth=1
	flat_load_dwordx4 v[6:9], v[4:5]
	s_add_i32 s10, s10, -1
	v_lshl_add_u64 v[4:5], v[4:5], 0, s[8:9]
	s_cmp_eq_u32 s10, 0
	s_waitcnt vmcnt(0) lgkmcnt(0)
	v_xor_b32_e32 v3, 0x80000000, v9
	v_cndmask_b32_e32 v9, v9, v3, vcc
	ds_write_b128 v1, v[6:9]
	v_add_u32_e32 v1, 0xc0, v1
	s_cbranch_scc0 .LBB209_2
; %bb.3:
	v_mul_u32_u24_e32 v1, 0xc0, v0
	s_cmpk_lg_i32 s13, 0x84
	v_add_u32_e32 v1, v2, v1
	s_cbranch_scc0 .LBB209_9
; %bb.4:
	ds_read_b128 v[2:5], v1
                                        ; implicit-def: $vgpr8_vgpr9
	s_waitcnt lgkmcnt(0)
	v_cmp_ngt_f64_e64 s[8:9], |v[2:3]|, |v[4:5]|
	s_and_saveexec_b64 s[10:11], s[8:9]
	s_xor_b64 s[8:9], exec, s[10:11]
	s_cbranch_execz .LBB209_6
; %bb.5:
	v_div_scale_f64 v[6:7], s[10:11], v[4:5], v[4:5], v[2:3]
	v_rcp_f64_e32 v[8:9], v[6:7]
	v_div_scale_f64 v[10:11], vcc, v[2:3], v[4:5], v[2:3]
	v_fma_f64 v[12:13], -v[6:7], v[8:9], 1.0
	v_fmac_f64_e32 v[8:9], v[8:9], v[12:13]
	v_fma_f64 v[12:13], -v[6:7], v[8:9], 1.0
	v_fmac_f64_e32 v[8:9], v[8:9], v[12:13]
	v_mul_f64 v[12:13], v[10:11], v[8:9]
	v_fma_f64 v[6:7], -v[6:7], v[12:13], v[10:11]
	v_div_fmas_f64 v[6:7], v[6:7], v[8:9], v[12:13]
	v_div_fixup_f64 v[8:9], v[6:7], v[4:5], v[2:3]
	v_fmac_f64_e32 v[4:5], v[2:3], v[8:9]
	v_div_scale_f64 v[2:3], s[10:11], v[4:5], v[4:5], 1.0
	v_rcp_f64_e32 v[6:7], v[2:3]
	s_nop 0
	v_fma_f64 v[10:11], -v[2:3], v[6:7], 1.0
	v_fmac_f64_e32 v[6:7], v[6:7], v[10:11]
	v_fma_f64 v[10:11], -v[2:3], v[6:7], 1.0
	v_fmac_f64_e32 v[6:7], v[6:7], v[10:11]
	v_div_scale_f64 v[10:11], vcc, 1.0, v[4:5], 1.0
	v_mul_f64 v[12:13], v[10:11], v[6:7]
	v_fma_f64 v[2:3], -v[2:3], v[12:13], v[10:11]
	s_nop 1
	v_div_fmas_f64 v[2:3], v[2:3], v[6:7], v[12:13]
	v_div_fixup_f64 v[2:3], v[2:3], v[4:5], 1.0
	v_add_f64 v[4:5], v[8:9], 0
	v_mul_f64 v[6:7], v[4:5], v[2:3]
	v_fma_f64 v[4:5], v[8:9], 0, -1.0
	v_mul_f64 v[8:9], v[4:5], v[2:3]
                                        ; implicit-def: $vgpr2_vgpr3
.LBB209_6:
	s_andn2_saveexec_b64 s[8:9], s[8:9]
	s_cbranch_execz .LBB209_8
; %bb.7:
	v_div_scale_f64 v[6:7], s[10:11], v[2:3], v[2:3], v[4:5]
	v_rcp_f64_e32 v[8:9], v[6:7]
	v_div_scale_f64 v[10:11], vcc, v[4:5], v[2:3], v[4:5]
	v_fma_f64 v[12:13], -v[6:7], v[8:9], 1.0
	v_fmac_f64_e32 v[8:9], v[8:9], v[12:13]
	v_fma_f64 v[12:13], -v[6:7], v[8:9], 1.0
	v_fmac_f64_e32 v[8:9], v[8:9], v[12:13]
	v_mul_f64 v[12:13], v[10:11], v[8:9]
	v_fma_f64 v[6:7], -v[6:7], v[12:13], v[10:11]
	v_div_fmas_f64 v[6:7], v[6:7], v[8:9], v[12:13]
	v_div_fixup_f64 v[8:9], v[6:7], v[2:3], v[4:5]
	v_fmac_f64_e32 v[2:3], v[4:5], v[8:9]
	v_div_scale_f64 v[4:5], s[10:11], v[2:3], v[2:3], 1.0
	v_rcp_f64_e32 v[6:7], v[4:5]
	s_nop 0
	v_fma_f64 v[10:11], -v[4:5], v[6:7], 1.0
	v_fmac_f64_e32 v[6:7], v[6:7], v[10:11]
	v_fma_f64 v[10:11], -v[4:5], v[6:7], 1.0
	v_fmac_f64_e32 v[6:7], v[6:7], v[10:11]
	v_div_scale_f64 v[10:11], vcc, 1.0, v[2:3], 1.0
	v_mul_f64 v[12:13], v[10:11], v[6:7]
	v_fma_f64 v[4:5], -v[4:5], v[12:13], v[10:11]
	s_nop 1
	v_div_fmas_f64 v[4:5], v[4:5], v[6:7], v[12:13]
	v_div_fixup_f64 v[2:3], v[4:5], v[2:3], 1.0
	v_fma_f64 v[4:5], v[8:9], 0, 1.0
	v_mul_f64 v[6:7], v[4:5], v[2:3]
	v_add_f64 v[4:5], -v[8:9], 0
	v_mul_f64 v[8:9], v[4:5], v[2:3]
.LBB209_8:
	s_or_b64 exec, exec, s[8:9]
	s_branch .LBB209_10
.LBB209_9:
	v_mov_b64_e32 v[8:9], 0
	v_mov_b64_e32 v[6:7], 1.0
.LBB209_10:
	ds_write_b128 v1, v[6:9]
.LBB209_11:
	s_or_b64 exec, exec, s[20:21]
	s_load_dword s13, s[0:1], 0x58
	s_lshl_b64 s[0:1], s[18:19], 4
	s_waitcnt lgkmcnt(0)
	s_add_u32 s8, s16, s0
	s_mul_i32 s0, s2, -12
	s_addc_u32 s9, s17, s1
	s_add_i32 s3, s3, -1
	s_add_i32 s0, s15, s0
	s_cmp_ge_u32 s2, s3
	s_mul_i32 s2, s2, 12
	s_cselect_b32 s10, s0, 12
	s_mul_hi_i32 s1, s13, s2
	s_mul_i32 s0, s13, s2
	s_lshl_b64 s[0:1], s[0:1], 4
	s_add_u32 s2, s8, s0
	s_addc_u32 s3, s9, s1
	s_cmp_gt_i32 s14, 0
	v_cmp_gt_i32_e64 s[0:1], s10, v0
	s_cselect_b64 s[8:9], -1, 0
	s_and_b64 s[14:15], s[0:1], s[8:9]
	s_and_saveexec_b64 s[10:11], s[14:15]
	s_cbranch_execz .LBB209_14
; %bb.12:
	v_mad_i64_i32 v[2:3], s[14:15], s13, v0, 0
	v_mov_b32_e32 v1, 0x900
	v_lshl_add_u64 v[2:3], v[2:3], 4, s[2:3]
	v_lshl_or_b32 v1, v0, 4, v1
	s_mov_b32 s14, s24
.LBB209_13:                             ; =>This Inner Loop Header: Depth=1
	flat_load_dwordx4 v[4:7], v[2:3]
	s_add_i32 s14, s14, -1
	v_lshl_add_u64 v[2:3], v[2:3], 0, 16
	s_cmp_lg_u32 s14, 0
	s_waitcnt vmcnt(0) lgkmcnt(0)
	v_mul_f64 v[10:11], s[6:7], v[6:7]
	v_mul_f64 v[8:9], s[4:5], v[6:7]
	v_fma_f64 v[6:7], s[4:5], v[4:5], -v[10:11]
	v_fmac_f64_e32 v[8:9], s[6:7], v[4:5]
	ds_write_b128 v1, v[6:9]
	v_add_u32_e32 v1, 0xc0, v1
	s_cbranch_scc1 .LBB209_13
.LBB209_14:
	s_or_b64 exec, exec, s[10:11]
	v_mov_b32_e32 v1, 0x900
	s_cmpk_eq_i32 s12, 0x6f
	v_lshl_or_b32 v1, v0, 4, v1
	s_mov_b64 s[4:5], -1
	s_waitcnt lgkmcnt(0)
	; wave barrier
	s_cbranch_scc1 .LBB209_36
; %bb.15:
	s_mov_b32 s5, 0
	s_mov_b32 s4, s5
	;; [unrolled: 1-line block ×3, first 2 shown]
	s_branch .LBB209_17
.LBB209_16:                             ;   in Loop: Header=BB209_17 Depth=1
	s_cmp_ge_i32 s10, s24
	s_cselect_b64 s[6:7], -1, 0
	s_add_i32 s4, s4, 1
	s_cmp_eq_u32 s4, 3
	s_cselect_b64 s[14:15], -1, 0
	s_or_b64 s[6:7], s[6:7], s[14:15]
	s_andn2_b64 vcc, exec, s[6:7]
	s_cbranch_vccz .LBB209_35
.LBB209_17:                             ; =>This Loop Header: Depth=1
                                        ;     Child Loop BB209_20 Depth 2
                                        ;       Child Loop BB209_21 Depth 3
                                        ;       Child Loop BB209_24 Depth 3
                                        ;         Child Loop BB209_25 Depth 4
                                        ;       Child Loop BB209_29 Depth 3
                                        ;         Child Loop BB209_31 Depth 4
	s_lshl_b64 s[6:7], s[4:5], 2
	s_getpc_b64 s[14:15]
	s_add_u32 s14, s14, __const._ZL38rocblas_trsm_small_left_device_sharedBILi12ELi12ELb0E19rocblas_complex_numIdES1_PKPKS1_PKPS1_Ev13rocblas_fill_18rocblas_operation_17rocblas_diagonal_iiT3_T4_lilT5_lili.step_sizes@rel32@lo+4
	s_addc_u32 s15, s15, __const._ZL38rocblas_trsm_small_left_device_sharedBILi12ELi12ELb0E19rocblas_complex_numIdES1_PKPKS1_PKPS1_Ev13rocblas_fill_18rocblas_operation_17rocblas_diagonal_iiT3_T4_lilT5_lili.step_sizes@rel32@hi+12
	s_add_u32 s6, s14, s6
	s_addc_u32 s7, s15, s7
	s_load_dword s11, s[6:7], 0x0
	s_waitcnt lgkmcnt(0)
	s_add_i32 s12, s11, -1
	s_add_i32 s6, s12, s10
	s_cmp_ge_i32 s6, s24
	s_cbranch_scc1 .LBB209_16
; %bb.18:                               ;   in Loop: Header=BB209_17 Depth=1
	s_mul_i32 s15, s10, 0xc0
	s_max_i32 s14, s11, 1
	v_add_u32_e32 v6, s15, v1
	s_mul_i32 s16, s11, 0xc0
	s_mul_i32 s17, s10, 0xd0
	;; [unrolled: 1-line block ×3, first 2 shown]
	s_branch .LBB209_20
.LBB209_19:                             ;   in Loop: Header=BB209_20 Depth=2
	s_add_i32 s10, s10, s11
	s_add_i32 s6, s12, s10
	;; [unrolled: 1-line block ×4, first 2 shown]
	s_cmp_ge_i32 s6, s24
	v_add_u32_e32 v6, s16, v6
	s_cbranch_scc1 .LBB209_16
.LBB209_20:                             ;   Parent Loop BB209_17 Depth=1
                                        ; =>  This Loop Header: Depth=2
                                        ;       Child Loop BB209_21 Depth 3
                                        ;       Child Loop BB209_24 Depth 3
                                        ;         Child Loop BB209_25 Depth 4
                                        ;       Child Loop BB209_29 Depth 3
                                        ;         Child Loop BB209_31 Depth 4
	s_mov_b32 s6, 0
	v_mov_b32_e32 v2, v6
	s_mov_b32 s7, s14
.LBB209_21:                             ;   Parent Loop BB209_17 Depth=1
                                        ;     Parent Loop BB209_20 Depth=2
                                        ; =>    This Inner Loop Header: Depth=3
	ds_read_b128 v[8:11], v2
	s_add_i32 s7, s7, -1
	v_add_u32_e32 v2, 0xc0, v2
	s_waitcnt lgkmcnt(0)
	scratch_store_dwordx4 off, v[8:11], s6
	s_add_i32 s6, s6, 16
	s_cmp_eq_u32 s7, 0
	s_cbranch_scc0 .LBB209_21
; %bb.22:                               ;   in Loop: Header=BB209_20 Depth=2
	s_cmp_lt_i32 s10, 1
	s_cbranch_scc1 .LBB209_27
; %bb.23:                               ;   in Loop: Header=BB209_20 Depth=2
	s_mov_b32 s6, 0
	s_mov_b32 s7, s15
.LBB209_24:                             ;   Parent Loop BB209_17 Depth=1
                                        ;     Parent Loop BB209_20 Depth=2
                                        ; =>    This Loop Header: Depth=3
                                        ;         Child Loop BB209_25 Depth 4
	s_mul_i32 s19, s6, 0xc0
	v_add_u32_e32 v2, s19, v1
	ds_read_b128 v[2:5], v2
	s_mov_b32 s19, 0
	s_mov_b32 s20, s7
	;; [unrolled: 1-line block ×3, first 2 shown]
.LBB209_25:                             ;   Parent Loop BB209_17 Depth=1
                                        ;     Parent Loop BB209_20 Depth=2
                                        ;       Parent Loop BB209_24 Depth=3
                                        ; =>      This Inner Loop Header: Depth=4
	scratch_load_dwordx4 v[8:11], off, s19
	v_mov_b32_e32 v7, s20
	ds_read_b128 v[12:15], v7
	s_add_i32 s21, s21, -1
	s_addk_i32 s20, 0xc0
	s_waitcnt lgkmcnt(0)
	v_mul_f64 v[16:17], v[4:5], v[14:15]
	v_mul_f64 v[14:15], v[2:3], v[14:15]
	v_fma_f64 v[16:17], v[2:3], v[12:13], -v[16:17]
	v_fmac_f64_e32 v[14:15], v[4:5], v[12:13]
	s_waitcnt vmcnt(0)
	v_add_f64 v[8:9], v[8:9], -v[16:17]
	v_add_f64 v[10:11], v[10:11], -v[14:15]
	scratch_store_dwordx4 off, v[8:11], s19
	s_add_i32 s19, s19, 16
	s_cmp_eq_u32 s21, 0
	s_cbranch_scc0 .LBB209_25
; %bb.26:                               ;   in Loop: Header=BB209_24 Depth=3
	s_add_i32 s6, s6, 1
	s_add_i32 s7, s7, 16
	s_cmp_eq_u32 s6, s10
	s_cbranch_scc0 .LBB209_24
.LBB209_27:                             ;   in Loop: Header=BB209_20 Depth=2
	s_mul_i32 s19, s10, 0xc0
	s_mov_b32 s20, 0
	s_mov_b32 s21, s17
	s_branch .LBB209_29
.LBB209_28:                             ;   in Loop: Header=BB209_29 Depth=3
	s_mul_i32 s6, s23, 0xd0
	v_mov_b32_e32 v7, s6
	ds_read_b128 v[8:11], v7
	s_lshl_b32 s6, s20, 4
	s_add_i32 s20, s20, 1
	s_addk_i32 s21, 0xc0
	s_cmp_eq_u32 s20, s14
	s_waitcnt vmcnt(0) lgkmcnt(0)
	v_mul_f64 v[12:13], v[10:11], v[4:5]
	v_mul_f64 v[14:15], v[8:9], v[4:5]
	v_fma_f64 v[12:13], v[8:9], v[2:3], -v[12:13]
	v_fmac_f64_e32 v[14:15], v[10:11], v[2:3]
	v_add_u32_e32 v2, s22, v1
	scratch_store_dwordx4 off, v[12:15], s6
	ds_write_b128 v2, v[12:15]
	s_cbranch_scc1 .LBB209_19
.LBB209_29:                             ;   Parent Loop BB209_17 Depth=1
                                        ;     Parent Loop BB209_20 Depth=2
                                        ; =>    This Loop Header: Depth=3
                                        ;         Child Loop BB209_31 Depth 4
	s_cmp_lg_u32 s20, 0
	s_cbranch_scc0 .LBB209_33
; %bb.30:                               ;   in Loop: Header=BB209_29 Depth=3
	s_lshl_b32 s6, s20, 4
	scratch_load_dwordx4 v[2:5], off, s6
	s_add_i32 s23, s20, s10
	s_mul_i32 s22, s23, 0xc0
	s_mov_b32 s7, 0
	s_mov_b32 s25, s21
	s_mov_b32 s26, s20
.LBB209_31:                             ;   Parent Loop BB209_17 Depth=1
                                        ;     Parent Loop BB209_20 Depth=2
                                        ;       Parent Loop BB209_29 Depth=3
                                        ; =>      This Inner Loop Header: Depth=4
	scratch_load_dwordx4 v[8:11], off, s7
	v_mov_b32_e32 v7, s25
	ds_read_b128 v[12:15], v7
	s_add_i32 s26, s26, -1
	s_add_i32 s7, s7, 16
	s_add_i32 s25, s25, 16
	s_cmp_eq_u32 s26, 0
	s_waitcnt vmcnt(0) lgkmcnt(0)
	v_mul_f64 v[16:17], v[14:15], v[10:11]
	v_mul_f64 v[10:11], v[12:13], v[10:11]
	v_fma_f64 v[12:13], v[12:13], v[8:9], -v[16:17]
	v_fmac_f64_e32 v[10:11], v[14:15], v[8:9]
	v_add_f64 v[2:3], v[2:3], -v[12:13]
	v_add_f64 v[4:5], v[4:5], -v[10:11]
	scratch_store_dwordx4 off, v[2:5], s6
	s_cbranch_scc0 .LBB209_31
; %bb.32:                               ;   in Loop: Header=BB209_29 Depth=3
	s_branch .LBB209_28
.LBB209_33:                             ;   in Loop: Header=BB209_29 Depth=3
                                        ; implicit-def: $vgpr2_vgpr3
                                        ; implicit-def: $sgpr23
                                        ; implicit-def: $sgpr22
	s_cbranch_execz .LBB209_28
; %bb.34:                               ;   in Loop: Header=BB209_29 Depth=3
	scratch_load_dwordx4 v[2:5], off, off
	s_mov_b32 s22, s19
	s_mov_b32 s23, s10
	s_branch .LBB209_28
.LBB209_35:
	s_mov_b64 s[4:5], 0
.LBB209_36:
	s_and_b64 vcc, exec, s[4:5]
	s_cbranch_vccz .LBB209_56
; %bb.37:
	s_add_i32 s10, s24, -1
	v_mov_b32_e32 v2, 0x900
	s_mul_i32 s11, s24, 0xc0
	s_mov_b32 s5, 0
	v_lshl_or_b32 v6, v0, 4, v2
	s_addk_i32 s11, 0xff40
	s_mov_b32 s4, s5
	s_mov_b32 s12, s10
	s_branch .LBB209_39
.LBB209_38:                             ;   in Loop: Header=BB209_39 Depth=1
	s_cmp_lt_i32 s12, 0
	s_cselect_b64 s[6:7], -1, 0
	s_add_i32 s4, s4, 1
	s_cmp_eq_u32 s4, 3
	s_cselect_b64 s[14:15], -1, 0
	s_or_b64 s[6:7], s[6:7], s[14:15]
	s_and_b64 vcc, exec, s[6:7]
	s_cbranch_vccnz .LBB209_56
.LBB209_39:                             ; =>This Loop Header: Depth=1
                                        ;     Child Loop BB209_42 Depth 2
                                        ;       Child Loop BB209_43 Depth 3
                                        ;       Child Loop BB209_45 Depth 3
                                        ;         Child Loop BB209_46 Depth 4
                                        ;       Child Loop BB209_50 Depth 3
                                        ;         Child Loop BB209_52 Depth 4
	s_lshl_b64 s[6:7], s[4:5], 2
	s_getpc_b64 s[14:15]
	s_add_u32 s14, s14, __const._ZL38rocblas_trsm_small_left_device_sharedBILi12ELi12ELb0E19rocblas_complex_numIdES1_PKPKS1_PKPS1_Ev13rocblas_fill_18rocblas_operation_17rocblas_diagonal_iiT3_T4_lilT5_lili.step_sizes@rel32@lo+4
	s_addc_u32 s15, s15, __const._ZL38rocblas_trsm_small_left_device_sharedBILi12ELi12ELb0E19rocblas_complex_numIdES1_PKPKS1_PKPS1_Ev13rocblas_fill_18rocblas_operation_17rocblas_diagonal_iiT3_T4_lilT5_lili.step_sizes@rel32@hi+12
	s_add_u32 s6, s14, s6
	s_addc_u32 s7, s15, s7
	s_load_dword s14, s[6:7], 0x0
	s_waitcnt lgkmcnt(0)
	s_add_i32 s15, s14, -1
	s_cmp_lt_i32 s12, s15
	s_cbranch_scc1 .LBB209_38
; %bb.40:                               ;   in Loop: Header=BB209_39 Depth=1
	s_mul_i32 s6, s12, 0xc0
	v_add_u32_e32 v7, s6, v6
	s_lshl_b32 s6, s12, 4
	s_add_i32 s18, s11, s6
	s_lshl_b32 s6, s14, 4
	s_max_i32 s16, s14, 1
	s_mul_i32 s17, s14, 0xffffff40
	s_sub_i32 s19, 0, s6
	s_mul_i32 s20, s12, 0xd0
	s_mul_i32 s21, s14, 0xffffff30
	s_branch .LBB209_42
.LBB209_41:                             ;   in Loop: Header=BB209_42 Depth=2
	s_sub_i32 s12, s12, s14
	s_add_i32 s18, s18, s19
	s_add_i32 s20, s20, s21
	s_cmp_lt_i32 s12, s15
	v_add_u32_e32 v7, s17, v7
	s_cbranch_scc1 .LBB209_38
.LBB209_42:                             ;   Parent Loop BB209_39 Depth=1
                                        ; =>  This Loop Header: Depth=2
                                        ;       Child Loop BB209_43 Depth 3
                                        ;       Child Loop BB209_45 Depth 3
                                        ;         Child Loop BB209_46 Depth 4
                                        ;       Child Loop BB209_50 Depth 3
                                        ;         Child Loop BB209_52 Depth 4
	s_mov_b32 s6, 0
	v_mov_b32_e32 v2, v7
	s_mov_b32 s7, s16
.LBB209_43:                             ;   Parent Loop BB209_39 Depth=1
                                        ;     Parent Loop BB209_42 Depth=2
                                        ; =>    This Inner Loop Header: Depth=3
	ds_read_b128 v[8:11], v2
	s_add_i32 s7, s7, -1
	v_add_u32_e32 v2, 0xffffff40, v2
	s_waitcnt lgkmcnt(0)
	scratch_store_dwordx4 off, v[8:11], s6
	s_add_i32 s6, s6, 16
	s_cmp_eq_u32 s7, 0
	s_cbranch_scc0 .LBB209_43
; %bb.44:                               ;   in Loop: Header=BB209_42 Depth=2
	s_cmp_le_i32 s10, s12
	s_mov_b32 s6, s18
	s_mov_b32 s7, s10
	s_cbranch_scc1 .LBB209_48
.LBB209_45:                             ;   Parent Loop BB209_39 Depth=1
                                        ;     Parent Loop BB209_42 Depth=2
                                        ; =>    This Loop Header: Depth=3
                                        ;         Child Loop BB209_46 Depth 4
	s_mul_i32 s22, s7, 0xc0
	v_add_u32_e32 v2, s22, v1
	ds_read_b128 v[2:5], v2
	s_mov_b32 s22, 0
	s_mov_b32 s23, s6
	;; [unrolled: 1-line block ×3, first 2 shown]
.LBB209_46:                             ;   Parent Loop BB209_39 Depth=1
                                        ;     Parent Loop BB209_42 Depth=2
                                        ;       Parent Loop BB209_45 Depth=3
                                        ; =>      This Inner Loop Header: Depth=4
	scratch_load_dwordx4 v[8:11], off, s22
	v_mov_b32_e32 v12, s23
	ds_read_b128 v[12:15], v12
	s_add_i32 s25, s25, -1
	s_add_i32 s23, s23, -16
	s_waitcnt lgkmcnt(0)
	v_mul_f64 v[16:17], v[4:5], v[14:15]
	v_mul_f64 v[14:15], v[2:3], v[14:15]
	v_fma_f64 v[16:17], v[2:3], v[12:13], -v[16:17]
	v_fmac_f64_e32 v[14:15], v[4:5], v[12:13]
	s_waitcnt vmcnt(0)
	v_add_f64 v[8:9], v[8:9], -v[16:17]
	v_add_f64 v[10:11], v[10:11], -v[14:15]
	scratch_store_dwordx4 off, v[8:11], s22
	s_add_i32 s22, s22, 16
	s_cmp_eq_u32 s25, 0
	s_cbranch_scc0 .LBB209_46
; %bb.47:                               ;   in Loop: Header=BB209_45 Depth=3
	s_add_i32 s7, s7, -1
	s_addk_i32 s6, 0xff40
	s_cmp_le_i32 s7, s12
	s_cbranch_scc0 .LBB209_45
.LBB209_48:                             ;   in Loop: Header=BB209_42 Depth=2
	s_mov_b32 s22, 0
	s_mov_b32 s23, s20
	s_branch .LBB209_50
.LBB209_49:                             ;   in Loop: Header=BB209_50 Depth=3
	s_mul_i32 s6, s25, 0xd0
	v_mov_b32_e32 v8, s6
	ds_read_b128 v[8:11], v8
	s_lshl_b32 s6, s22, 4
	s_add_i32 s22, s22, 1
	s_add_i32 s23, s23, -16
	s_cmp_eq_u32 s22, s16
	s_waitcnt vmcnt(0) lgkmcnt(0)
	v_mul_f64 v[12:13], v[10:11], v[4:5]
	v_mul_f64 v[14:15], v[8:9], v[4:5]
	v_fma_f64 v[12:13], v[8:9], v[2:3], -v[12:13]
	v_fmac_f64_e32 v[14:15], v[10:11], v[2:3]
	scratch_store_dwordx4 off, v[12:15], s6
	s_mul_i32 s6, s25, 0xc0
	v_add_u32_e32 v2, s6, v1
	ds_write_b128 v2, v[12:15]
	s_cbranch_scc1 .LBB209_41
.LBB209_50:                             ;   Parent Loop BB209_39 Depth=1
                                        ;     Parent Loop BB209_42 Depth=2
                                        ; =>    This Loop Header: Depth=3
                                        ;         Child Loop BB209_52 Depth 4
	s_cmp_lg_u32 s22, 0
	s_cbranch_scc0 .LBB209_54
; %bb.51:                               ;   in Loop: Header=BB209_50 Depth=3
	s_lshl_b32 s6, s22, 4
	scratch_load_dwordx4 v[2:5], off, s6
	s_sub_i32 s25, s12, s22
	s_mov_b32 s7, 0
	s_mov_b32 s26, s23
	;; [unrolled: 1-line block ×3, first 2 shown]
.LBB209_52:                             ;   Parent Loop BB209_39 Depth=1
                                        ;     Parent Loop BB209_42 Depth=2
                                        ;       Parent Loop BB209_50 Depth=3
                                        ; =>      This Inner Loop Header: Depth=4
	scratch_load_dwordx4 v[8:11], off, s7
	v_mov_b32_e32 v12, s26
	ds_read_b128 v[12:15], v12
	s_add_i32 s27, s27, -1
	s_addk_i32 s26, 0xff40
	s_add_i32 s7, s7, 16
	s_cmp_eq_u32 s27, 0
	s_waitcnt vmcnt(0) lgkmcnt(0)
	v_mul_f64 v[16:17], v[14:15], v[10:11]
	v_mul_f64 v[10:11], v[12:13], v[10:11]
	v_fma_f64 v[12:13], v[12:13], v[8:9], -v[16:17]
	v_fmac_f64_e32 v[10:11], v[14:15], v[8:9]
	v_add_f64 v[2:3], v[2:3], -v[12:13]
	v_add_f64 v[4:5], v[4:5], -v[10:11]
	scratch_store_dwordx4 off, v[2:5], s6
	s_cbranch_scc0 .LBB209_52
; %bb.53:                               ;   in Loop: Header=BB209_50 Depth=3
	s_branch .LBB209_49
.LBB209_54:                             ;   in Loop: Header=BB209_50 Depth=3
                                        ; implicit-def: $vgpr2_vgpr3
                                        ; implicit-def: $sgpr25
	s_cbranch_execz .LBB209_49
; %bb.55:                               ;   in Loop: Header=BB209_50 Depth=3
	scratch_load_dwordx4 v[2:5], off, off
	s_mov_b32 s25, s12
	s_branch .LBB209_49
.LBB209_56:
	s_waitcnt lgkmcnt(0)
	; wave barrier
	s_and_saveexec_b64 s[4:5], s[0:1]
	s_cbranch_execz .LBB209_60
; %bb.57:
	s_andn2_b64 vcc, exec, s[8:9]
	s_cbranch_vccnz .LBB209_60
; %bb.58:
	v_mad_i64_i32 v[2:3], s[0:1], s13, v0, 0
	v_mov_b32_e32 v1, 0x900
	v_lshl_add_u64 v[2:3], v[2:3], 4, s[2:3]
	v_lshl_or_b32 v0, v0, 4, v1
.LBB209_59:                             ; =>This Inner Loop Header: Depth=1
	ds_read2_b64 v[4:7], v0 offset1:1
	s_add_i32 s24, s24, -1
	v_add_u32_e32 v0, 0xc0, v0
	s_cmp_lg_u32 s24, 0
	s_waitcnt lgkmcnt(0)
	flat_store_dwordx4 v[2:3], v[4:7]
	v_lshl_add_u64 v[2:3], v[2:3], 0, 16
	s_cbranch_scc1 .LBB209_59
.LBB209_60:
	s_endpgm
	.section	.rodata,"a",@progbits
	.p2align	6, 0x0
	.amdhsa_kernel _ZL38rocblas_trsm_small_left_device_sharedBILi12ELi12ELb0E19rocblas_complex_numIdES1_PKPKS1_PKPS1_Ev13rocblas_fill_18rocblas_operation_17rocblas_diagonal_iiT3_T4_lilT5_lili
		.amdhsa_group_segment_fixed_size 4608
		.amdhsa_private_segment_fixed_size 208
		.amdhsa_kernarg_size 368
		.amdhsa_user_sgpr_count 2
		.amdhsa_user_sgpr_dispatch_ptr 0
		.amdhsa_user_sgpr_queue_ptr 0
		.amdhsa_user_sgpr_kernarg_segment_ptr 1
		.amdhsa_user_sgpr_dispatch_id 0
		.amdhsa_user_sgpr_kernarg_preload_length 0
		.amdhsa_user_sgpr_kernarg_preload_offset 0
		.amdhsa_user_sgpr_private_segment_size 0
		.amdhsa_uses_dynamic_stack 0
		.amdhsa_enable_private_segment 1
		.amdhsa_system_sgpr_workgroup_id_x 1
		.amdhsa_system_sgpr_workgroup_id_y 0
		.amdhsa_system_sgpr_workgroup_id_z 1
		.amdhsa_system_sgpr_workgroup_info 0
		.amdhsa_system_vgpr_workitem_id 0
		.amdhsa_next_free_vgpr 18
		.amdhsa_next_free_sgpr 28
		.amdhsa_accum_offset 20
		.amdhsa_reserve_vcc 1
		.amdhsa_float_round_mode_32 0
		.amdhsa_float_round_mode_16_64 0
		.amdhsa_float_denorm_mode_32 3
		.amdhsa_float_denorm_mode_16_64 3
		.amdhsa_dx10_clamp 1
		.amdhsa_ieee_mode 1
		.amdhsa_fp16_overflow 0
		.amdhsa_tg_split 0
		.amdhsa_exception_fp_ieee_invalid_op 0
		.amdhsa_exception_fp_denorm_src 0
		.amdhsa_exception_fp_ieee_div_zero 0
		.amdhsa_exception_fp_ieee_overflow 0
		.amdhsa_exception_fp_ieee_underflow 0
		.amdhsa_exception_fp_ieee_inexact 0
		.amdhsa_exception_int_div_zero 0
	.end_amdhsa_kernel
	.section	.text._ZL38rocblas_trsm_small_left_device_sharedBILi12ELi12ELb0E19rocblas_complex_numIdES1_PKPKS1_PKPS1_Ev13rocblas_fill_18rocblas_operation_17rocblas_diagonal_iiT3_T4_lilT5_lili,"axG",@progbits,_ZL38rocblas_trsm_small_left_device_sharedBILi12ELi12ELb0E19rocblas_complex_numIdES1_PKPKS1_PKPS1_Ev13rocblas_fill_18rocblas_operation_17rocblas_diagonal_iiT3_T4_lilT5_lili,comdat
.Lfunc_end209:
	.size	_ZL38rocblas_trsm_small_left_device_sharedBILi12ELi12ELb0E19rocblas_complex_numIdES1_PKPKS1_PKPS1_Ev13rocblas_fill_18rocblas_operation_17rocblas_diagonal_iiT3_T4_lilT5_lili, .Lfunc_end209-_ZL38rocblas_trsm_small_left_device_sharedBILi12ELi12ELb0E19rocblas_complex_numIdES1_PKPKS1_PKPS1_Ev13rocblas_fill_18rocblas_operation_17rocblas_diagonal_iiT3_T4_lilT5_lili
                                        ; -- End function
	.set _ZL38rocblas_trsm_small_left_device_sharedBILi12ELi12ELb0E19rocblas_complex_numIdES1_PKPKS1_PKPS1_Ev13rocblas_fill_18rocblas_operation_17rocblas_diagonal_iiT3_T4_lilT5_lili.num_vgpr, 18
	.set _ZL38rocblas_trsm_small_left_device_sharedBILi12ELi12ELb0E19rocblas_complex_numIdES1_PKPKS1_PKPS1_Ev13rocblas_fill_18rocblas_operation_17rocblas_diagonal_iiT3_T4_lilT5_lili.num_agpr, 0
	.set _ZL38rocblas_trsm_small_left_device_sharedBILi12ELi12ELb0E19rocblas_complex_numIdES1_PKPKS1_PKPS1_Ev13rocblas_fill_18rocblas_operation_17rocblas_diagonal_iiT3_T4_lilT5_lili.numbered_sgpr, 28
	.set _ZL38rocblas_trsm_small_left_device_sharedBILi12ELi12ELb0E19rocblas_complex_numIdES1_PKPKS1_PKPS1_Ev13rocblas_fill_18rocblas_operation_17rocblas_diagonal_iiT3_T4_lilT5_lili.num_named_barrier, 0
	.set _ZL38rocblas_trsm_small_left_device_sharedBILi12ELi12ELb0E19rocblas_complex_numIdES1_PKPKS1_PKPS1_Ev13rocblas_fill_18rocblas_operation_17rocblas_diagonal_iiT3_T4_lilT5_lili.private_seg_size, 208
	.set _ZL38rocblas_trsm_small_left_device_sharedBILi12ELi12ELb0E19rocblas_complex_numIdES1_PKPKS1_PKPS1_Ev13rocblas_fill_18rocblas_operation_17rocblas_diagonal_iiT3_T4_lilT5_lili.uses_vcc, 1
	.set _ZL38rocblas_trsm_small_left_device_sharedBILi12ELi12ELb0E19rocblas_complex_numIdES1_PKPKS1_PKPS1_Ev13rocblas_fill_18rocblas_operation_17rocblas_diagonal_iiT3_T4_lilT5_lili.uses_flat_scratch, 0
	.set _ZL38rocblas_trsm_small_left_device_sharedBILi12ELi12ELb0E19rocblas_complex_numIdES1_PKPKS1_PKPS1_Ev13rocblas_fill_18rocblas_operation_17rocblas_diagonal_iiT3_T4_lilT5_lili.has_dyn_sized_stack, 0
	.set _ZL38rocblas_trsm_small_left_device_sharedBILi12ELi12ELb0E19rocblas_complex_numIdES1_PKPKS1_PKPS1_Ev13rocblas_fill_18rocblas_operation_17rocblas_diagonal_iiT3_T4_lilT5_lili.has_recursion, 0
	.set _ZL38rocblas_trsm_small_left_device_sharedBILi12ELi12ELb0E19rocblas_complex_numIdES1_PKPKS1_PKPS1_Ev13rocblas_fill_18rocblas_operation_17rocblas_diagonal_iiT3_T4_lilT5_lili.has_indirect_call, 0
	.section	.AMDGPU.csdata,"",@progbits
; Kernel info:
; codeLenInByte = 2452
; TotalNumSgprs: 34
; NumVgprs: 18
; NumAgprs: 0
; TotalNumVgprs: 18
; ScratchSize: 208
; MemoryBound: 0
; FloatMode: 240
; IeeeMode: 1
; LDSByteSize: 4608 bytes/workgroup (compile time only)
; SGPRBlocks: 4
; VGPRBlocks: 2
; NumSGPRsForWavesPerEU: 34
; NumVGPRsForWavesPerEU: 18
; AccumOffset: 20
; Occupancy: 8
; WaveLimiterHint : 0
; COMPUTE_PGM_RSRC2:SCRATCH_EN: 1
; COMPUTE_PGM_RSRC2:USER_SGPR: 2
; COMPUTE_PGM_RSRC2:TRAP_HANDLER: 0
; COMPUTE_PGM_RSRC2:TGID_X_EN: 1
; COMPUTE_PGM_RSRC2:TGID_Y_EN: 0
; COMPUTE_PGM_RSRC2:TGID_Z_EN: 1
; COMPUTE_PGM_RSRC2:TIDIG_COMP_CNT: 0
; COMPUTE_PGM_RSRC3_GFX90A:ACCUM_OFFSET: 4
; COMPUTE_PGM_RSRC3_GFX90A:TG_SPLIT: 0
	.section	.text._ZL30rocblas_trsm_small_left_deviceILi12ELi12ELb0E19rocblas_complex_numIdES1_PKPKS1_PKPS1_Ev13rocblas_fill_18rocblas_operation_17rocblas_diagonal_iiT3_T4_lilT5_lili,"axG",@progbits,_ZL30rocblas_trsm_small_left_deviceILi12ELi12ELb0E19rocblas_complex_numIdES1_PKPKS1_PKPS1_Ev13rocblas_fill_18rocblas_operation_17rocblas_diagonal_iiT3_T4_lilT5_lili,comdat
	.globl	_ZL30rocblas_trsm_small_left_deviceILi12ELi12ELb0E19rocblas_complex_numIdES1_PKPKS1_PKPS1_Ev13rocblas_fill_18rocblas_operation_17rocblas_diagonal_iiT3_T4_lilT5_lili ; -- Begin function _ZL30rocblas_trsm_small_left_deviceILi12ELi12ELb0E19rocblas_complex_numIdES1_PKPKS1_PKPS1_Ev13rocblas_fill_18rocblas_operation_17rocblas_diagonal_iiT3_T4_lilT5_lili
	.p2align	8
	.type	_ZL30rocblas_trsm_small_left_deviceILi12ELi12ELb0E19rocblas_complex_numIdES1_PKPKS1_PKPS1_Ev13rocblas_fill_18rocblas_operation_17rocblas_diagonal_iiT3_T4_lilT5_lili,@function
_ZL30rocblas_trsm_small_left_deviceILi12ELi12ELb0E19rocblas_complex_numIdES1_PKPKS1_PKPS1_Ev13rocblas_fill_18rocblas_operation_17rocblas_diagonal_iiT3_T4_lilT5_lili: ; @_ZL30rocblas_trsm_small_left_deviceILi12ELi12ELb0E19rocblas_complex_numIdES1_PKPKS1_PKPS1_Ev13rocblas_fill_18rocblas_operation_17rocblas_diagonal_iiT3_T4_lilT5_lili
; %bb.0:
	s_load_dwordx4 s[16:19], s[2:3], 0x4
	s_load_dwordx4 s[20:23], s[2:3], 0x48
	s_load_dwordx8 s[8:15], s[2:3], 0x18
	s_mov_b32 s6, s5
	s_mov_b32 s7, 0
	s_lshl_b64 s[24:25], s[6:7], 3
	s_waitcnt lgkmcnt(0)
	s_add_u32 s6, s20, s24
	s_addc_u32 s7, s21, s25
	s_load_dword s5, s[2:3], 0x70
	v_and_b32_e32 v10, 0x3ff, v0
	s_load_dwordx2 s[6:7], s[6:7], 0x0
	s_min_i32 s26, s18, 12
	v_cmp_gt_i32_e32 vcc, s26, v10
	s_and_saveexec_b64 s[20:21], vcc
	s_cbranch_execz .LBB210_11
; %bb.1:
	s_load_dword s28, s[2:3], 0x38
	v_lshlrev_b32_e32 v2, 4, v10
	v_mov_b32_e32 v3, 0
	v_mov_b32_e32 v1, v2
	s_waitcnt lgkmcnt(0)
	s_ashr_i32 s29, s28, 31
	s_cmpk_eq_i32 s16, 0x71
	s_cselect_b64 vcc, -1, 0
	s_add_u32 s12, s12, s24
	s_addc_u32 s13, s13, s25
	s_load_dwordx2 s[12:13], s[12:13], 0x0
	s_lshl_b64 s[14:15], s[14:15], 4
	s_waitcnt lgkmcnt(0)
	s_add_u32 s14, s12, s14
	s_addc_u32 s15, s13, s15
	s_lshl_b64 s[12:13], s[28:29], 4
	v_lshl_add_u64 v[4:5], s[14:15], 0, v[2:3]
	s_mov_b32 s14, s26
.LBB210_2:                              ; =>This Inner Loop Header: Depth=1
	flat_load_dwordx4 v[6:9], v[4:5]
	s_add_i32 s14, s14, -1
	v_lshl_add_u64 v[4:5], v[4:5], 0, s[12:13]
	s_cmp_eq_u32 s14, 0
	s_waitcnt vmcnt(0) lgkmcnt(0)
	v_xor_b32_e32 v3, 0x80000000, v9
	v_cndmask_b32_e32 v9, v9, v3, vcc
	ds_write_b128 v1, v[6:9]
	v_add_u32_e32 v1, 0xc0, v1
	s_cbranch_scc0 .LBB210_2
; %bb.3:
	v_mul_u32_u24_e32 v1, 0xc0, v10
	s_cmpk_lg_i32 s17, 0x84
	v_add_u32_e32 v1, v2, v1
	s_cbranch_scc0 .LBB210_9
; %bb.4:
	ds_read_b128 v[2:5], v1
                                        ; implicit-def: $vgpr8_vgpr9
	s_waitcnt lgkmcnt(0)
	v_cmp_ngt_f64_e64 s[12:13], |v[2:3]|, |v[4:5]|
	s_and_saveexec_b64 s[14:15], s[12:13]
	s_xor_b64 s[12:13], exec, s[14:15]
	s_cbranch_execz .LBB210_6
; %bb.5:
	v_div_scale_f64 v[6:7], s[14:15], v[4:5], v[4:5], v[2:3]
	v_rcp_f64_e32 v[8:9], v[6:7]
	v_div_scale_f64 v[12:13], vcc, v[2:3], v[4:5], v[2:3]
	v_fma_f64 v[14:15], -v[6:7], v[8:9], 1.0
	v_fmac_f64_e32 v[8:9], v[8:9], v[14:15]
	v_fma_f64 v[14:15], -v[6:7], v[8:9], 1.0
	v_fmac_f64_e32 v[8:9], v[8:9], v[14:15]
	v_mul_f64 v[14:15], v[12:13], v[8:9]
	v_fma_f64 v[6:7], -v[6:7], v[14:15], v[12:13]
	v_div_fmas_f64 v[6:7], v[6:7], v[8:9], v[14:15]
	v_div_fixup_f64 v[8:9], v[6:7], v[4:5], v[2:3]
	v_fmac_f64_e32 v[4:5], v[2:3], v[8:9]
	v_div_scale_f64 v[2:3], s[14:15], v[4:5], v[4:5], 1.0
	v_rcp_f64_e32 v[6:7], v[2:3]
	s_nop 0
	v_fma_f64 v[12:13], -v[2:3], v[6:7], 1.0
	v_fmac_f64_e32 v[6:7], v[6:7], v[12:13]
	v_fma_f64 v[12:13], -v[2:3], v[6:7], 1.0
	v_fmac_f64_e32 v[6:7], v[6:7], v[12:13]
	v_div_scale_f64 v[12:13], vcc, 1.0, v[4:5], 1.0
	v_mul_f64 v[14:15], v[12:13], v[6:7]
	v_fma_f64 v[2:3], -v[2:3], v[14:15], v[12:13]
	s_nop 1
	v_div_fmas_f64 v[2:3], v[2:3], v[6:7], v[14:15]
	v_div_fixup_f64 v[2:3], v[2:3], v[4:5], 1.0
	v_add_f64 v[4:5], v[8:9], 0
	v_mul_f64 v[6:7], v[4:5], v[2:3]
	v_fma_f64 v[4:5], v[8:9], 0, -1.0
	v_mul_f64 v[8:9], v[4:5], v[2:3]
                                        ; implicit-def: $vgpr2_vgpr3
.LBB210_6:
	s_andn2_saveexec_b64 s[12:13], s[12:13]
	s_cbranch_execz .LBB210_8
; %bb.7:
	v_div_scale_f64 v[6:7], s[14:15], v[2:3], v[2:3], v[4:5]
	v_rcp_f64_e32 v[8:9], v[6:7]
	v_div_scale_f64 v[12:13], vcc, v[4:5], v[2:3], v[4:5]
	v_fma_f64 v[14:15], -v[6:7], v[8:9], 1.0
	v_fmac_f64_e32 v[8:9], v[8:9], v[14:15]
	v_fma_f64 v[14:15], -v[6:7], v[8:9], 1.0
	v_fmac_f64_e32 v[8:9], v[8:9], v[14:15]
	v_mul_f64 v[14:15], v[12:13], v[8:9]
	v_fma_f64 v[6:7], -v[6:7], v[14:15], v[12:13]
	v_div_fmas_f64 v[6:7], v[6:7], v[8:9], v[14:15]
	v_div_fixup_f64 v[8:9], v[6:7], v[2:3], v[4:5]
	v_fmac_f64_e32 v[2:3], v[4:5], v[8:9]
	v_div_scale_f64 v[4:5], s[14:15], v[2:3], v[2:3], 1.0
	v_rcp_f64_e32 v[6:7], v[4:5]
	s_nop 0
	v_fma_f64 v[12:13], -v[4:5], v[6:7], 1.0
	v_fmac_f64_e32 v[6:7], v[6:7], v[12:13]
	v_fma_f64 v[12:13], -v[4:5], v[6:7], 1.0
	v_fmac_f64_e32 v[6:7], v[6:7], v[12:13]
	v_div_scale_f64 v[12:13], vcc, 1.0, v[2:3], 1.0
	v_mul_f64 v[14:15], v[12:13], v[6:7]
	v_fma_f64 v[4:5], -v[4:5], v[14:15], v[12:13]
	s_nop 1
	v_div_fmas_f64 v[4:5], v[4:5], v[6:7], v[14:15]
	v_div_fixup_f64 v[2:3], v[4:5], v[2:3], 1.0
	v_fma_f64 v[4:5], v[8:9], 0, 1.0
	v_mul_f64 v[6:7], v[4:5], v[2:3]
	v_add_f64 v[4:5], -v[8:9], 0
	v_mul_f64 v[8:9], v[4:5], v[2:3]
.LBB210_8:
	s_or_b64 exec, exec, s[12:13]
	s_branch .LBB210_10
.LBB210_9:
	v_mov_b64_e32 v[8:9], 0
	v_mov_b64_e32 v[6:7], 1.0
.LBB210_10:
	ds_write_b128 v1, v[6:9]
.LBB210_11:
	s_or_b64 exec, exec, s[20:21]
	s_mul_i32 s12, s4, -12
	s_waitcnt lgkmcnt(0)
	s_add_i32 s5, s5, -1
	s_add_i32 s12, s19, s12
	s_cmp_ge_u32 s4, s5
	s_cselect_b32 s5, s12, 12
	v_cmp_gt_i32_e32 vcc, s5, v10
	; wave barrier
	s_and_saveexec_b64 s[12:13], vcc
	s_cbranch_execz .LBB210_54
; %bb.12:
	s_load_dwordx2 s[12:13], s[0:1], 0x4
	s_load_dword s14, s[2:3], 0x58
	v_bfe_u32 v1, v0, 10, 10
	v_bfe_u32 v0, v0, 20, 10
	s_waitcnt lgkmcnt(0)
	s_lshr_b32 s0, s12, 16
	s_mul_i32 s0, s0, s13
	v_mul_u32_u24_e32 v1, s13, v1
	v_mul_u32_u24_e32 v2, s0, v10
	v_add3_u32 v0, v2, v1, v0
	s_movk_i32 s0, 0xc0
	v_mul_lo_u32 v0, v0, s0
	s_lshl_b64 s[0:1], s[22:23], 4
	v_add_u32_e32 v12, 0x900, v0
	s_add_u32 s2, s6, s0
	v_mad_u64_u32 v[0:1], s[4:5], s4, 12, v[10:11]
	s_addc_u32 s3, s7, s1
	v_mad_i64_i32 v[6:7], s[4:5], s14, v0, 0
	v_lshl_add_u64 v[4:5], v[6:7], 4, s[2:3]
	s_cmpk_eq_i32 s16, 0x6f
	s_mov_b64 s[2:3], -1
	s_cbranch_scc1 .LBB210_34
; %bb.13:
	s_add_u32 s2, s6, s0
	s_addc_u32 s3, s7, s1
	v_lshl_add_u64 v[8:9], v[6:7], 4, s[2:3]
	s_mov_b32 s3, 0
	s_mov_b32 s4, s3
	;; [unrolled: 1-line block ×3, first 2 shown]
	s_branch .LBB210_15
.LBB210_14:                             ;   in Loop: Header=BB210_15 Depth=1
	s_cmp_ge_i32 s12, s26
	s_cselect_b64 s[14:15], -1, 0
	s_add_i32 s4, s4, 1
	s_cmp_eq_u32 s4, 3
	s_cselect_b64 s[16:17], -1, 0
	s_or_b64 s[14:15], s[14:15], s[16:17]
	s_andn2_b64 vcc, exec, s[14:15]
	s_cbranch_vccz .LBB210_33
.LBB210_15:                             ; =>This Loop Header: Depth=1
                                        ;     Child Loop BB210_18 Depth 2
                                        ;       Child Loop BB210_19 Depth 3
                                        ;       Child Loop BB210_22 Depth 3
                                        ;         Child Loop BB210_23 Depth 4
                                        ;       Child Loop BB210_27 Depth 3
                                        ;         Child Loop BB210_29 Depth 4
	s_mov_b32 s5, s3
	s_lshl_b64 s[14:15], s[4:5], 2
	s_getpc_b64 s[16:17]
	s_add_u32 s16, s16, __const._ZL30rocblas_trsm_small_left_deviceILi12ELi12ELb0E19rocblas_complex_numIdES1_PKPKS1_PKPS1_Ev13rocblas_fill_18rocblas_operation_17rocblas_diagonal_iiT3_T4_lilT5_lili.step_sizes@rel32@lo+4
	s_addc_u32 s17, s17, __const._ZL30rocblas_trsm_small_left_deviceILi12ELi12ELb0E19rocblas_complex_numIdES1_PKPKS1_PKPS1_Ev13rocblas_fill_18rocblas_operation_17rocblas_diagonal_iiT3_T4_lilT5_lili.step_sizes@rel32@hi+12
	s_add_u32 s14, s16, s14
	s_addc_u32 s15, s17, s15
	s_load_dword s14, s[14:15], 0x0
	s_waitcnt lgkmcnt(0)
	s_add_i32 s5, s14, -1
	s_add_i32 s2, s5, s12
	s_cmp_ge_i32 s2, s26
	s_cbranch_scc1 .LBB210_14
; %bb.16:                               ;   in Loop: Header=BB210_15 Depth=1
	s_ashr_i32 s13, s12, 31
	s_ashr_i32 s15, s14, 31
	s_max_i32 s22, s14, 1
	v_lshl_add_u64 v[10:11], s[12:13], 4, v[8:9]
	s_lshl_b64 s[16:17], s[14:15], 4
	s_mul_i32 s13, s12, 0xc0
	s_mul_i32 s15, s14, 0xc0
	;; [unrolled: 1-line block ×4, first 2 shown]
	s_branch .LBB210_18
.LBB210_17:                             ;   in Loop: Header=BB210_18 Depth=2
	s_add_i32 s12, s12, s14
	s_add_i32 s2, s5, s12
	;; [unrolled: 1-line block ×4, first 2 shown]
	s_cmp_ge_i32 s2, s26
	v_lshl_add_u64 v[10:11], v[10:11], 0, s[16:17]
	s_cbranch_scc1 .LBB210_14
.LBB210_18:                             ;   Parent Loop BB210_15 Depth=1
                                        ; =>  This Loop Header: Depth=2
                                        ;       Child Loop BB210_19 Depth 3
                                        ;       Child Loop BB210_22 Depth 3
                                        ;         Child Loop BB210_23 Depth 4
                                        ;       Child Loop BB210_27 Depth 3
                                        ;         Child Loop BB210_29 Depth 4
	v_mov_b32_e32 v2, v12
	v_mov_b64_e32 v[0:1], v[10:11]
	s_mov_b32 s2, s22
.LBB210_19:                             ;   Parent Loop BB210_15 Depth=1
                                        ;     Parent Loop BB210_18 Depth=2
                                        ; =>    This Inner Loop Header: Depth=3
	flat_load_dwordx4 v[14:17], v[0:1]
	s_add_i32 s2, s2, -1
	v_lshl_add_u64 v[0:1], v[0:1], 0, 16
	s_cmp_eq_u32 s2, 0
	s_waitcnt vmcnt(0) lgkmcnt(0)
	v_mul_f64 v[20:21], s[10:11], v[16:17]
	v_mul_f64 v[18:19], s[8:9], v[16:17]
	v_fma_f64 v[16:17], s[8:9], v[14:15], -v[20:21]
	v_fmac_f64_e32 v[18:19], s[10:11], v[14:15]
	ds_write_b128 v2, v[16:19]
	v_add_u32_e32 v2, 16, v2
	s_cbranch_scc0 .LBB210_19
; %bb.20:                               ;   in Loop: Header=BB210_18 Depth=2
	s_cmp_lt_i32 s12, 1
	s_cbranch_scc1 .LBB210_25
; %bb.21:                               ;   in Loop: Header=BB210_18 Depth=2
	s_mov_b32 s2, 0
	s_mov_b32 s18, s13
.LBB210_22:                             ;   Parent Loop BB210_15 Depth=1
                                        ;     Parent Loop BB210_18 Depth=2
                                        ; =>    This Loop Header: Depth=3
                                        ;         Child Loop BB210_23 Depth 4
	v_lshl_add_u64 v[0:1], s[2:3], 4, v[4:5]
	flat_load_dwordx4 v[0:3], v[0:1]
	v_mov_b32_e32 v13, v12
	s_mov_b32 s19, s18
	s_mov_b32 s20, s22
.LBB210_23:                             ;   Parent Loop BB210_15 Depth=1
                                        ;     Parent Loop BB210_18 Depth=2
                                        ;       Parent Loop BB210_22 Depth=3
                                        ; =>      This Inner Loop Header: Depth=4
	v_mov_b32_e32 v18, s19
	ds_read_b128 v[18:21], v18
	ds_read_b128 v[14:17], v13
	s_add_i32 s20, s20, -1
	s_addk_i32 s19, 0xc0
	s_cmp_eq_u32 s20, 0
	s_waitcnt vmcnt(0) lgkmcnt(0)
	v_mul_f64 v[22:23], v[2:3], v[20:21]
	v_mul_f64 v[20:21], v[0:1], v[20:21]
	v_fma_f64 v[22:23], v[0:1], v[18:19], -v[22:23]
	v_fmac_f64_e32 v[20:21], v[2:3], v[18:19]
	v_add_f64 v[14:15], v[14:15], -v[22:23]
	v_add_f64 v[16:17], v[16:17], -v[20:21]
	ds_write_b128 v13, v[14:17]
	v_add_u32_e32 v13, 16, v13
	s_cbranch_scc0 .LBB210_23
; %bb.24:                               ;   in Loop: Header=BB210_22 Depth=3
	s_add_i32 s2, s2, 1
	s_add_i32 s18, s18, 16
	s_cmp_eq_u32 s2, s12
	s_cbranch_scc0 .LBB210_22
.LBB210_25:                             ;   in Loop: Header=BB210_18 Depth=2
	s_mov_b32 s2, 0
	s_mov_b32 s25, s23
	s_branch .LBB210_27
.LBB210_26:                             ;   in Loop: Header=BB210_27 Depth=3
	s_mul_i32 s19, s18, 0xd0
	v_mov_b32_e32 v14, s19
	ds_read_b128 v[14:17], v14
	s_ashr_i32 s19, s18, 31
	s_add_i32 s2, s2, 1
	s_addk_i32 s25, 0xc0
	v_lshl_add_u64 v[22:23], s[18:19], 4, v[4:5]
	s_waitcnt lgkmcnt(0)
	v_mul_f64 v[18:19], v[16:17], v[2:3]
	v_mul_f64 v[20:21], v[14:15], v[2:3]
	v_fma_f64 v[18:19], v[14:15], v[0:1], -v[18:19]
	v_fmac_f64_e32 v[20:21], v[16:17], v[0:1]
	s_cmp_eq_u32 s2, s22
	ds_write_b128 v13, v[18:21]
	flat_store_dwordx4 v[22:23], v[18:21]
	s_cbranch_scc1 .LBB210_17
.LBB210_27:                             ;   Parent Loop BB210_15 Depth=1
                                        ;     Parent Loop BB210_18 Depth=2
                                        ; =>    This Loop Header: Depth=3
                                        ;         Child Loop BB210_29 Depth 4
	s_cmp_lg_u32 s2, 0
	v_lshl_add_u32 v13, s2, 4, v12
	s_cbranch_scc0 .LBB210_31
; %bb.28:                               ;   in Loop: Header=BB210_27 Depth=3
	ds_read_b128 v[0:3], v13
	s_add_i32 s18, s2, s12
	s_mov_b32 s19, s25
	v_mov_b32_e32 v14, v12
	s_mov_b32 s20, s2
.LBB210_29:                             ;   Parent Loop BB210_15 Depth=1
                                        ;     Parent Loop BB210_18 Depth=2
                                        ;       Parent Loop BB210_27 Depth=3
                                        ; =>      This Inner Loop Header: Depth=4
	v_mov_b32_e32 v15, s19
	ds_read_b128 v[16:19], v14
	ds_read_b128 v[20:23], v15
	s_add_i32 s20, s20, -1
	s_add_i32 s19, s19, 16
	v_add_u32_e32 v14, 16, v14
	s_cmp_eq_u32 s20, 0
	s_waitcnt lgkmcnt(0)
	v_mul_f64 v[24:25], v[22:23], v[18:19]
	v_mul_f64 v[18:19], v[20:21], v[18:19]
	v_fma_f64 v[20:21], v[20:21], v[16:17], -v[24:25]
	v_fmac_f64_e32 v[18:19], v[22:23], v[16:17]
	v_add_f64 v[0:1], v[0:1], -v[20:21]
	v_add_f64 v[2:3], v[2:3], -v[18:19]
	ds_write_b128 v13, v[0:3]
	s_cbranch_scc0 .LBB210_29
; %bb.30:                               ;   in Loop: Header=BB210_27 Depth=3
	s_branch .LBB210_26
.LBB210_31:                             ;   in Loop: Header=BB210_27 Depth=3
                                        ; implicit-def: $vgpr0_vgpr1
                                        ; implicit-def: $sgpr18
	s_cbranch_execz .LBB210_26
; %bb.32:                               ;   in Loop: Header=BB210_27 Depth=3
	ds_read_b128 v[0:3], v12
	s_mov_b32 s18, s12
	s_branch .LBB210_26
.LBB210_33:
	s_mov_b64 s[2:3], 0
.LBB210_34:
	s_and_b64 vcc, exec, s[2:3]
	s_cbranch_vccz .LBB210_54
; %bb.35:
	s_add_i32 s14, s26, -1
	s_add_u32 s0, s6, s0
	s_addc_u32 s1, s7, s1
	v_lshl_add_u64 v[6:7], v[6:7], 4, s[0:1]
	s_mul_i32 s15, s26, 0xc0
	s_mov_b32 s1, 0
	s_addk_i32 s15, 0xff40
	s_mov_b32 s2, s14
	s_mov_b32 s0, s1
	s_branch .LBB210_37
.LBB210_36:                             ;   in Loop: Header=BB210_37 Depth=1
	s_cmp_lt_i32 s2, 0
	s_cselect_b64 s[4:5], -1, 0
	s_add_i32 s0, s0, 1
	s_cmp_eq_u32 s0, 3
	s_cselect_b64 s[6:7], -1, 0
	s_or_b64 s[4:5], s[4:5], s[6:7]
	s_and_b64 vcc, exec, s[4:5]
	s_cbranch_vccnz .LBB210_54
.LBB210_37:                             ; =>This Loop Header: Depth=1
                                        ;     Child Loop BB210_40 Depth 2
                                        ;       Child Loop BB210_41 Depth 3
                                        ;       Child Loop BB210_43 Depth 3
                                        ;         Child Loop BB210_44 Depth 4
                                        ;       Child Loop BB210_48 Depth 3
                                        ;         Child Loop BB210_50 Depth 4
	s_lshl_b64 s[4:5], s[0:1], 2
	s_getpc_b64 s[6:7]
	s_add_u32 s6, s6, __const._ZL30rocblas_trsm_small_left_deviceILi12ELi12ELb0E19rocblas_complex_numIdES1_PKPKS1_PKPS1_Ev13rocblas_fill_18rocblas_operation_17rocblas_diagonal_iiT3_T4_lilT5_lili.step_sizes@rel32@lo+4
	s_addc_u32 s7, s7, __const._ZL30rocblas_trsm_small_left_deviceILi12ELi12ELb0E19rocblas_complex_numIdES1_PKPKS1_PKPS1_Ev13rocblas_fill_18rocblas_operation_17rocblas_diagonal_iiT3_T4_lilT5_lili.step_sizes@rel32@hi+12
	s_add_u32 s4, s6, s4
	s_addc_u32 s5, s7, s5
	s_load_dword s16, s[4:5], 0x0
	s_waitcnt lgkmcnt(0)
	s_add_i32 s17, s16, -1
	s_cmp_lt_i32 s2, s17
	s_cbranch_scc1 .LBB210_36
; %bb.38:                               ;   in Loop: Header=BB210_37 Depth=1
	s_lshl_b32 s3, s2, 4
	s_add_i32 s19, s15, s3
	s_lshl_b32 s3, s16, 4
	s_max_i32 s18, s16, 1
	s_sub_i32 s20, 0, s3
	s_mul_i32 s21, s2, 0xd0
	s_mul_i32 s22, s16, 0xffffff30
	s_branch .LBB210_40
.LBB210_39:                             ;   in Loop: Header=BB210_40 Depth=2
	s_sub_i32 s2, s2, s16
	s_add_i32 s19, s19, s20
	s_add_i32 s21, s21, s22
	s_cmp_lt_i32 s2, s17
	s_cbranch_scc1 .LBB210_36
.LBB210_40:                             ;   Parent Loop BB210_37 Depth=1
                                        ; =>  This Loop Header: Depth=2
                                        ;       Child Loop BB210_41 Depth 3
                                        ;       Child Loop BB210_43 Depth 3
                                        ;         Child Loop BB210_44 Depth 4
                                        ;       Child Loop BB210_48 Depth 3
                                        ;         Child Loop BB210_50 Depth 4
	s_ashr_i32 s3, s2, 31
	v_lshl_add_u64 v[0:1], s[2:3], 4, v[6:7]
	v_mov_b32_e32 v2, v12
	s_mov_b32 s4, s18
.LBB210_41:                             ;   Parent Loop BB210_37 Depth=1
                                        ;     Parent Loop BB210_40 Depth=2
                                        ; =>    This Inner Loop Header: Depth=3
	flat_load_dwordx4 v[8:11], v[0:1]
	s_add_i32 s4, s4, -1
	v_lshl_add_u64 v[0:1], v[0:1], 0, -16
	s_cmp_eq_u32 s4, 0
	s_waitcnt vmcnt(0) lgkmcnt(0)
	v_mul_f64 v[14:15], s[10:11], v[10:11]
	v_mul_f64 v[16:17], s[8:9], v[10:11]
	v_fma_f64 v[14:15], s[8:9], v[8:9], -v[14:15]
	v_fmac_f64_e32 v[16:17], s[10:11], v[8:9]
	ds_write_b128 v2, v[14:17]
	v_add_u32_e32 v2, 16, v2
	s_cbranch_scc0 .LBB210_41
; %bb.42:                               ;   in Loop: Header=BB210_40 Depth=2
	s_cmp_le_i32 s14, s2
	s_mov_b32 s6, s19
	s_mov_b32 s4, s14
	s_cbranch_scc1 .LBB210_46
.LBB210_43:                             ;   Parent Loop BB210_37 Depth=1
                                        ;     Parent Loop BB210_40 Depth=2
                                        ; =>    This Loop Header: Depth=3
                                        ;         Child Loop BB210_44 Depth 4
	s_ashr_i32 s5, s4, 31
	v_lshl_add_u64 v[0:1], s[4:5], 4, v[4:5]
	flat_load_dwordx4 v[0:3], v[0:1]
	v_mov_b32_e32 v8, v12
	s_mov_b32 s5, s6
	s_mov_b32 s7, s18
.LBB210_44:                             ;   Parent Loop BB210_37 Depth=1
                                        ;     Parent Loop BB210_40 Depth=2
                                        ;       Parent Loop BB210_43 Depth=3
                                        ; =>      This Inner Loop Header: Depth=4
	v_mov_b32_e32 v9, s5
	ds_read_b128 v[18:21], v9
	ds_read_b128 v[14:17], v8
	s_add_i32 s7, s7, -1
	s_add_i32 s5, s5, -16
	s_cmp_eq_u32 s7, 0
	s_waitcnt vmcnt(0) lgkmcnt(0)
	v_mul_f64 v[10:11], v[2:3], v[20:21]
	v_mul_f64 v[20:21], v[0:1], v[20:21]
	v_fma_f64 v[10:11], v[0:1], v[18:19], -v[10:11]
	v_fmac_f64_e32 v[20:21], v[2:3], v[18:19]
	v_add_f64 v[14:15], v[14:15], -v[10:11]
	v_add_f64 v[16:17], v[16:17], -v[20:21]
	ds_write_b128 v8, v[14:17]
	v_add_u32_e32 v8, 16, v8
	s_cbranch_scc0 .LBB210_44
; %bb.45:                               ;   in Loop: Header=BB210_43 Depth=3
	s_add_i32 s4, s4, -1
	s_addk_i32 s6, 0xff40
	s_cmp_le_i32 s4, s2
	s_cbranch_scc0 .LBB210_43
.LBB210_46:                             ;   in Loop: Header=BB210_40 Depth=2
	s_mov_b32 s23, 0
	s_mov_b32 s24, s21
	s_branch .LBB210_48
.LBB210_47:                             ;   in Loop: Header=BB210_48 Depth=3
	s_mulk_i32 s6, 0xd0
	v_mov_b32_e32 v9, s6
	ds_read_b128 v[14:17], v9
	s_add_i32 s23, s23, 1
	s_add_i32 s24, s24, -16
	v_lshl_add_u64 v[10:11], s[4:5], 4, v[4:5]
	s_cmp_eq_u32 s23, s18
	s_waitcnt lgkmcnt(0)
	v_mul_f64 v[18:19], v[16:17], v[2:3]
	v_mul_f64 v[20:21], v[14:15], v[2:3]
	v_fma_f64 v[18:19], v[14:15], v[0:1], -v[18:19]
	v_fmac_f64_e32 v[20:21], v[16:17], v[0:1]
	ds_write_b128 v8, v[18:21]
	flat_store_dwordx4 v[10:11], v[18:21]
	s_cbranch_scc1 .LBB210_39
.LBB210_48:                             ;   Parent Loop BB210_37 Depth=1
                                        ;     Parent Loop BB210_40 Depth=2
                                        ; =>    This Loop Header: Depth=3
                                        ;         Child Loop BB210_50 Depth 4
	s_cmp_lg_u32 s23, 0
	v_lshl_add_u32 v8, s23, 4, v12
	s_cbranch_scc0 .LBB210_52
; %bb.49:                               ;   in Loop: Header=BB210_48 Depth=3
	ds_read_b128 v[0:3], v8
	v_mov_b32_e32 v9, v12
	s_mov_b32 s4, s24
	s_mov_b32 s5, s23
.LBB210_50:                             ;   Parent Loop BB210_37 Depth=1
                                        ;     Parent Loop BB210_40 Depth=2
                                        ;       Parent Loop BB210_48 Depth=3
                                        ; =>      This Inner Loop Header: Depth=4
	v_mov_b32_e32 v10, s4
	ds_read_b128 v[14:17], v9
	ds_read_b128 v[18:21], v10
	s_add_i32 s5, s5, -1
	s_addk_i32 s4, 0xff40
	v_add_u32_e32 v9, 16, v9
	s_cmp_eq_u32 s5, 0
	s_waitcnt lgkmcnt(0)
	v_mul_f64 v[10:11], v[20:21], v[16:17]
	v_mul_f64 v[16:17], v[18:19], v[16:17]
	v_fma_f64 v[10:11], v[18:19], v[14:15], -v[10:11]
	v_fmac_f64_e32 v[16:17], v[20:21], v[14:15]
	v_add_f64 v[0:1], v[0:1], -v[10:11]
	v_add_f64 v[2:3], v[2:3], -v[16:17]
	ds_write_b128 v8, v[0:3]
	s_cbranch_scc0 .LBB210_50
; %bb.51:                               ;   in Loop: Header=BB210_48 Depth=3
	s_sub_i32 s6, s2, s23
	s_ashr_i32 s7, s6, 31
	s_mov_b64 s[4:5], s[6:7]
	s_branch .LBB210_47
.LBB210_52:                             ;   in Loop: Header=BB210_48 Depth=3
                                        ; implicit-def: $vgpr0_vgpr1
                                        ; implicit-def: $sgpr6
                                        ; implicit-def: $sgpr4_sgpr5
	s_cbranch_execz .LBB210_47
; %bb.53:                               ;   in Loop: Header=BB210_48 Depth=3
	ds_read_b128 v[0:3], v12
	s_mov_b64 s[4:5], s[2:3]
	s_mov_b32 s6, s2
	s_branch .LBB210_47
.LBB210_54:
	s_endpgm
	.section	.rodata,"a",@progbits
	.p2align	6, 0x0
	.amdhsa_kernel _ZL30rocblas_trsm_small_left_deviceILi12ELi12ELb0E19rocblas_complex_numIdES1_PKPKS1_PKPS1_Ev13rocblas_fill_18rocblas_operation_17rocblas_diagonal_iiT3_T4_lilT5_lili
		.amdhsa_group_segment_fixed_size 4608
		.amdhsa_private_segment_fixed_size 0
		.amdhsa_kernarg_size 368
		.amdhsa_user_sgpr_count 4
		.amdhsa_user_sgpr_dispatch_ptr 1
		.amdhsa_user_sgpr_queue_ptr 0
		.amdhsa_user_sgpr_kernarg_segment_ptr 1
		.amdhsa_user_sgpr_dispatch_id 0
		.amdhsa_user_sgpr_kernarg_preload_length 0
		.amdhsa_user_sgpr_kernarg_preload_offset 0
		.amdhsa_user_sgpr_private_segment_size 0
		.amdhsa_uses_dynamic_stack 0
		.amdhsa_enable_private_segment 0
		.amdhsa_system_sgpr_workgroup_id_x 1
		.amdhsa_system_sgpr_workgroup_id_y 0
		.amdhsa_system_sgpr_workgroup_id_z 1
		.amdhsa_system_sgpr_workgroup_info 0
		.amdhsa_system_vgpr_workitem_id 2
		.amdhsa_next_free_vgpr 26
		.amdhsa_next_free_sgpr 30
		.amdhsa_accum_offset 28
		.amdhsa_reserve_vcc 1
		.amdhsa_float_round_mode_32 0
		.amdhsa_float_round_mode_16_64 0
		.amdhsa_float_denorm_mode_32 3
		.amdhsa_float_denorm_mode_16_64 3
		.amdhsa_dx10_clamp 1
		.amdhsa_ieee_mode 1
		.amdhsa_fp16_overflow 0
		.amdhsa_tg_split 0
		.amdhsa_exception_fp_ieee_invalid_op 0
		.amdhsa_exception_fp_denorm_src 0
		.amdhsa_exception_fp_ieee_div_zero 0
		.amdhsa_exception_fp_ieee_overflow 0
		.amdhsa_exception_fp_ieee_underflow 0
		.amdhsa_exception_fp_ieee_inexact 0
		.amdhsa_exception_int_div_zero 0
	.end_amdhsa_kernel
	.section	.text._ZL30rocblas_trsm_small_left_deviceILi12ELi12ELb0E19rocblas_complex_numIdES1_PKPKS1_PKPS1_Ev13rocblas_fill_18rocblas_operation_17rocblas_diagonal_iiT3_T4_lilT5_lili,"axG",@progbits,_ZL30rocblas_trsm_small_left_deviceILi12ELi12ELb0E19rocblas_complex_numIdES1_PKPKS1_PKPS1_Ev13rocblas_fill_18rocblas_operation_17rocblas_diagonal_iiT3_T4_lilT5_lili,comdat
.Lfunc_end210:
	.size	_ZL30rocblas_trsm_small_left_deviceILi12ELi12ELb0E19rocblas_complex_numIdES1_PKPKS1_PKPS1_Ev13rocblas_fill_18rocblas_operation_17rocblas_diagonal_iiT3_T4_lilT5_lili, .Lfunc_end210-_ZL30rocblas_trsm_small_left_deviceILi12ELi12ELb0E19rocblas_complex_numIdES1_PKPKS1_PKPS1_Ev13rocblas_fill_18rocblas_operation_17rocblas_diagonal_iiT3_T4_lilT5_lili
                                        ; -- End function
	.set _ZL30rocblas_trsm_small_left_deviceILi12ELi12ELb0E19rocblas_complex_numIdES1_PKPKS1_PKPS1_Ev13rocblas_fill_18rocblas_operation_17rocblas_diagonal_iiT3_T4_lilT5_lili.num_vgpr, 26
	.set _ZL30rocblas_trsm_small_left_deviceILi12ELi12ELb0E19rocblas_complex_numIdES1_PKPKS1_PKPS1_Ev13rocblas_fill_18rocblas_operation_17rocblas_diagonal_iiT3_T4_lilT5_lili.num_agpr, 0
	.set _ZL30rocblas_trsm_small_left_deviceILi12ELi12ELb0E19rocblas_complex_numIdES1_PKPKS1_PKPS1_Ev13rocblas_fill_18rocblas_operation_17rocblas_diagonal_iiT3_T4_lilT5_lili.numbered_sgpr, 30
	.set _ZL30rocblas_trsm_small_left_deviceILi12ELi12ELb0E19rocblas_complex_numIdES1_PKPKS1_PKPS1_Ev13rocblas_fill_18rocblas_operation_17rocblas_diagonal_iiT3_T4_lilT5_lili.num_named_barrier, 0
	.set _ZL30rocblas_trsm_small_left_deviceILi12ELi12ELb0E19rocblas_complex_numIdES1_PKPKS1_PKPS1_Ev13rocblas_fill_18rocblas_operation_17rocblas_diagonal_iiT3_T4_lilT5_lili.private_seg_size, 0
	.set _ZL30rocblas_trsm_small_left_deviceILi12ELi12ELb0E19rocblas_complex_numIdES1_PKPKS1_PKPS1_Ev13rocblas_fill_18rocblas_operation_17rocblas_diagonal_iiT3_T4_lilT5_lili.uses_vcc, 1
	.set _ZL30rocblas_trsm_small_left_deviceILi12ELi12ELb0E19rocblas_complex_numIdES1_PKPKS1_PKPS1_Ev13rocblas_fill_18rocblas_operation_17rocblas_diagonal_iiT3_T4_lilT5_lili.uses_flat_scratch, 0
	.set _ZL30rocblas_trsm_small_left_deviceILi12ELi12ELb0E19rocblas_complex_numIdES1_PKPKS1_PKPS1_Ev13rocblas_fill_18rocblas_operation_17rocblas_diagonal_iiT3_T4_lilT5_lili.has_dyn_sized_stack, 0
	.set _ZL30rocblas_trsm_small_left_deviceILi12ELi12ELb0E19rocblas_complex_numIdES1_PKPKS1_PKPS1_Ev13rocblas_fill_18rocblas_operation_17rocblas_diagonal_iiT3_T4_lilT5_lili.has_recursion, 0
	.set _ZL30rocblas_trsm_small_left_deviceILi12ELi12ELb0E19rocblas_complex_numIdES1_PKPKS1_PKPS1_Ev13rocblas_fill_18rocblas_operation_17rocblas_diagonal_iiT3_T4_lilT5_lili.has_indirect_call, 0
	.section	.AMDGPU.csdata,"",@progbits
; Kernel info:
; codeLenInByte = 2340
; TotalNumSgprs: 36
; NumVgprs: 26
; NumAgprs: 0
; TotalNumVgprs: 26
; ScratchSize: 0
; MemoryBound: 0
; FloatMode: 240
; IeeeMode: 1
; LDSByteSize: 4608 bytes/workgroup (compile time only)
; SGPRBlocks: 4
; VGPRBlocks: 3
; NumSGPRsForWavesPerEU: 36
; NumVGPRsForWavesPerEU: 26
; AccumOffset: 28
; Occupancy: 8
; WaveLimiterHint : 1
; COMPUTE_PGM_RSRC2:SCRATCH_EN: 0
; COMPUTE_PGM_RSRC2:USER_SGPR: 4
; COMPUTE_PGM_RSRC2:TRAP_HANDLER: 0
; COMPUTE_PGM_RSRC2:TGID_X_EN: 1
; COMPUTE_PGM_RSRC2:TGID_Y_EN: 0
; COMPUTE_PGM_RSRC2:TGID_Z_EN: 1
; COMPUTE_PGM_RSRC2:TIDIG_COMP_CNT: 2
; COMPUTE_PGM_RSRC3_GFX90A:ACCUM_OFFSET: 6
; COMPUTE_PGM_RSRC3_GFX90A:TG_SPLIT: 0
	.section	.text._ZL38rocblas_trsm_small_left_device_sharedBILi12ELi12ELb1E19rocblas_complex_numIdES1_PKPKS1_PKPS1_Ev13rocblas_fill_18rocblas_operation_17rocblas_diagonal_iiT3_T4_lilT5_lili,"axG",@progbits,_ZL38rocblas_trsm_small_left_device_sharedBILi12ELi12ELb1E19rocblas_complex_numIdES1_PKPKS1_PKPS1_Ev13rocblas_fill_18rocblas_operation_17rocblas_diagonal_iiT3_T4_lilT5_lili,comdat
	.globl	_ZL38rocblas_trsm_small_left_device_sharedBILi12ELi12ELb1E19rocblas_complex_numIdES1_PKPKS1_PKPS1_Ev13rocblas_fill_18rocblas_operation_17rocblas_diagonal_iiT3_T4_lilT5_lili ; -- Begin function _ZL38rocblas_trsm_small_left_device_sharedBILi12ELi12ELb1E19rocblas_complex_numIdES1_PKPKS1_PKPS1_Ev13rocblas_fill_18rocblas_operation_17rocblas_diagonal_iiT3_T4_lilT5_lili
	.p2align	8
	.type	_ZL38rocblas_trsm_small_left_device_sharedBILi12ELi12ELb1E19rocblas_complex_numIdES1_PKPKS1_PKPS1_Ev13rocblas_fill_18rocblas_operation_17rocblas_diagonal_iiT3_T4_lilT5_lili,@function
_ZL38rocblas_trsm_small_left_device_sharedBILi12ELi12ELb1E19rocblas_complex_numIdES1_PKPKS1_PKPS1_Ev13rocblas_fill_18rocblas_operation_17rocblas_diagonal_iiT3_T4_lilT5_lili: ; @_ZL38rocblas_trsm_small_left_device_sharedBILi12ELi12ELb1E19rocblas_complex_numIdES1_PKPKS1_PKPS1_Ev13rocblas_fill_18rocblas_operation_17rocblas_diagonal_iiT3_T4_lilT5_lili
; %bb.0:
	s_load_dwordx4 s[12:15], s[0:1], 0x4
	s_load_dwordx4 s[16:19], s[0:1], 0x48
	s_load_dwordx8 s[4:11], s[0:1], 0x18
	s_mov_b32 s20, s3
	s_mov_b32 s21, 0
	s_lshl_b64 s[22:23], s[20:21], 3
	s_waitcnt lgkmcnt(0)
	s_add_u32 s16, s16, s22
	s_addc_u32 s17, s17, s23
	s_load_dword s3, s[0:1], 0x70
	s_min_i32 s24, s14, 12
	s_load_dwordx2 s[16:17], s[16:17], 0x0
	v_cmp_gt_i32_e32 vcc, s24, v0
	s_and_saveexec_b64 s[20:21], vcc
	s_cbranch_execz .LBB211_11
; %bb.1:
	s_load_dword s26, s[0:1], 0x38
	v_lshlrev_b32_e32 v2, 4, v0
	v_mov_b32_e32 v3, 0
	v_mov_b32_e32 v1, v2
	s_waitcnt lgkmcnt(0)
	s_ashr_i32 s27, s26, 31
	s_cmpk_eq_i32 s12, 0x71
	s_cselect_b64 vcc, -1, 0
	s_add_u32 s8, s8, s22
	s_addc_u32 s9, s9, s23
	s_load_dwordx2 s[8:9], s[8:9], 0x0
	s_lshl_b64 s[10:11], s[10:11], 4
	s_waitcnt lgkmcnt(0)
	s_add_u32 s10, s8, s10
	s_addc_u32 s11, s9, s11
	s_lshl_b64 s[8:9], s[26:27], 4
	v_lshl_add_u64 v[4:5], s[10:11], 0, v[2:3]
	s_mov_b32 s10, s24
.LBB211_2:                              ; =>This Inner Loop Header: Depth=1
	flat_load_dwordx4 v[6:9], v[4:5]
	s_add_i32 s10, s10, -1
	v_lshl_add_u64 v[4:5], v[4:5], 0, s[8:9]
	s_cmp_eq_u32 s10, 0
	s_waitcnt vmcnt(0) lgkmcnt(0)
	v_xor_b32_e32 v3, 0x80000000, v9
	v_cndmask_b32_e32 v9, v9, v3, vcc
	ds_write_b128 v1, v[6:9]
	v_add_u32_e32 v1, 0xc0, v1
	s_cbranch_scc0 .LBB211_2
; %bb.3:
	v_mul_u32_u24_e32 v1, 0xc0, v0
	s_cmpk_lg_i32 s13, 0x84
	v_add_u32_e32 v1, v2, v1
	s_cbranch_scc0 .LBB211_9
; %bb.4:
	ds_read_b128 v[2:5], v1
                                        ; implicit-def: $vgpr8_vgpr9
	s_waitcnt lgkmcnt(0)
	v_cmp_ngt_f64_e64 s[8:9], |v[2:3]|, |v[4:5]|
	s_and_saveexec_b64 s[10:11], s[8:9]
	s_xor_b64 s[8:9], exec, s[10:11]
	s_cbranch_execz .LBB211_6
; %bb.5:
	v_div_scale_f64 v[6:7], s[10:11], v[4:5], v[4:5], v[2:3]
	v_rcp_f64_e32 v[8:9], v[6:7]
	v_div_scale_f64 v[10:11], vcc, v[2:3], v[4:5], v[2:3]
	v_fma_f64 v[12:13], -v[6:7], v[8:9], 1.0
	v_fmac_f64_e32 v[8:9], v[8:9], v[12:13]
	v_fma_f64 v[12:13], -v[6:7], v[8:9], 1.0
	v_fmac_f64_e32 v[8:9], v[8:9], v[12:13]
	v_mul_f64 v[12:13], v[10:11], v[8:9]
	v_fma_f64 v[6:7], -v[6:7], v[12:13], v[10:11]
	v_div_fmas_f64 v[6:7], v[6:7], v[8:9], v[12:13]
	v_div_fixup_f64 v[8:9], v[6:7], v[4:5], v[2:3]
	v_fmac_f64_e32 v[4:5], v[2:3], v[8:9]
	v_div_scale_f64 v[2:3], s[10:11], v[4:5], v[4:5], 1.0
	v_rcp_f64_e32 v[6:7], v[2:3]
	s_nop 0
	v_fma_f64 v[10:11], -v[2:3], v[6:7], 1.0
	v_fmac_f64_e32 v[6:7], v[6:7], v[10:11]
	v_fma_f64 v[10:11], -v[2:3], v[6:7], 1.0
	v_fmac_f64_e32 v[6:7], v[6:7], v[10:11]
	v_div_scale_f64 v[10:11], vcc, 1.0, v[4:5], 1.0
	v_mul_f64 v[12:13], v[10:11], v[6:7]
	v_fma_f64 v[2:3], -v[2:3], v[12:13], v[10:11]
	s_nop 1
	v_div_fmas_f64 v[2:3], v[2:3], v[6:7], v[12:13]
	v_div_fixup_f64 v[2:3], v[2:3], v[4:5], 1.0
	v_add_f64 v[4:5], v[8:9], 0
	v_mul_f64 v[6:7], v[4:5], v[2:3]
	v_fma_f64 v[4:5], v[8:9], 0, -1.0
	v_mul_f64 v[8:9], v[4:5], v[2:3]
                                        ; implicit-def: $vgpr2_vgpr3
.LBB211_6:
	s_andn2_saveexec_b64 s[8:9], s[8:9]
	s_cbranch_execz .LBB211_8
; %bb.7:
	v_div_scale_f64 v[6:7], s[10:11], v[2:3], v[2:3], v[4:5]
	v_rcp_f64_e32 v[8:9], v[6:7]
	v_div_scale_f64 v[10:11], vcc, v[4:5], v[2:3], v[4:5]
	v_fma_f64 v[12:13], -v[6:7], v[8:9], 1.0
	v_fmac_f64_e32 v[8:9], v[8:9], v[12:13]
	v_fma_f64 v[12:13], -v[6:7], v[8:9], 1.0
	v_fmac_f64_e32 v[8:9], v[8:9], v[12:13]
	v_mul_f64 v[12:13], v[10:11], v[8:9]
	v_fma_f64 v[6:7], -v[6:7], v[12:13], v[10:11]
	v_div_fmas_f64 v[6:7], v[6:7], v[8:9], v[12:13]
	v_div_fixup_f64 v[8:9], v[6:7], v[2:3], v[4:5]
	v_fmac_f64_e32 v[2:3], v[4:5], v[8:9]
	v_div_scale_f64 v[4:5], s[10:11], v[2:3], v[2:3], 1.0
	v_rcp_f64_e32 v[6:7], v[4:5]
	s_nop 0
	v_fma_f64 v[10:11], -v[4:5], v[6:7], 1.0
	v_fmac_f64_e32 v[6:7], v[6:7], v[10:11]
	v_fma_f64 v[10:11], -v[4:5], v[6:7], 1.0
	v_fmac_f64_e32 v[6:7], v[6:7], v[10:11]
	v_div_scale_f64 v[10:11], vcc, 1.0, v[2:3], 1.0
	v_mul_f64 v[12:13], v[10:11], v[6:7]
	v_fma_f64 v[4:5], -v[4:5], v[12:13], v[10:11]
	s_nop 1
	v_div_fmas_f64 v[4:5], v[4:5], v[6:7], v[12:13]
	v_div_fixup_f64 v[2:3], v[4:5], v[2:3], 1.0
	v_fma_f64 v[4:5], v[8:9], 0, 1.0
	v_mul_f64 v[6:7], v[4:5], v[2:3]
	v_add_f64 v[4:5], -v[8:9], 0
	v_mul_f64 v[8:9], v[4:5], v[2:3]
.LBB211_8:
	s_or_b64 exec, exec, s[8:9]
	s_branch .LBB211_10
.LBB211_9:
	v_mov_b64_e32 v[8:9], 0
	v_mov_b64_e32 v[6:7], 1.0
.LBB211_10:
	ds_write_b128 v1, v[6:9]
.LBB211_11:
	s_or_b64 exec, exec, s[20:21]
	s_load_dword s13, s[0:1], 0x58
	s_lshl_b64 s[0:1], s[18:19], 4
	s_waitcnt lgkmcnt(0)
	s_add_u32 s8, s16, s0
	s_mul_i32 s0, s2, -12
	s_addc_u32 s9, s17, s1
	s_add_i32 s3, s3, -1
	s_add_i32 s0, s15, s0
	s_cmp_ge_u32 s2, s3
	s_mul_i32 s2, s2, 12
	s_cselect_b32 s10, s0, 12
	s_mul_hi_i32 s1, s13, s2
	s_mul_i32 s0, s13, s2
	s_lshl_b64 s[0:1], s[0:1], 4
	s_add_u32 s2, s8, s0
	s_addc_u32 s3, s9, s1
	s_cmp_gt_i32 s14, 0
	v_cmp_gt_i32_e64 s[0:1], s10, v0
	s_cselect_b64 s[8:9], -1, 0
	s_and_b64 s[14:15], s[0:1], s[8:9]
	s_and_saveexec_b64 s[10:11], s[14:15]
	s_cbranch_execz .LBB211_14
; %bb.12:
	v_mad_i64_i32 v[2:3], s[14:15], s13, v0, 0
	v_mov_b32_e32 v1, 0x900
	v_lshl_add_u64 v[2:3], v[2:3], 4, s[2:3]
	v_lshl_or_b32 v1, v0, 4, v1
	s_mov_b32 s14, s24
.LBB211_13:                             ; =>This Inner Loop Header: Depth=1
	flat_load_dwordx4 v[4:7], v[2:3]
	s_add_i32 s14, s14, -1
	v_lshl_add_u64 v[2:3], v[2:3], 0, 16
	s_cmp_lg_u32 s14, 0
	s_waitcnt vmcnt(0) lgkmcnt(0)
	v_mul_f64 v[10:11], s[6:7], v[6:7]
	v_mul_f64 v[8:9], s[4:5], v[6:7]
	v_fma_f64 v[6:7], s[4:5], v[4:5], -v[10:11]
	v_fmac_f64_e32 v[8:9], s[6:7], v[4:5]
	ds_write_b128 v1, v[6:9]
	v_add_u32_e32 v1, 0xc0, v1
	s_cbranch_scc1 .LBB211_13
.LBB211_14:
	s_or_b64 exec, exec, s[10:11]
	v_mov_b32_e32 v1, 0x900
	s_cmpk_eq_i32 s12, 0x6f
	v_lshl_or_b32 v1, v0, 4, v1
	s_mov_b64 s[4:5], -1
	s_waitcnt lgkmcnt(0)
	; wave barrier
	s_cbranch_scc1 .LBB211_35
; %bb.15:
	s_add_i32 s10, s24, -1
	s_lshl_b32 s11, s24, 4
	s_mov_b32 s5, 0
	s_add_i32 s11, s11, -16
	s_mov_b32 s4, s5
	s_mov_b32 s12, s10
	s_branch .LBB211_17
.LBB211_16:                             ;   in Loop: Header=BB211_17 Depth=1
	s_cmp_lt_i32 s12, 0
	s_cselect_b64 s[6:7], -1, 0
	s_add_i32 s4, s4, 1
	s_cmp_eq_u32 s4, 3
	s_cselect_b64 s[14:15], -1, 0
	s_or_b64 s[6:7], s[6:7], s[14:15]
	s_andn2_b64 vcc, exec, s[6:7]
	s_cbranch_vccz .LBB211_34
.LBB211_17:                             ; =>This Loop Header: Depth=1
                                        ;     Child Loop BB211_20 Depth 2
                                        ;       Child Loop BB211_21 Depth 3
                                        ;       Child Loop BB211_23 Depth 3
                                        ;         Child Loop BB211_24 Depth 4
                                        ;       Child Loop BB211_28 Depth 3
                                        ;         Child Loop BB211_30 Depth 4
	s_lshl_b64 s[6:7], s[4:5], 2
	s_getpc_b64 s[14:15]
	s_add_u32 s14, s14, __const._ZL38rocblas_trsm_small_left_device_sharedBILi12ELi12ELb1E19rocblas_complex_numIdES1_PKPKS1_PKPS1_Ev13rocblas_fill_18rocblas_operation_17rocblas_diagonal_iiT3_T4_lilT5_lili.step_sizes@rel32@lo+4
	s_addc_u32 s15, s15, __const._ZL38rocblas_trsm_small_left_device_sharedBILi12ELi12ELb1E19rocblas_complex_numIdES1_PKPKS1_PKPS1_Ev13rocblas_fill_18rocblas_operation_17rocblas_diagonal_iiT3_T4_lilT5_lili.step_sizes@rel32@hi+12
	s_add_u32 s6, s14, s6
	s_addc_u32 s7, s15, s7
	s_load_dword s14, s[6:7], 0x0
	s_waitcnt lgkmcnt(0)
	s_add_i32 s15, s14, -1
	s_cmp_lt_i32 s12, s15
	s_cbranch_scc1 .LBB211_16
; %bb.18:                               ;   in Loop: Header=BB211_17 Depth=1
	s_mul_i32 s6, s12, 0xc0
	s_max_i32 s16, s14, 1
	v_add_u32_e32 v6, s6, v1
	s_mul_i32 s17, s14, 0xffffff40
	s_add_i32 s18, s11, s6
	s_mul_i32 s19, s12, 0xd0
	s_mul_i32 s20, s14, 0xffffff30
	s_branch .LBB211_20
.LBB211_19:                             ;   in Loop: Header=BB211_20 Depth=2
	s_sub_i32 s12, s12, s14
	s_add_i32 s18, s18, s17
	s_add_i32 s19, s19, s20
	s_cmp_lt_i32 s12, s15
	v_add_u32_e32 v6, s17, v6
	s_cbranch_scc1 .LBB211_16
.LBB211_20:                             ;   Parent Loop BB211_17 Depth=1
                                        ; =>  This Loop Header: Depth=2
                                        ;       Child Loop BB211_21 Depth 3
                                        ;       Child Loop BB211_23 Depth 3
                                        ;         Child Loop BB211_24 Depth 4
                                        ;       Child Loop BB211_28 Depth 3
                                        ;         Child Loop BB211_30 Depth 4
	s_mov_b32 s6, 0
	v_mov_b32_e32 v2, v6
	s_mov_b32 s7, s16
.LBB211_21:                             ;   Parent Loop BB211_17 Depth=1
                                        ;     Parent Loop BB211_20 Depth=2
                                        ; =>    This Inner Loop Header: Depth=3
	ds_read_b128 v[8:11], v2
	s_add_i32 s7, s7, -1
	v_add_u32_e32 v2, 0xffffff40, v2
	s_waitcnt lgkmcnt(0)
	scratch_store_dwordx4 off, v[8:11], s6
	s_add_i32 s6, s6, 16
	s_cmp_eq_u32 s7, 0
	s_cbranch_scc0 .LBB211_21
; %bb.22:                               ;   in Loop: Header=BB211_20 Depth=2
	s_cmp_le_i32 s10, s12
	s_mov_b32 s6, s18
	s_mov_b32 s7, s10
	s_cbranch_scc1 .LBB211_26
.LBB211_23:                             ;   Parent Loop BB211_17 Depth=1
                                        ;     Parent Loop BB211_20 Depth=2
                                        ; =>    This Loop Header: Depth=3
                                        ;         Child Loop BB211_24 Depth 4
	s_mul_i32 s21, s7, 0xc0
	v_add_u32_e32 v2, s21, v1
	ds_read_b128 v[2:5], v2
	s_mov_b32 s21, 0
	s_mov_b32 s22, s6
	;; [unrolled: 1-line block ×3, first 2 shown]
.LBB211_24:                             ;   Parent Loop BB211_17 Depth=1
                                        ;     Parent Loop BB211_20 Depth=2
                                        ;       Parent Loop BB211_23 Depth=3
                                        ; =>      This Inner Loop Header: Depth=4
	scratch_load_dwordx4 v[8:11], off, s21
	v_mov_b32_e32 v7, s22
	ds_read_b128 v[12:15], v7
	s_add_i32 s23, s23, -1
	s_addk_i32 s22, 0xff40
	s_waitcnt lgkmcnt(0)
	v_mul_f64 v[16:17], v[4:5], v[14:15]
	v_mul_f64 v[14:15], v[2:3], v[14:15]
	v_fma_f64 v[16:17], v[2:3], v[12:13], -v[16:17]
	v_fmac_f64_e32 v[14:15], v[4:5], v[12:13]
	s_waitcnt vmcnt(0)
	v_add_f64 v[8:9], v[8:9], -v[16:17]
	v_add_f64 v[10:11], v[10:11], -v[14:15]
	scratch_store_dwordx4 off, v[8:11], s21
	s_add_i32 s21, s21, 16
	s_cmp_eq_u32 s23, 0
	s_cbranch_scc0 .LBB211_24
; %bb.25:                               ;   in Loop: Header=BB211_23 Depth=3
	s_add_i32 s7, s7, -1
	s_add_i32 s6, s6, -16
	s_cmp_le_i32 s7, s12
	s_cbranch_scc0 .LBB211_23
.LBB211_26:                             ;   in Loop: Header=BB211_20 Depth=2
	s_mul_i32 s21, s12, 0xc0
	s_mov_b32 s22, 0
	s_mov_b32 s23, s19
	s_branch .LBB211_28
.LBB211_27:                             ;   in Loop: Header=BB211_28 Depth=3
	s_mul_i32 s6, s26, 0xd0
	v_mov_b32_e32 v7, s6
	ds_read_b128 v[8:11], v7
	s_lshl_b32 s6, s22, 4
	s_add_i32 s22, s22, 1
	s_addk_i32 s23, 0xff40
	s_cmp_eq_u32 s22, s16
	s_waitcnt vmcnt(0) lgkmcnt(0)
	v_mul_f64 v[12:13], v[10:11], v[4:5]
	v_mul_f64 v[14:15], v[8:9], v[4:5]
	v_fma_f64 v[12:13], v[8:9], v[2:3], -v[12:13]
	v_fmac_f64_e32 v[14:15], v[10:11], v[2:3]
	v_add_u32_e32 v2, s25, v1
	scratch_store_dwordx4 off, v[12:15], s6
	ds_write_b128 v2, v[12:15]
	s_cbranch_scc1 .LBB211_19
.LBB211_28:                             ;   Parent Loop BB211_17 Depth=1
                                        ;     Parent Loop BB211_20 Depth=2
                                        ; =>    This Loop Header: Depth=3
                                        ;         Child Loop BB211_30 Depth 4
	s_cmp_lg_u32 s22, 0
	s_cbranch_scc0 .LBB211_32
; %bb.29:                               ;   in Loop: Header=BB211_28 Depth=3
	s_lshl_b32 s6, s22, 4
	scratch_load_dwordx4 v[2:5], off, s6
	s_sub_i32 s26, s12, s22
	s_mul_i32 s25, s26, 0xc0
	s_mov_b32 s7, 0
	s_mov_b32 s27, s23
	;; [unrolled: 1-line block ×3, first 2 shown]
.LBB211_30:                             ;   Parent Loop BB211_17 Depth=1
                                        ;     Parent Loop BB211_20 Depth=2
                                        ;       Parent Loop BB211_28 Depth=3
                                        ; =>      This Inner Loop Header: Depth=4
	scratch_load_dwordx4 v[8:11], off, s7
	v_mov_b32_e32 v7, s27
	ds_read_b128 v[12:15], v7
	s_add_i32 s28, s28, -1
	s_add_i32 s27, s27, -16
	s_add_i32 s7, s7, 16
	s_cmp_eq_u32 s28, 0
	s_waitcnt vmcnt(0) lgkmcnt(0)
	v_mul_f64 v[16:17], v[14:15], v[10:11]
	v_mul_f64 v[10:11], v[12:13], v[10:11]
	v_fma_f64 v[12:13], v[12:13], v[8:9], -v[16:17]
	v_fmac_f64_e32 v[10:11], v[14:15], v[8:9]
	v_add_f64 v[2:3], v[2:3], -v[12:13]
	v_add_f64 v[4:5], v[4:5], -v[10:11]
	scratch_store_dwordx4 off, v[2:5], s6
	s_cbranch_scc0 .LBB211_30
; %bb.31:                               ;   in Loop: Header=BB211_28 Depth=3
	s_branch .LBB211_27
.LBB211_32:                             ;   in Loop: Header=BB211_28 Depth=3
                                        ; implicit-def: $vgpr2_vgpr3
                                        ; implicit-def: $sgpr26
                                        ; implicit-def: $sgpr25
	s_cbranch_execz .LBB211_27
; %bb.33:                               ;   in Loop: Header=BB211_28 Depth=3
	scratch_load_dwordx4 v[2:5], off, off
	s_mov_b32 s25, s21
	s_mov_b32 s26, s12
	s_branch .LBB211_27
.LBB211_34:
	s_mov_b64 s[4:5], 0
.LBB211_35:
	s_and_b64 vcc, exec, s[4:5]
	s_cbranch_vccz .LBB211_56
; %bb.36:
	v_mov_b32_e32 v2, 0x900
	s_mov_b32 s5, 0
	v_lshl_or_b32 v6, v0, 4, v2
	s_mov_b32 s4, s5
	s_mov_b32 s10, s5
	s_branch .LBB211_38
.LBB211_37:                             ;   in Loop: Header=BB211_38 Depth=1
	s_cmp_ge_i32 s10, s24
	s_cselect_b64 s[6:7], -1, 0
	s_add_i32 s4, s4, 1
	s_cmp_eq_u32 s4, 3
	s_cselect_b64 s[14:15], -1, 0
	s_or_b64 s[6:7], s[6:7], s[14:15]
	s_and_b64 vcc, exec, s[6:7]
	s_cbranch_vccnz .LBB211_56
.LBB211_38:                             ; =>This Loop Header: Depth=1
                                        ;     Child Loop BB211_41 Depth 2
                                        ;       Child Loop BB211_42 Depth 3
                                        ;       Child Loop BB211_45 Depth 3
                                        ;         Child Loop BB211_46 Depth 4
                                        ;       Child Loop BB211_50 Depth 3
                                        ;         Child Loop BB211_52 Depth 4
	s_lshl_b64 s[6:7], s[4:5], 2
	s_getpc_b64 s[14:15]
	s_add_u32 s14, s14, __const._ZL38rocblas_trsm_small_left_device_sharedBILi12ELi12ELb1E19rocblas_complex_numIdES1_PKPKS1_PKPS1_Ev13rocblas_fill_18rocblas_operation_17rocblas_diagonal_iiT3_T4_lilT5_lili.step_sizes@rel32@lo+4
	s_addc_u32 s15, s15, __const._ZL38rocblas_trsm_small_left_device_sharedBILi12ELi12ELb1E19rocblas_complex_numIdES1_PKPKS1_PKPS1_Ev13rocblas_fill_18rocblas_operation_17rocblas_diagonal_iiT3_T4_lilT5_lili.step_sizes@rel32@hi+12
	s_add_u32 s6, s14, s6
	s_addc_u32 s7, s15, s7
	s_load_dword s11, s[6:7], 0x0
	s_waitcnt lgkmcnt(0)
	s_add_i32 s12, s11, -1
	s_add_i32 s6, s12, s10
	s_cmp_ge_i32 s6, s24
	s_cbranch_scc1 .LBB211_37
; %bb.39:                               ;   in Loop: Header=BB211_38 Depth=1
	s_mul_i32 s6, s10, 0xc0
	s_max_i32 s14, s11, 1
	v_add_u32_e32 v7, s6, v6
	s_mul_i32 s15, s11, 0xc0
	s_lshl_b32 s16, s10, 4
	s_lshl_b32 s17, s11, 4
	s_mul_i32 s18, s10, 0xd0
	s_mul_i32 s19, s11, 0xd0
	s_branch .LBB211_41
.LBB211_40:                             ;   in Loop: Header=BB211_41 Depth=2
	s_add_i32 s10, s10, s11
	s_add_i32 s6, s12, s10
	s_add_i32 s16, s16, s17
	s_add_i32 s18, s18, s19
	s_cmp_ge_i32 s6, s24
	v_add_u32_e32 v7, s15, v7
	s_cbranch_scc1 .LBB211_37
.LBB211_41:                             ;   Parent Loop BB211_38 Depth=1
                                        ; =>  This Loop Header: Depth=2
                                        ;       Child Loop BB211_42 Depth 3
                                        ;       Child Loop BB211_45 Depth 3
                                        ;         Child Loop BB211_46 Depth 4
                                        ;       Child Loop BB211_50 Depth 3
                                        ;         Child Loop BB211_52 Depth 4
	s_mov_b32 s6, 0
	v_mov_b32_e32 v2, v7
	s_mov_b32 s7, s14
.LBB211_42:                             ;   Parent Loop BB211_38 Depth=1
                                        ;     Parent Loop BB211_41 Depth=2
                                        ; =>    This Inner Loop Header: Depth=3
	ds_read_b128 v[8:11], v2
	s_add_i32 s7, s7, -1
	v_add_u32_e32 v2, 0xc0, v2
	s_waitcnt lgkmcnt(0)
	scratch_store_dwordx4 off, v[8:11], s6
	s_add_i32 s6, s6, 16
	s_cmp_eq_u32 s7, 0
	s_cbranch_scc0 .LBB211_42
; %bb.43:                               ;   in Loop: Header=BB211_41 Depth=2
	s_cmp_lt_i32 s10, 1
	s_cbranch_scc1 .LBB211_48
; %bb.44:                               ;   in Loop: Header=BB211_41 Depth=2
	s_mov_b32 s6, 0
	s_mov_b32 s7, s16
.LBB211_45:                             ;   Parent Loop BB211_38 Depth=1
                                        ;     Parent Loop BB211_41 Depth=2
                                        ; =>    This Loop Header: Depth=3
                                        ;         Child Loop BB211_46 Depth 4
	s_mul_i32 s20, s6, 0xc0
	v_add_u32_e32 v2, s20, v1
	ds_read_b128 v[2:5], v2
	s_mov_b32 s20, 0
	s_mov_b32 s21, s7
	;; [unrolled: 1-line block ×3, first 2 shown]
.LBB211_46:                             ;   Parent Loop BB211_38 Depth=1
                                        ;     Parent Loop BB211_41 Depth=2
                                        ;       Parent Loop BB211_45 Depth=3
                                        ; =>      This Inner Loop Header: Depth=4
	scratch_load_dwordx4 v[8:11], off, s20
	v_mov_b32_e32 v12, s21
	ds_read_b128 v[12:15], v12
	s_add_i32 s22, s22, -1
	s_add_i32 s21, s21, 16
	s_waitcnt lgkmcnt(0)
	v_mul_f64 v[16:17], v[4:5], v[14:15]
	v_mul_f64 v[14:15], v[2:3], v[14:15]
	v_fma_f64 v[16:17], v[2:3], v[12:13], -v[16:17]
	v_fmac_f64_e32 v[14:15], v[4:5], v[12:13]
	s_waitcnt vmcnt(0)
	v_add_f64 v[8:9], v[8:9], -v[16:17]
	v_add_f64 v[10:11], v[10:11], -v[14:15]
	scratch_store_dwordx4 off, v[8:11], s20
	s_add_i32 s20, s20, 16
	s_cmp_eq_u32 s22, 0
	s_cbranch_scc0 .LBB211_46
; %bb.47:                               ;   in Loop: Header=BB211_45 Depth=3
	s_add_i32 s6, s6, 1
	s_addk_i32 s7, 0xc0
	s_cmp_eq_u32 s6, s10
	s_cbranch_scc0 .LBB211_45
.LBB211_48:                             ;   in Loop: Header=BB211_41 Depth=2
	s_mov_b32 s20, 0
	s_mov_b32 s21, s18
	s_branch .LBB211_50
.LBB211_49:                             ;   in Loop: Header=BB211_50 Depth=3
	s_add_i32 s6, s20, s10
	s_mul_i32 s7, s6, 0xd0
	v_mov_b32_e32 v8, s7
	ds_read_b128 v[8:11], v8
	s_lshl_b32 s7, s20, 4
	s_mulk_i32 s6, 0xc0
	s_add_i32 s20, s20, 1
	s_add_i32 s21, s21, 16
	s_waitcnt vmcnt(0) lgkmcnt(0)
	v_mul_f64 v[12:13], v[10:11], v[4:5]
	v_mul_f64 v[14:15], v[8:9], v[4:5]
	v_fma_f64 v[12:13], v[8:9], v[2:3], -v[12:13]
	v_fmac_f64_e32 v[14:15], v[10:11], v[2:3]
	v_add_u32_e32 v2, s6, v1
	s_cmp_eq_u32 s20, s14
	scratch_store_dwordx4 off, v[12:15], s7
	ds_write_b128 v2, v[12:15]
	s_cbranch_scc1 .LBB211_40
.LBB211_50:                             ;   Parent Loop BB211_38 Depth=1
                                        ;     Parent Loop BB211_41 Depth=2
                                        ; =>    This Loop Header: Depth=3
                                        ;         Child Loop BB211_52 Depth 4
	s_cmp_lg_u32 s20, 0
	s_cbranch_scc0 .LBB211_54
; %bb.51:                               ;   in Loop: Header=BB211_50 Depth=3
	s_lshl_b32 s6, s20, 4
	scratch_load_dwordx4 v[2:5], off, s6
	s_mov_b32 s7, 0
	s_mov_b32 s22, s21
	;; [unrolled: 1-line block ×3, first 2 shown]
.LBB211_52:                             ;   Parent Loop BB211_38 Depth=1
                                        ;     Parent Loop BB211_41 Depth=2
                                        ;       Parent Loop BB211_50 Depth=3
                                        ; =>      This Inner Loop Header: Depth=4
	scratch_load_dwordx4 v[8:11], off, s7
	v_mov_b32_e32 v12, s22
	ds_read_b128 v[12:15], v12
	s_add_i32 s23, s23, -1
	s_addk_i32 s22, 0xc0
	s_add_i32 s7, s7, 16
	s_cmp_eq_u32 s23, 0
	s_waitcnt vmcnt(0) lgkmcnt(0)
	v_mul_f64 v[16:17], v[14:15], v[10:11]
	v_mul_f64 v[10:11], v[12:13], v[10:11]
	v_fma_f64 v[12:13], v[12:13], v[8:9], -v[16:17]
	v_fmac_f64_e32 v[10:11], v[14:15], v[8:9]
	v_add_f64 v[2:3], v[2:3], -v[12:13]
	v_add_f64 v[4:5], v[4:5], -v[10:11]
	scratch_store_dwordx4 off, v[2:5], s6
	s_cbranch_scc0 .LBB211_52
; %bb.53:                               ;   in Loop: Header=BB211_50 Depth=3
	s_branch .LBB211_49
.LBB211_54:                             ;   in Loop: Header=BB211_50 Depth=3
                                        ; implicit-def: $vgpr2_vgpr3
	s_cbranch_execz .LBB211_49
; %bb.55:                               ;   in Loop: Header=BB211_50 Depth=3
	scratch_load_dwordx4 v[2:5], off, off
	s_branch .LBB211_49
.LBB211_56:
	s_waitcnt lgkmcnt(0)
	; wave barrier
	s_and_saveexec_b64 s[4:5], s[0:1]
	s_cbranch_execz .LBB211_60
; %bb.57:
	s_andn2_b64 vcc, exec, s[8:9]
	s_cbranch_vccnz .LBB211_60
; %bb.58:
	v_mad_i64_i32 v[2:3], s[0:1], s13, v0, 0
	v_mov_b32_e32 v1, 0x900
	v_lshl_add_u64 v[2:3], v[2:3], 4, s[2:3]
	v_lshl_or_b32 v0, v0, 4, v1
.LBB211_59:                             ; =>This Inner Loop Header: Depth=1
	ds_read2_b64 v[4:7], v0 offset1:1
	s_add_i32 s24, s24, -1
	v_add_u32_e32 v0, 0xc0, v0
	s_cmp_lg_u32 s24, 0
	s_waitcnt lgkmcnt(0)
	flat_store_dwordx4 v[2:3], v[4:7]
	v_lshl_add_u64 v[2:3], v[2:3], 0, 16
	s_cbranch_scc1 .LBB211_59
.LBB211_60:
	s_endpgm
	.section	.rodata,"a",@progbits
	.p2align	6, 0x0
	.amdhsa_kernel _ZL38rocblas_trsm_small_left_device_sharedBILi12ELi12ELb1E19rocblas_complex_numIdES1_PKPKS1_PKPS1_Ev13rocblas_fill_18rocblas_operation_17rocblas_diagonal_iiT3_T4_lilT5_lili
		.amdhsa_group_segment_fixed_size 4608
		.amdhsa_private_segment_fixed_size 208
		.amdhsa_kernarg_size 368
		.amdhsa_user_sgpr_count 2
		.amdhsa_user_sgpr_dispatch_ptr 0
		.amdhsa_user_sgpr_queue_ptr 0
		.amdhsa_user_sgpr_kernarg_segment_ptr 1
		.amdhsa_user_sgpr_dispatch_id 0
		.amdhsa_user_sgpr_kernarg_preload_length 0
		.amdhsa_user_sgpr_kernarg_preload_offset 0
		.amdhsa_user_sgpr_private_segment_size 0
		.amdhsa_uses_dynamic_stack 0
		.amdhsa_enable_private_segment 1
		.amdhsa_system_sgpr_workgroup_id_x 1
		.amdhsa_system_sgpr_workgroup_id_y 0
		.amdhsa_system_sgpr_workgroup_id_z 1
		.amdhsa_system_sgpr_workgroup_info 0
		.amdhsa_system_vgpr_workitem_id 0
		.amdhsa_next_free_vgpr 18
		.amdhsa_next_free_sgpr 29
		.amdhsa_accum_offset 20
		.amdhsa_reserve_vcc 1
		.amdhsa_float_round_mode_32 0
		.amdhsa_float_round_mode_16_64 0
		.amdhsa_float_denorm_mode_32 3
		.amdhsa_float_denorm_mode_16_64 3
		.amdhsa_dx10_clamp 1
		.amdhsa_ieee_mode 1
		.amdhsa_fp16_overflow 0
		.amdhsa_tg_split 0
		.amdhsa_exception_fp_ieee_invalid_op 0
		.amdhsa_exception_fp_denorm_src 0
		.amdhsa_exception_fp_ieee_div_zero 0
		.amdhsa_exception_fp_ieee_overflow 0
		.amdhsa_exception_fp_ieee_underflow 0
		.amdhsa_exception_fp_ieee_inexact 0
		.amdhsa_exception_int_div_zero 0
	.end_amdhsa_kernel
	.section	.text._ZL38rocblas_trsm_small_left_device_sharedBILi12ELi12ELb1E19rocblas_complex_numIdES1_PKPKS1_PKPS1_Ev13rocblas_fill_18rocblas_operation_17rocblas_diagonal_iiT3_T4_lilT5_lili,"axG",@progbits,_ZL38rocblas_trsm_small_left_device_sharedBILi12ELi12ELb1E19rocblas_complex_numIdES1_PKPKS1_PKPS1_Ev13rocblas_fill_18rocblas_operation_17rocblas_diagonal_iiT3_T4_lilT5_lili,comdat
.Lfunc_end211:
	.size	_ZL38rocblas_trsm_small_left_device_sharedBILi12ELi12ELb1E19rocblas_complex_numIdES1_PKPKS1_PKPS1_Ev13rocblas_fill_18rocblas_operation_17rocblas_diagonal_iiT3_T4_lilT5_lili, .Lfunc_end211-_ZL38rocblas_trsm_small_left_device_sharedBILi12ELi12ELb1E19rocblas_complex_numIdES1_PKPKS1_PKPS1_Ev13rocblas_fill_18rocblas_operation_17rocblas_diagonal_iiT3_T4_lilT5_lili
                                        ; -- End function
	.set _ZL38rocblas_trsm_small_left_device_sharedBILi12ELi12ELb1E19rocblas_complex_numIdES1_PKPKS1_PKPS1_Ev13rocblas_fill_18rocblas_operation_17rocblas_diagonal_iiT3_T4_lilT5_lili.num_vgpr, 18
	.set _ZL38rocblas_trsm_small_left_device_sharedBILi12ELi12ELb1E19rocblas_complex_numIdES1_PKPKS1_PKPS1_Ev13rocblas_fill_18rocblas_operation_17rocblas_diagonal_iiT3_T4_lilT5_lili.num_agpr, 0
	.set _ZL38rocblas_trsm_small_left_device_sharedBILi12ELi12ELb1E19rocblas_complex_numIdES1_PKPKS1_PKPS1_Ev13rocblas_fill_18rocblas_operation_17rocblas_diagonal_iiT3_T4_lilT5_lili.numbered_sgpr, 29
	.set _ZL38rocblas_trsm_small_left_device_sharedBILi12ELi12ELb1E19rocblas_complex_numIdES1_PKPKS1_PKPS1_Ev13rocblas_fill_18rocblas_operation_17rocblas_diagonal_iiT3_T4_lilT5_lili.num_named_barrier, 0
	.set _ZL38rocblas_trsm_small_left_device_sharedBILi12ELi12ELb1E19rocblas_complex_numIdES1_PKPKS1_PKPS1_Ev13rocblas_fill_18rocblas_operation_17rocblas_diagonal_iiT3_T4_lilT5_lili.private_seg_size, 208
	.set _ZL38rocblas_trsm_small_left_device_sharedBILi12ELi12ELb1E19rocblas_complex_numIdES1_PKPKS1_PKPS1_Ev13rocblas_fill_18rocblas_operation_17rocblas_diagonal_iiT3_T4_lilT5_lili.uses_vcc, 1
	.set _ZL38rocblas_trsm_small_left_device_sharedBILi12ELi12ELb1E19rocblas_complex_numIdES1_PKPKS1_PKPS1_Ev13rocblas_fill_18rocblas_operation_17rocblas_diagonal_iiT3_T4_lilT5_lili.uses_flat_scratch, 0
	.set _ZL38rocblas_trsm_small_left_device_sharedBILi12ELi12ELb1E19rocblas_complex_numIdES1_PKPKS1_PKPS1_Ev13rocblas_fill_18rocblas_operation_17rocblas_diagonal_iiT3_T4_lilT5_lili.has_dyn_sized_stack, 0
	.set _ZL38rocblas_trsm_small_left_device_sharedBILi12ELi12ELb1E19rocblas_complex_numIdES1_PKPKS1_PKPS1_Ev13rocblas_fill_18rocblas_operation_17rocblas_diagonal_iiT3_T4_lilT5_lili.has_recursion, 0
	.set _ZL38rocblas_trsm_small_left_device_sharedBILi12ELi12ELb1E19rocblas_complex_numIdES1_PKPKS1_PKPS1_Ev13rocblas_fill_18rocblas_operation_17rocblas_diagonal_iiT3_T4_lilT5_lili.has_indirect_call, 0
	.section	.AMDGPU.csdata,"",@progbits
; Kernel info:
; codeLenInByte = 2436
; TotalNumSgprs: 35
; NumVgprs: 18
; NumAgprs: 0
; TotalNumVgprs: 18
; ScratchSize: 208
; MemoryBound: 0
; FloatMode: 240
; IeeeMode: 1
; LDSByteSize: 4608 bytes/workgroup (compile time only)
; SGPRBlocks: 4
; VGPRBlocks: 2
; NumSGPRsForWavesPerEU: 35
; NumVGPRsForWavesPerEU: 18
; AccumOffset: 20
; Occupancy: 8
; WaveLimiterHint : 0
; COMPUTE_PGM_RSRC2:SCRATCH_EN: 1
; COMPUTE_PGM_RSRC2:USER_SGPR: 2
; COMPUTE_PGM_RSRC2:TRAP_HANDLER: 0
; COMPUTE_PGM_RSRC2:TGID_X_EN: 1
; COMPUTE_PGM_RSRC2:TGID_Y_EN: 0
; COMPUTE_PGM_RSRC2:TGID_Z_EN: 1
; COMPUTE_PGM_RSRC2:TIDIG_COMP_CNT: 0
; COMPUTE_PGM_RSRC3_GFX90A:ACCUM_OFFSET: 4
; COMPUTE_PGM_RSRC3_GFX90A:TG_SPLIT: 0
	.section	.text._ZL30rocblas_trsm_small_left_deviceILi12ELi12ELb1E19rocblas_complex_numIdES1_PKPKS1_PKPS1_Ev13rocblas_fill_18rocblas_operation_17rocblas_diagonal_iiT3_T4_lilT5_lili,"axG",@progbits,_ZL30rocblas_trsm_small_left_deviceILi12ELi12ELb1E19rocblas_complex_numIdES1_PKPKS1_PKPS1_Ev13rocblas_fill_18rocblas_operation_17rocblas_diagonal_iiT3_T4_lilT5_lili,comdat
	.globl	_ZL30rocblas_trsm_small_left_deviceILi12ELi12ELb1E19rocblas_complex_numIdES1_PKPKS1_PKPS1_Ev13rocblas_fill_18rocblas_operation_17rocblas_diagonal_iiT3_T4_lilT5_lili ; -- Begin function _ZL30rocblas_trsm_small_left_deviceILi12ELi12ELb1E19rocblas_complex_numIdES1_PKPKS1_PKPS1_Ev13rocblas_fill_18rocblas_operation_17rocblas_diagonal_iiT3_T4_lilT5_lili
	.p2align	8
	.type	_ZL30rocblas_trsm_small_left_deviceILi12ELi12ELb1E19rocblas_complex_numIdES1_PKPKS1_PKPS1_Ev13rocblas_fill_18rocblas_operation_17rocblas_diagonal_iiT3_T4_lilT5_lili,@function
_ZL30rocblas_trsm_small_left_deviceILi12ELi12ELb1E19rocblas_complex_numIdES1_PKPKS1_PKPS1_Ev13rocblas_fill_18rocblas_operation_17rocblas_diagonal_iiT3_T4_lilT5_lili: ; @_ZL30rocblas_trsm_small_left_deviceILi12ELi12ELb1E19rocblas_complex_numIdES1_PKPKS1_PKPS1_Ev13rocblas_fill_18rocblas_operation_17rocblas_diagonal_iiT3_T4_lilT5_lili
; %bb.0:
	s_load_dwordx4 s[16:19], s[2:3], 0x4
	s_load_dwordx4 s[20:23], s[2:3], 0x48
	s_load_dwordx8 s[8:15], s[2:3], 0x18
	s_mov_b32 s6, s5
	s_mov_b32 s7, 0
	s_lshl_b64 s[24:25], s[6:7], 3
	s_waitcnt lgkmcnt(0)
	s_add_u32 s6, s20, s24
	s_addc_u32 s7, s21, s25
	s_load_dword s5, s[2:3], 0x70
	v_and_b32_e32 v10, 0x3ff, v0
	s_load_dwordx2 s[6:7], s[6:7], 0x0
	s_min_i32 s18, s18, 12
	v_cmp_gt_i32_e32 vcc, s18, v10
	s_and_saveexec_b64 s[20:21], vcc
	s_cbranch_execz .LBB212_11
; %bb.1:
	s_load_dword s26, s[2:3], 0x38
	v_lshlrev_b32_e32 v2, 4, v10
	v_mov_b32_e32 v3, 0
	v_mov_b32_e32 v1, v2
	s_waitcnt lgkmcnt(0)
	s_ashr_i32 s27, s26, 31
	s_cmpk_eq_i32 s16, 0x71
	s_cselect_b64 vcc, -1, 0
	s_add_u32 s12, s12, s24
	s_addc_u32 s13, s13, s25
	s_load_dwordx2 s[12:13], s[12:13], 0x0
	s_lshl_b64 s[14:15], s[14:15], 4
	s_waitcnt lgkmcnt(0)
	s_add_u32 s14, s12, s14
	s_addc_u32 s15, s13, s15
	s_lshl_b64 s[12:13], s[26:27], 4
	v_lshl_add_u64 v[4:5], s[14:15], 0, v[2:3]
	s_mov_b32 s14, s18
.LBB212_2:                              ; =>This Inner Loop Header: Depth=1
	flat_load_dwordx4 v[6:9], v[4:5]
	s_add_i32 s14, s14, -1
	v_lshl_add_u64 v[4:5], v[4:5], 0, s[12:13]
	s_cmp_eq_u32 s14, 0
	s_waitcnt vmcnt(0) lgkmcnt(0)
	v_xor_b32_e32 v3, 0x80000000, v9
	v_cndmask_b32_e32 v9, v9, v3, vcc
	ds_write_b128 v1, v[6:9]
	v_add_u32_e32 v1, 0xc0, v1
	s_cbranch_scc0 .LBB212_2
; %bb.3:
	v_mul_u32_u24_e32 v1, 0xc0, v10
	s_cmpk_lg_i32 s17, 0x84
	v_add_u32_e32 v1, v2, v1
	s_cbranch_scc0 .LBB212_9
; %bb.4:
	ds_read_b128 v[2:5], v1
                                        ; implicit-def: $vgpr8_vgpr9
	s_waitcnt lgkmcnt(0)
	v_cmp_ngt_f64_e64 s[12:13], |v[2:3]|, |v[4:5]|
	s_and_saveexec_b64 s[14:15], s[12:13]
	s_xor_b64 s[12:13], exec, s[14:15]
	s_cbranch_execz .LBB212_6
; %bb.5:
	v_div_scale_f64 v[6:7], s[14:15], v[4:5], v[4:5], v[2:3]
	v_rcp_f64_e32 v[8:9], v[6:7]
	v_div_scale_f64 v[12:13], vcc, v[2:3], v[4:5], v[2:3]
	v_fma_f64 v[14:15], -v[6:7], v[8:9], 1.0
	v_fmac_f64_e32 v[8:9], v[8:9], v[14:15]
	v_fma_f64 v[14:15], -v[6:7], v[8:9], 1.0
	v_fmac_f64_e32 v[8:9], v[8:9], v[14:15]
	v_mul_f64 v[14:15], v[12:13], v[8:9]
	v_fma_f64 v[6:7], -v[6:7], v[14:15], v[12:13]
	v_div_fmas_f64 v[6:7], v[6:7], v[8:9], v[14:15]
	v_div_fixup_f64 v[8:9], v[6:7], v[4:5], v[2:3]
	v_fmac_f64_e32 v[4:5], v[2:3], v[8:9]
	v_div_scale_f64 v[2:3], s[14:15], v[4:5], v[4:5], 1.0
	v_rcp_f64_e32 v[6:7], v[2:3]
	s_nop 0
	v_fma_f64 v[12:13], -v[2:3], v[6:7], 1.0
	v_fmac_f64_e32 v[6:7], v[6:7], v[12:13]
	v_fma_f64 v[12:13], -v[2:3], v[6:7], 1.0
	v_fmac_f64_e32 v[6:7], v[6:7], v[12:13]
	v_div_scale_f64 v[12:13], vcc, 1.0, v[4:5], 1.0
	v_mul_f64 v[14:15], v[12:13], v[6:7]
	v_fma_f64 v[2:3], -v[2:3], v[14:15], v[12:13]
	s_nop 1
	v_div_fmas_f64 v[2:3], v[2:3], v[6:7], v[14:15]
	v_div_fixup_f64 v[2:3], v[2:3], v[4:5], 1.0
	v_add_f64 v[4:5], v[8:9], 0
	v_mul_f64 v[6:7], v[4:5], v[2:3]
	v_fma_f64 v[4:5], v[8:9], 0, -1.0
	v_mul_f64 v[8:9], v[4:5], v[2:3]
                                        ; implicit-def: $vgpr2_vgpr3
.LBB212_6:
	s_andn2_saveexec_b64 s[12:13], s[12:13]
	s_cbranch_execz .LBB212_8
; %bb.7:
	v_div_scale_f64 v[6:7], s[14:15], v[2:3], v[2:3], v[4:5]
	v_rcp_f64_e32 v[8:9], v[6:7]
	v_div_scale_f64 v[12:13], vcc, v[4:5], v[2:3], v[4:5]
	v_fma_f64 v[14:15], -v[6:7], v[8:9], 1.0
	v_fmac_f64_e32 v[8:9], v[8:9], v[14:15]
	v_fma_f64 v[14:15], -v[6:7], v[8:9], 1.0
	v_fmac_f64_e32 v[8:9], v[8:9], v[14:15]
	v_mul_f64 v[14:15], v[12:13], v[8:9]
	v_fma_f64 v[6:7], -v[6:7], v[14:15], v[12:13]
	v_div_fmas_f64 v[6:7], v[6:7], v[8:9], v[14:15]
	v_div_fixup_f64 v[8:9], v[6:7], v[2:3], v[4:5]
	v_fmac_f64_e32 v[2:3], v[4:5], v[8:9]
	v_div_scale_f64 v[4:5], s[14:15], v[2:3], v[2:3], 1.0
	v_rcp_f64_e32 v[6:7], v[4:5]
	s_nop 0
	v_fma_f64 v[12:13], -v[4:5], v[6:7], 1.0
	v_fmac_f64_e32 v[6:7], v[6:7], v[12:13]
	v_fma_f64 v[12:13], -v[4:5], v[6:7], 1.0
	v_fmac_f64_e32 v[6:7], v[6:7], v[12:13]
	v_div_scale_f64 v[12:13], vcc, 1.0, v[2:3], 1.0
	v_mul_f64 v[14:15], v[12:13], v[6:7]
	v_fma_f64 v[4:5], -v[4:5], v[14:15], v[12:13]
	s_nop 1
	v_div_fmas_f64 v[4:5], v[4:5], v[6:7], v[14:15]
	v_div_fixup_f64 v[2:3], v[4:5], v[2:3], 1.0
	v_fma_f64 v[4:5], v[8:9], 0, 1.0
	v_mul_f64 v[6:7], v[4:5], v[2:3]
	v_add_f64 v[4:5], -v[8:9], 0
	v_mul_f64 v[8:9], v[4:5], v[2:3]
.LBB212_8:
	s_or_b64 exec, exec, s[12:13]
	s_branch .LBB212_10
.LBB212_9:
	v_mov_b64_e32 v[8:9], 0
	v_mov_b64_e32 v[6:7], 1.0
.LBB212_10:
	ds_write_b128 v1, v[6:9]
.LBB212_11:
	s_or_b64 exec, exec, s[20:21]
	s_mul_i32 s12, s4, -12
	s_waitcnt lgkmcnt(0)
	s_add_i32 s5, s5, -1
	s_add_i32 s12, s19, s12
	s_cmp_ge_u32 s4, s5
	s_cselect_b32 s5, s12, 12
	v_cmp_gt_i32_e32 vcc, s5, v10
	; wave barrier
	s_and_saveexec_b64 s[12:13], vcc
	s_cbranch_execz .LBB212_54
; %bb.12:
	s_load_dwordx2 s[12:13], s[0:1], 0x4
	s_load_dword s14, s[2:3], 0x58
	v_bfe_u32 v1, v0, 10, 10
	v_bfe_u32 v0, v0, 20, 10
	s_waitcnt lgkmcnt(0)
	s_lshr_b32 s0, s12, 16
	s_mul_i32 s0, s0, s13
	v_mul_u32_u24_e32 v1, s13, v1
	v_mul_u32_u24_e32 v2, s0, v10
	v_add3_u32 v0, v2, v1, v0
	s_movk_i32 s0, 0xc0
	v_mul_lo_u32 v0, v0, s0
	v_add_u32_e32 v11, 0x900, v0
	s_lshl_b64 s[0:1], s[22:23], 4
	s_add_u32 s2, s6, s0
	v_mad_u64_u32 v[0:1], s[4:5], s4, 12, v[10:11]
	s_addc_u32 s3, s7, s1
	v_mad_i64_i32 v[6:7], s[4:5], s14, v0, 0
	v_lshl_add_u64 v[4:5], v[6:7], 4, s[2:3]
	s_cmpk_eq_i32 s16, 0x6f
	s_mov_b64 s[2:3], -1
	s_cbranch_scc1 .LBB212_33
; %bb.13:
	s_add_i32 s19, s18, -1
	s_add_u32 s2, s6, s0
	s_addc_u32 s3, s7, s1
	v_lshl_add_u64 v[8:9], v[6:7], 4, s[2:3]
	s_lshl_b32 s20, s18, 4
	s_mov_b32 s3, 0
	s_add_i32 s20, s20, -16
	s_mov_b32 s2, s3
	s_mov_b32 s4, s19
	s_branch .LBB212_15
.LBB212_14:                             ;   in Loop: Header=BB212_15 Depth=1
	s_cmp_lt_i32 s4, 0
	s_cselect_b64 s[12:13], -1, 0
	s_add_i32 s2, s2, 1
	s_cmp_eq_u32 s2, 3
	s_cselect_b64 s[14:15], -1, 0
	s_or_b64 s[12:13], s[12:13], s[14:15]
	s_andn2_b64 vcc, exec, s[12:13]
	s_cbranch_vccz .LBB212_32
.LBB212_15:                             ; =>This Loop Header: Depth=1
                                        ;     Child Loop BB212_18 Depth 2
                                        ;       Child Loop BB212_19 Depth 3
                                        ;       Child Loop BB212_21 Depth 3
                                        ;         Child Loop BB212_22 Depth 4
                                        ;       Child Loop BB212_26 Depth 3
                                        ;         Child Loop BB212_28 Depth 4
	s_lshl_b64 s[12:13], s[2:3], 2
	s_getpc_b64 s[14:15]
	s_add_u32 s14, s14, __const._ZL30rocblas_trsm_small_left_deviceILi12ELi12ELb1E19rocblas_complex_numIdES1_PKPKS1_PKPS1_Ev13rocblas_fill_18rocblas_operation_17rocblas_diagonal_iiT3_T4_lilT5_lili.step_sizes@rel32@lo+4
	s_addc_u32 s15, s15, __const._ZL30rocblas_trsm_small_left_deviceILi12ELi12ELb1E19rocblas_complex_numIdES1_PKPKS1_PKPS1_Ev13rocblas_fill_18rocblas_operation_17rocblas_diagonal_iiT3_T4_lilT5_lili.step_sizes@rel32@hi+12
	s_add_u32 s12, s14, s12
	s_addc_u32 s13, s15, s13
	s_load_dword s21, s[12:13], 0x0
	s_waitcnt lgkmcnt(0)
	s_add_i32 s22, s21, -1
	s_cmp_lt_i32 s4, s22
	s_cbranch_scc1 .LBB212_14
; %bb.16:                               ;   in Loop: Header=BB212_15 Depth=1
	s_mul_i32 s5, s4, 0xc0
	s_max_i32 s23, s21, 1
	s_add_i32 s24, s20, s5
	s_mul_i32 s25, s21, 0xffffff40
	s_mul_i32 s26, s4, 0xd0
	;; [unrolled: 1-line block ×3, first 2 shown]
	s_branch .LBB212_18
.LBB212_17:                             ;   in Loop: Header=BB212_18 Depth=2
	s_sub_i32 s4, s4, s21
	s_add_i32 s24, s24, s25
	s_add_i32 s26, s26, s27
	s_cmp_lt_i32 s4, s22
	s_cbranch_scc1 .LBB212_14
.LBB212_18:                             ;   Parent Loop BB212_15 Depth=1
                                        ; =>  This Loop Header: Depth=2
                                        ;       Child Loop BB212_19 Depth 3
                                        ;       Child Loop BB212_21 Depth 3
                                        ;         Child Loop BB212_22 Depth 4
                                        ;       Child Loop BB212_26 Depth 3
                                        ;         Child Loop BB212_28 Depth 4
	s_ashr_i32 s5, s4, 31
	v_lshl_add_u64 v[0:1], s[4:5], 4, v[8:9]
	v_mov_b32_e32 v2, v11
	s_mov_b32 s12, s23
.LBB212_19:                             ;   Parent Loop BB212_15 Depth=1
                                        ;     Parent Loop BB212_18 Depth=2
                                        ; =>    This Inner Loop Header: Depth=3
	flat_load_dwordx4 v[12:15], v[0:1]
	s_add_i32 s12, s12, -1
	v_lshl_add_u64 v[0:1], v[0:1], 0, -16
	s_cmp_eq_u32 s12, 0
	s_waitcnt vmcnt(0) lgkmcnt(0)
	v_mul_f64 v[18:19], s[10:11], v[14:15]
	v_mul_f64 v[16:17], s[8:9], v[14:15]
	v_fma_f64 v[14:15], s[8:9], v[12:13], -v[18:19]
	v_fmac_f64_e32 v[16:17], s[10:11], v[12:13]
	ds_write_b128 v2, v[14:17]
	v_add_u32_e32 v2, 16, v2
	s_cbranch_scc0 .LBB212_19
; %bb.20:                               ;   in Loop: Header=BB212_18 Depth=2
	s_cmp_le_i32 s19, s4
	s_mov_b32 s14, s24
	s_mov_b32 s12, s19
	s_cbranch_scc1 .LBB212_24
.LBB212_21:                             ;   Parent Loop BB212_15 Depth=1
                                        ;     Parent Loop BB212_18 Depth=2
                                        ; =>    This Loop Header: Depth=3
                                        ;         Child Loop BB212_22 Depth 4
	s_ashr_i32 s13, s12, 31
	v_lshl_add_u64 v[0:1], s[12:13], 4, v[4:5]
	flat_load_dwordx4 v[0:3], v[0:1]
	v_mov_b32_e32 v10, v11
	s_mov_b32 s13, s14
	s_mov_b32 s15, s23
.LBB212_22:                             ;   Parent Loop BB212_15 Depth=1
                                        ;     Parent Loop BB212_18 Depth=2
                                        ;       Parent Loop BB212_21 Depth=3
                                        ; =>      This Inner Loop Header: Depth=4
	v_mov_b32_e32 v16, s13
	ds_read_b128 v[16:19], v16
	ds_read_b128 v[12:15], v10
	s_add_i32 s15, s15, -1
	s_addk_i32 s13, 0xff40
	s_cmp_eq_u32 s15, 0
	s_waitcnt vmcnt(0) lgkmcnt(0)
	v_mul_f64 v[20:21], v[2:3], v[18:19]
	v_mul_f64 v[18:19], v[0:1], v[18:19]
	v_fma_f64 v[20:21], v[0:1], v[16:17], -v[20:21]
	v_fmac_f64_e32 v[18:19], v[2:3], v[16:17]
	v_add_f64 v[12:13], v[12:13], -v[20:21]
	v_add_f64 v[14:15], v[14:15], -v[18:19]
	ds_write_b128 v10, v[12:15]
	v_add_u32_e32 v10, 16, v10
	s_cbranch_scc0 .LBB212_22
; %bb.23:                               ;   in Loop: Header=BB212_21 Depth=3
	s_add_i32 s12, s12, -1
	s_add_i32 s14, s14, -16
	s_cmp_le_i32 s12, s4
	s_cbranch_scc0 .LBB212_21
.LBB212_24:                             ;   in Loop: Header=BB212_18 Depth=2
	s_mov_b32 s28, 0
	s_mov_b32 s29, s26
	s_branch .LBB212_26
.LBB212_25:                             ;   in Loop: Header=BB212_26 Depth=3
	s_mulk_i32 s14, 0xd0
	v_mov_b32_e32 v12, s14
	ds_read_b128 v[12:15], v12
	s_add_i32 s28, s28, 1
	s_addk_i32 s29, 0xff40
	v_lshl_add_u64 v[20:21], s[12:13], 4, v[4:5]
	s_cmp_eq_u32 s28, s23
	s_waitcnt lgkmcnt(0)
	v_mul_f64 v[16:17], v[14:15], v[2:3]
	v_mul_f64 v[18:19], v[12:13], v[2:3]
	v_fma_f64 v[16:17], v[12:13], v[0:1], -v[16:17]
	v_fmac_f64_e32 v[18:19], v[14:15], v[0:1]
	ds_write_b128 v10, v[16:19]
	flat_store_dwordx4 v[20:21], v[16:19]
	s_cbranch_scc1 .LBB212_17
.LBB212_26:                             ;   Parent Loop BB212_15 Depth=1
                                        ;     Parent Loop BB212_18 Depth=2
                                        ; =>    This Loop Header: Depth=3
                                        ;         Child Loop BB212_28 Depth 4
	s_cmp_lg_u32 s28, 0
	v_lshl_add_u32 v10, s28, 4, v11
	s_cbranch_scc0 .LBB212_30
; %bb.27:                               ;   in Loop: Header=BB212_26 Depth=3
	ds_read_b128 v[0:3], v10
	v_mov_b32_e32 v12, v11
	s_mov_b32 s12, s29
	s_mov_b32 s13, s28
.LBB212_28:                             ;   Parent Loop BB212_15 Depth=1
                                        ;     Parent Loop BB212_18 Depth=2
                                        ;       Parent Loop BB212_26 Depth=3
                                        ; =>      This Inner Loop Header: Depth=4
	v_mov_b32_e32 v13, s12
	ds_read_b128 v[14:17], v12
	ds_read_b128 v[18:21], v13
	s_add_i32 s13, s13, -1
	s_add_i32 s12, s12, -16
	v_add_u32_e32 v12, 16, v12
	s_cmp_eq_u32 s13, 0
	s_waitcnt lgkmcnt(0)
	v_mul_f64 v[22:23], v[20:21], v[16:17]
	v_mul_f64 v[16:17], v[18:19], v[16:17]
	v_fma_f64 v[18:19], v[18:19], v[14:15], -v[22:23]
	v_fmac_f64_e32 v[16:17], v[20:21], v[14:15]
	v_add_f64 v[0:1], v[0:1], -v[18:19]
	v_add_f64 v[2:3], v[2:3], -v[16:17]
	ds_write_b128 v10, v[0:3]
	s_cbranch_scc0 .LBB212_28
; %bb.29:                               ;   in Loop: Header=BB212_26 Depth=3
	s_sub_i32 s14, s4, s28
	s_ashr_i32 s15, s14, 31
	s_mov_b64 s[12:13], s[14:15]
	s_branch .LBB212_25
.LBB212_30:                             ;   in Loop: Header=BB212_26 Depth=3
                                        ; implicit-def: $vgpr0_vgpr1
                                        ; implicit-def: $sgpr14
                                        ; implicit-def: $sgpr12_sgpr13
	s_cbranch_execz .LBB212_25
; %bb.31:                               ;   in Loop: Header=BB212_26 Depth=3
	ds_read_b128 v[0:3], v11
	s_mov_b64 s[12:13], s[4:5]
	s_mov_b32 s14, s4
	s_branch .LBB212_25
.LBB212_32:
	s_mov_b64 s[2:3], 0
.LBB212_33:
	s_and_b64 vcc, exec, s[2:3]
	s_cbranch_vccz .LBB212_54
; %bb.34:
	s_add_u32 s0, s6, s0
	s_addc_u32 s1, s7, s1
	v_lshl_add_u64 v[6:7], v[6:7], 4, s[0:1]
	s_mov_b32 s1, 0
	s_mov_b32 s2, s1
	;; [unrolled: 1-line block ×3, first 2 shown]
	s_branch .LBB212_36
.LBB212_35:                             ;   in Loop: Header=BB212_36 Depth=1
	s_cmp_ge_i32 s2, s18
	s_cselect_b64 s[6:7], -1, 0
	s_add_i32 s4, s4, 1
	s_cmp_eq_u32 s4, 3
	s_cselect_b64 s[12:13], -1, 0
	s_or_b64 s[6:7], s[6:7], s[12:13]
	s_and_b64 vcc, exec, s[6:7]
	s_cbranch_vccnz .LBB212_54
.LBB212_36:                             ; =>This Loop Header: Depth=1
                                        ;     Child Loop BB212_39 Depth 2
                                        ;       Child Loop BB212_40 Depth 3
                                        ;       Child Loop BB212_43 Depth 3
                                        ;         Child Loop BB212_44 Depth 4
                                        ;       Child Loop BB212_48 Depth 3
                                        ;         Child Loop BB212_50 Depth 4
	s_mov_b32 s5, s1
	s_lshl_b64 s[6:7], s[4:5], 2
	s_getpc_b64 s[12:13]
	s_add_u32 s12, s12, __const._ZL30rocblas_trsm_small_left_deviceILi12ELi12ELb1E19rocblas_complex_numIdES1_PKPKS1_PKPS1_Ev13rocblas_fill_18rocblas_operation_17rocblas_diagonal_iiT3_T4_lilT5_lili.step_sizes@rel32@lo+4
	s_addc_u32 s13, s13, __const._ZL30rocblas_trsm_small_left_deviceILi12ELi12ELb1E19rocblas_complex_numIdES1_PKPKS1_PKPS1_Ev13rocblas_fill_18rocblas_operation_17rocblas_diagonal_iiT3_T4_lilT5_lili.step_sizes@rel32@hi+12
	s_add_u32 s6, s12, s6
	s_addc_u32 s7, s13, s7
	s_load_dword s6, s[6:7], 0x0
	s_waitcnt lgkmcnt(0)
	s_add_i32 s5, s6, -1
	s_add_i32 s0, s5, s2
	s_cmp_ge_i32 s0, s18
	s_cbranch_scc1 .LBB212_35
; %bb.37:                               ;   in Loop: Header=BB212_36 Depth=1
	s_ashr_i32 s3, s2, 31
	s_ashr_i32 s7, s6, 31
	s_max_i32 s16, s6, 1
	v_lshl_add_u64 v[8:9], s[2:3], 4, v[6:7]
	s_lshl_b64 s[12:13], s[6:7], 4
	s_lshl_b32 s3, s2, 4
	s_lshl_b32 s7, s6, 4
	s_mul_i32 s17, s2, 0xd0
	s_mul_i32 s19, s6, 0xd0
	s_branch .LBB212_39
.LBB212_38:                             ;   in Loop: Header=BB212_39 Depth=2
	s_add_i32 s2, s2, s6
	s_add_i32 s0, s5, s2
	;; [unrolled: 1-line block ×4, first 2 shown]
	s_cmp_ge_i32 s0, s18
	v_lshl_add_u64 v[8:9], v[8:9], 0, s[12:13]
	s_cbranch_scc1 .LBB212_35
.LBB212_39:                             ;   Parent Loop BB212_36 Depth=1
                                        ; =>  This Loop Header: Depth=2
                                        ;       Child Loop BB212_40 Depth 3
                                        ;       Child Loop BB212_43 Depth 3
                                        ;         Child Loop BB212_44 Depth 4
                                        ;       Child Loop BB212_48 Depth 3
                                        ;         Child Loop BB212_50 Depth 4
	v_mov_b32_e32 v2, v11
	v_mov_b64_e32 v[0:1], v[8:9]
	s_mov_b32 s0, s16
.LBB212_40:                             ;   Parent Loop BB212_36 Depth=1
                                        ;     Parent Loop BB212_39 Depth=2
                                        ; =>    This Inner Loop Header: Depth=3
	flat_load_dwordx4 v[12:15], v[0:1]
	s_add_i32 s0, s0, -1
	v_lshl_add_u64 v[0:1], v[0:1], 0, 16
	s_cmp_eq_u32 s0, 0
	s_waitcnt vmcnt(0) lgkmcnt(0)
	v_mul_f64 v[18:19], s[10:11], v[14:15]
	v_mul_f64 v[16:17], s[8:9], v[14:15]
	v_fma_f64 v[14:15], s[8:9], v[12:13], -v[18:19]
	v_fmac_f64_e32 v[16:17], s[10:11], v[12:13]
	ds_write_b128 v2, v[14:17]
	v_add_u32_e32 v2, 16, v2
	s_cbranch_scc0 .LBB212_40
; %bb.41:                               ;   in Loop: Header=BB212_39 Depth=2
	s_cmp_lt_i32 s2, 1
	s_cbranch_scc1 .LBB212_46
; %bb.42:                               ;   in Loop: Header=BB212_39 Depth=2
	s_mov_b32 s0, 0
	s_mov_b32 s14, s3
.LBB212_43:                             ;   Parent Loop BB212_36 Depth=1
                                        ;     Parent Loop BB212_39 Depth=2
                                        ; =>    This Loop Header: Depth=3
                                        ;         Child Loop BB212_44 Depth 4
	v_lshl_add_u64 v[0:1], s[0:1], 4, v[4:5]
	flat_load_dwordx4 v[0:3], v[0:1]
	v_mov_b32_e32 v10, v11
	s_mov_b32 s15, s14
	s_mov_b32 s20, s16
.LBB212_44:                             ;   Parent Loop BB212_36 Depth=1
                                        ;     Parent Loop BB212_39 Depth=2
                                        ;       Parent Loop BB212_43 Depth=3
                                        ; =>      This Inner Loop Header: Depth=4
	v_mov_b32_e32 v16, s15
	ds_read_b128 v[16:19], v16
	ds_read_b128 v[12:15], v10
	s_add_i32 s20, s20, -1
	s_add_i32 s15, s15, 16
	s_cmp_eq_u32 s20, 0
	s_waitcnt vmcnt(0) lgkmcnt(0)
	v_mul_f64 v[20:21], v[2:3], v[18:19]
	v_mul_f64 v[18:19], v[0:1], v[18:19]
	v_fma_f64 v[20:21], v[0:1], v[16:17], -v[20:21]
	v_fmac_f64_e32 v[18:19], v[2:3], v[16:17]
	v_add_f64 v[12:13], v[12:13], -v[20:21]
	v_add_f64 v[14:15], v[14:15], -v[18:19]
	ds_write_b128 v10, v[12:15]
	v_add_u32_e32 v10, 16, v10
	s_cbranch_scc0 .LBB212_44
; %bb.45:                               ;   in Loop: Header=BB212_43 Depth=3
	s_add_i32 s0, s0, 1
	s_addk_i32 s14, 0xc0
	s_cmp_eq_u32 s0, s2
	s_cbranch_scc0 .LBB212_43
.LBB212_46:                             ;   in Loop: Header=BB212_39 Depth=2
	s_mov_b32 s0, 0
	s_mov_b32 s20, s17
	s_branch .LBB212_48
.LBB212_47:                             ;   in Loop: Header=BB212_48 Depth=3
	s_add_i32 s14, s0, s2
	s_mul_i32 s15, s14, 0xd0
	v_mov_b32_e32 v12, s15
	ds_read_b128 v[12:15], v12
	s_ashr_i32 s15, s14, 31
	s_add_i32 s0, s0, 1
	s_add_i32 s20, s20, 16
	v_lshl_add_u64 v[20:21], s[14:15], 4, v[4:5]
	s_waitcnt lgkmcnt(0)
	v_mul_f64 v[16:17], v[14:15], v[2:3]
	v_mul_f64 v[18:19], v[12:13], v[2:3]
	v_fma_f64 v[16:17], v[12:13], v[0:1], -v[16:17]
	v_fmac_f64_e32 v[18:19], v[14:15], v[0:1]
	s_cmp_eq_u32 s0, s16
	ds_write_b128 v10, v[16:19]
	flat_store_dwordx4 v[20:21], v[16:19]
	s_cbranch_scc1 .LBB212_38
.LBB212_48:                             ;   Parent Loop BB212_36 Depth=1
                                        ;     Parent Loop BB212_39 Depth=2
                                        ; =>    This Loop Header: Depth=3
                                        ;         Child Loop BB212_50 Depth 4
	s_cmp_lg_u32 s0, 0
	v_lshl_add_u32 v10, s0, 4, v11
	s_cbranch_scc0 .LBB212_52
; %bb.49:                               ;   in Loop: Header=BB212_48 Depth=3
	ds_read_b128 v[0:3], v10
	v_mov_b32_e32 v12, v11
	s_mov_b32 s14, s20
	s_mov_b32 s15, s0
.LBB212_50:                             ;   Parent Loop BB212_36 Depth=1
                                        ;     Parent Loop BB212_39 Depth=2
                                        ;       Parent Loop BB212_48 Depth=3
                                        ; =>      This Inner Loop Header: Depth=4
	v_mov_b32_e32 v13, s14
	ds_read_b128 v[14:17], v12
	ds_read_b128 v[18:21], v13
	s_add_i32 s15, s15, -1
	s_addk_i32 s14, 0xc0
	v_add_u32_e32 v12, 16, v12
	s_cmp_eq_u32 s15, 0
	s_waitcnt lgkmcnt(0)
	v_mul_f64 v[22:23], v[20:21], v[16:17]
	v_mul_f64 v[16:17], v[18:19], v[16:17]
	v_fma_f64 v[18:19], v[18:19], v[14:15], -v[22:23]
	v_fmac_f64_e32 v[16:17], v[20:21], v[14:15]
	v_add_f64 v[0:1], v[0:1], -v[18:19]
	v_add_f64 v[2:3], v[2:3], -v[16:17]
	ds_write_b128 v10, v[0:3]
	s_cbranch_scc0 .LBB212_50
; %bb.51:                               ;   in Loop: Header=BB212_48 Depth=3
	s_branch .LBB212_47
.LBB212_52:                             ;   in Loop: Header=BB212_48 Depth=3
                                        ; implicit-def: $vgpr0_vgpr1
	s_cbranch_execz .LBB212_47
; %bb.53:                               ;   in Loop: Header=BB212_48 Depth=3
	ds_read_b128 v[0:3], v11
	s_branch .LBB212_47
.LBB212_54:
	s_endpgm
	.section	.rodata,"a",@progbits
	.p2align	6, 0x0
	.amdhsa_kernel _ZL30rocblas_trsm_small_left_deviceILi12ELi12ELb1E19rocblas_complex_numIdES1_PKPKS1_PKPS1_Ev13rocblas_fill_18rocblas_operation_17rocblas_diagonal_iiT3_T4_lilT5_lili
		.amdhsa_group_segment_fixed_size 4608
		.amdhsa_private_segment_fixed_size 0
		.amdhsa_kernarg_size 368
		.amdhsa_user_sgpr_count 4
		.amdhsa_user_sgpr_dispatch_ptr 1
		.amdhsa_user_sgpr_queue_ptr 0
		.amdhsa_user_sgpr_kernarg_segment_ptr 1
		.amdhsa_user_sgpr_dispatch_id 0
		.amdhsa_user_sgpr_kernarg_preload_length 0
		.amdhsa_user_sgpr_kernarg_preload_offset 0
		.amdhsa_user_sgpr_private_segment_size 0
		.amdhsa_uses_dynamic_stack 0
		.amdhsa_enable_private_segment 0
		.amdhsa_system_sgpr_workgroup_id_x 1
		.amdhsa_system_sgpr_workgroup_id_y 0
		.amdhsa_system_sgpr_workgroup_id_z 1
		.amdhsa_system_sgpr_workgroup_info 0
		.amdhsa_system_vgpr_workitem_id 2
		.amdhsa_next_free_vgpr 24
		.amdhsa_next_free_sgpr 30
		.amdhsa_accum_offset 24
		.amdhsa_reserve_vcc 1
		.amdhsa_float_round_mode_32 0
		.amdhsa_float_round_mode_16_64 0
		.amdhsa_float_denorm_mode_32 3
		.amdhsa_float_denorm_mode_16_64 3
		.amdhsa_dx10_clamp 1
		.amdhsa_ieee_mode 1
		.amdhsa_fp16_overflow 0
		.amdhsa_tg_split 0
		.amdhsa_exception_fp_ieee_invalid_op 0
		.amdhsa_exception_fp_denorm_src 0
		.amdhsa_exception_fp_ieee_div_zero 0
		.amdhsa_exception_fp_ieee_overflow 0
		.amdhsa_exception_fp_ieee_underflow 0
		.amdhsa_exception_fp_ieee_inexact 0
		.amdhsa_exception_int_div_zero 0
	.end_amdhsa_kernel
	.section	.text._ZL30rocblas_trsm_small_left_deviceILi12ELi12ELb1E19rocblas_complex_numIdES1_PKPKS1_PKPS1_Ev13rocblas_fill_18rocblas_operation_17rocblas_diagonal_iiT3_T4_lilT5_lili,"axG",@progbits,_ZL30rocblas_trsm_small_left_deviceILi12ELi12ELb1E19rocblas_complex_numIdES1_PKPKS1_PKPS1_Ev13rocblas_fill_18rocblas_operation_17rocblas_diagonal_iiT3_T4_lilT5_lili,comdat
.Lfunc_end212:
	.size	_ZL30rocblas_trsm_small_left_deviceILi12ELi12ELb1E19rocblas_complex_numIdES1_PKPKS1_PKPS1_Ev13rocblas_fill_18rocblas_operation_17rocblas_diagonal_iiT3_T4_lilT5_lili, .Lfunc_end212-_ZL30rocblas_trsm_small_left_deviceILi12ELi12ELb1E19rocblas_complex_numIdES1_PKPKS1_PKPS1_Ev13rocblas_fill_18rocblas_operation_17rocblas_diagonal_iiT3_T4_lilT5_lili
                                        ; -- End function
	.set _ZL30rocblas_trsm_small_left_deviceILi12ELi12ELb1E19rocblas_complex_numIdES1_PKPKS1_PKPS1_Ev13rocblas_fill_18rocblas_operation_17rocblas_diagonal_iiT3_T4_lilT5_lili.num_vgpr, 24
	.set _ZL30rocblas_trsm_small_left_deviceILi12ELi12ELb1E19rocblas_complex_numIdES1_PKPKS1_PKPS1_Ev13rocblas_fill_18rocblas_operation_17rocblas_diagonal_iiT3_T4_lilT5_lili.num_agpr, 0
	.set _ZL30rocblas_trsm_small_left_deviceILi12ELi12ELb1E19rocblas_complex_numIdES1_PKPKS1_PKPS1_Ev13rocblas_fill_18rocblas_operation_17rocblas_diagonal_iiT3_T4_lilT5_lili.numbered_sgpr, 30
	.set _ZL30rocblas_trsm_small_left_deviceILi12ELi12ELb1E19rocblas_complex_numIdES1_PKPKS1_PKPS1_Ev13rocblas_fill_18rocblas_operation_17rocblas_diagonal_iiT3_T4_lilT5_lili.num_named_barrier, 0
	.set _ZL30rocblas_trsm_small_left_deviceILi12ELi12ELb1E19rocblas_complex_numIdES1_PKPKS1_PKPS1_Ev13rocblas_fill_18rocblas_operation_17rocblas_diagonal_iiT3_T4_lilT5_lili.private_seg_size, 0
	.set _ZL30rocblas_trsm_small_left_deviceILi12ELi12ELb1E19rocblas_complex_numIdES1_PKPKS1_PKPS1_Ev13rocblas_fill_18rocblas_operation_17rocblas_diagonal_iiT3_T4_lilT5_lili.uses_vcc, 1
	.set _ZL30rocblas_trsm_small_left_deviceILi12ELi12ELb1E19rocblas_complex_numIdES1_PKPKS1_PKPS1_Ev13rocblas_fill_18rocblas_operation_17rocblas_diagonal_iiT3_T4_lilT5_lili.uses_flat_scratch, 0
	.set _ZL30rocblas_trsm_small_left_deviceILi12ELi12ELb1E19rocblas_complex_numIdES1_PKPKS1_PKPS1_Ev13rocblas_fill_18rocblas_operation_17rocblas_diagonal_iiT3_T4_lilT5_lili.has_dyn_sized_stack, 0
	.set _ZL30rocblas_trsm_small_left_deviceILi12ELi12ELb1E19rocblas_complex_numIdES1_PKPKS1_PKPS1_Ev13rocblas_fill_18rocblas_operation_17rocblas_diagonal_iiT3_T4_lilT5_lili.has_recursion, 0
	.set _ZL30rocblas_trsm_small_left_deviceILi12ELi12ELb1E19rocblas_complex_numIdES1_PKPKS1_PKPS1_Ev13rocblas_fill_18rocblas_operation_17rocblas_diagonal_iiT3_T4_lilT5_lili.has_indirect_call, 0
	.section	.AMDGPU.csdata,"",@progbits
; Kernel info:
; codeLenInByte = 2328
; TotalNumSgprs: 36
; NumVgprs: 24
; NumAgprs: 0
; TotalNumVgprs: 24
; ScratchSize: 0
; MemoryBound: 0
; FloatMode: 240
; IeeeMode: 1
; LDSByteSize: 4608 bytes/workgroup (compile time only)
; SGPRBlocks: 4
; VGPRBlocks: 2
; NumSGPRsForWavesPerEU: 36
; NumVGPRsForWavesPerEU: 24
; AccumOffset: 24
; Occupancy: 8
; WaveLimiterHint : 1
; COMPUTE_PGM_RSRC2:SCRATCH_EN: 0
; COMPUTE_PGM_RSRC2:USER_SGPR: 4
; COMPUTE_PGM_RSRC2:TRAP_HANDLER: 0
; COMPUTE_PGM_RSRC2:TGID_X_EN: 1
; COMPUTE_PGM_RSRC2:TGID_Y_EN: 0
; COMPUTE_PGM_RSRC2:TGID_Z_EN: 1
; COMPUTE_PGM_RSRC2:TIDIG_COMP_CNT: 2
; COMPUTE_PGM_RSRC3_GFX90A:ACCUM_OFFSET: 5
; COMPUTE_PGM_RSRC3_GFX90A:TG_SPLIT: 0
	.section	.text._ZL31rocblas_trsm_small_right_deviceI19rocblas_complex_numIdES1_PKPKS1_PKPS1_Li12EEv13rocblas_fill_18rocblas_operation_17rocblas_diagonal_iiT0_T1_lilT2_lili,"axG",@progbits,_ZL31rocblas_trsm_small_right_deviceI19rocblas_complex_numIdES1_PKPKS1_PKPS1_Li12EEv13rocblas_fill_18rocblas_operation_17rocblas_diagonal_iiT0_T1_lilT2_lili,comdat
	.globl	_ZL31rocblas_trsm_small_right_deviceI19rocblas_complex_numIdES1_PKPKS1_PKPS1_Li12EEv13rocblas_fill_18rocblas_operation_17rocblas_diagonal_iiT0_T1_lilT2_lili ; -- Begin function _ZL31rocblas_trsm_small_right_deviceI19rocblas_complex_numIdES1_PKPKS1_PKPS1_Li12EEv13rocblas_fill_18rocblas_operation_17rocblas_diagonal_iiT0_T1_lilT2_lili
	.p2align	8
	.type	_ZL31rocblas_trsm_small_right_deviceI19rocblas_complex_numIdES1_PKPKS1_PKPS1_Li12EEv13rocblas_fill_18rocblas_operation_17rocblas_diagonal_iiT0_T1_lilT2_lili,@function
_ZL31rocblas_trsm_small_right_deviceI19rocblas_complex_numIdES1_PKPKS1_PKPS1_Li12EEv13rocblas_fill_18rocblas_operation_17rocblas_diagonal_iiT0_T1_lilT2_lili: ; @_ZL31rocblas_trsm_small_right_deviceI19rocblas_complex_numIdES1_PKPKS1_PKPS1_Li12EEv13rocblas_fill_18rocblas_operation_17rocblas_diagonal_iiT0_T1_lilT2_lili
; %bb.0:
	s_mov_b32 s20, s3
	s_load_dwordx4 s[16:19], s[0:1], 0x48
	s_load_dwordx4 s[12:15], s[0:1], 0x0
	s_load_dword s24, s[0:1], 0x10
	s_load_dwordx8 s[4:11], s[0:1], 0x18
	s_mov_b32 s21, 0
	s_lshl_b64 s[22:23], s[20:21], 3
	s_waitcnt lgkmcnt(0)
	s_add_u32 s16, s16, s22
	s_addc_u32 s17, s17, s23
	s_load_dwordx2 s[16:17], s[16:17], 0x0
	s_min_i32 s25, s24, 12
	v_cmp_gt_i32_e32 vcc, s25, v0
	s_and_saveexec_b64 s[20:21], vcc
	s_cbranch_execz .LBB213_5
; %bb.1:
	s_load_dword s26, s[0:1], 0x38
	v_lshlrev_b32_e32 v2, 4, v0
	v_mov_b32_e32 v3, 0
	v_mov_b32_e32 v1, v2
	s_mov_b32 s3, s25
	s_waitcnt lgkmcnt(0)
	s_ashr_i32 s27, s26, 31
	s_cmpk_eq_i32 s13, 0x71
	s_cselect_b64 vcc, -1, 0
	s_add_u32 s8, s8, s22
	s_addc_u32 s9, s9, s23
	s_load_dwordx2 s[8:9], s[8:9], 0x0
	s_lshl_b64 s[10:11], s[10:11], 4
	s_waitcnt lgkmcnt(0)
	s_add_u32 s10, s8, s10
	s_addc_u32 s11, s9, s11
	s_lshl_b64 s[8:9], s[26:27], 4
	v_lshl_add_u64 v[4:5], s[10:11], 0, v[2:3]
.LBB213_2:                              ; =>This Inner Loop Header: Depth=1
	flat_load_dwordx4 v[6:9], v[4:5]
	s_add_i32 s3, s3, -1
	v_lshl_add_u64 v[4:5], v[4:5], 0, s[8:9]
	s_cmp_eq_u32 s3, 0
	s_waitcnt vmcnt(0) lgkmcnt(0)
	v_xor_b32_e32 v3, 0x80000000, v9
	v_cndmask_b32_e32 v9, v9, v3, vcc
	ds_write_b128 v1, v[6:9]
	v_add_u32_e32 v1, 0xc0, v1
	s_cbranch_scc0 .LBB213_2
; %bb.3:
	s_cmpk_eq_i32 s14, 0x84
	s_cbranch_scc0 .LBB213_5
; %bb.4:
	s_movk_i32 s3, 0xc0
	v_mad_u32_u24 v1, v0, s3, v2
	v_mov_b32_e32 v2, 0
	v_mov_b32_e32 v3, 0x3ff00000
	;; [unrolled: 1-line block ×4, first 2 shown]
	ds_write_b128 v1, v[2:5]
.LBB213_5:
	s_or_b64 exec, exec, s[20:21]
	s_load_dword s3, s[0:1], 0x70
	s_load_dword s8, s[0:1], 0x58
	s_lshl_b64 s[0:1], s[18:19], 4
	s_waitcnt lgkmcnt(0)
	s_add_u32 s0, s16, s0
	s_mul_i32 s9, s2, -12
	s_addc_u32 s1, s17, s1
	s_add_i32 s3, s3, -1
	s_add_i32 s9, s15, s9
	s_cmp_ge_u32 s2, s3
	s_mul_hi_i32 s3, s2, 0xc0
	s_mulk_i32 s2, 0xc0
	s_cselect_b32 s9, s9, 12
	s_add_u32 s2, s0, s2
	s_addc_u32 s3, s1, s3
	v_cmp_gt_i32_e64 s[0:1], s9, v0
	s_and_saveexec_b64 s[10:11], s[0:1]
	s_cbranch_execz .LBB213_9
; %bb.6:
	s_cmp_lt_i32 s24, 1
	s_cbranch_scc1 .LBB213_9
; %bb.7:
	s_ashr_i32 s9, s8, 31
	v_lshlrev_b32_e32 v4, 4, v0
	v_mov_b32_e32 v5, 0
	v_lshl_add_u64 v[2:3], s[2:3], 0, v[4:5]
	s_lshl_b64 s[14:15], s[8:9], 4
	v_or_b32_e32 v1, 0x900, v4
	s_mov_b32 s9, s24
.LBB213_8:                              ; =>This Inner Loop Header: Depth=1
	flat_load_dwordx4 v[4:7], v[2:3]
	s_add_i32 s9, s9, -1
	v_lshl_add_u64 v[2:3], v[2:3], 0, s[14:15]
	s_cmp_lg_u32 s9, 0
	s_waitcnt vmcnt(0) lgkmcnt(0)
	v_mul_f64 v[10:11], s[6:7], v[6:7]
	v_mul_f64 v[8:9], s[4:5], v[6:7]
	v_fma_f64 v[6:7], s[4:5], v[4:5], -v[10:11]
	v_fmac_f64_e32 v[8:9], s[6:7], v[4:5]
	ds_write_b128 v1, v[6:9]
	v_add_u32_e32 v1, 0xc0, v1
	s_cbranch_scc1 .LBB213_8
.LBB213_9:
	s_or_b64 exec, exec, s[10:11]
	s_cmpk_eq_i32 s13, 0x6f
	s_cselect_b64 s[4:5], -1, 0
	s_cmpk_lg_i32 s12, 0x79
	s_cselect_b64 s[6:7], -1, 0
	s_cmpk_eq_i32 s12, 0x79
	s_cselect_b64 s[10:11], -1, 0
	s_and_b64 s[10:11], s[10:11], s[4:5]
	s_andn2_b64 vcc, exec, s[10:11]
	s_mov_b64 s[10:11], -1
	s_waitcnt lgkmcnt(0)
	; wave barrier
	s_cbranch_vccz .LBB213_110
; %bb.10:
	s_cmpk_lg_i32 s12, 0x7a
	s_cselect_b64 s[12:13], -1, 0
	s_xor_b64 s[4:5], s[4:5], -1
	s_add_i32 s9, s25, -1
	s_or_b64 s[12:13], s[12:13], s[4:5]
	v_mov_b32_e32 v1, 0x900
	s_cmp_gt_i32 s24, 3
	v_lshl_or_b32 v1, v0, 4, v1
	s_cselect_b64 s[4:5], -1, 0
	s_and_b64 vcc, exec, s[12:13]
	s_cbranch_vccz .LBB213_77
; %bb.11:
	s_andn2_b64 vcc, exec, s[6:7]
	s_mov_b64 s[6:7], -1
	s_cbranch_vccnz .LBB213_44
; %bb.12:
	s_andn2_b64 vcc, exec, s[4:5]
	s_mov_b32 s12, 0
	s_cbranch_vccnz .LBB213_34
; %bb.13:
	v_mov_b32_e32 v2, 0x900
	v_lshl_or_b32 v26, v0, 4, v2
	s_mov_b32 s10, 0
	s_mov_b32 s11, 0
.LBB213_14:                             ; =>This Loop Header: Depth=1
                                        ;     Child Loop BB213_15 Depth 2
	s_or_b32 s7, s11, 3
	s_mul_i32 s6, s11, 0xc0
	v_add_u32_e32 v28, s6, v1
	s_mulk_i32 s7, 0xc0
	ds_read_b128 v[18:21], v28
	ds_read_b128 v[14:17], v28 offset:192
	v_add_u32_e32 v27, s7, v1
	ds_read_b128 v[6:9], v28 offset:384
	ds_read_b128 v[2:5], v27
	s_cmp_eq_u32 s11, 0
	v_mov_b32_e32 v10, v26
	s_mov_b32 s7, s10
	s_mov_b32 s12, s11
	s_cbranch_scc1 .LBB213_16
.LBB213_15:                             ;   Parent Loop BB213_14 Depth=1
                                        ; =>  This Inner Loop Header: Depth=2
	v_mov_b32_e32 v11, s7
	ds_read_b128 v[22:25], v10
	ds_read_b128 v[30:33], v11
	ds_read_b128 v[34:37], v11 offset:16
	ds_read_b128 v[38:41], v11 offset:32
	;; [unrolled: 1-line block ×3, first 2 shown]
	s_add_i32 s12, s12, -1
	s_addk_i32 s7, 0xc0
	v_add_u32_e32 v10, 0xc0, v10
	s_waitcnt lgkmcnt(3)
	v_mul_f64 v[12:13], v[24:25], v[32:33]
	v_mul_f64 v[32:33], v[22:23], v[32:33]
	s_waitcnt lgkmcnt(2)
	v_mul_f64 v[46:47], v[24:25], v[36:37]
	v_mul_f64 v[36:37], v[22:23], v[36:37]
	;; [unrolled: 3-line block ×4, first 2 shown]
	v_fma_f64 v[12:13], v[22:23], v[30:31], -v[12:13]
	v_fmac_f64_e32 v[32:33], v[24:25], v[30:31]
	v_fma_f64 v[30:31], v[22:23], v[34:35], -v[46:47]
	v_fmac_f64_e32 v[36:37], v[24:25], v[34:35]
	;; [unrolled: 2-line block ×4, first 2 shown]
	s_cmp_eq_u32 s12, 0
	v_add_f64 v[18:19], v[18:19], -v[12:13]
	v_add_f64 v[20:21], v[20:21], -v[32:33]
	;; [unrolled: 1-line block ×8, first 2 shown]
	s_cbranch_scc0 .LBB213_15
.LBB213_16:                             ;   in Loop: Header=BB213_14 Depth=1
	s_lshl_b32 s12, s11, 4
	s_add_i32 s13, s12, s6
	v_mov_b32_e32 v10, s13
	ds_read_b128 v[22:25], v10
	s_mov_b64 s[6:7], -1
                                        ; implicit-def: $vgpr12_vgpr13
	s_waitcnt lgkmcnt(0)
	v_cmp_ngt_f64_e64 s[14:15], |v[22:23]|, |v[24:25]|
	s_and_b64 vcc, exec, s[14:15]
	s_cbranch_vccz .LBB213_18
; %bb.17:                               ;   in Loop: Header=BB213_14 Depth=1
	v_div_scale_f64 v[10:11], s[6:7], v[24:25], v[24:25], v[22:23]
	v_rcp_f64_e32 v[12:13], v[10:11]
	v_div_scale_f64 v[30:31], vcc, v[22:23], v[24:25], v[22:23]
	v_fma_f64 v[32:33], -v[10:11], v[12:13], 1.0
	v_fmac_f64_e32 v[12:13], v[12:13], v[32:33]
	v_fma_f64 v[32:33], -v[10:11], v[12:13], 1.0
	v_fmac_f64_e32 v[12:13], v[12:13], v[32:33]
	v_mul_f64 v[32:33], v[30:31], v[12:13]
	v_fma_f64 v[10:11], -v[10:11], v[32:33], v[30:31]
	v_div_fmas_f64 v[10:11], v[10:11], v[12:13], v[32:33]
	v_div_fixup_f64 v[12:13], v[10:11], v[24:25], v[22:23]
	v_fma_f64 v[10:11], v[22:23], v[12:13], v[24:25]
	v_div_scale_f64 v[30:31], s[6:7], v[10:11], v[10:11], 1.0
	v_rcp_f64_e32 v[32:33], v[30:31]
	s_mov_b64 s[6:7], 0
	v_fma_f64 v[34:35], -v[30:31], v[32:33], 1.0
	v_fmac_f64_e32 v[32:33], v[32:33], v[34:35]
	v_fma_f64 v[34:35], -v[30:31], v[32:33], 1.0
	v_fmac_f64_e32 v[32:33], v[32:33], v[34:35]
	v_div_scale_f64 v[34:35], vcc, 1.0, v[10:11], 1.0
	v_mul_f64 v[36:37], v[34:35], v[32:33]
	v_fma_f64 v[30:31], -v[30:31], v[36:37], v[34:35]
	s_nop 1
	v_div_fmas_f64 v[30:31], v[30:31], v[32:33], v[36:37]
	v_div_fixup_f64 v[30:31], v[30:31], v[10:11], 1.0
	v_fma_f64 v[10:11], v[18:19], v[12:13], v[20:21]
	v_fma_f64 v[12:13], v[20:21], v[12:13], -v[18:19]
	v_mul_f64 v[10:11], v[10:11], v[30:31]
	v_mul_f64 v[12:13], v[12:13], v[30:31]
.LBB213_18:                             ;   in Loop: Header=BB213_14 Depth=1
	s_andn2_b64 vcc, exec, s[6:7]
	s_cbranch_vccnz .LBB213_20
; %bb.19:                               ;   in Loop: Header=BB213_14 Depth=1
	v_div_scale_f64 v[10:11], s[6:7], v[22:23], v[22:23], v[24:25]
	v_rcp_f64_e32 v[12:13], v[10:11]
	v_div_scale_f64 v[30:31], vcc, v[24:25], v[22:23], v[24:25]
	v_fma_f64 v[32:33], -v[10:11], v[12:13], 1.0
	v_fmac_f64_e32 v[12:13], v[12:13], v[32:33]
	v_fma_f64 v[32:33], -v[10:11], v[12:13], 1.0
	v_fmac_f64_e32 v[12:13], v[12:13], v[32:33]
	v_mul_f64 v[32:33], v[30:31], v[12:13]
	v_fma_f64 v[10:11], -v[10:11], v[32:33], v[30:31]
	v_div_fmas_f64 v[10:11], v[10:11], v[12:13], v[32:33]
	v_div_fixup_f64 v[12:13], v[10:11], v[22:23], v[24:25]
	v_fmac_f64_e32 v[22:23], v[24:25], v[12:13]
	v_div_scale_f64 v[10:11], s[6:7], v[22:23], v[22:23], 1.0
	v_rcp_f64_e32 v[24:25], v[10:11]
	s_nop 0
	v_fma_f64 v[30:31], -v[10:11], v[24:25], 1.0
	v_fmac_f64_e32 v[24:25], v[24:25], v[30:31]
	v_fma_f64 v[30:31], -v[10:11], v[24:25], 1.0
	v_fmac_f64_e32 v[24:25], v[24:25], v[30:31]
	v_div_scale_f64 v[30:31], vcc, 1.0, v[22:23], 1.0
	v_mul_f64 v[32:33], v[30:31], v[24:25]
	v_fma_f64 v[10:11], -v[10:11], v[32:33], v[30:31]
	s_nop 1
	v_div_fmas_f64 v[10:11], v[10:11], v[24:25], v[32:33]
	v_div_fixup_f64 v[22:23], v[10:11], v[22:23], 1.0
	v_fma_f64 v[10:11], v[20:21], v[12:13], v[18:19]
	v_fma_f64 v[12:13], -v[18:19], v[12:13], v[20:21]
	v_mul_f64 v[10:11], v[10:11], v[22:23]
	v_mul_f64 v[12:13], v[12:13], v[22:23]
.LBB213_20:                             ;   in Loop: Header=BB213_14 Depth=1
	v_mov_b32_e32 v18, s13
	ds_read_b128 v[22:25], v18 offset:16
	ds_read_b128 v[18:21], v18 offset:208
	s_mov_b64 s[6:7], -1
	ds_write_b128 v28, v[10:13]
	s_waitcnt lgkmcnt(2)
	v_mul_f64 v[30:31], v[12:13], v[24:25]
	v_mul_f64 v[24:25], v[10:11], v[24:25]
	v_fma_f64 v[30:31], v[10:11], v[22:23], -v[30:31]
	v_fmac_f64_e32 v[24:25], v[12:13], v[22:23]
	s_waitcnt lgkmcnt(1)
	v_cmp_ngt_f64_e64 s[14:15], |v[18:19]|, |v[20:21]|
	v_add_f64 v[22:23], v[14:15], -v[30:31]
	v_add_f64 v[24:25], v[16:17], -v[24:25]
	s_and_b64 vcc, exec, s[14:15]
                                        ; implicit-def: $vgpr16_vgpr17
	s_cbranch_vccz .LBB213_22
; %bb.21:                               ;   in Loop: Header=BB213_14 Depth=1
	v_div_scale_f64 v[14:15], s[6:7], v[20:21], v[20:21], v[18:19]
	v_rcp_f64_e32 v[16:17], v[14:15]
	v_div_scale_f64 v[30:31], vcc, v[18:19], v[20:21], v[18:19]
	v_fma_f64 v[32:33], -v[14:15], v[16:17], 1.0
	v_fmac_f64_e32 v[16:17], v[16:17], v[32:33]
	v_fma_f64 v[32:33], -v[14:15], v[16:17], 1.0
	v_fmac_f64_e32 v[16:17], v[16:17], v[32:33]
	v_mul_f64 v[32:33], v[30:31], v[16:17]
	v_fma_f64 v[14:15], -v[14:15], v[32:33], v[30:31]
	v_div_fmas_f64 v[14:15], v[14:15], v[16:17], v[32:33]
	v_div_fixup_f64 v[16:17], v[14:15], v[20:21], v[18:19]
	v_fma_f64 v[14:15], v[18:19], v[16:17], v[20:21]
	v_div_scale_f64 v[30:31], s[6:7], v[14:15], v[14:15], 1.0
	v_rcp_f64_e32 v[32:33], v[30:31]
	s_mov_b64 s[6:7], 0
	v_fma_f64 v[34:35], -v[30:31], v[32:33], 1.0
	v_fmac_f64_e32 v[32:33], v[32:33], v[34:35]
	v_fma_f64 v[34:35], -v[30:31], v[32:33], 1.0
	v_fmac_f64_e32 v[32:33], v[32:33], v[34:35]
	v_div_scale_f64 v[34:35], vcc, 1.0, v[14:15], 1.0
	v_mul_f64 v[36:37], v[34:35], v[32:33]
	v_fma_f64 v[30:31], -v[30:31], v[36:37], v[34:35]
	s_nop 1
	v_div_fmas_f64 v[30:31], v[30:31], v[32:33], v[36:37]
	v_div_fixup_f64 v[30:31], v[30:31], v[14:15], 1.0
	v_fma_f64 v[14:15], v[16:17], v[22:23], v[24:25]
	v_fma_f64 v[16:17], v[16:17], v[24:25], -v[22:23]
	v_mul_f64 v[14:15], v[14:15], v[30:31]
	v_mul_f64 v[16:17], v[16:17], v[30:31]
.LBB213_22:                             ;   in Loop: Header=BB213_14 Depth=1
	s_andn2_b64 vcc, exec, s[6:7]
	s_cbranch_vccnz .LBB213_24
; %bb.23:                               ;   in Loop: Header=BB213_14 Depth=1
	v_div_scale_f64 v[14:15], s[6:7], v[18:19], v[18:19], v[20:21]
	v_rcp_f64_e32 v[16:17], v[14:15]
	v_div_scale_f64 v[30:31], vcc, v[20:21], v[18:19], v[20:21]
	v_fma_f64 v[32:33], -v[14:15], v[16:17], 1.0
	v_fmac_f64_e32 v[16:17], v[16:17], v[32:33]
	v_fma_f64 v[32:33], -v[14:15], v[16:17], 1.0
	v_fmac_f64_e32 v[16:17], v[16:17], v[32:33]
	v_mul_f64 v[32:33], v[30:31], v[16:17]
	v_fma_f64 v[14:15], -v[14:15], v[32:33], v[30:31]
	v_div_fmas_f64 v[14:15], v[14:15], v[16:17], v[32:33]
	v_div_fixup_f64 v[16:17], v[14:15], v[18:19], v[20:21]
	v_fmac_f64_e32 v[18:19], v[20:21], v[16:17]
	v_div_scale_f64 v[14:15], s[6:7], v[18:19], v[18:19], 1.0
	v_rcp_f64_e32 v[20:21], v[14:15]
	s_nop 0
	v_fma_f64 v[30:31], -v[14:15], v[20:21], 1.0
	v_fmac_f64_e32 v[20:21], v[20:21], v[30:31]
	v_fma_f64 v[30:31], -v[14:15], v[20:21], 1.0
	v_fmac_f64_e32 v[20:21], v[20:21], v[30:31]
	v_div_scale_f64 v[30:31], vcc, 1.0, v[18:19], 1.0
	v_mul_f64 v[32:33], v[30:31], v[20:21]
	v_fma_f64 v[14:15], -v[14:15], v[32:33], v[30:31]
	s_nop 1
	v_div_fmas_f64 v[14:15], v[14:15], v[20:21], v[32:33]
	v_div_fixup_f64 v[18:19], v[14:15], v[18:19], 1.0
	v_fma_f64 v[14:15], v[16:17], v[24:25], v[22:23]
	v_fma_f64 v[16:17], -v[16:17], v[22:23], v[24:25]
	v_mul_f64 v[14:15], v[14:15], v[18:19]
	v_mul_f64 v[16:17], v[16:17], v[18:19]
.LBB213_24:                             ;   in Loop: Header=BB213_14 Depth=1
	v_mov_b32_e32 v18, s13
	ds_read_b128 v[22:25], v18 offset:32
	s_add_i32 s15, s13, 0xd0
	s_or_b32 s6, s12, 16
	s_sub_i32 s14, s15, s6
	s_add_i32 s14, s14, s12
	s_waitcnt lgkmcnt(0)
	v_mul_f64 v[30:31], v[12:13], v[24:25]
	v_mov_b32_e32 v29, s14
	ds_read_b128 v[18:21], v18 offset:416
	v_fma_f64 v[34:35], v[10:11], v[22:23], -v[30:31]
	ds_read_b128 v[30:33], v29 offset:32
	v_mul_f64 v[24:25], v[10:11], v[24:25]
	v_fmac_f64_e32 v[24:25], v[12:13], v[22:23]
	v_add_f64 v[8:9], v[8:9], -v[24:25]
	v_add_f64 v[6:7], v[6:7], -v[34:35]
	s_waitcnt lgkmcnt(0)
	v_mul_f64 v[22:23], v[16:17], v[32:33]
	v_mul_f64 v[24:25], v[14:15], v[32:33]
	v_fma_f64 v[22:23], v[14:15], v[30:31], -v[22:23]
	v_fmac_f64_e32 v[24:25], v[16:17], v[30:31]
	v_cmp_ngt_f64_e64 s[16:17], |v[18:19]|, |v[20:21]|
	v_add_f64 v[6:7], v[6:7], -v[22:23]
	v_add_f64 v[8:9], v[8:9], -v[24:25]
	s_mov_b64 s[6:7], -1
	s_and_b64 vcc, exec, s[16:17]
	ds_write_b128 v28, v[14:17] offset:192
                                        ; implicit-def: $vgpr24_vgpr25
	s_cbranch_vccz .LBB213_26
; %bb.25:                               ;   in Loop: Header=BB213_14 Depth=1
	v_div_scale_f64 v[22:23], s[6:7], v[20:21], v[20:21], v[18:19]
	v_rcp_f64_e32 v[24:25], v[22:23]
	v_div_scale_f64 v[30:31], vcc, v[18:19], v[20:21], v[18:19]
	v_fma_f64 v[32:33], -v[22:23], v[24:25], 1.0
	v_fmac_f64_e32 v[24:25], v[24:25], v[32:33]
	v_fma_f64 v[32:33], -v[22:23], v[24:25], 1.0
	v_fmac_f64_e32 v[24:25], v[24:25], v[32:33]
	v_mul_f64 v[32:33], v[30:31], v[24:25]
	v_fma_f64 v[22:23], -v[22:23], v[32:33], v[30:31]
	v_div_fmas_f64 v[22:23], v[22:23], v[24:25], v[32:33]
	v_div_fixup_f64 v[24:25], v[22:23], v[20:21], v[18:19]
	v_fma_f64 v[22:23], v[18:19], v[24:25], v[20:21]
	v_div_scale_f64 v[30:31], s[6:7], v[22:23], v[22:23], 1.0
	v_rcp_f64_e32 v[32:33], v[30:31]
	s_mov_b64 s[6:7], 0
	v_fma_f64 v[34:35], -v[30:31], v[32:33], 1.0
	v_fmac_f64_e32 v[32:33], v[32:33], v[34:35]
	v_fma_f64 v[34:35], -v[30:31], v[32:33], 1.0
	v_fmac_f64_e32 v[32:33], v[32:33], v[34:35]
	v_div_scale_f64 v[34:35], vcc, 1.0, v[22:23], 1.0
	v_mul_f64 v[36:37], v[34:35], v[32:33]
	v_fma_f64 v[30:31], -v[30:31], v[36:37], v[34:35]
	s_nop 1
	v_div_fmas_f64 v[30:31], v[30:31], v[32:33], v[36:37]
	v_div_fixup_f64 v[30:31], v[30:31], v[22:23], 1.0
	v_fma_f64 v[22:23], v[24:25], v[6:7], v[8:9]
	v_fma_f64 v[24:25], v[24:25], v[8:9], -v[6:7]
	v_mul_f64 v[22:23], v[22:23], v[30:31]
	v_mul_f64 v[24:25], v[24:25], v[30:31]
.LBB213_26:                             ;   in Loop: Header=BB213_14 Depth=1
	s_andn2_b64 vcc, exec, s[6:7]
	s_cbranch_vccnz .LBB213_28
; %bb.27:                               ;   in Loop: Header=BB213_14 Depth=1
	v_div_scale_f64 v[22:23], s[6:7], v[18:19], v[18:19], v[20:21]
	v_rcp_f64_e32 v[24:25], v[22:23]
	v_div_scale_f64 v[30:31], vcc, v[20:21], v[18:19], v[20:21]
	v_fma_f64 v[32:33], -v[22:23], v[24:25], 1.0
	v_fmac_f64_e32 v[24:25], v[24:25], v[32:33]
	v_fma_f64 v[32:33], -v[22:23], v[24:25], 1.0
	v_fmac_f64_e32 v[24:25], v[24:25], v[32:33]
	v_mul_f64 v[32:33], v[30:31], v[24:25]
	v_fma_f64 v[22:23], -v[22:23], v[32:33], v[30:31]
	v_div_fmas_f64 v[22:23], v[22:23], v[24:25], v[32:33]
	v_div_fixup_f64 v[24:25], v[22:23], v[18:19], v[20:21]
	v_fmac_f64_e32 v[18:19], v[20:21], v[24:25]
	v_div_scale_f64 v[20:21], s[6:7], v[18:19], v[18:19], 1.0
	v_rcp_f64_e32 v[22:23], v[20:21]
	s_nop 0
	v_fma_f64 v[30:31], -v[20:21], v[22:23], 1.0
	v_fmac_f64_e32 v[22:23], v[22:23], v[30:31]
	v_fma_f64 v[30:31], -v[20:21], v[22:23], 1.0
	v_fmac_f64_e32 v[22:23], v[22:23], v[30:31]
	v_div_scale_f64 v[30:31], vcc, 1.0, v[18:19], 1.0
	v_mul_f64 v[32:33], v[30:31], v[22:23]
	v_fma_f64 v[20:21], -v[20:21], v[32:33], v[30:31]
	s_nop 1
	v_div_fmas_f64 v[20:21], v[20:21], v[22:23], v[32:33]
	v_div_fixup_f64 v[18:19], v[20:21], v[18:19], 1.0
	v_fma_f64 v[20:21], v[24:25], v[8:9], v[6:7]
	v_fma_f64 v[6:7], -v[24:25], v[6:7], v[8:9]
	v_mul_f64 v[22:23], v[20:21], v[18:19]
	v_mul_f64 v[24:25], v[6:7], v[18:19]
.LBB213_28:                             ;   in Loop: Header=BB213_14 Depth=1
	v_mov_b32_e32 v6, s13
	ds_read_b128 v[18:21], v6 offset:48
	s_or_b32 s6, s12, 32
	ds_write_b128 v28, v[22:25] offset:384
	s_sub_i32 s6, s15, s6
	s_add_i32 s6, s6, s12
	s_waitcnt lgkmcnt(1)
	v_mul_f64 v[28:29], v[12:13], v[20:21]
	v_fma_f64 v[28:29], v[10:11], v[18:19], -v[28:29]
	v_mul_f64 v[20:21], v[10:11], v[20:21]
	v_fmac_f64_e32 v[20:21], v[12:13], v[18:19]
	v_add_f64 v[18:19], v[2:3], -v[28:29]
	v_mov_b32_e32 v2, s14
	ds_read_b128 v[6:9], v6 offset:624
	ds_read_b128 v[10:13], v2 offset:48
	v_mov_b32_e32 v2, s6
	v_add_f64 v[20:21], v[4:5], -v[20:21]
	ds_read_b128 v[2:5], v2 offset:256
	s_waitcnt lgkmcnt(2)
	v_cmp_ngt_f64_e64 s[12:13], |v[6:7]|, |v[8:9]|
	s_waitcnt lgkmcnt(1)
	v_mul_f64 v[28:29], v[16:17], v[12:13]
	v_mul_f64 v[12:13], v[14:15], v[12:13]
	v_fma_f64 v[28:29], v[14:15], v[10:11], -v[28:29]
	v_fmac_f64_e32 v[12:13], v[16:17], v[10:11]
	s_waitcnt lgkmcnt(0)
	v_mul_f64 v[14:15], v[24:25], v[4:5]
	v_mul_f64 v[4:5], v[22:23], v[4:5]
	v_add_f64 v[10:11], v[18:19], -v[28:29]
	v_add_f64 v[12:13], v[20:21], -v[12:13]
	v_fma_f64 v[14:15], v[22:23], v[2:3], -v[14:15]
	v_fmac_f64_e32 v[4:5], v[24:25], v[2:3]
	v_add_f64 v[10:11], v[10:11], -v[14:15]
	v_add_f64 v[12:13], v[12:13], -v[4:5]
	s_mov_b64 s[6:7], -1
	s_and_b64 vcc, exec, s[12:13]
                                        ; implicit-def: $vgpr4_vgpr5
	s_cbranch_vccz .LBB213_30
; %bb.29:                               ;   in Loop: Header=BB213_14 Depth=1
	v_div_scale_f64 v[2:3], s[6:7], v[8:9], v[8:9], v[6:7]
	v_rcp_f64_e32 v[4:5], v[2:3]
	v_div_scale_f64 v[14:15], vcc, v[6:7], v[8:9], v[6:7]
	v_fma_f64 v[16:17], -v[2:3], v[4:5], 1.0
	v_fmac_f64_e32 v[4:5], v[4:5], v[16:17]
	v_fma_f64 v[16:17], -v[2:3], v[4:5], 1.0
	v_fmac_f64_e32 v[4:5], v[4:5], v[16:17]
	v_mul_f64 v[16:17], v[14:15], v[4:5]
	v_fma_f64 v[2:3], -v[2:3], v[16:17], v[14:15]
	v_div_fmas_f64 v[2:3], v[2:3], v[4:5], v[16:17]
	v_div_fixup_f64 v[4:5], v[2:3], v[8:9], v[6:7]
	v_fma_f64 v[2:3], v[6:7], v[4:5], v[8:9]
	v_div_scale_f64 v[14:15], s[6:7], v[2:3], v[2:3], 1.0
	v_rcp_f64_e32 v[16:17], v[14:15]
	s_mov_b64 s[6:7], 0
	v_fma_f64 v[18:19], -v[14:15], v[16:17], 1.0
	v_fmac_f64_e32 v[16:17], v[16:17], v[18:19]
	v_fma_f64 v[18:19], -v[14:15], v[16:17], 1.0
	v_fmac_f64_e32 v[16:17], v[16:17], v[18:19]
	v_div_scale_f64 v[18:19], vcc, 1.0, v[2:3], 1.0
	v_mul_f64 v[20:21], v[18:19], v[16:17]
	v_fma_f64 v[14:15], -v[14:15], v[20:21], v[18:19]
	s_nop 1
	v_div_fmas_f64 v[14:15], v[14:15], v[16:17], v[20:21]
	v_div_fixup_f64 v[14:15], v[14:15], v[2:3], 1.0
	v_fma_f64 v[2:3], v[4:5], v[10:11], v[12:13]
	v_fma_f64 v[4:5], v[4:5], v[12:13], -v[10:11]
	v_mul_f64 v[2:3], v[2:3], v[14:15]
	v_mul_f64 v[4:5], v[4:5], v[14:15]
.LBB213_30:                             ;   in Loop: Header=BB213_14 Depth=1
	s_andn2_b64 vcc, exec, s[6:7]
	s_cbranch_vccnz .LBB213_32
; %bb.31:                               ;   in Loop: Header=BB213_14 Depth=1
	v_div_scale_f64 v[2:3], s[6:7], v[6:7], v[6:7], v[8:9]
	v_rcp_f64_e32 v[4:5], v[2:3]
	v_div_scale_f64 v[14:15], vcc, v[8:9], v[6:7], v[8:9]
	v_fma_f64 v[16:17], -v[2:3], v[4:5], 1.0
	v_fmac_f64_e32 v[4:5], v[4:5], v[16:17]
	v_fma_f64 v[16:17], -v[2:3], v[4:5], 1.0
	v_fmac_f64_e32 v[4:5], v[4:5], v[16:17]
	v_mul_f64 v[16:17], v[14:15], v[4:5]
	v_fma_f64 v[2:3], -v[2:3], v[16:17], v[14:15]
	v_div_fmas_f64 v[2:3], v[2:3], v[4:5], v[16:17]
	v_div_fixup_f64 v[4:5], v[2:3], v[6:7], v[8:9]
	v_fmac_f64_e32 v[6:7], v[8:9], v[4:5]
	v_div_scale_f64 v[2:3], s[6:7], v[6:7], v[6:7], 1.0
	v_rcp_f64_e32 v[8:9], v[2:3]
	s_nop 0
	v_fma_f64 v[14:15], -v[2:3], v[8:9], 1.0
	v_fmac_f64_e32 v[8:9], v[8:9], v[14:15]
	v_fma_f64 v[14:15], -v[2:3], v[8:9], 1.0
	v_fmac_f64_e32 v[8:9], v[8:9], v[14:15]
	v_div_scale_f64 v[14:15], vcc, 1.0, v[6:7], 1.0
	v_mul_f64 v[16:17], v[14:15], v[8:9]
	v_fma_f64 v[2:3], -v[2:3], v[16:17], v[14:15]
	s_nop 1
	v_div_fmas_f64 v[2:3], v[2:3], v[8:9], v[16:17]
	v_div_fixup_f64 v[6:7], v[2:3], v[6:7], 1.0
	v_fma_f64 v[2:3], v[4:5], v[12:13], v[10:11]
	v_fma_f64 v[4:5], -v[4:5], v[10:11], v[12:13]
	v_mul_f64 v[2:3], v[2:3], v[6:7]
	v_mul_f64 v[4:5], v[4:5], v[6:7]
.LBB213_32:                             ;   in Loop: Header=BB213_14 Depth=1
	s_add_i32 s12, s11, 4
	s_add_i32 s6, s11, 7
	;; [unrolled: 1-line block ×3, first 2 shown]
	s_cmp_ge_i32 s6, s25
	ds_write_b128 v27, v[2:5]
	s_cbranch_scc1 .LBB213_34
; %bb.33:                               ;   in Loop: Header=BB213_14 Depth=1
	s_mov_b32 s11, s12
	s_branch .LBB213_14
.LBB213_34:
	s_cmp_ge_i32 s12, s25
	s_cbranch_scc1 .LBB213_43
; %bb.35:
	v_mov_b32_e32 v2, 0x900
	s_lshl_b32 s10, s12, 4
	v_lshl_or_b32 v14, v0, 4, v2
	s_branch .LBB213_37
.LBB213_36:                             ;   in Loop: Header=BB213_37 Depth=1
	s_add_i32 s12, s12, 1
	s_add_i32 s10, s10, 16
	s_cmp_ge_i32 s12, s25
	ds_write_b128 v15, v[10:13]
	s_cbranch_scc1 .LBB213_43
.LBB213_37:                             ; =>This Loop Header: Depth=1
                                        ;     Child Loop BB213_38 Depth 2
	s_mul_i32 s6, s12, 0xc0
	v_add_u32_e32 v15, s6, v1
	ds_read_b128 v[2:5], v15
	s_cmp_eq_u32 s12, 0
	v_mov_b32_e32 v6, v14
	s_mov_b32 s7, s10
	s_mov_b32 s11, s12
	s_cbranch_scc1 .LBB213_39
.LBB213_38:                             ;   Parent Loop BB213_37 Depth=1
                                        ; =>  This Inner Loop Header: Depth=2
	v_mov_b32_e32 v7, s7
	ds_read_b128 v[8:11], v6
	ds_read_b128 v[16:19], v7
	s_add_i32 s11, s11, -1
	s_addk_i32 s7, 0xc0
	v_add_u32_e32 v6, 0xc0, v6
	s_cmp_eq_u32 s11, 0
	s_waitcnt lgkmcnt(0)
	v_mul_f64 v[12:13], v[18:19], v[10:11]
	v_mul_f64 v[10:11], v[16:17], v[10:11]
	v_fma_f64 v[12:13], v[16:17], v[8:9], -v[12:13]
	v_fmac_f64_e32 v[10:11], v[18:19], v[8:9]
	v_add_f64 v[2:3], v[2:3], -v[12:13]
	v_add_f64 v[4:5], v[4:5], -v[10:11]
	s_cbranch_scc0 .LBB213_38
.LBB213_39:                             ;   in Loop: Header=BB213_37 Depth=1
	s_lshl_b32 s7, s12, 4
	s_add_i32 s6, s7, s6
	v_mov_b32_e32 v6, s6
	ds_read_b128 v[6:9], v6
	s_mov_b64 s[6:7], -1
                                        ; implicit-def: $vgpr10_vgpr11
	s_waitcnt lgkmcnt(0)
	v_cmp_ngt_f64_e64 s[14:15], |v[6:7]|, |v[8:9]|
	s_and_b64 vcc, exec, s[14:15]
	s_cbranch_vccz .LBB213_41
; %bb.40:                               ;   in Loop: Header=BB213_37 Depth=1
	v_div_scale_f64 v[10:11], s[6:7], v[8:9], v[8:9], v[6:7]
	v_rcp_f64_e32 v[12:13], v[10:11]
	v_div_scale_f64 v[16:17], vcc, v[6:7], v[8:9], v[6:7]
	v_fma_f64 v[18:19], -v[10:11], v[12:13], 1.0
	v_fmac_f64_e32 v[12:13], v[12:13], v[18:19]
	v_fma_f64 v[18:19], -v[10:11], v[12:13], 1.0
	v_fmac_f64_e32 v[12:13], v[12:13], v[18:19]
	v_mul_f64 v[18:19], v[16:17], v[12:13]
	v_fma_f64 v[10:11], -v[10:11], v[18:19], v[16:17]
	v_div_fmas_f64 v[10:11], v[10:11], v[12:13], v[18:19]
	v_div_fixup_f64 v[12:13], v[10:11], v[8:9], v[6:7]
	v_fma_f64 v[10:11], v[6:7], v[12:13], v[8:9]
	v_div_scale_f64 v[16:17], s[6:7], v[10:11], v[10:11], 1.0
	v_rcp_f64_e32 v[18:19], v[16:17]
	s_mov_b64 s[6:7], 0
	v_fma_f64 v[20:21], -v[16:17], v[18:19], 1.0
	v_fmac_f64_e32 v[18:19], v[18:19], v[20:21]
	v_fma_f64 v[20:21], -v[16:17], v[18:19], 1.0
	v_fmac_f64_e32 v[18:19], v[18:19], v[20:21]
	v_div_scale_f64 v[20:21], vcc, 1.0, v[10:11], 1.0
	v_mul_f64 v[22:23], v[20:21], v[18:19]
	v_fma_f64 v[16:17], -v[16:17], v[22:23], v[20:21]
	s_nop 1
	v_div_fmas_f64 v[16:17], v[16:17], v[18:19], v[22:23]
	v_div_fixup_f64 v[16:17], v[16:17], v[10:11], 1.0
	v_fma_f64 v[10:11], v[2:3], v[12:13], v[4:5]
	v_fma_f64 v[12:13], v[4:5], v[12:13], -v[2:3]
	v_mul_f64 v[10:11], v[10:11], v[16:17]
	v_mul_f64 v[12:13], v[12:13], v[16:17]
.LBB213_41:                             ;   in Loop: Header=BB213_37 Depth=1
	s_andn2_b64 vcc, exec, s[6:7]
	s_cbranch_vccnz .LBB213_36
; %bb.42:                               ;   in Loop: Header=BB213_37 Depth=1
	v_div_scale_f64 v[10:11], s[6:7], v[6:7], v[6:7], v[8:9]
	v_rcp_f64_e32 v[12:13], v[10:11]
	v_div_scale_f64 v[16:17], vcc, v[8:9], v[6:7], v[8:9]
	v_fma_f64 v[18:19], -v[10:11], v[12:13], 1.0
	v_fmac_f64_e32 v[12:13], v[12:13], v[18:19]
	v_fma_f64 v[18:19], -v[10:11], v[12:13], 1.0
	v_fmac_f64_e32 v[12:13], v[12:13], v[18:19]
	v_mul_f64 v[18:19], v[16:17], v[12:13]
	v_fma_f64 v[10:11], -v[10:11], v[18:19], v[16:17]
	v_div_fmas_f64 v[10:11], v[10:11], v[12:13], v[18:19]
	v_div_fixup_f64 v[12:13], v[10:11], v[6:7], v[8:9]
	v_fmac_f64_e32 v[6:7], v[8:9], v[12:13]
	v_div_scale_f64 v[8:9], s[6:7], v[6:7], v[6:7], 1.0
	v_rcp_f64_e32 v[10:11], v[8:9]
	s_nop 0
	v_fma_f64 v[16:17], -v[8:9], v[10:11], 1.0
	v_fmac_f64_e32 v[10:11], v[10:11], v[16:17]
	v_fma_f64 v[16:17], -v[8:9], v[10:11], 1.0
	v_fmac_f64_e32 v[10:11], v[10:11], v[16:17]
	v_div_scale_f64 v[16:17], vcc, 1.0, v[6:7], 1.0
	v_mul_f64 v[18:19], v[16:17], v[10:11]
	v_fma_f64 v[8:9], -v[8:9], v[18:19], v[16:17]
	s_nop 1
	v_div_fmas_f64 v[8:9], v[8:9], v[10:11], v[18:19]
	v_div_fixup_f64 v[6:7], v[8:9], v[6:7], 1.0
	v_fma_f64 v[8:9], v[4:5], v[12:13], v[2:3]
	v_fma_f64 v[2:3], -v[2:3], v[12:13], v[4:5]
	v_mul_f64 v[10:11], v[8:9], v[6:7]
	v_mul_f64 v[12:13], v[2:3], v[6:7]
	s_branch .LBB213_36
.LBB213_43:
	s_mov_b64 s[6:7], 0
.LBB213_44:
	s_and_b64 vcc, exec, s[6:7]
	s_cbranch_vccz .LBB213_76
; %bb.45:
	s_andn2_b64 vcc, exec, s[4:5]
	s_mov_b32 s12, s9
	s_cbranch_vccnz .LBB213_67
; %bb.46:
	s_mul_i32 s6, s25, 0xd0
	s_add_i32 s10, s6, 0xffffff00
	s_mul_i32 s6, s25, 0xc0
	v_lshl_add_u32 v2, v0, 4, s6
	v_add_u32_e32 v26, 0x840, v2
	s_mov_b32 s11, s9
.LBB213_47:                             ; =>This Loop Header: Depth=1
                                        ;     Child Loop BB213_48 Depth 2
	s_mul_i32 s6, s11, 0xc0
	v_add_u32_e32 v30, s6, v1
	v_add_u32_e32 v28, 0xfffffe80, v30
	s_add_i32 s7, s6, 0xfffffdc0
	v_add_u32_e32 v29, 0xffffff40, v30
	ds_read_b128 v[18:21], v30
	ds_read_b128 v[14:17], v29
	v_add_u32_e32 v27, s7, v1
	ds_read_b128 v[6:9], v28
	ds_read_b128 v[2:5], v27
	s_cmp_le_i32 s9, s11
	v_mov_b32_e32 v10, v26
	s_mov_b32 s7, s10
	s_mov_b32 s12, s9
	s_cbranch_scc1 .LBB213_49
.LBB213_48:                             ;   Parent Loop BB213_47 Depth=1
                                        ; =>  This Inner Loop Header: Depth=2
	v_mov_b32_e32 v11, s7
	ds_read_b128 v[22:25], v10
	ds_read_b128 v[32:35], v11 offset:48
	ds_read_b128 v[36:39], v11 offset:32
	ds_read_b128 v[40:43], v11
	ds_read_b128 v[44:47], v11 offset:16
	s_add_i32 s12, s12, -1
	s_addk_i32 s7, 0xff40
	v_add_u32_e32 v10, 0xffffff40, v10
	s_waitcnt lgkmcnt(3)
	v_mul_f64 v[12:13], v[24:25], v[34:35]
	v_mul_f64 v[34:35], v[22:23], v[34:35]
	s_waitcnt lgkmcnt(2)
	v_mul_f64 v[48:49], v[24:25], v[38:39]
	v_mul_f64 v[38:39], v[22:23], v[38:39]
	;; [unrolled: 3-line block ×3, first 2 shown]
	v_mul_f64 v[52:53], v[24:25], v[42:43]
	v_mul_f64 v[42:43], v[22:23], v[42:43]
	v_fma_f64 v[12:13], v[22:23], v[32:33], -v[12:13]
	v_fmac_f64_e32 v[34:35], v[24:25], v[32:33]
	v_fma_f64 v[32:33], v[22:23], v[36:37], -v[48:49]
	v_fmac_f64_e32 v[38:39], v[24:25], v[36:37]
	;; [unrolled: 2-line block ×4, first 2 shown]
	s_cmp_le_i32 s12, s11
	v_add_f64 v[18:19], v[18:19], -v[12:13]
	v_add_f64 v[20:21], v[20:21], -v[34:35]
	;; [unrolled: 1-line block ×8, first 2 shown]
	s_cbranch_scc0 .LBB213_48
.LBB213_49:                             ;   in Loop: Header=BB213_47 Depth=1
	s_lshl_b32 s13, s11, 4
	s_add_i32 s13, s13, s6
	v_mov_b32_e32 v10, s13
	ds_read_b128 v[22:25], v10
	s_add_i32 s12, s11, -3
	s_mov_b64 s[6:7], -1
                                        ; implicit-def: $vgpr12_vgpr13
	s_waitcnt lgkmcnt(0)
	v_cmp_ngt_f64_e64 s[14:15], |v[22:23]|, |v[24:25]|
	s_and_b64 vcc, exec, s[14:15]
	s_cbranch_vccz .LBB213_51
; %bb.50:                               ;   in Loop: Header=BB213_47 Depth=1
	v_div_scale_f64 v[10:11], s[6:7], v[24:25], v[24:25], v[22:23]
	v_rcp_f64_e32 v[12:13], v[10:11]
	v_div_scale_f64 v[32:33], vcc, v[22:23], v[24:25], v[22:23]
	v_fma_f64 v[34:35], -v[10:11], v[12:13], 1.0
	v_fmac_f64_e32 v[12:13], v[12:13], v[34:35]
	v_fma_f64 v[34:35], -v[10:11], v[12:13], 1.0
	v_fmac_f64_e32 v[12:13], v[12:13], v[34:35]
	v_mul_f64 v[34:35], v[32:33], v[12:13]
	v_fma_f64 v[10:11], -v[10:11], v[34:35], v[32:33]
	v_div_fmas_f64 v[10:11], v[10:11], v[12:13], v[34:35]
	v_div_fixup_f64 v[12:13], v[10:11], v[24:25], v[22:23]
	v_fma_f64 v[10:11], v[22:23], v[12:13], v[24:25]
	v_div_scale_f64 v[32:33], s[6:7], v[10:11], v[10:11], 1.0
	v_rcp_f64_e32 v[34:35], v[32:33]
	s_mov_b64 s[6:7], 0
	v_fma_f64 v[36:37], -v[32:33], v[34:35], 1.0
	v_fmac_f64_e32 v[34:35], v[34:35], v[36:37]
	v_fma_f64 v[36:37], -v[32:33], v[34:35], 1.0
	v_fmac_f64_e32 v[34:35], v[34:35], v[36:37]
	v_div_scale_f64 v[36:37], vcc, 1.0, v[10:11], 1.0
	v_mul_f64 v[38:39], v[36:37], v[34:35]
	v_fma_f64 v[32:33], -v[32:33], v[38:39], v[36:37]
	s_nop 1
	v_div_fmas_f64 v[32:33], v[32:33], v[34:35], v[38:39]
	v_div_fixup_f64 v[32:33], v[32:33], v[10:11], 1.0
	v_fma_f64 v[10:11], v[18:19], v[12:13], v[20:21]
	v_fma_f64 v[12:13], v[20:21], v[12:13], -v[18:19]
	v_mul_f64 v[10:11], v[10:11], v[32:33]
	v_mul_f64 v[12:13], v[12:13], v[32:33]
.LBB213_51:                             ;   in Loop: Header=BB213_47 Depth=1
	s_andn2_b64 vcc, exec, s[6:7]
	s_cbranch_vccnz .LBB213_53
; %bb.52:                               ;   in Loop: Header=BB213_47 Depth=1
	v_div_scale_f64 v[10:11], s[6:7], v[22:23], v[22:23], v[24:25]
	v_rcp_f64_e32 v[12:13], v[10:11]
	v_div_scale_f64 v[32:33], vcc, v[24:25], v[22:23], v[24:25]
	v_fma_f64 v[34:35], -v[10:11], v[12:13], 1.0
	v_fmac_f64_e32 v[12:13], v[12:13], v[34:35]
	v_fma_f64 v[34:35], -v[10:11], v[12:13], 1.0
	v_fmac_f64_e32 v[12:13], v[12:13], v[34:35]
	v_mul_f64 v[34:35], v[32:33], v[12:13]
	v_fma_f64 v[10:11], -v[10:11], v[34:35], v[32:33]
	v_div_fmas_f64 v[10:11], v[10:11], v[12:13], v[34:35]
	v_div_fixup_f64 v[12:13], v[10:11], v[22:23], v[24:25]
	v_fmac_f64_e32 v[22:23], v[24:25], v[12:13]
	v_div_scale_f64 v[10:11], s[6:7], v[22:23], v[22:23], 1.0
	v_rcp_f64_e32 v[24:25], v[10:11]
	s_nop 0
	v_fma_f64 v[32:33], -v[10:11], v[24:25], 1.0
	v_fmac_f64_e32 v[24:25], v[24:25], v[32:33]
	v_fma_f64 v[32:33], -v[10:11], v[24:25], 1.0
	v_fmac_f64_e32 v[24:25], v[24:25], v[32:33]
	v_div_scale_f64 v[32:33], vcc, 1.0, v[22:23], 1.0
	v_mul_f64 v[34:35], v[32:33], v[24:25]
	v_fma_f64 v[10:11], -v[10:11], v[34:35], v[32:33]
	s_nop 1
	v_div_fmas_f64 v[10:11], v[10:11], v[24:25], v[34:35]
	v_div_fixup_f64 v[22:23], v[10:11], v[22:23], 1.0
	v_fma_f64 v[10:11], v[20:21], v[12:13], v[18:19]
	v_fma_f64 v[12:13], -v[18:19], v[12:13], v[20:21]
	v_mul_f64 v[10:11], v[10:11], v[22:23]
	v_mul_f64 v[12:13], v[12:13], v[22:23]
.LBB213_53:                             ;   in Loop: Header=BB213_47 Depth=1
	s_add_i32 s6, s13, -16
	v_mov_b32_e32 v18, s6
	s_add_i32 s14, s13, 0xffffff30
	ds_read_b128 v[22:25], v18
	v_mov_b32_e32 v18, s14
	ds_read_b128 v[18:21], v18
	ds_write_b128 v30, v[10:13]
	s_mov_b64 s[6:7], -1
	s_waitcnt lgkmcnt(2)
	v_mul_f64 v[30:31], v[12:13], v[24:25]
	v_mul_f64 v[24:25], v[10:11], v[24:25]
	v_fma_f64 v[30:31], v[10:11], v[22:23], -v[30:31]
	v_fmac_f64_e32 v[24:25], v[12:13], v[22:23]
	s_waitcnt lgkmcnt(1)
	v_cmp_ngt_f64_e64 s[16:17], |v[18:19]|, |v[20:21]|
	v_add_f64 v[22:23], v[14:15], -v[30:31]
	v_add_f64 v[24:25], v[16:17], -v[24:25]
	s_and_b64 vcc, exec, s[16:17]
                                        ; implicit-def: $vgpr16_vgpr17
	s_cbranch_vccz .LBB213_55
; %bb.54:                               ;   in Loop: Header=BB213_47 Depth=1
	v_div_scale_f64 v[14:15], s[6:7], v[20:21], v[20:21], v[18:19]
	v_rcp_f64_e32 v[16:17], v[14:15]
	v_div_scale_f64 v[30:31], vcc, v[18:19], v[20:21], v[18:19]
	v_fma_f64 v[32:33], -v[14:15], v[16:17], 1.0
	v_fmac_f64_e32 v[16:17], v[16:17], v[32:33]
	v_fma_f64 v[32:33], -v[14:15], v[16:17], 1.0
	v_fmac_f64_e32 v[16:17], v[16:17], v[32:33]
	v_mul_f64 v[32:33], v[30:31], v[16:17]
	v_fma_f64 v[14:15], -v[14:15], v[32:33], v[30:31]
	v_div_fmas_f64 v[14:15], v[14:15], v[16:17], v[32:33]
	v_div_fixup_f64 v[16:17], v[14:15], v[20:21], v[18:19]
	v_fma_f64 v[14:15], v[18:19], v[16:17], v[20:21]
	v_div_scale_f64 v[30:31], s[6:7], v[14:15], v[14:15], 1.0
	v_rcp_f64_e32 v[32:33], v[30:31]
	s_mov_b64 s[6:7], 0
	v_fma_f64 v[34:35], -v[30:31], v[32:33], 1.0
	v_fmac_f64_e32 v[32:33], v[32:33], v[34:35]
	v_fma_f64 v[34:35], -v[30:31], v[32:33], 1.0
	v_fmac_f64_e32 v[32:33], v[32:33], v[34:35]
	v_div_scale_f64 v[34:35], vcc, 1.0, v[14:15], 1.0
	v_mul_f64 v[36:37], v[34:35], v[32:33]
	v_fma_f64 v[30:31], -v[30:31], v[36:37], v[34:35]
	s_nop 1
	v_div_fmas_f64 v[30:31], v[30:31], v[32:33], v[36:37]
	v_div_fixup_f64 v[30:31], v[30:31], v[14:15], 1.0
	v_fma_f64 v[14:15], v[16:17], v[22:23], v[24:25]
	v_fma_f64 v[16:17], v[16:17], v[24:25], -v[22:23]
	v_mul_f64 v[14:15], v[14:15], v[30:31]
	v_mul_f64 v[16:17], v[16:17], v[30:31]
.LBB213_55:                             ;   in Loop: Header=BB213_47 Depth=1
	s_andn2_b64 vcc, exec, s[6:7]
	s_cbranch_vccnz .LBB213_57
; %bb.56:                               ;   in Loop: Header=BB213_47 Depth=1
	v_div_scale_f64 v[14:15], s[6:7], v[18:19], v[18:19], v[20:21]
	v_rcp_f64_e32 v[16:17], v[14:15]
	v_div_scale_f64 v[30:31], vcc, v[20:21], v[18:19], v[20:21]
	v_fma_f64 v[32:33], -v[14:15], v[16:17], 1.0
	v_fmac_f64_e32 v[16:17], v[16:17], v[32:33]
	v_fma_f64 v[32:33], -v[14:15], v[16:17], 1.0
	v_fmac_f64_e32 v[16:17], v[16:17], v[32:33]
	v_mul_f64 v[32:33], v[30:31], v[16:17]
	v_fma_f64 v[14:15], -v[14:15], v[32:33], v[30:31]
	v_div_fmas_f64 v[14:15], v[14:15], v[16:17], v[32:33]
	v_div_fixup_f64 v[16:17], v[14:15], v[18:19], v[20:21]
	v_fmac_f64_e32 v[18:19], v[20:21], v[16:17]
	v_div_scale_f64 v[14:15], s[6:7], v[18:19], v[18:19], 1.0
	v_rcp_f64_e32 v[20:21], v[14:15]
	s_nop 0
	v_fma_f64 v[30:31], -v[14:15], v[20:21], 1.0
	v_fmac_f64_e32 v[20:21], v[20:21], v[30:31]
	v_fma_f64 v[30:31], -v[14:15], v[20:21], 1.0
	v_fmac_f64_e32 v[20:21], v[20:21], v[30:31]
	v_div_scale_f64 v[30:31], vcc, 1.0, v[18:19], 1.0
	v_mul_f64 v[32:33], v[30:31], v[20:21]
	v_fma_f64 v[14:15], -v[14:15], v[32:33], v[30:31]
	s_nop 1
	v_div_fmas_f64 v[14:15], v[14:15], v[20:21], v[32:33]
	v_div_fixup_f64 v[18:19], v[14:15], v[18:19], 1.0
	v_fma_f64 v[14:15], v[16:17], v[24:25], v[22:23]
	v_fma_f64 v[16:17], -v[16:17], v[22:23], v[24:25]
	v_mul_f64 v[14:15], v[14:15], v[18:19]
	v_mul_f64 v[16:17], v[16:17], v[18:19]
.LBB213_57:                             ;   in Loop: Header=BB213_47 Depth=1
	s_add_i32 s6, s11, -1
	s_add_i32 s7, s11, -2
	s_sub_i32 s15, s13, 32
	s_lshl_b32 s6, s6, 4
	v_mov_b32_e32 v18, s15
	s_sub_i32 s16, s14, s6
	s_lshl_b32 s14, s7, 4
	ds_read_b128 v[18:21], v18
	s_add_i32 s6, s16, s14
	v_mov_b32_e32 v22, s6
	ds_read_b128 v[22:25], v22
	s_add_i32 s15, s13, 0xfffffe60
	s_waitcnt lgkmcnt(1)
	v_mul_f64 v[30:31], v[12:13], v[20:21]
	v_fma_f64 v[30:31], v[10:11], v[18:19], -v[30:31]
	v_mul_f64 v[20:21], v[10:11], v[20:21]
	v_fmac_f64_e32 v[20:21], v[12:13], v[18:19]
	v_add_f64 v[18:19], v[6:7], -v[30:31]
	s_waitcnt lgkmcnt(0)
	v_mul_f64 v[6:7], v[16:17], v[24:25]
	v_fma_f64 v[30:31], v[14:15], v[22:23], -v[6:7]
	v_mov_b32_e32 v6, s15
	v_add_f64 v[20:21], v[8:9], -v[20:21]
	ds_read_b128 v[6:9], v6
	v_mul_f64 v[24:25], v[14:15], v[24:25]
	v_fmac_f64_e32 v[24:25], v[16:17], v[22:23]
	v_add_f64 v[22:23], v[18:19], -v[30:31]
	v_add_f64 v[24:25], v[20:21], -v[24:25]
	s_waitcnt lgkmcnt(0)
	v_cmp_ngt_f64_e64 s[18:19], |v[6:7]|, |v[8:9]|
	s_mov_b64 s[6:7], -1
	s_and_b64 vcc, exec, s[18:19]
	ds_write_b128 v29, v[14:17]
                                        ; implicit-def: $vgpr20_vgpr21
	s_cbranch_vccz .LBB213_59
; %bb.58:                               ;   in Loop: Header=BB213_47 Depth=1
	v_div_scale_f64 v[18:19], s[6:7], v[8:9], v[8:9], v[6:7]
	v_rcp_f64_e32 v[20:21], v[18:19]
	v_div_scale_f64 v[30:31], vcc, v[6:7], v[8:9], v[6:7]
	v_fma_f64 v[32:33], -v[18:19], v[20:21], 1.0
	v_fmac_f64_e32 v[20:21], v[20:21], v[32:33]
	v_fma_f64 v[32:33], -v[18:19], v[20:21], 1.0
	v_fmac_f64_e32 v[20:21], v[20:21], v[32:33]
	v_mul_f64 v[32:33], v[30:31], v[20:21]
	v_fma_f64 v[18:19], -v[18:19], v[32:33], v[30:31]
	v_div_fmas_f64 v[18:19], v[18:19], v[20:21], v[32:33]
	v_div_fixup_f64 v[20:21], v[18:19], v[8:9], v[6:7]
	v_fma_f64 v[18:19], v[6:7], v[20:21], v[8:9]
	v_div_scale_f64 v[30:31], s[6:7], v[18:19], v[18:19], 1.0
	v_rcp_f64_e32 v[32:33], v[30:31]
	s_mov_b64 s[6:7], 0
	v_fma_f64 v[34:35], -v[30:31], v[32:33], 1.0
	v_fmac_f64_e32 v[32:33], v[32:33], v[34:35]
	v_fma_f64 v[34:35], -v[30:31], v[32:33], 1.0
	v_fmac_f64_e32 v[32:33], v[32:33], v[34:35]
	v_div_scale_f64 v[34:35], vcc, 1.0, v[18:19], 1.0
	v_mul_f64 v[36:37], v[34:35], v[32:33]
	v_fma_f64 v[30:31], -v[30:31], v[36:37], v[34:35]
	s_nop 1
	v_div_fmas_f64 v[30:31], v[30:31], v[32:33], v[36:37]
	v_div_fixup_f64 v[30:31], v[30:31], v[18:19], 1.0
	v_fma_f64 v[18:19], v[20:21], v[22:23], v[24:25]
	v_fma_f64 v[20:21], v[20:21], v[24:25], -v[22:23]
	v_mul_f64 v[18:19], v[18:19], v[30:31]
	v_mul_f64 v[20:21], v[20:21], v[30:31]
.LBB213_59:                             ;   in Loop: Header=BB213_47 Depth=1
	s_andn2_b64 vcc, exec, s[6:7]
	s_cbranch_vccnz .LBB213_61
; %bb.60:                               ;   in Loop: Header=BB213_47 Depth=1
	v_div_scale_f64 v[18:19], s[6:7], v[6:7], v[6:7], v[8:9]
	v_rcp_f64_e32 v[20:21], v[18:19]
	v_div_scale_f64 v[30:31], vcc, v[8:9], v[6:7], v[8:9]
	v_fma_f64 v[32:33], -v[18:19], v[20:21], 1.0
	v_fmac_f64_e32 v[20:21], v[20:21], v[32:33]
	v_fma_f64 v[32:33], -v[18:19], v[20:21], 1.0
	v_fmac_f64_e32 v[20:21], v[20:21], v[32:33]
	v_mul_f64 v[32:33], v[30:31], v[20:21]
	v_fma_f64 v[18:19], -v[18:19], v[32:33], v[30:31]
	v_div_fmas_f64 v[18:19], v[18:19], v[20:21], v[32:33]
	v_div_fixup_f64 v[20:21], v[18:19], v[6:7], v[8:9]
	v_fmac_f64_e32 v[6:7], v[8:9], v[20:21]
	v_div_scale_f64 v[8:9], s[6:7], v[6:7], v[6:7], 1.0
	v_rcp_f64_e32 v[18:19], v[8:9]
	s_nop 0
	v_fma_f64 v[30:31], -v[8:9], v[18:19], 1.0
	v_fmac_f64_e32 v[18:19], v[18:19], v[30:31]
	v_fma_f64 v[30:31], -v[8:9], v[18:19], 1.0
	v_fmac_f64_e32 v[18:19], v[18:19], v[30:31]
	v_div_scale_f64 v[30:31], vcc, 1.0, v[6:7], 1.0
	v_mul_f64 v[32:33], v[30:31], v[18:19]
	v_fma_f64 v[8:9], -v[8:9], v[32:33], v[30:31]
	s_nop 1
	v_div_fmas_f64 v[8:9], v[8:9], v[18:19], v[32:33]
	v_div_fixup_f64 v[6:7], v[8:9], v[6:7], 1.0
	v_fma_f64 v[8:9], v[20:21], v[24:25], v[22:23]
	v_mul_f64 v[18:19], v[8:9], v[6:7]
	v_fma_f64 v[8:9], -v[20:21], v[22:23], v[24:25]
	v_mul_f64 v[20:21], v[8:9], v[6:7]
.LBB213_61:                             ;   in Loop: Header=BB213_47 Depth=1
	s_sub_i32 s6, s13, 48
	v_mov_b32_e32 v6, s6
	s_lshl_b32 s6, s12, 4
	s_add_i32 s7, s16, s6
	ds_read_b128 v[6:9], v6
	v_mov_b32_e32 v22, s7
	ds_read_b128 v[22:25], v22
	ds_write_b128 v28, v[18:21]
	s_sub_i32 s7, s15, s14
	s_waitcnt lgkmcnt(2)
	v_mul_f64 v[28:29], v[12:13], v[8:9]
	v_mul_f64 v[8:9], v[10:11], v[8:9]
	v_fma_f64 v[28:29], v[10:11], v[6:7], -v[28:29]
	v_fmac_f64_e32 v[8:9], v[12:13], v[6:7]
	s_waitcnt lgkmcnt(1)
	v_mul_f64 v[6:7], v[16:17], v[24:25]
	v_add_f64 v[2:3], v[2:3], -v[28:29]
	v_fma_f64 v[6:7], v[14:15], v[22:23], -v[6:7]
	s_add_i32 s6, s7, s6
	v_mul_f64 v[10:11], v[14:15], v[24:25]
	v_add_f64 v[12:13], v[2:3], -v[6:7]
	v_mov_b32_e32 v2, s6
	s_add_i32 s6, s15, 0xffffff30
	v_add_f64 v[4:5], v[4:5], -v[8:9]
	v_fmac_f64_e32 v[10:11], v[16:17], v[22:23]
	ds_read_b128 v[6:9], v2
	v_mov_b32_e32 v2, s6
	v_add_f64 v[14:15], v[4:5], -v[10:11]
	ds_read_b128 v[2:5], v2
	s_mov_b64 s[6:7], -1
	s_waitcnt lgkmcnt(1)
	v_mul_f64 v[10:11], v[20:21], v[8:9]
	v_mul_f64 v[8:9], v[18:19], v[8:9]
	v_fma_f64 v[10:11], v[18:19], v[6:7], -v[10:11]
	v_fmac_f64_e32 v[8:9], v[20:21], v[6:7]
	s_waitcnt lgkmcnt(0)
	v_cmp_ngt_f64_e64 s[12:13], |v[2:3]|, |v[4:5]|
	v_add_f64 v[10:11], v[12:13], -v[10:11]
	v_add_f64 v[12:13], v[14:15], -v[8:9]
	s_and_b64 vcc, exec, s[12:13]
                                        ; implicit-def: $vgpr8_vgpr9
	s_cbranch_vccz .LBB213_63
; %bb.62:                               ;   in Loop: Header=BB213_47 Depth=1
	v_div_scale_f64 v[6:7], s[6:7], v[4:5], v[4:5], v[2:3]
	v_rcp_f64_e32 v[8:9], v[6:7]
	v_div_scale_f64 v[14:15], vcc, v[2:3], v[4:5], v[2:3]
	v_fma_f64 v[16:17], -v[6:7], v[8:9], 1.0
	v_fmac_f64_e32 v[8:9], v[8:9], v[16:17]
	v_fma_f64 v[16:17], -v[6:7], v[8:9], 1.0
	v_fmac_f64_e32 v[8:9], v[8:9], v[16:17]
	v_mul_f64 v[16:17], v[14:15], v[8:9]
	v_fma_f64 v[6:7], -v[6:7], v[16:17], v[14:15]
	v_div_fmas_f64 v[6:7], v[6:7], v[8:9], v[16:17]
	v_div_fixup_f64 v[8:9], v[6:7], v[4:5], v[2:3]
	v_fma_f64 v[6:7], v[2:3], v[8:9], v[4:5]
	v_div_scale_f64 v[14:15], s[6:7], v[6:7], v[6:7], 1.0
	v_rcp_f64_e32 v[16:17], v[14:15]
	s_mov_b64 s[6:7], 0
	v_fma_f64 v[18:19], -v[14:15], v[16:17], 1.0
	v_fmac_f64_e32 v[16:17], v[16:17], v[18:19]
	v_fma_f64 v[18:19], -v[14:15], v[16:17], 1.0
	v_fmac_f64_e32 v[16:17], v[16:17], v[18:19]
	v_div_scale_f64 v[18:19], vcc, 1.0, v[6:7], 1.0
	v_mul_f64 v[20:21], v[18:19], v[16:17]
	v_fma_f64 v[14:15], -v[14:15], v[20:21], v[18:19]
	s_nop 1
	v_div_fmas_f64 v[14:15], v[14:15], v[16:17], v[20:21]
	v_div_fixup_f64 v[14:15], v[14:15], v[6:7], 1.0
	v_fma_f64 v[6:7], v[8:9], v[10:11], v[12:13]
	v_fma_f64 v[8:9], v[8:9], v[12:13], -v[10:11]
	v_mul_f64 v[6:7], v[6:7], v[14:15]
	v_mul_f64 v[8:9], v[8:9], v[14:15]
.LBB213_63:                             ;   in Loop: Header=BB213_47 Depth=1
	s_andn2_b64 vcc, exec, s[6:7]
	s_cbranch_vccnz .LBB213_65
; %bb.64:                               ;   in Loop: Header=BB213_47 Depth=1
	v_div_scale_f64 v[6:7], s[6:7], v[2:3], v[2:3], v[4:5]
	v_rcp_f64_e32 v[8:9], v[6:7]
	v_div_scale_f64 v[14:15], vcc, v[4:5], v[2:3], v[4:5]
	v_fma_f64 v[16:17], -v[6:7], v[8:9], 1.0
	v_fmac_f64_e32 v[8:9], v[8:9], v[16:17]
	v_fma_f64 v[16:17], -v[6:7], v[8:9], 1.0
	v_fmac_f64_e32 v[8:9], v[8:9], v[16:17]
	v_mul_f64 v[16:17], v[14:15], v[8:9]
	v_fma_f64 v[6:7], -v[6:7], v[16:17], v[14:15]
	v_div_fmas_f64 v[6:7], v[6:7], v[8:9], v[16:17]
	v_div_fixup_f64 v[8:9], v[6:7], v[2:3], v[4:5]
	v_fmac_f64_e32 v[2:3], v[4:5], v[8:9]
	v_div_scale_f64 v[4:5], s[6:7], v[2:3], v[2:3], 1.0
	v_rcp_f64_e32 v[6:7], v[4:5]
	s_nop 0
	v_fma_f64 v[14:15], -v[4:5], v[6:7], 1.0
	v_fmac_f64_e32 v[6:7], v[6:7], v[14:15]
	v_fma_f64 v[14:15], -v[4:5], v[6:7], 1.0
	v_fmac_f64_e32 v[6:7], v[6:7], v[14:15]
	v_div_scale_f64 v[14:15], vcc, 1.0, v[2:3], 1.0
	v_mul_f64 v[16:17], v[14:15], v[6:7]
	v_fma_f64 v[4:5], -v[4:5], v[16:17], v[14:15]
	s_nop 1
	v_div_fmas_f64 v[4:5], v[4:5], v[6:7], v[16:17]
	v_div_fixup_f64 v[2:3], v[4:5], v[2:3], 1.0
	v_fma_f64 v[4:5], v[8:9], v[12:13], v[10:11]
	v_mul_f64 v[6:7], v[4:5], v[2:3]
	v_fma_f64 v[4:5], -v[8:9], v[10:11], v[12:13]
	v_mul_f64 v[8:9], v[4:5], v[2:3]
.LBB213_65:                             ;   in Loop: Header=BB213_47 Depth=1
	s_add_i32 s12, s11, -4
	s_sub_i32 s10, s10, 64
	s_cmp_lt_i32 s11, 7
	ds_write_b128 v27, v[6:9]
	s_cbranch_scc1 .LBB213_67
; %bb.66:                               ;   in Loop: Header=BB213_47 Depth=1
	s_mov_b32 s11, s12
	s_branch .LBB213_47
.LBB213_67:
	s_cmp_lt_i32 s12, 0
	s_cbranch_scc1 .LBB213_76
; %bb.68:
	s_mul_i32 s6, s25, 0xc0
	s_lshl_b32 s7, s12, 4
	s_add_i32 s7, s6, s7
	v_lshl_add_u32 v2, v0, 4, s6
	s_add_i32 s10, s7, 0xffffff40
	v_add_u32_e32 v14, 0x840, v2
	s_branch .LBB213_70
.LBB213_69:                             ;   in Loop: Header=BB213_70 Depth=1
	v_sub_co_u32_e64 v2, s[6:7], s12, 1
	s_nop 0
	v_readfirstlane_b32 s12, v2
	s_add_i32 s10, s10, -16
	s_and_b64 vcc, exec, s[6:7]
	ds_write_b128 v15, v[10:13]
	s_cbranch_vccnz .LBB213_76
.LBB213_70:                             ; =>This Loop Header: Depth=1
                                        ;     Child Loop BB213_71 Depth 2
	s_mul_i32 s6, s12, 0xc0
	v_add_u32_e32 v15, s6, v1
	ds_read_b128 v[2:5], v15
	s_cmp_le_i32 s9, s12
	v_mov_b32_e32 v6, v14
	s_mov_b32 s7, s10
	s_mov_b32 s11, s9
	s_cbranch_scc1 .LBB213_72
.LBB213_71:                             ;   Parent Loop BB213_70 Depth=1
                                        ; =>  This Inner Loop Header: Depth=2
	v_mov_b32_e32 v7, s7
	ds_read_b128 v[8:11], v6
	ds_read_b128 v[16:19], v7
	s_add_i32 s11, s11, -1
	s_addk_i32 s7, 0xff40
	v_add_u32_e32 v6, 0xffffff40, v6
	s_cmp_le_u32 s11, s12
	s_waitcnt lgkmcnt(0)
	v_mul_f64 v[12:13], v[18:19], v[10:11]
	v_mul_f64 v[10:11], v[16:17], v[10:11]
	v_fma_f64 v[12:13], v[16:17], v[8:9], -v[12:13]
	v_fmac_f64_e32 v[10:11], v[18:19], v[8:9]
	v_add_f64 v[2:3], v[2:3], -v[12:13]
	v_add_f64 v[4:5], v[4:5], -v[10:11]
	s_cbranch_scc0 .LBB213_71
.LBB213_72:                             ;   in Loop: Header=BB213_70 Depth=1
	s_lshl_b32 s7, s12, 4
	s_add_i32 s6, s7, s6
	v_mov_b32_e32 v6, s6
	ds_read_b128 v[6:9], v6
	s_mov_b64 s[6:7], -1
                                        ; implicit-def: $vgpr10_vgpr11
	s_waitcnt lgkmcnt(0)
	v_cmp_ngt_f64_e64 s[14:15], |v[6:7]|, |v[8:9]|
	s_and_b64 vcc, exec, s[14:15]
	s_cbranch_vccz .LBB213_74
; %bb.73:                               ;   in Loop: Header=BB213_70 Depth=1
	v_div_scale_f64 v[10:11], s[6:7], v[8:9], v[8:9], v[6:7]
	v_rcp_f64_e32 v[12:13], v[10:11]
	v_div_scale_f64 v[16:17], vcc, v[6:7], v[8:9], v[6:7]
	v_fma_f64 v[18:19], -v[10:11], v[12:13], 1.0
	v_fmac_f64_e32 v[12:13], v[12:13], v[18:19]
	v_fma_f64 v[18:19], -v[10:11], v[12:13], 1.0
	v_fmac_f64_e32 v[12:13], v[12:13], v[18:19]
	v_mul_f64 v[18:19], v[16:17], v[12:13]
	v_fma_f64 v[10:11], -v[10:11], v[18:19], v[16:17]
	v_div_fmas_f64 v[10:11], v[10:11], v[12:13], v[18:19]
	v_div_fixup_f64 v[12:13], v[10:11], v[8:9], v[6:7]
	v_fma_f64 v[10:11], v[6:7], v[12:13], v[8:9]
	v_div_scale_f64 v[16:17], s[6:7], v[10:11], v[10:11], 1.0
	v_rcp_f64_e32 v[18:19], v[16:17]
	s_mov_b64 s[6:7], 0
	v_fma_f64 v[20:21], -v[16:17], v[18:19], 1.0
	v_fmac_f64_e32 v[18:19], v[18:19], v[20:21]
	v_fma_f64 v[20:21], -v[16:17], v[18:19], 1.0
	v_fmac_f64_e32 v[18:19], v[18:19], v[20:21]
	v_div_scale_f64 v[20:21], vcc, 1.0, v[10:11], 1.0
	v_mul_f64 v[22:23], v[20:21], v[18:19]
	v_fma_f64 v[16:17], -v[16:17], v[22:23], v[20:21]
	s_nop 1
	v_div_fmas_f64 v[16:17], v[16:17], v[18:19], v[22:23]
	v_div_fixup_f64 v[16:17], v[16:17], v[10:11], 1.0
	v_fma_f64 v[10:11], v[2:3], v[12:13], v[4:5]
	v_fma_f64 v[12:13], v[4:5], v[12:13], -v[2:3]
	v_mul_f64 v[10:11], v[10:11], v[16:17]
	v_mul_f64 v[12:13], v[12:13], v[16:17]
.LBB213_74:                             ;   in Loop: Header=BB213_70 Depth=1
	s_andn2_b64 vcc, exec, s[6:7]
	s_cbranch_vccnz .LBB213_69
; %bb.75:                               ;   in Loop: Header=BB213_70 Depth=1
	v_div_scale_f64 v[10:11], s[6:7], v[6:7], v[6:7], v[8:9]
	v_rcp_f64_e32 v[12:13], v[10:11]
	v_div_scale_f64 v[16:17], vcc, v[8:9], v[6:7], v[8:9]
	v_fma_f64 v[18:19], -v[10:11], v[12:13], 1.0
	v_fmac_f64_e32 v[12:13], v[12:13], v[18:19]
	v_fma_f64 v[18:19], -v[10:11], v[12:13], 1.0
	v_fmac_f64_e32 v[12:13], v[12:13], v[18:19]
	v_mul_f64 v[18:19], v[16:17], v[12:13]
	v_fma_f64 v[10:11], -v[10:11], v[18:19], v[16:17]
	v_div_fmas_f64 v[10:11], v[10:11], v[12:13], v[18:19]
	v_div_fixup_f64 v[12:13], v[10:11], v[6:7], v[8:9]
	v_fmac_f64_e32 v[6:7], v[8:9], v[12:13]
	v_div_scale_f64 v[8:9], s[6:7], v[6:7], v[6:7], 1.0
	v_rcp_f64_e32 v[10:11], v[8:9]
	s_nop 0
	v_fma_f64 v[16:17], -v[8:9], v[10:11], 1.0
	v_fmac_f64_e32 v[10:11], v[10:11], v[16:17]
	v_fma_f64 v[16:17], -v[8:9], v[10:11], 1.0
	v_fmac_f64_e32 v[10:11], v[10:11], v[16:17]
	v_div_scale_f64 v[16:17], vcc, 1.0, v[6:7], 1.0
	v_mul_f64 v[18:19], v[16:17], v[10:11]
	v_fma_f64 v[8:9], -v[8:9], v[18:19], v[16:17]
	s_nop 1
	v_div_fmas_f64 v[8:9], v[8:9], v[10:11], v[18:19]
	v_div_fixup_f64 v[6:7], v[8:9], v[6:7], 1.0
	v_fma_f64 v[8:9], v[4:5], v[12:13], v[2:3]
	v_fma_f64 v[2:3], -v[2:3], v[12:13], v[4:5]
	v_mul_f64 v[10:11], v[8:9], v[6:7]
	v_mul_f64 v[12:13], v[2:3], v[6:7]
	s_branch .LBB213_69
.LBB213_76:
	s_mov_b64 s[10:11], 0
.LBB213_77:
	s_andn2_b64 vcc, exec, s[10:11]
	s_cbranch_vccnz .LBB213_109
; %bb.78:
	s_andn2_b64 vcc, exec, s[4:5]
	s_mul_i32 s6, s25, 0xc0
	s_mov_b32 s11, s9
	s_cbranch_vccnz .LBB213_100
; %bb.79:
	v_lshl_add_u32 v2, v0, 4, s6
	s_mul_i32 s4, s25, 0xd0
	v_add_u32_e32 v26, 0x840, v2
	s_add_i32 s7, s4, 0xfffffcf0
	s_mov_b32 s10, s9
.LBB213_80:                             ; =>This Loop Header: Depth=1
                                        ;     Child Loop BB213_81 Depth 2
	s_mul_i32 s11, s10, 12
	v_lshl_add_u32 v30, s11, 4, v1
	v_add_u32_e32 v28, 0xfffffe80, v30
	v_add_u32_e32 v29, 0xffffff40, v30
	ds_read_b128 v[18:21], v30
	ds_read_b128 v[14:17], v29
	v_add_u32_e32 v27, 0xfffffdc0, v30
	ds_read_b128 v[6:9], v28
	ds_read_b128 v[2:5], v27
	s_cmp_le_i32 s9, s10
	s_mov_b32 s4, s7
	v_mov_b32_e32 v10, v26
	s_mov_b32 s5, s9
	s_cbranch_scc1 .LBB213_82
.LBB213_81:                             ;   Parent Loop BB213_80 Depth=1
                                        ; =>  This Inner Loop Header: Depth=2
	v_mov_b32_e32 v11, s4
	ds_read_b128 v[22:25], v10
	ds_read_b128 v[32:35], v11 offset:576
	ds_read_b128 v[36:39], v11 offset:384
	;; [unrolled: 1-line block ×3, first 2 shown]
	ds_read_b128 v[44:47], v11
	s_add_i32 s5, s5, -1
	s_add_i32 s4, s4, -16
	v_add_u32_e32 v10, 0xffffff40, v10
	s_waitcnt lgkmcnt(3)
	v_mul_f64 v[12:13], v[24:25], v[34:35]
	v_mul_f64 v[34:35], v[22:23], v[34:35]
	s_waitcnt lgkmcnt(2)
	v_mul_f64 v[48:49], v[24:25], v[38:39]
	v_mul_f64 v[38:39], v[22:23], v[38:39]
	;; [unrolled: 3-line block ×4, first 2 shown]
	v_fma_f64 v[12:13], v[22:23], v[32:33], -v[12:13]
	v_fmac_f64_e32 v[34:35], v[24:25], v[32:33]
	v_fma_f64 v[32:33], v[22:23], v[36:37], -v[48:49]
	v_fmac_f64_e32 v[38:39], v[24:25], v[36:37]
	;; [unrolled: 2-line block ×4, first 2 shown]
	s_cmp_le_i32 s5, s10
	v_add_f64 v[18:19], v[18:19], -v[12:13]
	v_add_f64 v[20:21], v[20:21], -v[34:35]
	;; [unrolled: 1-line block ×8, first 2 shown]
	s_cbranch_scc0 .LBB213_81
.LBB213_82:                             ;   in Loop: Header=BB213_80 Depth=1
	s_mul_i32 s4, s10, 0xd0
	v_mov_b32_e32 v10, s4
	ds_read_b128 v[22:25], v10
	s_mov_b64 s[4:5], -1
                                        ; implicit-def: $vgpr12_vgpr13
	s_waitcnt lgkmcnt(0)
	v_cmp_ngt_f64_e64 s[12:13], |v[22:23]|, |v[24:25]|
	s_and_b64 vcc, exec, s[12:13]
	s_cbranch_vccz .LBB213_84
; %bb.83:                               ;   in Loop: Header=BB213_80 Depth=1
	v_div_scale_f64 v[10:11], s[4:5], v[24:25], v[24:25], v[22:23]
	v_rcp_f64_e32 v[12:13], v[10:11]
	v_div_scale_f64 v[32:33], vcc, v[22:23], v[24:25], v[22:23]
	v_fma_f64 v[34:35], -v[10:11], v[12:13], 1.0
	v_fmac_f64_e32 v[12:13], v[12:13], v[34:35]
	v_fma_f64 v[34:35], -v[10:11], v[12:13], 1.0
	v_fmac_f64_e32 v[12:13], v[12:13], v[34:35]
	v_mul_f64 v[34:35], v[32:33], v[12:13]
	v_fma_f64 v[10:11], -v[10:11], v[34:35], v[32:33]
	v_div_fmas_f64 v[10:11], v[10:11], v[12:13], v[34:35]
	v_div_fixup_f64 v[12:13], v[10:11], v[24:25], v[22:23]
	v_fma_f64 v[10:11], v[22:23], v[12:13], v[24:25]
	v_div_scale_f64 v[32:33], s[4:5], v[10:11], v[10:11], 1.0
	v_rcp_f64_e32 v[34:35], v[32:33]
	s_mov_b64 s[4:5], 0
	v_fma_f64 v[36:37], -v[32:33], v[34:35], 1.0
	v_fmac_f64_e32 v[34:35], v[34:35], v[36:37]
	v_fma_f64 v[36:37], -v[32:33], v[34:35], 1.0
	v_fmac_f64_e32 v[34:35], v[34:35], v[36:37]
	v_div_scale_f64 v[36:37], vcc, 1.0, v[10:11], 1.0
	v_mul_f64 v[38:39], v[36:37], v[34:35]
	v_fma_f64 v[32:33], -v[32:33], v[38:39], v[36:37]
	s_nop 1
	v_div_fmas_f64 v[32:33], v[32:33], v[34:35], v[38:39]
	v_div_fixup_f64 v[32:33], v[32:33], v[10:11], 1.0
	v_fma_f64 v[10:11], v[18:19], v[12:13], v[20:21]
	v_fma_f64 v[12:13], v[20:21], v[12:13], -v[18:19]
	v_mul_f64 v[10:11], v[10:11], v[32:33]
	v_mul_f64 v[12:13], v[12:13], v[32:33]
.LBB213_84:                             ;   in Loop: Header=BB213_80 Depth=1
	s_andn2_b64 vcc, exec, s[4:5]
	s_cbranch_vccnz .LBB213_86
; %bb.85:                               ;   in Loop: Header=BB213_80 Depth=1
	v_div_scale_f64 v[10:11], s[4:5], v[22:23], v[22:23], v[24:25]
	v_rcp_f64_e32 v[12:13], v[10:11]
	v_div_scale_f64 v[32:33], vcc, v[24:25], v[22:23], v[24:25]
	v_fma_f64 v[34:35], -v[10:11], v[12:13], 1.0
	v_fmac_f64_e32 v[12:13], v[12:13], v[34:35]
	v_fma_f64 v[34:35], -v[10:11], v[12:13], 1.0
	v_fmac_f64_e32 v[12:13], v[12:13], v[34:35]
	v_mul_f64 v[34:35], v[32:33], v[12:13]
	v_fma_f64 v[10:11], -v[10:11], v[34:35], v[32:33]
	v_div_fmas_f64 v[10:11], v[10:11], v[12:13], v[34:35]
	v_div_fixup_f64 v[12:13], v[10:11], v[22:23], v[24:25]
	v_fmac_f64_e32 v[22:23], v[24:25], v[12:13]
	v_div_scale_f64 v[10:11], s[4:5], v[22:23], v[22:23], 1.0
	v_rcp_f64_e32 v[24:25], v[10:11]
	s_nop 0
	v_fma_f64 v[32:33], -v[10:11], v[24:25], 1.0
	v_fmac_f64_e32 v[24:25], v[24:25], v[32:33]
	v_fma_f64 v[32:33], -v[10:11], v[24:25], 1.0
	v_fmac_f64_e32 v[24:25], v[24:25], v[32:33]
	v_div_scale_f64 v[32:33], vcc, 1.0, v[22:23], 1.0
	v_mul_f64 v[34:35], v[32:33], v[24:25]
	v_fma_f64 v[10:11], -v[10:11], v[34:35], v[32:33]
	s_nop 1
	v_div_fmas_f64 v[10:11], v[10:11], v[24:25], v[34:35]
	v_div_fixup_f64 v[22:23], v[10:11], v[22:23], 1.0
	v_fma_f64 v[10:11], v[20:21], v[12:13], v[18:19]
	v_fma_f64 v[12:13], -v[18:19], v[12:13], v[20:21]
	v_mul_f64 v[10:11], v[10:11], v[22:23]
	v_mul_f64 v[12:13], v[12:13], v[22:23]
.LBB213_86:                             ;   in Loop: Header=BB213_80 Depth=1
	s_lshl_b32 s11, s11, 4
	s_addk_i32 s11, 0xff40
	s_lshl_b32 s12, s10, 4
	s_add_i32 s4, s11, s12
	v_mov_b32_e32 v18, s4
	s_add_i32 s4, s4, -16
	ds_read_b128 v[22:25], v18
	v_mov_b32_e32 v18, s4
	ds_read_b128 v[18:21], v18
	ds_write_b128 v30, v[10:13]
	s_mov_b64 s[4:5], -1
	s_waitcnt lgkmcnt(2)
	v_mul_f64 v[30:31], v[12:13], v[24:25]
	v_mul_f64 v[24:25], v[10:11], v[24:25]
	v_fma_f64 v[30:31], v[10:11], v[22:23], -v[30:31]
	v_fmac_f64_e32 v[24:25], v[12:13], v[22:23]
	s_waitcnt lgkmcnt(1)
	v_cmp_ngt_f64_e64 s[14:15], |v[18:19]|, |v[20:21]|
	v_add_f64 v[22:23], v[14:15], -v[30:31]
	v_add_f64 v[24:25], v[16:17], -v[24:25]
	s_and_b64 vcc, exec, s[14:15]
                                        ; implicit-def: $vgpr16_vgpr17
	s_cbranch_vccz .LBB213_88
; %bb.87:                               ;   in Loop: Header=BB213_80 Depth=1
	v_div_scale_f64 v[14:15], s[4:5], v[20:21], v[20:21], v[18:19]
	v_rcp_f64_e32 v[16:17], v[14:15]
	v_div_scale_f64 v[30:31], vcc, v[18:19], v[20:21], v[18:19]
	v_fma_f64 v[32:33], -v[14:15], v[16:17], 1.0
	v_fmac_f64_e32 v[16:17], v[16:17], v[32:33]
	v_fma_f64 v[32:33], -v[14:15], v[16:17], 1.0
	v_fmac_f64_e32 v[16:17], v[16:17], v[32:33]
	v_mul_f64 v[32:33], v[30:31], v[16:17]
	v_fma_f64 v[14:15], -v[14:15], v[32:33], v[30:31]
	v_div_fmas_f64 v[14:15], v[14:15], v[16:17], v[32:33]
	v_div_fixup_f64 v[16:17], v[14:15], v[20:21], v[18:19]
	v_fma_f64 v[14:15], v[18:19], v[16:17], v[20:21]
	v_div_scale_f64 v[30:31], s[4:5], v[14:15], v[14:15], 1.0
	v_rcp_f64_e32 v[32:33], v[30:31]
	s_mov_b64 s[4:5], 0
	v_fma_f64 v[34:35], -v[30:31], v[32:33], 1.0
	v_fmac_f64_e32 v[32:33], v[32:33], v[34:35]
	v_fma_f64 v[34:35], -v[30:31], v[32:33], 1.0
	v_fmac_f64_e32 v[32:33], v[32:33], v[34:35]
	v_div_scale_f64 v[34:35], vcc, 1.0, v[14:15], 1.0
	v_mul_f64 v[36:37], v[34:35], v[32:33]
	v_fma_f64 v[30:31], -v[30:31], v[36:37], v[34:35]
	s_nop 1
	v_div_fmas_f64 v[30:31], v[30:31], v[32:33], v[36:37]
	v_div_fixup_f64 v[30:31], v[30:31], v[14:15], 1.0
	v_fma_f64 v[14:15], v[16:17], v[22:23], v[24:25]
	v_fma_f64 v[16:17], v[16:17], v[24:25], -v[22:23]
	v_mul_f64 v[14:15], v[14:15], v[30:31]
	v_mul_f64 v[16:17], v[16:17], v[30:31]
.LBB213_88:                             ;   in Loop: Header=BB213_80 Depth=1
	s_andn2_b64 vcc, exec, s[4:5]
	s_cbranch_vccnz .LBB213_90
; %bb.89:                               ;   in Loop: Header=BB213_80 Depth=1
	v_div_scale_f64 v[14:15], s[4:5], v[18:19], v[18:19], v[20:21]
	v_rcp_f64_e32 v[16:17], v[14:15]
	v_div_scale_f64 v[30:31], vcc, v[20:21], v[18:19], v[20:21]
	v_fma_f64 v[32:33], -v[14:15], v[16:17], 1.0
	v_fmac_f64_e32 v[16:17], v[16:17], v[32:33]
	v_fma_f64 v[32:33], -v[14:15], v[16:17], 1.0
	v_fmac_f64_e32 v[16:17], v[16:17], v[32:33]
	v_mul_f64 v[32:33], v[30:31], v[16:17]
	v_fma_f64 v[14:15], -v[14:15], v[32:33], v[30:31]
	v_div_fmas_f64 v[14:15], v[14:15], v[16:17], v[32:33]
	v_div_fixup_f64 v[16:17], v[14:15], v[18:19], v[20:21]
	v_fmac_f64_e32 v[18:19], v[20:21], v[16:17]
	v_div_scale_f64 v[14:15], s[4:5], v[18:19], v[18:19], 1.0
	v_rcp_f64_e32 v[20:21], v[14:15]
	s_nop 0
	v_fma_f64 v[30:31], -v[14:15], v[20:21], 1.0
	v_fmac_f64_e32 v[20:21], v[20:21], v[30:31]
	v_fma_f64 v[30:31], -v[14:15], v[20:21], 1.0
	v_fmac_f64_e32 v[20:21], v[20:21], v[30:31]
	v_div_scale_f64 v[30:31], vcc, 1.0, v[18:19], 1.0
	v_mul_f64 v[32:33], v[30:31], v[20:21]
	v_fma_f64 v[14:15], -v[14:15], v[32:33], v[30:31]
	s_nop 1
	v_div_fmas_f64 v[14:15], v[14:15], v[20:21], v[32:33]
	v_div_fixup_f64 v[18:19], v[14:15], v[18:19], 1.0
	v_fma_f64 v[14:15], v[16:17], v[24:25], v[22:23]
	v_fma_f64 v[16:17], -v[16:17], v[22:23], v[24:25]
	v_mul_f64 v[14:15], v[14:15], v[18:19]
	v_mul_f64 v[16:17], v[16:17], v[18:19]
.LBB213_90:                             ;   in Loop: Header=BB213_80 Depth=1
	s_addk_i32 s11, 0xff40
	s_add_i32 s11, s11, s12
	v_mov_b32_e32 v18, s11
	ds_read_b128 v[18:21], v18
	s_add_i32 s4, s11, -16
	v_mov_b32_e32 v22, s4
	ds_read_b128 v[22:25], v22
	s_sub_i32 s4, s11, 32
	s_waitcnt lgkmcnt(1)
	v_mul_f64 v[30:31], v[12:13], v[20:21]
	v_fma_f64 v[30:31], v[10:11], v[18:19], -v[30:31]
	v_mul_f64 v[20:21], v[10:11], v[20:21]
	v_fmac_f64_e32 v[20:21], v[12:13], v[18:19]
	v_add_f64 v[18:19], v[6:7], -v[30:31]
	s_waitcnt lgkmcnt(0)
	v_mul_f64 v[6:7], v[16:17], v[24:25]
	v_fma_f64 v[30:31], v[14:15], v[22:23], -v[6:7]
	v_mov_b32_e32 v6, s4
	v_add_f64 v[20:21], v[8:9], -v[20:21]
	ds_read_b128 v[6:9], v6
	v_mul_f64 v[24:25], v[14:15], v[24:25]
	v_fmac_f64_e32 v[24:25], v[16:17], v[22:23]
	v_add_f64 v[22:23], v[18:19], -v[30:31]
	v_add_f64 v[24:25], v[20:21], -v[24:25]
	s_waitcnt lgkmcnt(0)
	v_cmp_ngt_f64_e64 s[12:13], |v[6:7]|, |v[8:9]|
	s_mov_b64 s[4:5], -1
	s_and_b64 vcc, exec, s[12:13]
	ds_write_b128 v29, v[14:17]
                                        ; implicit-def: $vgpr20_vgpr21
	s_cbranch_vccz .LBB213_92
; %bb.91:                               ;   in Loop: Header=BB213_80 Depth=1
	v_div_scale_f64 v[18:19], s[4:5], v[8:9], v[8:9], v[6:7]
	v_rcp_f64_e32 v[20:21], v[18:19]
	v_div_scale_f64 v[30:31], vcc, v[6:7], v[8:9], v[6:7]
	v_fma_f64 v[32:33], -v[18:19], v[20:21], 1.0
	v_fmac_f64_e32 v[20:21], v[20:21], v[32:33]
	v_fma_f64 v[32:33], -v[18:19], v[20:21], 1.0
	v_fmac_f64_e32 v[20:21], v[20:21], v[32:33]
	v_mul_f64 v[32:33], v[30:31], v[20:21]
	v_fma_f64 v[18:19], -v[18:19], v[32:33], v[30:31]
	v_div_fmas_f64 v[18:19], v[18:19], v[20:21], v[32:33]
	v_div_fixup_f64 v[20:21], v[18:19], v[8:9], v[6:7]
	v_fma_f64 v[18:19], v[6:7], v[20:21], v[8:9]
	v_div_scale_f64 v[30:31], s[4:5], v[18:19], v[18:19], 1.0
	v_rcp_f64_e32 v[32:33], v[30:31]
	s_mov_b64 s[4:5], 0
	v_fma_f64 v[34:35], -v[30:31], v[32:33], 1.0
	v_fmac_f64_e32 v[32:33], v[32:33], v[34:35]
	v_fma_f64 v[34:35], -v[30:31], v[32:33], 1.0
	v_fmac_f64_e32 v[32:33], v[32:33], v[34:35]
	v_div_scale_f64 v[34:35], vcc, 1.0, v[18:19], 1.0
	v_mul_f64 v[36:37], v[34:35], v[32:33]
	v_fma_f64 v[30:31], -v[30:31], v[36:37], v[34:35]
	s_nop 1
	v_div_fmas_f64 v[30:31], v[30:31], v[32:33], v[36:37]
	v_div_fixup_f64 v[30:31], v[30:31], v[18:19], 1.0
	v_fma_f64 v[18:19], v[20:21], v[22:23], v[24:25]
	v_fma_f64 v[20:21], v[20:21], v[24:25], -v[22:23]
	v_mul_f64 v[18:19], v[18:19], v[30:31]
	v_mul_f64 v[20:21], v[20:21], v[30:31]
.LBB213_92:                             ;   in Loop: Header=BB213_80 Depth=1
	s_andn2_b64 vcc, exec, s[4:5]
	s_cbranch_vccnz .LBB213_94
; %bb.93:                               ;   in Loop: Header=BB213_80 Depth=1
	v_div_scale_f64 v[18:19], s[4:5], v[6:7], v[6:7], v[8:9]
	v_rcp_f64_e32 v[20:21], v[18:19]
	v_div_scale_f64 v[30:31], vcc, v[8:9], v[6:7], v[8:9]
	v_fma_f64 v[32:33], -v[18:19], v[20:21], 1.0
	v_fmac_f64_e32 v[20:21], v[20:21], v[32:33]
	v_fma_f64 v[32:33], -v[18:19], v[20:21], 1.0
	v_fmac_f64_e32 v[20:21], v[20:21], v[32:33]
	v_mul_f64 v[32:33], v[30:31], v[20:21]
	v_fma_f64 v[18:19], -v[18:19], v[32:33], v[30:31]
	v_div_fmas_f64 v[18:19], v[18:19], v[20:21], v[32:33]
	v_div_fixup_f64 v[20:21], v[18:19], v[6:7], v[8:9]
	v_fmac_f64_e32 v[6:7], v[8:9], v[20:21]
	v_div_scale_f64 v[8:9], s[4:5], v[6:7], v[6:7], 1.0
	v_rcp_f64_e32 v[18:19], v[8:9]
	s_nop 0
	v_fma_f64 v[30:31], -v[8:9], v[18:19], 1.0
	v_fmac_f64_e32 v[18:19], v[18:19], v[30:31]
	v_fma_f64 v[30:31], -v[8:9], v[18:19], 1.0
	v_fmac_f64_e32 v[18:19], v[18:19], v[30:31]
	v_div_scale_f64 v[30:31], vcc, 1.0, v[6:7], 1.0
	v_mul_f64 v[32:33], v[30:31], v[18:19]
	v_fma_f64 v[8:9], -v[8:9], v[32:33], v[30:31]
	s_nop 1
	v_div_fmas_f64 v[8:9], v[8:9], v[18:19], v[32:33]
	v_div_fixup_f64 v[6:7], v[8:9], v[6:7], 1.0
	v_fma_f64 v[8:9], v[20:21], v[24:25], v[22:23]
	v_mul_f64 v[18:19], v[8:9], v[6:7]
	v_fma_f64 v[8:9], -v[20:21], v[22:23], v[24:25]
	v_mul_f64 v[20:21], v[8:9], v[6:7]
.LBB213_94:                             ;   in Loop: Header=BB213_80 Depth=1
	s_add_i32 s4, s11, 0xffffff40
	v_mov_b32_e32 v6, s4
	s_add_i32 s4, s11, 0xffffff30
	ds_read_b128 v[6:9], v6
	v_mov_b32_e32 v22, s4
	ds_read_b128 v[22:25], v22
	ds_write_b128 v28, v[18:21]
	s_add_i32 s4, s11, 0xffffff20
	s_waitcnt lgkmcnt(2)
	v_mul_f64 v[28:29], v[12:13], v[8:9]
	v_mul_f64 v[8:9], v[10:11], v[8:9]
	v_fma_f64 v[28:29], v[10:11], v[6:7], -v[28:29]
	v_fmac_f64_e32 v[8:9], v[12:13], v[6:7]
	s_waitcnt lgkmcnt(1)
	v_mul_f64 v[6:7], v[16:17], v[24:25]
	v_add_f64 v[2:3], v[2:3], -v[28:29]
	v_fma_f64 v[6:7], v[14:15], v[22:23], -v[6:7]
	v_mul_f64 v[10:11], v[14:15], v[24:25]
	v_add_f64 v[12:13], v[2:3], -v[6:7]
	v_mov_b32_e32 v2, s4
	s_add_i32 s4, s11, 0xffffff10
	v_add_f64 v[4:5], v[4:5], -v[8:9]
	v_fmac_f64_e32 v[10:11], v[16:17], v[22:23]
	ds_read_b128 v[6:9], v2
	v_mov_b32_e32 v2, s4
	v_add_f64 v[14:15], v[4:5], -v[10:11]
	ds_read_b128 v[2:5], v2
	s_mov_b64 s[4:5], -1
	s_waitcnt lgkmcnt(1)
	v_mul_f64 v[10:11], v[20:21], v[8:9]
	v_mul_f64 v[8:9], v[18:19], v[8:9]
	v_fma_f64 v[10:11], v[18:19], v[6:7], -v[10:11]
	v_fmac_f64_e32 v[8:9], v[20:21], v[6:7]
	s_waitcnt lgkmcnt(0)
	v_cmp_ngt_f64_e64 s[12:13], |v[2:3]|, |v[4:5]|
	v_add_f64 v[10:11], v[12:13], -v[10:11]
	v_add_f64 v[12:13], v[14:15], -v[8:9]
	s_and_b64 vcc, exec, s[12:13]
                                        ; implicit-def: $vgpr8_vgpr9
	s_cbranch_vccz .LBB213_96
; %bb.95:                               ;   in Loop: Header=BB213_80 Depth=1
	v_div_scale_f64 v[6:7], s[4:5], v[4:5], v[4:5], v[2:3]
	v_rcp_f64_e32 v[8:9], v[6:7]
	v_div_scale_f64 v[14:15], vcc, v[2:3], v[4:5], v[2:3]
	v_fma_f64 v[16:17], -v[6:7], v[8:9], 1.0
	v_fmac_f64_e32 v[8:9], v[8:9], v[16:17]
	v_fma_f64 v[16:17], -v[6:7], v[8:9], 1.0
	v_fmac_f64_e32 v[8:9], v[8:9], v[16:17]
	v_mul_f64 v[16:17], v[14:15], v[8:9]
	v_fma_f64 v[6:7], -v[6:7], v[16:17], v[14:15]
	v_div_fmas_f64 v[6:7], v[6:7], v[8:9], v[16:17]
	v_div_fixup_f64 v[8:9], v[6:7], v[4:5], v[2:3]
	v_fma_f64 v[6:7], v[2:3], v[8:9], v[4:5]
	v_div_scale_f64 v[14:15], s[4:5], v[6:7], v[6:7], 1.0
	v_rcp_f64_e32 v[16:17], v[14:15]
	s_mov_b64 s[4:5], 0
	v_fma_f64 v[18:19], -v[14:15], v[16:17], 1.0
	v_fmac_f64_e32 v[16:17], v[16:17], v[18:19]
	v_fma_f64 v[18:19], -v[14:15], v[16:17], 1.0
	v_fmac_f64_e32 v[16:17], v[16:17], v[18:19]
	v_div_scale_f64 v[18:19], vcc, 1.0, v[6:7], 1.0
	v_mul_f64 v[20:21], v[18:19], v[16:17]
	v_fma_f64 v[14:15], -v[14:15], v[20:21], v[18:19]
	s_nop 1
	v_div_fmas_f64 v[14:15], v[14:15], v[16:17], v[20:21]
	v_div_fixup_f64 v[14:15], v[14:15], v[6:7], 1.0
	v_fma_f64 v[6:7], v[8:9], v[10:11], v[12:13]
	v_fma_f64 v[8:9], v[8:9], v[12:13], -v[10:11]
	v_mul_f64 v[6:7], v[6:7], v[14:15]
	v_mul_f64 v[8:9], v[8:9], v[14:15]
.LBB213_96:                             ;   in Loop: Header=BB213_80 Depth=1
	s_andn2_b64 vcc, exec, s[4:5]
	s_cbranch_vccnz .LBB213_98
; %bb.97:                               ;   in Loop: Header=BB213_80 Depth=1
	v_div_scale_f64 v[6:7], s[4:5], v[2:3], v[2:3], v[4:5]
	v_rcp_f64_e32 v[8:9], v[6:7]
	v_div_scale_f64 v[14:15], vcc, v[4:5], v[2:3], v[4:5]
	v_fma_f64 v[16:17], -v[6:7], v[8:9], 1.0
	v_fmac_f64_e32 v[8:9], v[8:9], v[16:17]
	v_fma_f64 v[16:17], -v[6:7], v[8:9], 1.0
	v_fmac_f64_e32 v[8:9], v[8:9], v[16:17]
	v_mul_f64 v[16:17], v[14:15], v[8:9]
	v_fma_f64 v[6:7], -v[6:7], v[16:17], v[14:15]
	v_div_fmas_f64 v[6:7], v[6:7], v[8:9], v[16:17]
	v_div_fixup_f64 v[8:9], v[6:7], v[2:3], v[4:5]
	v_fmac_f64_e32 v[2:3], v[4:5], v[8:9]
	v_div_scale_f64 v[4:5], s[4:5], v[2:3], v[2:3], 1.0
	v_rcp_f64_e32 v[6:7], v[4:5]
	s_nop 0
	v_fma_f64 v[14:15], -v[4:5], v[6:7], 1.0
	v_fmac_f64_e32 v[6:7], v[6:7], v[14:15]
	v_fma_f64 v[14:15], -v[4:5], v[6:7], 1.0
	v_fmac_f64_e32 v[6:7], v[6:7], v[14:15]
	v_div_scale_f64 v[14:15], vcc, 1.0, v[2:3], 1.0
	v_mul_f64 v[16:17], v[14:15], v[6:7]
	v_fma_f64 v[4:5], -v[4:5], v[16:17], v[14:15]
	s_nop 1
	v_div_fmas_f64 v[4:5], v[4:5], v[6:7], v[16:17]
	v_div_fixup_f64 v[2:3], v[4:5], v[2:3], 1.0
	v_fma_f64 v[4:5], v[8:9], v[12:13], v[10:11]
	v_mul_f64 v[6:7], v[4:5], v[2:3]
	v_fma_f64 v[4:5], -v[8:9], v[10:11], v[12:13]
	v_mul_f64 v[8:9], v[4:5], v[2:3]
.LBB213_98:                             ;   in Loop: Header=BB213_80 Depth=1
	s_add_i32 s11, s10, -4
	s_addk_i32 s7, 0xfd00
	s_cmp_lt_i32 s10, 7
	ds_write_b128 v27, v[6:9]
	s_cbranch_scc1 .LBB213_100
; %bb.99:                               ;   in Loop: Header=BB213_80 Depth=1
	s_mov_b32 s10, s11
	s_branch .LBB213_80
.LBB213_100:
	s_cmp_lt_i32 s11, 0
	s_cbranch_scc1 .LBB213_109
; %bb.101:
	s_mul_i32 s4, s11, 0xc0
	s_lshl_b32 s5, s25, 4
	v_lshl_add_u32 v2, v0, 4, s6
	s_add_i32 s4, s4, s5
	v_add_u32_e32 v14, 0x840, v2
	s_add_i32 s6, s4, -16
	s_branch .LBB213_103
.LBB213_102:                            ;   in Loop: Header=BB213_103 Depth=1
	v_sub_co_u32_e64 v2, s[4:5], s11, 1
	s_nop 0
	v_readfirstlane_b32 s11, v2
	s_addk_i32 s6, 0xff40
	s_and_b64 vcc, exec, s[4:5]
	ds_write_b128 v15, v[10:13]
	s_cbranch_vccnz .LBB213_109
.LBB213_103:                            ; =>This Loop Header: Depth=1
                                        ;     Child Loop BB213_104 Depth 2
	s_mul_i32 s4, s11, 0xc0
	v_add_u32_e32 v15, s4, v1
	ds_read_b128 v[2:5], v15
	s_cmp_le_i32 s9, s11
	s_mov_b32 s4, s6
	v_mov_b32_e32 v6, v14
	s_mov_b32 s5, s9
	s_cbranch_scc1 .LBB213_105
.LBB213_104:                            ;   Parent Loop BB213_103 Depth=1
                                        ; =>  This Inner Loop Header: Depth=2
	v_mov_b32_e32 v7, s4
	ds_read_b128 v[8:11], v6
	ds_read_b128 v[16:19], v7
	s_add_i32 s5, s5, -1
	s_add_i32 s4, s4, -16
	v_add_u32_e32 v6, 0xffffff40, v6
	s_cmp_le_u32 s5, s11
	s_waitcnt lgkmcnt(0)
	v_mul_f64 v[12:13], v[18:19], v[10:11]
	v_mul_f64 v[10:11], v[16:17], v[10:11]
	v_fma_f64 v[12:13], v[16:17], v[8:9], -v[12:13]
	v_fmac_f64_e32 v[10:11], v[18:19], v[8:9]
	v_add_f64 v[2:3], v[2:3], -v[12:13]
	v_add_f64 v[4:5], v[4:5], -v[10:11]
	s_cbranch_scc0 .LBB213_104
.LBB213_105:                            ;   in Loop: Header=BB213_103 Depth=1
	s_mul_i32 s4, s11, 0xd0
	v_mov_b32_e32 v6, s4
	ds_read_b128 v[6:9], v6
	s_mov_b64 s[4:5], -1
                                        ; implicit-def: $vgpr10_vgpr11
	s_waitcnt lgkmcnt(0)
	v_cmp_ngt_f64_e64 s[12:13], |v[6:7]|, |v[8:9]|
	s_and_b64 vcc, exec, s[12:13]
	s_cbranch_vccz .LBB213_107
; %bb.106:                              ;   in Loop: Header=BB213_103 Depth=1
	v_div_scale_f64 v[10:11], s[4:5], v[8:9], v[8:9], v[6:7]
	v_rcp_f64_e32 v[12:13], v[10:11]
	v_div_scale_f64 v[16:17], vcc, v[6:7], v[8:9], v[6:7]
	v_fma_f64 v[18:19], -v[10:11], v[12:13], 1.0
	v_fmac_f64_e32 v[12:13], v[12:13], v[18:19]
	v_fma_f64 v[18:19], -v[10:11], v[12:13], 1.0
	v_fmac_f64_e32 v[12:13], v[12:13], v[18:19]
	v_mul_f64 v[18:19], v[16:17], v[12:13]
	v_fma_f64 v[10:11], -v[10:11], v[18:19], v[16:17]
	v_div_fmas_f64 v[10:11], v[10:11], v[12:13], v[18:19]
	v_div_fixup_f64 v[12:13], v[10:11], v[8:9], v[6:7]
	v_fma_f64 v[10:11], v[6:7], v[12:13], v[8:9]
	v_div_scale_f64 v[16:17], s[4:5], v[10:11], v[10:11], 1.0
	v_rcp_f64_e32 v[18:19], v[16:17]
	s_mov_b64 s[4:5], 0
	v_fma_f64 v[20:21], -v[16:17], v[18:19], 1.0
	v_fmac_f64_e32 v[18:19], v[18:19], v[20:21]
	v_fma_f64 v[20:21], -v[16:17], v[18:19], 1.0
	v_fmac_f64_e32 v[18:19], v[18:19], v[20:21]
	v_div_scale_f64 v[20:21], vcc, 1.0, v[10:11], 1.0
	v_mul_f64 v[22:23], v[20:21], v[18:19]
	v_fma_f64 v[16:17], -v[16:17], v[22:23], v[20:21]
	s_nop 1
	v_div_fmas_f64 v[16:17], v[16:17], v[18:19], v[22:23]
	v_div_fixup_f64 v[16:17], v[16:17], v[10:11], 1.0
	v_fma_f64 v[10:11], v[2:3], v[12:13], v[4:5]
	v_fma_f64 v[12:13], v[4:5], v[12:13], -v[2:3]
	v_mul_f64 v[10:11], v[10:11], v[16:17]
	v_mul_f64 v[12:13], v[12:13], v[16:17]
.LBB213_107:                            ;   in Loop: Header=BB213_103 Depth=1
	s_andn2_b64 vcc, exec, s[4:5]
	s_cbranch_vccnz .LBB213_102
; %bb.108:                              ;   in Loop: Header=BB213_103 Depth=1
	v_div_scale_f64 v[10:11], s[4:5], v[6:7], v[6:7], v[8:9]
	v_rcp_f64_e32 v[12:13], v[10:11]
	v_div_scale_f64 v[16:17], vcc, v[8:9], v[6:7], v[8:9]
	v_fma_f64 v[18:19], -v[10:11], v[12:13], 1.0
	v_fmac_f64_e32 v[12:13], v[12:13], v[18:19]
	v_fma_f64 v[18:19], -v[10:11], v[12:13], 1.0
	v_fmac_f64_e32 v[12:13], v[12:13], v[18:19]
	v_mul_f64 v[18:19], v[16:17], v[12:13]
	v_fma_f64 v[10:11], -v[10:11], v[18:19], v[16:17]
	v_div_fmas_f64 v[10:11], v[10:11], v[12:13], v[18:19]
	v_div_fixup_f64 v[12:13], v[10:11], v[6:7], v[8:9]
	v_fmac_f64_e32 v[6:7], v[8:9], v[12:13]
	v_div_scale_f64 v[8:9], s[4:5], v[6:7], v[6:7], 1.0
	v_rcp_f64_e32 v[10:11], v[8:9]
	s_nop 0
	v_fma_f64 v[16:17], -v[8:9], v[10:11], 1.0
	v_fmac_f64_e32 v[10:11], v[10:11], v[16:17]
	v_fma_f64 v[16:17], -v[8:9], v[10:11], 1.0
	v_fmac_f64_e32 v[10:11], v[10:11], v[16:17]
	v_div_scale_f64 v[16:17], vcc, 1.0, v[6:7], 1.0
	v_mul_f64 v[18:19], v[16:17], v[10:11]
	v_fma_f64 v[8:9], -v[8:9], v[18:19], v[16:17]
	s_nop 1
	v_div_fmas_f64 v[8:9], v[8:9], v[10:11], v[18:19]
	v_div_fixup_f64 v[6:7], v[8:9], v[6:7], 1.0
	v_fma_f64 v[8:9], v[4:5], v[12:13], v[2:3]
	v_fma_f64 v[2:3], -v[2:3], v[12:13], v[4:5]
	v_mul_f64 v[10:11], v[8:9], v[6:7]
	v_mul_f64 v[12:13], v[2:3], v[6:7]
	s_branch .LBB213_102
.LBB213_109:
	s_mov_b64 s[10:11], 0
.LBB213_110:
	s_andn2_b64 vcc, exec, s[10:11]
	s_cbranch_vccnz .LBB213_142
; %bb.111:
	v_mov_b32_e32 v1, 0x900
	v_lshl_or_b32 v1, v0, 4, v1
	s_cmp_lt_i32 s24, 4
	s_mov_b32 s9, 0
	s_cbranch_scc1 .LBB213_133
; %bb.112:
	s_mov_b32 s6, 0
	s_mov_b32 s7, 0
.LBB213_113:                            ; =>This Loop Header: Depth=1
                                        ;     Child Loop BB213_114 Depth 2
	s_mul_i32 s9, s7, 12
	v_lshl_add_u32 v26, s9, 4, v1
	ds_read_b128 v[18:21], v26
	ds_read_b128 v[14:17], v26 offset:192
	ds_read_b128 v[6:9], v26 offset:384
	;; [unrolled: 1-line block ×3, first 2 shown]
	s_cmp_eq_u32 s7, 0
	s_mov_b32 s4, s6
	v_mov_b32_e32 v10, v1
	s_mov_b32 s5, s7
	s_cbranch_scc1 .LBB213_115
.LBB213_114:                            ;   Parent Loop BB213_113 Depth=1
                                        ; =>  This Inner Loop Header: Depth=2
	v_mov_b32_e32 v11, s4
	ds_read_b128 v[22:25], v10
	ds_read_b128 v[28:31], v11
	ds_read_b128 v[32:35], v11 offset:192
	ds_read_b128 v[36:39], v11 offset:384
	;; [unrolled: 1-line block ×3, first 2 shown]
	s_add_i32 s5, s5, -1
	s_add_i32 s4, s4, 16
	v_add_u32_e32 v10, 0xc0, v10
	s_waitcnt lgkmcnt(3)
	v_mul_f64 v[12:13], v[24:25], v[30:31]
	v_mul_f64 v[30:31], v[22:23], v[30:31]
	s_waitcnt lgkmcnt(2)
	v_mul_f64 v[44:45], v[24:25], v[34:35]
	v_mul_f64 v[34:35], v[22:23], v[34:35]
	;; [unrolled: 3-line block ×4, first 2 shown]
	v_fma_f64 v[12:13], v[22:23], v[28:29], -v[12:13]
	v_fmac_f64_e32 v[30:31], v[24:25], v[28:29]
	v_fma_f64 v[28:29], v[22:23], v[32:33], -v[44:45]
	v_fmac_f64_e32 v[34:35], v[24:25], v[32:33]
	;; [unrolled: 2-line block ×4, first 2 shown]
	s_cmp_eq_u32 s5, 0
	v_add_f64 v[18:19], v[18:19], -v[12:13]
	v_add_f64 v[20:21], v[20:21], -v[30:31]
	;; [unrolled: 1-line block ×8, first 2 shown]
	s_cbranch_scc0 .LBB213_114
.LBB213_115:                            ;   in Loop: Header=BB213_113 Depth=1
	s_mul_i32 s4, s7, 0xd0
	v_mov_b32_e32 v10, s4
	ds_read_b128 v[22:25], v10
	s_mov_b64 s[4:5], -1
                                        ; implicit-def: $vgpr12_vgpr13
	s_waitcnt lgkmcnt(0)
	v_cmp_ngt_f64_e64 s[10:11], |v[22:23]|, |v[24:25]|
	s_and_b64 vcc, exec, s[10:11]
	s_cbranch_vccz .LBB213_117
; %bb.116:                              ;   in Loop: Header=BB213_113 Depth=1
	v_div_scale_f64 v[10:11], s[4:5], v[24:25], v[24:25], v[22:23]
	v_rcp_f64_e32 v[12:13], v[10:11]
	v_div_scale_f64 v[28:29], vcc, v[22:23], v[24:25], v[22:23]
	v_fma_f64 v[30:31], -v[10:11], v[12:13], 1.0
	v_fmac_f64_e32 v[12:13], v[12:13], v[30:31]
	v_fma_f64 v[30:31], -v[10:11], v[12:13], 1.0
	v_fmac_f64_e32 v[12:13], v[12:13], v[30:31]
	v_mul_f64 v[30:31], v[28:29], v[12:13]
	v_fma_f64 v[10:11], -v[10:11], v[30:31], v[28:29]
	v_div_fmas_f64 v[10:11], v[10:11], v[12:13], v[30:31]
	v_div_fixup_f64 v[12:13], v[10:11], v[24:25], v[22:23]
	v_fma_f64 v[10:11], v[22:23], v[12:13], v[24:25]
	v_div_scale_f64 v[28:29], s[4:5], v[10:11], v[10:11], 1.0
	v_rcp_f64_e32 v[30:31], v[28:29]
	s_mov_b64 s[4:5], 0
	v_fma_f64 v[32:33], -v[28:29], v[30:31], 1.0
	v_fmac_f64_e32 v[30:31], v[30:31], v[32:33]
	v_fma_f64 v[32:33], -v[28:29], v[30:31], 1.0
	v_fmac_f64_e32 v[30:31], v[30:31], v[32:33]
	v_div_scale_f64 v[32:33], vcc, 1.0, v[10:11], 1.0
	v_mul_f64 v[34:35], v[32:33], v[30:31]
	v_fma_f64 v[28:29], -v[28:29], v[34:35], v[32:33]
	s_nop 1
	v_div_fmas_f64 v[28:29], v[28:29], v[30:31], v[34:35]
	v_div_fixup_f64 v[28:29], v[28:29], v[10:11], 1.0
	v_fma_f64 v[10:11], v[18:19], v[12:13], v[20:21]
	v_fma_f64 v[12:13], v[20:21], v[12:13], -v[18:19]
	v_mul_f64 v[10:11], v[10:11], v[28:29]
	v_mul_f64 v[12:13], v[12:13], v[28:29]
.LBB213_117:                            ;   in Loop: Header=BB213_113 Depth=1
	s_andn2_b64 vcc, exec, s[4:5]
	s_cbranch_vccnz .LBB213_119
; %bb.118:                              ;   in Loop: Header=BB213_113 Depth=1
	v_div_scale_f64 v[10:11], s[4:5], v[22:23], v[22:23], v[24:25]
	v_rcp_f64_e32 v[12:13], v[10:11]
	v_div_scale_f64 v[28:29], vcc, v[24:25], v[22:23], v[24:25]
	v_fma_f64 v[30:31], -v[10:11], v[12:13], 1.0
	v_fmac_f64_e32 v[12:13], v[12:13], v[30:31]
	v_fma_f64 v[30:31], -v[10:11], v[12:13], 1.0
	v_fmac_f64_e32 v[12:13], v[12:13], v[30:31]
	v_mul_f64 v[30:31], v[28:29], v[12:13]
	v_fma_f64 v[10:11], -v[10:11], v[30:31], v[28:29]
	v_div_fmas_f64 v[10:11], v[10:11], v[12:13], v[30:31]
	v_div_fixup_f64 v[12:13], v[10:11], v[22:23], v[24:25]
	v_fmac_f64_e32 v[22:23], v[24:25], v[12:13]
	v_div_scale_f64 v[10:11], s[4:5], v[22:23], v[22:23], 1.0
	v_rcp_f64_e32 v[24:25], v[10:11]
	s_nop 0
	v_fma_f64 v[28:29], -v[10:11], v[24:25], 1.0
	v_fmac_f64_e32 v[24:25], v[24:25], v[28:29]
	v_fma_f64 v[28:29], -v[10:11], v[24:25], 1.0
	v_fmac_f64_e32 v[24:25], v[24:25], v[28:29]
	v_div_scale_f64 v[28:29], vcc, 1.0, v[22:23], 1.0
	v_mul_f64 v[30:31], v[28:29], v[24:25]
	v_fma_f64 v[10:11], -v[10:11], v[30:31], v[28:29]
	s_nop 1
	v_div_fmas_f64 v[10:11], v[10:11], v[24:25], v[30:31]
	v_div_fixup_f64 v[22:23], v[10:11], v[22:23], 1.0
	v_fma_f64 v[10:11], v[20:21], v[12:13], v[18:19]
	v_fma_f64 v[12:13], -v[18:19], v[12:13], v[20:21]
	v_mul_f64 v[10:11], v[10:11], v[22:23]
	v_mul_f64 v[12:13], v[12:13], v[22:23]
.LBB213_119:                            ;   in Loop: Header=BB213_113 Depth=1
	s_lshl_b32 s9, s9, 4
	s_addk_i32 s9, 0xc0
	s_lshl_b32 s10, s7, 4
	s_add_i32 s4, s9, s10
	v_mov_b32_e32 v18, s4
	ds_read_b128 v[22:25], v18
	ds_read_b128 v[18:21], v18 offset:16
	s_mov_b64 s[4:5], -1
	ds_write_b128 v26, v[10:13]
	s_waitcnt lgkmcnt(2)
	v_mul_f64 v[28:29], v[12:13], v[24:25]
	v_mul_f64 v[24:25], v[10:11], v[24:25]
	v_fma_f64 v[28:29], v[10:11], v[22:23], -v[28:29]
	v_fmac_f64_e32 v[24:25], v[12:13], v[22:23]
	s_waitcnt lgkmcnt(1)
	v_cmp_ngt_f64_e64 s[12:13], |v[18:19]|, |v[20:21]|
	v_add_f64 v[22:23], v[14:15], -v[28:29]
	v_add_f64 v[24:25], v[16:17], -v[24:25]
	s_and_b64 vcc, exec, s[12:13]
                                        ; implicit-def: $vgpr16_vgpr17
	s_cbranch_vccz .LBB213_121
; %bb.120:                              ;   in Loop: Header=BB213_113 Depth=1
	v_div_scale_f64 v[14:15], s[4:5], v[20:21], v[20:21], v[18:19]
	v_rcp_f64_e32 v[16:17], v[14:15]
	v_div_scale_f64 v[28:29], vcc, v[18:19], v[20:21], v[18:19]
	v_fma_f64 v[30:31], -v[14:15], v[16:17], 1.0
	v_fmac_f64_e32 v[16:17], v[16:17], v[30:31]
	v_fma_f64 v[30:31], -v[14:15], v[16:17], 1.0
	v_fmac_f64_e32 v[16:17], v[16:17], v[30:31]
	v_mul_f64 v[30:31], v[28:29], v[16:17]
	v_fma_f64 v[14:15], -v[14:15], v[30:31], v[28:29]
	v_div_fmas_f64 v[14:15], v[14:15], v[16:17], v[30:31]
	v_div_fixup_f64 v[16:17], v[14:15], v[20:21], v[18:19]
	v_fma_f64 v[14:15], v[18:19], v[16:17], v[20:21]
	v_div_scale_f64 v[28:29], s[4:5], v[14:15], v[14:15], 1.0
	v_rcp_f64_e32 v[30:31], v[28:29]
	s_mov_b64 s[4:5], 0
	v_fma_f64 v[32:33], -v[28:29], v[30:31], 1.0
	v_fmac_f64_e32 v[30:31], v[30:31], v[32:33]
	v_fma_f64 v[32:33], -v[28:29], v[30:31], 1.0
	v_fmac_f64_e32 v[30:31], v[30:31], v[32:33]
	v_div_scale_f64 v[32:33], vcc, 1.0, v[14:15], 1.0
	v_mul_f64 v[34:35], v[32:33], v[30:31]
	v_fma_f64 v[28:29], -v[28:29], v[34:35], v[32:33]
	s_nop 1
	v_div_fmas_f64 v[28:29], v[28:29], v[30:31], v[34:35]
	v_div_fixup_f64 v[28:29], v[28:29], v[14:15], 1.0
	v_fma_f64 v[14:15], v[16:17], v[22:23], v[24:25]
	v_fma_f64 v[16:17], v[16:17], v[24:25], -v[22:23]
	v_mul_f64 v[14:15], v[14:15], v[28:29]
	v_mul_f64 v[16:17], v[16:17], v[28:29]
.LBB213_121:                            ;   in Loop: Header=BB213_113 Depth=1
	s_andn2_b64 vcc, exec, s[4:5]
	s_cbranch_vccnz .LBB213_123
; %bb.122:                              ;   in Loop: Header=BB213_113 Depth=1
	v_div_scale_f64 v[14:15], s[4:5], v[18:19], v[18:19], v[20:21]
	v_rcp_f64_e32 v[16:17], v[14:15]
	v_div_scale_f64 v[28:29], vcc, v[20:21], v[18:19], v[20:21]
	v_fma_f64 v[30:31], -v[14:15], v[16:17], 1.0
	v_fmac_f64_e32 v[16:17], v[16:17], v[30:31]
	v_fma_f64 v[30:31], -v[14:15], v[16:17], 1.0
	v_fmac_f64_e32 v[16:17], v[16:17], v[30:31]
	v_mul_f64 v[30:31], v[28:29], v[16:17]
	v_fma_f64 v[14:15], -v[14:15], v[30:31], v[28:29]
	v_div_fmas_f64 v[14:15], v[14:15], v[16:17], v[30:31]
	v_div_fixup_f64 v[16:17], v[14:15], v[18:19], v[20:21]
	v_fmac_f64_e32 v[18:19], v[20:21], v[16:17]
	v_div_scale_f64 v[14:15], s[4:5], v[18:19], v[18:19], 1.0
	v_rcp_f64_e32 v[20:21], v[14:15]
	s_nop 0
	v_fma_f64 v[28:29], -v[14:15], v[20:21], 1.0
	v_fmac_f64_e32 v[20:21], v[20:21], v[28:29]
	v_fma_f64 v[28:29], -v[14:15], v[20:21], 1.0
	v_fmac_f64_e32 v[20:21], v[20:21], v[28:29]
	v_div_scale_f64 v[28:29], vcc, 1.0, v[18:19], 1.0
	v_mul_f64 v[30:31], v[28:29], v[20:21]
	v_fma_f64 v[14:15], -v[14:15], v[30:31], v[28:29]
	s_nop 1
	v_div_fmas_f64 v[14:15], v[14:15], v[20:21], v[30:31]
	v_div_fixup_f64 v[18:19], v[14:15], v[18:19], 1.0
	v_fma_f64 v[14:15], v[16:17], v[24:25], v[22:23]
	v_fma_f64 v[16:17], -v[16:17], v[22:23], v[24:25]
	v_mul_f64 v[14:15], v[14:15], v[18:19]
	v_mul_f64 v[16:17], v[16:17], v[18:19]
.LBB213_123:                            ;   in Loop: Header=BB213_113 Depth=1
	s_addk_i32 s9, 0xc0
	s_add_i32 s9, s9, s10
	v_mov_b32_e32 v18, s9
	ds_read_b128 v[22:25], v18
	ds_write_b128 v26, v[14:17] offset:192
	ds_read_b128 v[28:31], v18 offset:16
	ds_read_b128 v[18:21], v18 offset:32
	s_mov_b64 s[4:5], -1
	s_waitcnt lgkmcnt(3)
	v_mul_f64 v[32:33], v[12:13], v[24:25]
	v_mul_f64 v[24:25], v[10:11], v[24:25]
	v_fmac_f64_e32 v[24:25], v[12:13], v[22:23]
	v_fma_f64 v[32:33], v[10:11], v[22:23], -v[32:33]
	v_add_f64 v[8:9], v[8:9], -v[24:25]
	s_waitcnt lgkmcnt(1)
	v_mul_f64 v[22:23], v[16:17], v[30:31]
	v_mul_f64 v[24:25], v[14:15], v[30:31]
	v_add_f64 v[6:7], v[6:7], -v[32:33]
	v_fma_f64 v[22:23], v[14:15], v[28:29], -v[22:23]
	v_fmac_f64_e32 v[24:25], v[16:17], v[28:29]
	s_waitcnt lgkmcnt(0)
	v_cmp_ngt_f64_e64 s[10:11], |v[18:19]|, |v[20:21]|
	v_add_f64 v[6:7], v[6:7], -v[22:23]
	v_add_f64 v[8:9], v[8:9], -v[24:25]
	s_and_b64 vcc, exec, s[10:11]
                                        ; implicit-def: $vgpr24_vgpr25
	s_cbranch_vccz .LBB213_125
; %bb.124:                              ;   in Loop: Header=BB213_113 Depth=1
	v_div_scale_f64 v[22:23], s[4:5], v[20:21], v[20:21], v[18:19]
	v_rcp_f64_e32 v[24:25], v[22:23]
	v_div_scale_f64 v[28:29], vcc, v[18:19], v[20:21], v[18:19]
	v_fma_f64 v[30:31], -v[22:23], v[24:25], 1.0
	v_fmac_f64_e32 v[24:25], v[24:25], v[30:31]
	v_fma_f64 v[30:31], -v[22:23], v[24:25], 1.0
	v_fmac_f64_e32 v[24:25], v[24:25], v[30:31]
	v_mul_f64 v[30:31], v[28:29], v[24:25]
	v_fma_f64 v[22:23], -v[22:23], v[30:31], v[28:29]
	v_div_fmas_f64 v[22:23], v[22:23], v[24:25], v[30:31]
	v_div_fixup_f64 v[24:25], v[22:23], v[20:21], v[18:19]
	v_fma_f64 v[22:23], v[18:19], v[24:25], v[20:21]
	v_div_scale_f64 v[28:29], s[4:5], v[22:23], v[22:23], 1.0
	v_rcp_f64_e32 v[30:31], v[28:29]
	s_mov_b64 s[4:5], 0
	v_fma_f64 v[32:33], -v[28:29], v[30:31], 1.0
	v_fmac_f64_e32 v[30:31], v[30:31], v[32:33]
	v_fma_f64 v[32:33], -v[28:29], v[30:31], 1.0
	v_fmac_f64_e32 v[30:31], v[30:31], v[32:33]
	v_div_scale_f64 v[32:33], vcc, 1.0, v[22:23], 1.0
	v_mul_f64 v[34:35], v[32:33], v[30:31]
	v_fma_f64 v[28:29], -v[28:29], v[34:35], v[32:33]
	s_nop 1
	v_div_fmas_f64 v[28:29], v[28:29], v[30:31], v[34:35]
	v_div_fixup_f64 v[28:29], v[28:29], v[22:23], 1.0
	v_fma_f64 v[22:23], v[24:25], v[6:7], v[8:9]
	v_fma_f64 v[24:25], v[24:25], v[8:9], -v[6:7]
	v_mul_f64 v[22:23], v[22:23], v[28:29]
	v_mul_f64 v[24:25], v[24:25], v[28:29]
.LBB213_125:                            ;   in Loop: Header=BB213_113 Depth=1
	s_andn2_b64 vcc, exec, s[4:5]
	s_cbranch_vccnz .LBB213_127
; %bb.126:                              ;   in Loop: Header=BB213_113 Depth=1
	v_div_scale_f64 v[22:23], s[4:5], v[18:19], v[18:19], v[20:21]
	v_rcp_f64_e32 v[24:25], v[22:23]
	v_div_scale_f64 v[28:29], vcc, v[20:21], v[18:19], v[20:21]
	v_fma_f64 v[30:31], -v[22:23], v[24:25], 1.0
	v_fmac_f64_e32 v[24:25], v[24:25], v[30:31]
	v_fma_f64 v[30:31], -v[22:23], v[24:25], 1.0
	v_fmac_f64_e32 v[24:25], v[24:25], v[30:31]
	v_mul_f64 v[30:31], v[28:29], v[24:25]
	v_fma_f64 v[22:23], -v[22:23], v[30:31], v[28:29]
	v_div_fmas_f64 v[22:23], v[22:23], v[24:25], v[30:31]
	v_div_fixup_f64 v[24:25], v[22:23], v[18:19], v[20:21]
	v_fmac_f64_e32 v[18:19], v[20:21], v[24:25]
	v_div_scale_f64 v[20:21], s[4:5], v[18:19], v[18:19], 1.0
	v_rcp_f64_e32 v[22:23], v[20:21]
	s_nop 0
	v_fma_f64 v[28:29], -v[20:21], v[22:23], 1.0
	v_fmac_f64_e32 v[22:23], v[22:23], v[28:29]
	v_fma_f64 v[28:29], -v[20:21], v[22:23], 1.0
	v_fmac_f64_e32 v[22:23], v[22:23], v[28:29]
	v_div_scale_f64 v[28:29], vcc, 1.0, v[18:19], 1.0
	v_mul_f64 v[30:31], v[28:29], v[22:23]
	v_fma_f64 v[20:21], -v[20:21], v[30:31], v[28:29]
	s_nop 1
	v_div_fmas_f64 v[20:21], v[20:21], v[22:23], v[30:31]
	v_div_fixup_f64 v[18:19], v[20:21], v[18:19], 1.0
	v_fma_f64 v[20:21], v[24:25], v[8:9], v[6:7]
	v_fma_f64 v[6:7], -v[24:25], v[6:7], v[8:9]
	v_mul_f64 v[22:23], v[20:21], v[18:19]
	v_mul_f64 v[24:25], v[6:7], v[18:19]
.LBB213_127:                            ;   in Loop: Header=BB213_113 Depth=1
	v_mov_b32_e32 v6, s9
	ds_read_b128 v[18:21], v6 offset:192
	ds_write_b128 v26, v[22:25] offset:384
	ds_read_b128 v[28:31], v6 offset:208
	ds_read_b128 v[32:35], v6 offset:224
	;; [unrolled: 1-line block ×3, first 2 shown]
	s_mov_b64 s[4:5], -1
	s_waitcnt lgkmcnt(4)
	v_mul_f64 v[36:37], v[12:13], v[20:21]
	v_fma_f64 v[36:37], v[10:11], v[18:19], -v[36:37]
	v_mul_f64 v[10:11], v[10:11], v[20:21]
	v_fmac_f64_e32 v[10:11], v[12:13], v[18:19]
	v_add_f64 v[4:5], v[4:5], -v[10:11]
	s_waitcnt lgkmcnt(2)
	v_mul_f64 v[10:11], v[16:17], v[30:31]
	v_mul_f64 v[12:13], v[14:15], v[30:31]
	v_add_f64 v[2:3], v[2:3], -v[36:37]
	v_fma_f64 v[10:11], v[14:15], v[28:29], -v[10:11]
	v_fmac_f64_e32 v[12:13], v[16:17], v[28:29]
	v_add_f64 v[2:3], v[2:3], -v[10:11]
	v_add_f64 v[4:5], v[4:5], -v[12:13]
	s_waitcnt lgkmcnt(1)
	v_mul_f64 v[10:11], v[24:25], v[34:35]
	v_mul_f64 v[12:13], v[22:23], v[34:35]
	v_fma_f64 v[10:11], v[22:23], v[32:33], -v[10:11]
	v_fmac_f64_e32 v[12:13], v[24:25], v[32:33]
	s_waitcnt lgkmcnt(0)
	v_cmp_ngt_f64_e64 s[10:11], |v[6:7]|, |v[8:9]|
	v_add_f64 v[10:11], v[2:3], -v[10:11]
	v_add_f64 v[12:13], v[4:5], -v[12:13]
	s_and_b64 vcc, exec, s[10:11]
                                        ; implicit-def: $vgpr4_vgpr5
	s_cbranch_vccz .LBB213_129
; %bb.128:                              ;   in Loop: Header=BB213_113 Depth=1
	v_div_scale_f64 v[2:3], s[4:5], v[8:9], v[8:9], v[6:7]
	v_rcp_f64_e32 v[4:5], v[2:3]
	v_div_scale_f64 v[14:15], vcc, v[6:7], v[8:9], v[6:7]
	v_fma_f64 v[16:17], -v[2:3], v[4:5], 1.0
	v_fmac_f64_e32 v[4:5], v[4:5], v[16:17]
	v_fma_f64 v[16:17], -v[2:3], v[4:5], 1.0
	v_fmac_f64_e32 v[4:5], v[4:5], v[16:17]
	v_mul_f64 v[16:17], v[14:15], v[4:5]
	v_fma_f64 v[2:3], -v[2:3], v[16:17], v[14:15]
	v_div_fmas_f64 v[2:3], v[2:3], v[4:5], v[16:17]
	v_div_fixup_f64 v[4:5], v[2:3], v[8:9], v[6:7]
	v_fma_f64 v[2:3], v[6:7], v[4:5], v[8:9]
	v_div_scale_f64 v[14:15], s[4:5], v[2:3], v[2:3], 1.0
	v_rcp_f64_e32 v[16:17], v[14:15]
	s_mov_b64 s[4:5], 0
	v_fma_f64 v[18:19], -v[14:15], v[16:17], 1.0
	v_fmac_f64_e32 v[16:17], v[16:17], v[18:19]
	v_fma_f64 v[18:19], -v[14:15], v[16:17], 1.0
	v_fmac_f64_e32 v[16:17], v[16:17], v[18:19]
	v_div_scale_f64 v[18:19], vcc, 1.0, v[2:3], 1.0
	v_mul_f64 v[20:21], v[18:19], v[16:17]
	v_fma_f64 v[14:15], -v[14:15], v[20:21], v[18:19]
	s_nop 1
	v_div_fmas_f64 v[14:15], v[14:15], v[16:17], v[20:21]
	v_div_fixup_f64 v[14:15], v[14:15], v[2:3], 1.0
	v_fma_f64 v[2:3], v[4:5], v[10:11], v[12:13]
	v_fma_f64 v[4:5], v[4:5], v[12:13], -v[10:11]
	v_mul_f64 v[2:3], v[2:3], v[14:15]
	v_mul_f64 v[4:5], v[4:5], v[14:15]
.LBB213_129:                            ;   in Loop: Header=BB213_113 Depth=1
	s_andn2_b64 vcc, exec, s[4:5]
	s_cbranch_vccnz .LBB213_131
; %bb.130:                              ;   in Loop: Header=BB213_113 Depth=1
	v_div_scale_f64 v[2:3], s[4:5], v[6:7], v[6:7], v[8:9]
	v_rcp_f64_e32 v[4:5], v[2:3]
	v_div_scale_f64 v[14:15], vcc, v[8:9], v[6:7], v[8:9]
	v_fma_f64 v[16:17], -v[2:3], v[4:5], 1.0
	v_fmac_f64_e32 v[4:5], v[4:5], v[16:17]
	v_fma_f64 v[16:17], -v[2:3], v[4:5], 1.0
	v_fmac_f64_e32 v[4:5], v[4:5], v[16:17]
	v_mul_f64 v[16:17], v[14:15], v[4:5]
	v_fma_f64 v[2:3], -v[2:3], v[16:17], v[14:15]
	v_div_fmas_f64 v[2:3], v[2:3], v[4:5], v[16:17]
	v_div_fixup_f64 v[4:5], v[2:3], v[6:7], v[8:9]
	v_fmac_f64_e32 v[6:7], v[8:9], v[4:5]
	v_div_scale_f64 v[2:3], s[4:5], v[6:7], v[6:7], 1.0
	v_rcp_f64_e32 v[8:9], v[2:3]
	s_nop 0
	v_fma_f64 v[14:15], -v[2:3], v[8:9], 1.0
	v_fmac_f64_e32 v[8:9], v[8:9], v[14:15]
	v_fma_f64 v[14:15], -v[2:3], v[8:9], 1.0
	v_fmac_f64_e32 v[8:9], v[8:9], v[14:15]
	v_div_scale_f64 v[14:15], vcc, 1.0, v[6:7], 1.0
	v_mul_f64 v[16:17], v[14:15], v[8:9]
	v_fma_f64 v[2:3], -v[2:3], v[16:17], v[14:15]
	s_nop 1
	v_div_fmas_f64 v[2:3], v[2:3], v[8:9], v[16:17]
	v_div_fixup_f64 v[6:7], v[2:3], v[6:7], 1.0
	v_fma_f64 v[2:3], v[4:5], v[12:13], v[10:11]
	v_fma_f64 v[4:5], -v[4:5], v[10:11], v[12:13]
	v_mul_f64 v[2:3], v[2:3], v[6:7]
	v_mul_f64 v[4:5], v[4:5], v[6:7]
.LBB213_131:                            ;   in Loop: Header=BB213_113 Depth=1
	s_add_i32 s9, s7, 4
	s_add_i32 s4, s7, 7
	s_addk_i32 s6, 0x300
	s_cmp_ge_i32 s4, s25
	ds_write_b128 v26, v[2:5] offset:576
	s_cbranch_scc1 .LBB213_133
; %bb.132:                              ;   in Loop: Header=BB213_113 Depth=1
	s_mov_b32 s7, s9
	s_branch .LBB213_113
.LBB213_133:
	s_cmp_ge_i32 s9, s25
	s_cbranch_scc1 .LBB213_142
; %bb.134:
	v_mov_b32_e32 v2, 0x900
	v_lshl_or_b32 v14, v0, 4, v2
	s_mul_i32 s6, s9, 0xc0
	s_branch .LBB213_136
.LBB213_135:                            ;   in Loop: Header=BB213_136 Depth=1
	s_add_i32 s9, s9, 1
	s_addk_i32 s6, 0xc0
	s_cmp_ge_i32 s9, s25
	ds_write_b128 v15, v[10:13]
	s_cbranch_scc1 .LBB213_142
.LBB213_136:                            ; =>This Loop Header: Depth=1
                                        ;     Child Loop BB213_137 Depth 2
	s_mul_i32 s4, s9, 0xc0
	v_add_u32_e32 v15, s4, v1
	ds_read_b128 v[2:5], v15
	s_cmp_eq_u32 s9, 0
	s_mov_b32 s4, s6
	v_mov_b32_e32 v6, v14
	s_mov_b32 s5, s9
	s_cbranch_scc1 .LBB213_138
.LBB213_137:                            ;   Parent Loop BB213_136 Depth=1
                                        ; =>  This Inner Loop Header: Depth=2
	v_mov_b32_e32 v7, s4
	ds_read_b128 v[8:11], v6
	ds_read_b128 v[16:19], v7
	s_add_i32 s5, s5, -1
	s_add_i32 s4, s4, 16
	v_add_u32_e32 v6, 0xc0, v6
	s_cmp_eq_u32 s5, 0
	s_waitcnt lgkmcnt(0)
	v_mul_f64 v[12:13], v[18:19], v[10:11]
	v_mul_f64 v[10:11], v[16:17], v[10:11]
	v_fma_f64 v[12:13], v[16:17], v[8:9], -v[12:13]
	v_fmac_f64_e32 v[10:11], v[18:19], v[8:9]
	v_add_f64 v[2:3], v[2:3], -v[12:13]
	v_add_f64 v[4:5], v[4:5], -v[10:11]
	s_cbranch_scc0 .LBB213_137
.LBB213_138:                            ;   in Loop: Header=BB213_136 Depth=1
	s_mul_i32 s4, s9, 0xd0
	v_mov_b32_e32 v6, s4
	ds_read_b128 v[6:9], v6
	s_mov_b64 s[4:5], -1
                                        ; implicit-def: $vgpr10_vgpr11
	s_waitcnt lgkmcnt(0)
	v_cmp_ngt_f64_e64 s[10:11], |v[6:7]|, |v[8:9]|
	s_and_b64 vcc, exec, s[10:11]
	s_cbranch_vccz .LBB213_140
; %bb.139:                              ;   in Loop: Header=BB213_136 Depth=1
	v_div_scale_f64 v[10:11], s[4:5], v[8:9], v[8:9], v[6:7]
	v_rcp_f64_e32 v[12:13], v[10:11]
	v_div_scale_f64 v[16:17], vcc, v[6:7], v[8:9], v[6:7]
	v_fma_f64 v[18:19], -v[10:11], v[12:13], 1.0
	v_fmac_f64_e32 v[12:13], v[12:13], v[18:19]
	v_fma_f64 v[18:19], -v[10:11], v[12:13], 1.0
	v_fmac_f64_e32 v[12:13], v[12:13], v[18:19]
	v_mul_f64 v[18:19], v[16:17], v[12:13]
	v_fma_f64 v[10:11], -v[10:11], v[18:19], v[16:17]
	v_div_fmas_f64 v[10:11], v[10:11], v[12:13], v[18:19]
	v_div_fixup_f64 v[12:13], v[10:11], v[8:9], v[6:7]
	v_fma_f64 v[10:11], v[6:7], v[12:13], v[8:9]
	v_div_scale_f64 v[16:17], s[4:5], v[10:11], v[10:11], 1.0
	v_rcp_f64_e32 v[18:19], v[16:17]
	s_mov_b64 s[4:5], 0
	v_fma_f64 v[20:21], -v[16:17], v[18:19], 1.0
	v_fmac_f64_e32 v[18:19], v[18:19], v[20:21]
	v_fma_f64 v[20:21], -v[16:17], v[18:19], 1.0
	v_fmac_f64_e32 v[18:19], v[18:19], v[20:21]
	v_div_scale_f64 v[20:21], vcc, 1.0, v[10:11], 1.0
	v_mul_f64 v[22:23], v[20:21], v[18:19]
	v_fma_f64 v[16:17], -v[16:17], v[22:23], v[20:21]
	s_nop 1
	v_div_fmas_f64 v[16:17], v[16:17], v[18:19], v[22:23]
	v_div_fixup_f64 v[16:17], v[16:17], v[10:11], 1.0
	v_fma_f64 v[10:11], v[2:3], v[12:13], v[4:5]
	v_fma_f64 v[12:13], v[4:5], v[12:13], -v[2:3]
	v_mul_f64 v[10:11], v[10:11], v[16:17]
	v_mul_f64 v[12:13], v[12:13], v[16:17]
.LBB213_140:                            ;   in Loop: Header=BB213_136 Depth=1
	s_andn2_b64 vcc, exec, s[4:5]
	s_cbranch_vccnz .LBB213_135
; %bb.141:                              ;   in Loop: Header=BB213_136 Depth=1
	v_div_scale_f64 v[10:11], s[4:5], v[6:7], v[6:7], v[8:9]
	v_rcp_f64_e32 v[12:13], v[10:11]
	v_div_scale_f64 v[16:17], vcc, v[8:9], v[6:7], v[8:9]
	v_fma_f64 v[18:19], -v[10:11], v[12:13], 1.0
	v_fmac_f64_e32 v[12:13], v[12:13], v[18:19]
	v_fma_f64 v[18:19], -v[10:11], v[12:13], 1.0
	v_fmac_f64_e32 v[12:13], v[12:13], v[18:19]
	v_mul_f64 v[18:19], v[16:17], v[12:13]
	v_fma_f64 v[10:11], -v[10:11], v[18:19], v[16:17]
	v_div_fmas_f64 v[10:11], v[10:11], v[12:13], v[18:19]
	v_div_fixup_f64 v[12:13], v[10:11], v[6:7], v[8:9]
	v_fmac_f64_e32 v[6:7], v[8:9], v[12:13]
	v_div_scale_f64 v[8:9], s[4:5], v[6:7], v[6:7], 1.0
	v_rcp_f64_e32 v[10:11], v[8:9]
	s_nop 0
	v_fma_f64 v[16:17], -v[8:9], v[10:11], 1.0
	v_fmac_f64_e32 v[10:11], v[10:11], v[16:17]
	v_fma_f64 v[16:17], -v[8:9], v[10:11], 1.0
	v_fmac_f64_e32 v[10:11], v[10:11], v[16:17]
	v_div_scale_f64 v[16:17], vcc, 1.0, v[6:7], 1.0
	v_mul_f64 v[18:19], v[16:17], v[10:11]
	v_fma_f64 v[8:9], -v[8:9], v[18:19], v[16:17]
	s_nop 1
	v_div_fmas_f64 v[8:9], v[8:9], v[10:11], v[18:19]
	v_div_fixup_f64 v[6:7], v[8:9], v[6:7], 1.0
	v_fma_f64 v[8:9], v[4:5], v[12:13], v[2:3]
	v_fma_f64 v[2:3], -v[2:3], v[12:13], v[4:5]
	v_mul_f64 v[10:11], v[8:9], v[6:7]
	v_mul_f64 v[12:13], v[2:3], v[6:7]
	s_branch .LBB213_135
.LBB213_142:
	s_and_saveexec_b64 s[4:5], s[0:1]
	s_cbranch_execz .LBB213_146
; %bb.143:
	s_cmp_lt_i32 s24, 1
	s_cbranch_scc1 .LBB213_146
; %bb.144:
	s_ashr_i32 s9, s8, 31
	v_lshlrev_b32_e32 v2, 4, v0
	v_mov_b32_e32 v3, 0
	v_lshl_add_u64 v[0:1], s[2:3], 0, v[2:3]
	s_lshl_b64 s[0:1], s[8:9], 4
	v_or_b32_e32 v2, 0x900, v2
.LBB213_145:                            ; =>This Inner Loop Header: Depth=1
	ds_read2_b64 v[4:7], v2 offset1:1
	s_add_i32 s24, s24, -1
	v_add_u32_e32 v2, 0xc0, v2
	s_cmp_lg_u32 s24, 0
	s_waitcnt lgkmcnt(0)
	flat_store_dwordx4 v[0:1], v[4:7]
	v_lshl_add_u64 v[0:1], v[0:1], 0, s[0:1]
	s_cbranch_scc1 .LBB213_145
.LBB213_146:
	s_endpgm
	.section	.rodata,"a",@progbits
	.p2align	6, 0x0
	.amdhsa_kernel _ZL31rocblas_trsm_small_right_deviceI19rocblas_complex_numIdES1_PKPKS1_PKPS1_Li12EEv13rocblas_fill_18rocblas_operation_17rocblas_diagonal_iiT0_T1_lilT2_lili
		.amdhsa_group_segment_fixed_size 4608
		.amdhsa_private_segment_fixed_size 0
		.amdhsa_kernarg_size 368
		.amdhsa_user_sgpr_count 2
		.amdhsa_user_sgpr_dispatch_ptr 0
		.amdhsa_user_sgpr_queue_ptr 0
		.amdhsa_user_sgpr_kernarg_segment_ptr 1
		.amdhsa_user_sgpr_dispatch_id 0
		.amdhsa_user_sgpr_kernarg_preload_length 0
		.amdhsa_user_sgpr_kernarg_preload_offset 0
		.amdhsa_user_sgpr_private_segment_size 0
		.amdhsa_uses_dynamic_stack 0
		.amdhsa_enable_private_segment 0
		.amdhsa_system_sgpr_workgroup_id_x 1
		.amdhsa_system_sgpr_workgroup_id_y 0
		.amdhsa_system_sgpr_workgroup_id_z 1
		.amdhsa_system_sgpr_workgroup_info 0
		.amdhsa_system_vgpr_workitem_id 0
		.amdhsa_next_free_vgpr 54
		.amdhsa_next_free_sgpr 28
		.amdhsa_accum_offset 56
		.amdhsa_reserve_vcc 1
		.amdhsa_float_round_mode_32 0
		.amdhsa_float_round_mode_16_64 0
		.amdhsa_float_denorm_mode_32 3
		.amdhsa_float_denorm_mode_16_64 3
		.amdhsa_dx10_clamp 1
		.amdhsa_ieee_mode 1
		.amdhsa_fp16_overflow 0
		.amdhsa_tg_split 0
		.amdhsa_exception_fp_ieee_invalid_op 0
		.amdhsa_exception_fp_denorm_src 0
		.amdhsa_exception_fp_ieee_div_zero 0
		.amdhsa_exception_fp_ieee_overflow 0
		.amdhsa_exception_fp_ieee_underflow 0
		.amdhsa_exception_fp_ieee_inexact 0
		.amdhsa_exception_int_div_zero 0
	.end_amdhsa_kernel
	.section	.text._ZL31rocblas_trsm_small_right_deviceI19rocblas_complex_numIdES1_PKPKS1_PKPS1_Li12EEv13rocblas_fill_18rocblas_operation_17rocblas_diagonal_iiT0_T1_lilT2_lili,"axG",@progbits,_ZL31rocblas_trsm_small_right_deviceI19rocblas_complex_numIdES1_PKPKS1_PKPS1_Li12EEv13rocblas_fill_18rocblas_operation_17rocblas_diagonal_iiT0_T1_lilT2_lili,comdat
.Lfunc_end213:
	.size	_ZL31rocblas_trsm_small_right_deviceI19rocblas_complex_numIdES1_PKPKS1_PKPS1_Li12EEv13rocblas_fill_18rocblas_operation_17rocblas_diagonal_iiT0_T1_lilT2_lili, .Lfunc_end213-_ZL31rocblas_trsm_small_right_deviceI19rocblas_complex_numIdES1_PKPKS1_PKPS1_Li12EEv13rocblas_fill_18rocblas_operation_17rocblas_diagonal_iiT0_T1_lilT2_lili
                                        ; -- End function
	.set _ZL31rocblas_trsm_small_right_deviceI19rocblas_complex_numIdES1_PKPKS1_PKPS1_Li12EEv13rocblas_fill_18rocblas_operation_17rocblas_diagonal_iiT0_T1_lilT2_lili.num_vgpr, 54
	.set _ZL31rocblas_trsm_small_right_deviceI19rocblas_complex_numIdES1_PKPKS1_PKPS1_Li12EEv13rocblas_fill_18rocblas_operation_17rocblas_diagonal_iiT0_T1_lilT2_lili.num_agpr, 0
	.set _ZL31rocblas_trsm_small_right_deviceI19rocblas_complex_numIdES1_PKPKS1_PKPS1_Li12EEv13rocblas_fill_18rocblas_operation_17rocblas_diagonal_iiT0_T1_lilT2_lili.numbered_sgpr, 28
	.set _ZL31rocblas_trsm_small_right_deviceI19rocblas_complex_numIdES1_PKPKS1_PKPS1_Li12EEv13rocblas_fill_18rocblas_operation_17rocblas_diagonal_iiT0_T1_lilT2_lili.num_named_barrier, 0
	.set _ZL31rocblas_trsm_small_right_deviceI19rocblas_complex_numIdES1_PKPKS1_PKPS1_Li12EEv13rocblas_fill_18rocblas_operation_17rocblas_diagonal_iiT0_T1_lilT2_lili.private_seg_size, 0
	.set _ZL31rocblas_trsm_small_right_deviceI19rocblas_complex_numIdES1_PKPKS1_PKPS1_Li12EEv13rocblas_fill_18rocblas_operation_17rocblas_diagonal_iiT0_T1_lilT2_lili.uses_vcc, 1
	.set _ZL31rocblas_trsm_small_right_deviceI19rocblas_complex_numIdES1_PKPKS1_PKPS1_Li12EEv13rocblas_fill_18rocblas_operation_17rocblas_diagonal_iiT0_T1_lilT2_lili.uses_flat_scratch, 0
	.set _ZL31rocblas_trsm_small_right_deviceI19rocblas_complex_numIdES1_PKPKS1_PKPS1_Li12EEv13rocblas_fill_18rocblas_operation_17rocblas_diagonal_iiT0_T1_lilT2_lili.has_dyn_sized_stack, 0
	.set _ZL31rocblas_trsm_small_right_deviceI19rocblas_complex_numIdES1_PKPKS1_PKPS1_Li12EEv13rocblas_fill_18rocblas_operation_17rocblas_diagonal_iiT0_T1_lilT2_lili.has_recursion, 0
	.set _ZL31rocblas_trsm_small_right_deviceI19rocblas_complex_numIdES1_PKPKS1_PKPS1_Li12EEv13rocblas_fill_18rocblas_operation_17rocblas_diagonal_iiT0_T1_lilT2_lili.has_indirect_call, 0
	.section	.AMDGPU.csdata,"",@progbits
; Kernel info:
; codeLenInByte = 13804
; TotalNumSgprs: 34
; NumVgprs: 54
; NumAgprs: 0
; TotalNumVgprs: 54
; ScratchSize: 0
; MemoryBound: 0
; FloatMode: 240
; IeeeMode: 1
; LDSByteSize: 4608 bytes/workgroup (compile time only)
; SGPRBlocks: 4
; VGPRBlocks: 6
; NumSGPRsForWavesPerEU: 34
; NumVGPRsForWavesPerEU: 54
; AccumOffset: 56
; Occupancy: 8
; WaveLimiterHint : 0
; COMPUTE_PGM_RSRC2:SCRATCH_EN: 0
; COMPUTE_PGM_RSRC2:USER_SGPR: 2
; COMPUTE_PGM_RSRC2:TRAP_HANDLER: 0
; COMPUTE_PGM_RSRC2:TGID_X_EN: 1
; COMPUTE_PGM_RSRC2:TGID_Y_EN: 0
; COMPUTE_PGM_RSRC2:TGID_Z_EN: 1
; COMPUTE_PGM_RSRC2:TIDIG_COMP_CNT: 0
; COMPUTE_PGM_RSRC3_GFX90A:ACCUM_OFFSET: 13
; COMPUTE_PGM_RSRC3_GFX90A:TG_SPLIT: 0
	.section	.text._ZL38rocblas_trsm_small_left_device_sharedBILi16ELi16ELb0E19rocblas_complex_numIdES1_PKPKS1_PKPS1_Ev13rocblas_fill_18rocblas_operation_17rocblas_diagonal_iiT3_T4_lilT5_lili,"axG",@progbits,_ZL38rocblas_trsm_small_left_device_sharedBILi16ELi16ELb0E19rocblas_complex_numIdES1_PKPKS1_PKPS1_Ev13rocblas_fill_18rocblas_operation_17rocblas_diagonal_iiT3_T4_lilT5_lili,comdat
	.globl	_ZL38rocblas_trsm_small_left_device_sharedBILi16ELi16ELb0E19rocblas_complex_numIdES1_PKPKS1_PKPS1_Ev13rocblas_fill_18rocblas_operation_17rocblas_diagonal_iiT3_T4_lilT5_lili ; -- Begin function _ZL38rocblas_trsm_small_left_device_sharedBILi16ELi16ELb0E19rocblas_complex_numIdES1_PKPKS1_PKPS1_Ev13rocblas_fill_18rocblas_operation_17rocblas_diagonal_iiT3_T4_lilT5_lili
	.p2align	8
	.type	_ZL38rocblas_trsm_small_left_device_sharedBILi16ELi16ELb0E19rocblas_complex_numIdES1_PKPKS1_PKPS1_Ev13rocblas_fill_18rocblas_operation_17rocblas_diagonal_iiT3_T4_lilT5_lili,@function
_ZL38rocblas_trsm_small_left_device_sharedBILi16ELi16ELb0E19rocblas_complex_numIdES1_PKPKS1_PKPS1_Ev13rocblas_fill_18rocblas_operation_17rocblas_diagonal_iiT3_T4_lilT5_lili: ; @_ZL38rocblas_trsm_small_left_device_sharedBILi16ELi16ELb0E19rocblas_complex_numIdES1_PKPKS1_PKPS1_Ev13rocblas_fill_18rocblas_operation_17rocblas_diagonal_iiT3_T4_lilT5_lili
; %bb.0:
	s_load_dwordx4 s[12:15], s[0:1], 0x4
	s_load_dwordx4 s[16:19], s[0:1], 0x48
	s_load_dwordx8 s[4:11], s[0:1], 0x18
	s_mov_b32 s20, s3
	s_mov_b32 s21, 0
	s_lshl_b64 s[22:23], s[20:21], 3
	s_waitcnt lgkmcnt(0)
	s_add_u32 s16, s16, s22
	s_addc_u32 s17, s17, s23
	s_load_dword s3, s[0:1], 0x70
	s_min_i32 s24, s14, 16
	s_load_dwordx2 s[16:17], s[16:17], 0x0
	v_cmp_gt_i32_e32 vcc, s24, v0
	s_and_saveexec_b64 s[20:21], vcc
	s_cbranch_execz .LBB214_11
; %bb.1:
	s_load_dword s26, s[0:1], 0x38
	v_lshlrev_b32_e32 v2, 4, v0
	v_mov_b32_e32 v3, 0
	v_mov_b32_e32 v1, v2
	s_waitcnt lgkmcnt(0)
	s_ashr_i32 s27, s26, 31
	s_cmpk_eq_i32 s12, 0x71
	s_cselect_b64 vcc, -1, 0
	s_add_u32 s8, s8, s22
	s_addc_u32 s9, s9, s23
	s_load_dwordx2 s[8:9], s[8:9], 0x0
	s_lshl_b64 s[10:11], s[10:11], 4
	s_waitcnt lgkmcnt(0)
	s_add_u32 s10, s8, s10
	s_addc_u32 s11, s9, s11
	s_lshl_b64 s[8:9], s[26:27], 4
	v_lshl_add_u64 v[4:5], s[10:11], 0, v[2:3]
	s_mov_b32 s10, s24
.LBB214_2:                              ; =>This Inner Loop Header: Depth=1
	flat_load_dwordx4 v[6:9], v[4:5]
	s_add_i32 s10, s10, -1
	v_lshl_add_u64 v[4:5], v[4:5], 0, s[8:9]
	s_cmp_eq_u32 s10, 0
	s_waitcnt vmcnt(0) lgkmcnt(0)
	v_xor_b32_e32 v3, 0x80000000, v9
	v_cndmask_b32_e32 v9, v9, v3, vcc
	ds_write_b128 v1, v[6:9]
	v_add_u32_e32 v1, 0x100, v1
	s_cbranch_scc0 .LBB214_2
; %bb.3:
	v_lshlrev_b32_e32 v1, 8, v0
	s_cmpk_lg_i32 s13, 0x84
	v_add_u32_e32 v1, v2, v1
	s_cbranch_scc0 .LBB214_9
; %bb.4:
	ds_read_b128 v[2:5], v1
                                        ; implicit-def: $vgpr8_vgpr9
	s_waitcnt lgkmcnt(0)
	v_cmp_ngt_f64_e64 s[8:9], |v[2:3]|, |v[4:5]|
	s_and_saveexec_b64 s[10:11], s[8:9]
	s_xor_b64 s[8:9], exec, s[10:11]
	s_cbranch_execz .LBB214_6
; %bb.5:
	v_div_scale_f64 v[6:7], s[10:11], v[4:5], v[4:5], v[2:3]
	v_rcp_f64_e32 v[8:9], v[6:7]
	v_div_scale_f64 v[10:11], vcc, v[2:3], v[4:5], v[2:3]
	v_fma_f64 v[12:13], -v[6:7], v[8:9], 1.0
	v_fmac_f64_e32 v[8:9], v[8:9], v[12:13]
	v_fma_f64 v[12:13], -v[6:7], v[8:9], 1.0
	v_fmac_f64_e32 v[8:9], v[8:9], v[12:13]
	v_mul_f64 v[12:13], v[10:11], v[8:9]
	v_fma_f64 v[6:7], -v[6:7], v[12:13], v[10:11]
	v_div_fmas_f64 v[6:7], v[6:7], v[8:9], v[12:13]
	v_div_fixup_f64 v[8:9], v[6:7], v[4:5], v[2:3]
	v_fmac_f64_e32 v[4:5], v[2:3], v[8:9]
	v_div_scale_f64 v[2:3], s[10:11], v[4:5], v[4:5], 1.0
	v_rcp_f64_e32 v[6:7], v[2:3]
	s_nop 0
	v_fma_f64 v[10:11], -v[2:3], v[6:7], 1.0
	v_fmac_f64_e32 v[6:7], v[6:7], v[10:11]
	v_fma_f64 v[10:11], -v[2:3], v[6:7], 1.0
	v_fmac_f64_e32 v[6:7], v[6:7], v[10:11]
	v_div_scale_f64 v[10:11], vcc, 1.0, v[4:5], 1.0
	v_mul_f64 v[12:13], v[10:11], v[6:7]
	v_fma_f64 v[2:3], -v[2:3], v[12:13], v[10:11]
	s_nop 1
	v_div_fmas_f64 v[2:3], v[2:3], v[6:7], v[12:13]
	v_div_fixup_f64 v[2:3], v[2:3], v[4:5], 1.0
	v_add_f64 v[4:5], v[8:9], 0
	v_mul_f64 v[6:7], v[4:5], v[2:3]
	v_fma_f64 v[4:5], v[8:9], 0, -1.0
	v_mul_f64 v[8:9], v[4:5], v[2:3]
                                        ; implicit-def: $vgpr2_vgpr3
.LBB214_6:
	s_andn2_saveexec_b64 s[8:9], s[8:9]
	s_cbranch_execz .LBB214_8
; %bb.7:
	v_div_scale_f64 v[6:7], s[10:11], v[2:3], v[2:3], v[4:5]
	v_rcp_f64_e32 v[8:9], v[6:7]
	v_div_scale_f64 v[10:11], vcc, v[4:5], v[2:3], v[4:5]
	v_fma_f64 v[12:13], -v[6:7], v[8:9], 1.0
	v_fmac_f64_e32 v[8:9], v[8:9], v[12:13]
	v_fma_f64 v[12:13], -v[6:7], v[8:9], 1.0
	v_fmac_f64_e32 v[8:9], v[8:9], v[12:13]
	v_mul_f64 v[12:13], v[10:11], v[8:9]
	v_fma_f64 v[6:7], -v[6:7], v[12:13], v[10:11]
	v_div_fmas_f64 v[6:7], v[6:7], v[8:9], v[12:13]
	v_div_fixup_f64 v[8:9], v[6:7], v[2:3], v[4:5]
	v_fmac_f64_e32 v[2:3], v[4:5], v[8:9]
	v_div_scale_f64 v[4:5], s[10:11], v[2:3], v[2:3], 1.0
	v_rcp_f64_e32 v[6:7], v[4:5]
	s_nop 0
	v_fma_f64 v[10:11], -v[4:5], v[6:7], 1.0
	v_fmac_f64_e32 v[6:7], v[6:7], v[10:11]
	v_fma_f64 v[10:11], -v[4:5], v[6:7], 1.0
	v_fmac_f64_e32 v[6:7], v[6:7], v[10:11]
	v_div_scale_f64 v[10:11], vcc, 1.0, v[2:3], 1.0
	v_mul_f64 v[12:13], v[10:11], v[6:7]
	v_fma_f64 v[4:5], -v[4:5], v[12:13], v[10:11]
	s_nop 1
	v_div_fmas_f64 v[4:5], v[4:5], v[6:7], v[12:13]
	v_div_fixup_f64 v[2:3], v[4:5], v[2:3], 1.0
	v_fma_f64 v[4:5], v[8:9], 0, 1.0
	v_mul_f64 v[6:7], v[4:5], v[2:3]
	v_add_f64 v[4:5], -v[8:9], 0
	v_mul_f64 v[8:9], v[4:5], v[2:3]
.LBB214_8:
	s_or_b64 exec, exec, s[8:9]
	s_branch .LBB214_10
.LBB214_9:
	v_mov_b64_e32 v[8:9], 0
	v_mov_b64_e32 v[6:7], 1.0
.LBB214_10:
	ds_write_b128 v1, v[6:9]
.LBB214_11:
	s_or_b64 exec, exec, s[20:21]
	s_load_dword s13, s[0:1], 0x58
	s_lshl_b64 s[0:1], s[18:19], 4
	s_waitcnt lgkmcnt(0)
	s_add_u32 s8, s16, s0
	s_addc_u32 s9, s17, s1
	s_lshl_b32 s0, s2, 4
	s_add_i32 s3, s3, -1
	s_sub_i32 s1, s15, s0
	s_cmp_ge_u32 s2, s3
	s_cselect_b32 s10, s1, 16
	s_mul_hi_i32 s1, s13, s0
	s_mul_i32 s0, s13, s0
	s_lshl_b64 s[0:1], s[0:1], 4
	s_add_u32 s2, s8, s0
	s_addc_u32 s3, s9, s1
	s_cmp_gt_i32 s14, 0
	v_cmp_gt_i32_e64 s[0:1], s10, v0
	s_cselect_b64 s[8:9], -1, 0
	s_and_b64 s[16:17], s[0:1], s[8:9]
	s_and_saveexec_b64 s[10:11], s[16:17]
	s_cbranch_execz .LBB214_14
; %bb.12:
	v_mad_i64_i32 v[2:3], s[16:17], s13, v0, 0
	v_mov_b32_e32 v1, 0x1000
	v_lshl_add_u64 v[2:3], v[2:3], 4, s[2:3]
	v_lshl_or_b32 v1, v0, 4, v1
	s_mov_b32 s15, s24
.LBB214_13:                             ; =>This Inner Loop Header: Depth=1
	flat_load_dwordx4 v[4:7], v[2:3]
	s_add_i32 s15, s15, -1
	v_lshl_add_u64 v[2:3], v[2:3], 0, 16
	s_cmp_lg_u32 s15, 0
	s_waitcnt vmcnt(0) lgkmcnt(0)
	v_mul_f64 v[10:11], s[6:7], v[6:7]
	v_mul_f64 v[8:9], s[4:5], v[6:7]
	v_fma_f64 v[6:7], s[4:5], v[4:5], -v[10:11]
	v_fmac_f64_e32 v[8:9], s[6:7], v[4:5]
	ds_write_b128 v1, v[6:9]
	v_add_u32_e32 v1, 0x100, v1
	s_cbranch_scc1 .LBB214_13
.LBB214_14:
	s_or_b64 exec, exec, s[10:11]
	v_mov_b32_e32 v1, 0x1000
	s_cmpk_eq_i32 s12, 0x6f
	v_lshl_or_b32 v1, v0, 4, v1
	s_mov_b64 s[4:5], -1
	s_waitcnt lgkmcnt(0)
	; wave barrier
	s_cbranch_scc1 .LBB214_29
; %bb.15:
	s_cmp_gt_i32 s14, 15
	s_cselect_b64 s[4:5], -1, 0
	s_mov_b32 s10, 0
	s_and_b64 vcc, exec, s[4:5]
	s_cbranch_vccz .LBB214_17
; %bb.16:
	v_mov_b32_e32 v66, 0
	ds_read_b128 v[10:13], v1
	ds_read_b128 v[14:17], v1 offset:256
	ds_read_b128 v[18:21], v1 offset:512
	;; [unrolled: 1-line block ×11, first 2 shown]
	ds_read_b128 v[72:75], v66
	ds_read_b128 v[50:53], v1 offset:3072
	ds_read_b128 v[38:41], v1 offset:3328
	;; [unrolled: 1-line block ×5, first 2 shown]
	s_waitcnt lgkmcnt(5)
	v_mul_f64 v[8:9], v[72:73], v[12:13]
	v_mul_f64 v[6:7], v[74:75], v[12:13]
	v_fmac_f64_e32 v[8:9], v[74:75], v[10:11]
	v_fma_f64 v[6:7], v[72:73], v[10:11], -v[6:7]
	s_waitcnt lgkmcnt(0)
	v_mul_f64 v[10:11], v[78:79], v[8:9]
	v_mul_f64 v[12:13], v[76:77], v[8:9]
	ds_read_b128 v[72:75], v66 offset:272
	v_fma_f64 v[10:11], v[76:77], v[6:7], -v[10:11]
	v_fmac_f64_e32 v[12:13], v[78:79], v[6:7]
	v_add_f64 v[76:77], v[14:15], -v[10:11]
	v_add_f64 v[12:13], v[16:17], -v[12:13]
	ds_read_b128 v[14:17], v66 offset:512
	s_waitcnt lgkmcnt(1)
	v_mul_f64 v[10:11], v[74:75], v[12:13]
	v_fma_f64 v[10:11], v[72:73], v[76:77], -v[10:11]
	v_mul_f64 v[12:13], v[72:73], v[12:13]
	v_fmac_f64_e32 v[12:13], v[74:75], v[76:77]
	s_waitcnt lgkmcnt(0)
	v_mul_f64 v[72:73], v[16:17], v[8:9]
	v_fma_f64 v[76:77], v[14:15], v[6:7], -v[72:73]
	ds_read_b128 v[72:75], v66 offset:528
	v_mul_f64 v[14:15], v[14:15], v[8:9]
	v_fmac_f64_e32 v[14:15], v[16:17], v[6:7]
	v_add_f64 v[76:77], v[18:19], -v[76:77]
	ds_read_b128 v[16:19], v66 offset:544
	v_add_f64 v[14:15], v[20:21], -v[14:15]
	s_waitcnt lgkmcnt(1)
	v_mul_f64 v[20:21], v[74:75], v[12:13]
	v_fma_f64 v[20:21], v[72:73], v[10:11], -v[20:21]
	v_mul_f64 v[72:73], v[72:73], v[12:13]
	v_fmac_f64_e32 v[72:73], v[74:75], v[10:11]
	v_add_f64 v[20:21], v[76:77], -v[20:21]
	v_add_f64 v[76:77], v[14:15], -v[72:73]
	s_waitcnt lgkmcnt(0)
	v_mul_f64 v[14:15], v[18:19], v[76:77]
	ds_read_b128 v[72:75], v66 offset:768
	v_fma_f64 v[14:15], v[16:17], v[20:21], -v[14:15]
	v_mul_f64 v[16:17], v[16:17], v[76:77]
	v_fmac_f64_e32 v[16:17], v[18:19], v[20:21]
	ds_read_b128 v[18:21], v66 offset:784
	s_waitcnt lgkmcnt(1)
	v_mul_f64 v[76:77], v[74:75], v[8:9]
	v_fma_f64 v[76:77], v[72:73], v[6:7], -v[76:77]
	v_mul_f64 v[72:73], v[72:73], v[8:9]
	v_fmac_f64_e32 v[72:73], v[74:75], v[6:7]
	v_add_f64 v[74:75], v[68:69], -v[76:77]
	s_waitcnt lgkmcnt(0)
	v_mul_f64 v[68:69], v[20:21], v[12:13]
	v_add_f64 v[72:73], v[70:71], -v[72:73]
	v_fma_f64 v[76:77], v[18:19], v[10:11], -v[68:69]
	ds_read_b128 v[68:71], v66 offset:800
	v_mul_f64 v[18:19], v[18:19], v[12:13]
	v_fmac_f64_e32 v[18:19], v[20:21], v[10:11]
	v_add_f64 v[20:21], v[74:75], -v[76:77]
	v_add_f64 v[18:19], v[72:73], -v[18:19]
	ds_read_b128 v[72:75], v66 offset:816
	s_waitcnt lgkmcnt(1)
	v_mul_f64 v[76:77], v[70:71], v[16:17]
	v_fma_f64 v[76:77], v[68:69], v[14:15], -v[76:77]
	v_mul_f64 v[68:69], v[68:69], v[16:17]
	v_fmac_f64_e32 v[68:69], v[70:71], v[14:15]
	v_add_f64 v[76:77], v[20:21], -v[76:77]
	v_add_f64 v[20:21], v[18:19], -v[68:69]
	ds_read_b128 v[68:71], v66 offset:1024
	s_waitcnt lgkmcnt(1)
	v_mul_f64 v[18:19], v[74:75], v[20:21]
	v_mul_f64 v[20:21], v[72:73], v[20:21]
	v_fma_f64 v[18:19], v[72:73], v[76:77], -v[18:19]
	v_fmac_f64_e32 v[20:21], v[74:75], v[76:77]
	ds_read_b128 v[72:75], v66 offset:1040
	s_waitcnt lgkmcnt(1)
	v_mul_f64 v[76:77], v[70:71], v[8:9]
	v_fma_f64 v[76:77], v[68:69], v[6:7], -v[76:77]
	v_mul_f64 v[68:69], v[68:69], v[8:9]
	v_fmac_f64_e32 v[68:69], v[70:71], v[6:7]
	v_add_f64 v[70:71], v[22:23], -v[76:77]
	s_waitcnt lgkmcnt(0)
	v_mul_f64 v[22:23], v[74:75], v[12:13]
	v_add_f64 v[68:69], v[24:25], -v[68:69]
	v_fma_f64 v[76:77], v[72:73], v[10:11], -v[22:23]
	ds_read_b128 v[22:25], v66 offset:1056
	v_mul_f64 v[72:73], v[72:73], v[12:13]
	v_fmac_f64_e32 v[72:73], v[74:75], v[10:11]
	v_add_f64 v[74:75], v[70:71], -v[76:77]
	v_add_f64 v[72:73], v[68:69], -v[72:73]
	ds_read_b128 v[68:71], v66 offset:1072
	s_waitcnt lgkmcnt(1)
	v_mul_f64 v[76:77], v[24:25], v[16:17]
	v_fma_f64 v[76:77], v[22:23], v[14:15], -v[76:77]
	v_mul_f64 v[22:23], v[22:23], v[16:17]
	v_fmac_f64_e32 v[22:23], v[24:25], v[14:15]
	v_add_f64 v[22:23], v[72:73], -v[22:23]
	s_waitcnt lgkmcnt(0)
	v_mul_f64 v[72:73], v[70:71], v[20:21]
	v_add_f64 v[24:25], v[74:75], -v[76:77]
	v_fma_f64 v[76:77], v[68:69], v[18:19], -v[72:73]
	ds_read_b128 v[72:75], v66 offset:1088
	v_mul_f64 v[68:69], v[68:69], v[20:21]
	v_fmac_f64_e32 v[68:69], v[70:71], v[18:19]
	v_add_f64 v[76:77], v[24:25], -v[76:77]
	v_add_f64 v[24:25], v[22:23], -v[68:69]
	ds_read_b128 v[68:71], v66 offset:1280
	s_waitcnt lgkmcnt(1)
	v_mul_f64 v[22:23], v[74:75], v[24:25]
	v_mul_f64 v[24:25], v[72:73], v[24:25]
	v_fma_f64 v[22:23], v[72:73], v[76:77], -v[22:23]
	v_fmac_f64_e32 v[24:25], v[74:75], v[76:77]
	ds_write_b128 v1, v[6:9]
	ds_write_b128 v1, v[10:13] offset:256
	ds_write_b128 v1, v[14:17] offset:512
	;; [unrolled: 1-line block ×4, first 2 shown]
	ds_read_b128 v[72:75], v66 offset:1296
	ds_read_b128 v[76:79], v66 offset:1312
	ds_read_b128 v[80:83], v66 offset:1328
	s_waitcnt lgkmcnt(8)
	v_mul_f64 v[84:85], v[70:71], v[8:9]
	v_fma_f64 v[84:85], v[68:69], v[6:7], -v[84:85]
	v_mul_f64 v[68:69], v[68:69], v[8:9]
	v_fmac_f64_e32 v[68:69], v[70:71], v[6:7]
	v_add_f64 v[32:33], v[32:33], -v[68:69]
	s_waitcnt lgkmcnt(2)
	v_mul_f64 v[68:69], v[74:75], v[12:13]
	v_mul_f64 v[70:71], v[72:73], v[12:13]
	v_add_f64 v[30:31], v[30:31], -v[84:85]
	v_fma_f64 v[68:69], v[72:73], v[10:11], -v[68:69]
	v_fmac_f64_e32 v[70:71], v[74:75], v[10:11]
	v_add_f64 v[30:31], v[30:31], -v[68:69]
	v_add_f64 v[32:33], v[32:33], -v[70:71]
	s_waitcnt lgkmcnt(1)
	v_mul_f64 v[68:69], v[78:79], v[16:17]
	v_mul_f64 v[70:71], v[76:77], v[16:17]
	v_fma_f64 v[68:69], v[76:77], v[14:15], -v[68:69]
	v_fmac_f64_e32 v[70:71], v[78:79], v[14:15]
	v_add_f64 v[68:69], v[30:31], -v[68:69]
	v_add_f64 v[70:71], v[32:33], -v[70:71]
	ds_read_b128 v[30:33], v66 offset:1344
	s_waitcnt lgkmcnt(1)
	v_mul_f64 v[72:73], v[82:83], v[20:21]
	v_fma_f64 v[72:73], v[80:81], v[18:19], -v[72:73]
	v_mul_f64 v[74:75], v[80:81], v[20:21]
	v_add_f64 v[72:73], v[68:69], -v[72:73]
	s_waitcnt lgkmcnt(0)
	v_mul_f64 v[68:69], v[32:33], v[24:25]
	v_fmac_f64_e32 v[74:75], v[82:83], v[18:19]
	v_fma_f64 v[76:77], v[30:31], v[22:23], -v[68:69]
	v_mul_f64 v[30:31], v[30:31], v[24:25]
	v_add_f64 v[74:75], v[70:71], -v[74:75]
	ds_read_b128 v[68:71], v66 offset:1360
	v_fmac_f64_e32 v[30:31], v[32:33], v[22:23]
	v_add_f64 v[76:77], v[72:73], -v[76:77]
	v_add_f64 v[32:33], v[74:75], -v[30:31]
	ds_read_b128 v[72:75], v66 offset:1536
	s_waitcnt lgkmcnt(1)
	v_mul_f64 v[30:31], v[70:71], v[32:33]
	v_fma_f64 v[30:31], v[68:69], v[76:77], -v[30:31]
	v_mul_f64 v[32:33], v[68:69], v[32:33]
	v_fmac_f64_e32 v[32:33], v[70:71], v[76:77]
	s_waitcnt lgkmcnt(0)
	v_mul_f64 v[68:69], v[74:75], v[8:9]
	v_fma_f64 v[76:77], v[72:73], v[6:7], -v[68:69]
	ds_read_b128 v[68:71], v66 offset:1552
	v_mul_f64 v[72:73], v[72:73], v[8:9]
	v_fmac_f64_e32 v[72:73], v[74:75], v[6:7]
	v_add_f64 v[74:75], v[34:35], -v[76:77]
	v_add_f64 v[72:73], v[36:37], -v[72:73]
	ds_read_b128 v[34:37], v66 offset:1568
	s_waitcnt lgkmcnt(1)
	v_mul_f64 v[76:77], v[70:71], v[12:13]
	v_fma_f64 v[76:77], v[68:69], v[10:11], -v[76:77]
	v_mul_f64 v[68:69], v[68:69], v[12:13]
	v_fmac_f64_e32 v[68:69], v[70:71], v[10:11]
	v_add_f64 v[72:73], v[72:73], -v[68:69]
	s_waitcnt lgkmcnt(0)
	v_mul_f64 v[68:69], v[36:37], v[16:17]
	v_add_f64 v[74:75], v[74:75], -v[76:77]
	v_fma_f64 v[76:77], v[34:35], v[14:15], -v[68:69]
	ds_read_b128 v[68:71], v66 offset:1584
	v_mul_f64 v[34:35], v[34:35], v[16:17]
	v_fmac_f64_e32 v[34:35], v[36:37], v[14:15]
	v_add_f64 v[72:73], v[72:73], -v[34:35]
	ds_read_b128 v[34:37], v66 offset:1600
	v_add_f64 v[74:75], v[74:75], -v[76:77]
	s_waitcnt lgkmcnt(1)
	v_mul_f64 v[76:77], v[70:71], v[20:21]
	v_fma_f64 v[76:77], v[68:69], v[18:19], -v[76:77]
	v_mul_f64 v[68:69], v[68:69], v[20:21]
	v_fmac_f64_e32 v[68:69], v[70:71], v[18:19]
	v_add_f64 v[72:73], v[72:73], -v[68:69]
	s_waitcnt lgkmcnt(0)
	v_mul_f64 v[68:69], v[36:37], v[24:25]
	v_add_f64 v[74:75], v[74:75], -v[76:77]
	v_fma_f64 v[76:77], v[34:35], v[22:23], -v[68:69]
	ds_read_b128 v[68:71], v66 offset:1616
	v_mul_f64 v[34:35], v[34:35], v[24:25]
	v_fmac_f64_e32 v[34:35], v[36:37], v[22:23]
	v_add_f64 v[36:37], v[74:75], -v[76:77]
	v_add_f64 v[34:35], v[72:73], -v[34:35]
	ds_read_b128 v[72:75], v66 offset:1632
	s_waitcnt lgkmcnt(1)
	v_mul_f64 v[76:77], v[70:71], v[32:33]
	v_fma_f64 v[76:77], v[68:69], v[30:31], -v[76:77]
	v_mul_f64 v[68:69], v[68:69], v[32:33]
	v_fmac_f64_e32 v[68:69], v[70:71], v[30:31]
	v_add_f64 v[76:77], v[36:37], -v[76:77]
	v_add_f64 v[36:37], v[34:35], -v[68:69]
	ds_read_b128 v[68:71], v66 offset:1792
	s_waitcnt lgkmcnt(1)
	v_mul_f64 v[34:35], v[74:75], v[36:37]
	v_mul_f64 v[36:37], v[72:73], v[36:37]
	v_fma_f64 v[34:35], v[72:73], v[76:77], -v[34:35]
	v_fmac_f64_e32 v[36:37], v[74:75], v[76:77]
	ds_read_b128 v[72:75], v66 offset:1808
	s_waitcnt lgkmcnt(1)
	v_mul_f64 v[76:77], v[70:71], v[8:9]
	v_fma_f64 v[76:77], v[68:69], v[6:7], -v[76:77]
	v_mul_f64 v[68:69], v[68:69], v[8:9]
	v_fmac_f64_e32 v[68:69], v[70:71], v[6:7]
	v_add_f64 v[70:71], v[42:43], -v[76:77]
	s_waitcnt lgkmcnt(0)
	v_mul_f64 v[42:43], v[74:75], v[12:13]
	v_add_f64 v[68:69], v[44:45], -v[68:69]
	v_fma_f64 v[76:77], v[72:73], v[10:11], -v[42:43]
	ds_read_b128 v[42:45], v66 offset:1824
	v_mul_f64 v[72:73], v[72:73], v[12:13]
	v_fmac_f64_e32 v[72:73], v[74:75], v[10:11]
	v_add_f64 v[74:75], v[70:71], -v[76:77]
	v_add_f64 v[72:73], v[68:69], -v[72:73]
	ds_read_b128 v[68:71], v66 offset:1840
	s_waitcnt lgkmcnt(1)
	v_mul_f64 v[76:77], v[44:45], v[16:17]
	v_fma_f64 v[76:77], v[42:43], v[14:15], -v[76:77]
	v_mul_f64 v[42:43], v[42:43], v[16:17]
	v_fmac_f64_e32 v[42:43], v[44:45], v[14:15]
	v_add_f64 v[72:73], v[72:73], -v[42:43]
	s_waitcnt lgkmcnt(0)
	v_mul_f64 v[42:43], v[70:71], v[20:21]
	v_add_f64 v[74:75], v[74:75], -v[76:77]
	v_fma_f64 v[76:77], v[68:69], v[18:19], -v[42:43]
	ds_read_b128 v[42:45], v66 offset:1856
	v_mul_f64 v[68:69], v[68:69], v[20:21]
	v_fmac_f64_e32 v[68:69], v[70:71], v[18:19]
	v_add_f64 v[72:73], v[72:73], -v[68:69]
	ds_read_b128 v[68:71], v66 offset:1872
	v_add_f64 v[74:75], v[74:75], -v[76:77]
	s_waitcnt lgkmcnt(1)
	v_mul_f64 v[76:77], v[44:45], v[24:25]
	v_fma_f64 v[76:77], v[42:43], v[22:23], -v[76:77]
	v_mul_f64 v[42:43], v[42:43], v[24:25]
	v_fmac_f64_e32 v[42:43], v[44:45], v[22:23]
	v_add_f64 v[72:73], v[72:73], -v[42:43]
	s_waitcnt lgkmcnt(0)
	v_mul_f64 v[42:43], v[70:71], v[32:33]
	v_add_f64 v[74:75], v[74:75], -v[76:77]
	v_fma_f64 v[76:77], v[68:69], v[30:31], -v[42:43]
	ds_read_b128 v[42:45], v66 offset:1888
	v_mul_f64 v[68:69], v[68:69], v[32:33]
	v_fmac_f64_e32 v[68:69], v[70:71], v[30:31]
	v_add_f64 v[72:73], v[72:73], -v[68:69]
	ds_read_b128 v[68:71], v66 offset:1904
	v_add_f64 v[74:75], v[74:75], -v[76:77]
	s_waitcnt lgkmcnt(1)
	v_mul_f64 v[76:77], v[44:45], v[36:37]
	v_fma_f64 v[76:77], v[42:43], v[34:35], -v[76:77]
	v_mul_f64 v[42:43], v[42:43], v[36:37]
	v_fmac_f64_e32 v[42:43], v[44:45], v[34:35]
	v_add_f64 v[44:45], v[72:73], -v[42:43]
	v_add_f64 v[74:75], v[74:75], -v[76:77]
	s_waitcnt lgkmcnt(0)
	v_mul_f64 v[42:43], v[70:71], v[44:45]
	v_mul_f64 v[44:45], v[68:69], v[44:45]
	v_fma_f64 v[42:43], v[68:69], v[74:75], -v[42:43]
	v_fmac_f64_e32 v[44:45], v[70:71], v[74:75]
	ds_read_b128 v[68:71], v66 offset:2048
	ds_write_b128 v1, v[30:33] offset:1280
	ds_write_b128 v1, v[34:37] offset:1536
	;; [unrolled: 1-line block ×3, first 2 shown]
	ds_read_b128 v[72:75], v66 offset:2064
	ds_read_b128 v[76:79], v66 offset:2080
	;; [unrolled: 1-line block ×3, first 2 shown]
	s_waitcnt lgkmcnt(6)
	v_mul_f64 v[84:85], v[70:71], v[8:9]
	v_fma_f64 v[84:85], v[68:69], v[6:7], -v[84:85]
	v_mul_f64 v[68:69], v[68:69], v[8:9]
	v_fmac_f64_e32 v[68:69], v[70:71], v[6:7]
	v_add_f64 v[48:49], v[48:49], -v[68:69]
	s_waitcnt lgkmcnt(2)
	v_mul_f64 v[68:69], v[74:75], v[12:13]
	v_add_f64 v[46:47], v[46:47], -v[84:85]
	v_fma_f64 v[68:69], v[72:73], v[10:11], -v[68:69]
	v_mul_f64 v[70:71], v[72:73], v[12:13]
	v_fmac_f64_e32 v[70:71], v[74:75], v[10:11]
	v_add_f64 v[46:47], v[46:47], -v[68:69]
	s_waitcnt lgkmcnt(1)
	v_mul_f64 v[68:69], v[78:79], v[16:17]
	v_add_f64 v[48:49], v[48:49], -v[70:71]
	;; [unrolled: 7-line block ×3, first 2 shown]
	v_fma_f64 v[72:73], v[80:81], v[18:19], -v[46:47]
	ds_read_b128 v[46:49], v66 offset:2112
	v_mul_f64 v[74:75], v[80:81], v[20:21]
	v_fmac_f64_e32 v[74:75], v[82:83], v[18:19]
	v_add_f64 v[72:73], v[68:69], -v[72:73]
	v_add_f64 v[74:75], v[70:71], -v[74:75]
	ds_read_b128 v[68:71], v66 offset:2128
	s_waitcnt lgkmcnt(1)
	v_mul_f64 v[76:77], v[48:49], v[24:25]
	v_fma_f64 v[76:77], v[46:47], v[22:23], -v[76:77]
	v_mul_f64 v[46:47], v[46:47], v[24:25]
	v_fmac_f64_e32 v[46:47], v[48:49], v[22:23]
	v_add_f64 v[74:75], v[74:75], -v[46:47]
	s_waitcnt lgkmcnt(0)
	v_mul_f64 v[46:47], v[70:71], v[32:33]
	v_add_f64 v[72:73], v[72:73], -v[76:77]
	v_fma_f64 v[76:77], v[68:69], v[30:31], -v[46:47]
	v_mul_f64 v[68:69], v[68:69], v[32:33]
	ds_read_b128 v[46:49], v66 offset:2144
	v_fmac_f64_e32 v[68:69], v[70:71], v[30:31]
	v_add_f64 v[74:75], v[74:75], -v[68:69]
	ds_read_b128 v[68:71], v66 offset:2160
	v_add_f64 v[72:73], v[72:73], -v[76:77]
	s_waitcnt lgkmcnt(1)
	v_mul_f64 v[76:77], v[48:49], v[36:37]
	v_fma_f64 v[76:77], v[46:47], v[34:35], -v[76:77]
	v_mul_f64 v[46:47], v[46:47], v[36:37]
	v_fmac_f64_e32 v[46:47], v[48:49], v[34:35]
	v_add_f64 v[48:49], v[72:73], -v[76:77]
	s_waitcnt lgkmcnt(0)
	v_mul_f64 v[72:73], v[70:71], v[44:45]
	v_fma_f64 v[76:77], v[68:69], v[42:43], -v[72:73]
	v_mul_f64 v[68:69], v[68:69], v[44:45]
	v_add_f64 v[46:47], v[74:75], -v[46:47]
	ds_read_b128 v[72:75], v66 offset:2176
	v_fmac_f64_e32 v[68:69], v[70:71], v[42:43]
	v_add_f64 v[76:77], v[48:49], -v[76:77]
	v_add_f64 v[48:49], v[46:47], -v[68:69]
	ds_read_b128 v[68:71], v66 offset:2304
	s_waitcnt lgkmcnt(1)
	v_mul_f64 v[46:47], v[74:75], v[48:49]
	v_fma_f64 v[46:47], v[72:73], v[76:77], -v[46:47]
	v_mul_f64 v[48:49], v[72:73], v[48:49]
	v_fmac_f64_e32 v[48:49], v[74:75], v[76:77]
	s_waitcnt lgkmcnt(0)
	v_mul_f64 v[72:73], v[70:71], v[8:9]
	v_fma_f64 v[76:77], v[68:69], v[6:7], -v[72:73]
	ds_read_b128 v[72:75], v66 offset:2320
	v_mul_f64 v[68:69], v[68:69], v[8:9]
	v_fmac_f64_e32 v[68:69], v[70:71], v[6:7]
	v_add_f64 v[70:71], v[54:55], -v[76:77]
	v_add_f64 v[68:69], v[56:57], -v[68:69]
	ds_read_b128 v[54:57], v66 offset:2336
	s_waitcnt lgkmcnt(1)
	v_mul_f64 v[76:77], v[74:75], v[12:13]
	v_fma_f64 v[76:77], v[72:73], v[10:11], -v[76:77]
	v_mul_f64 v[72:73], v[72:73], v[12:13]
	v_fmac_f64_e32 v[72:73], v[74:75], v[10:11]
	v_add_f64 v[72:73], v[68:69], -v[72:73]
	s_waitcnt lgkmcnt(0)
	v_mul_f64 v[68:69], v[56:57], v[16:17]
	v_add_f64 v[74:75], v[70:71], -v[76:77]
	v_fma_f64 v[76:77], v[54:55], v[14:15], -v[68:69]
	ds_read_b128 v[68:71], v66 offset:2352
	v_mul_f64 v[54:55], v[54:55], v[16:17]
	v_fmac_f64_e32 v[54:55], v[56:57], v[14:15]
	v_add_f64 v[72:73], v[72:73], -v[54:55]
	ds_read_b128 v[54:57], v66 offset:2368
	v_add_f64 v[74:75], v[74:75], -v[76:77]
	s_waitcnt lgkmcnt(1)
	v_mul_f64 v[76:77], v[70:71], v[20:21]
	v_fma_f64 v[76:77], v[68:69], v[18:19], -v[76:77]
	v_mul_f64 v[68:69], v[68:69], v[20:21]
	v_fmac_f64_e32 v[68:69], v[70:71], v[18:19]
	v_add_f64 v[72:73], v[72:73], -v[68:69]
	s_waitcnt lgkmcnt(0)
	v_mul_f64 v[68:69], v[56:57], v[24:25]
	v_add_f64 v[74:75], v[74:75], -v[76:77]
	v_fma_f64 v[76:77], v[54:55], v[22:23], -v[68:69]
	ds_read_b128 v[68:71], v66 offset:2384
	v_mul_f64 v[54:55], v[54:55], v[24:25]
	v_fmac_f64_e32 v[54:55], v[56:57], v[22:23]
	v_add_f64 v[72:73], v[72:73], -v[54:55]
	ds_read_b128 v[54:57], v66 offset:2400
	v_add_f64 v[74:75], v[74:75], -v[76:77]
	;; [unrolled: 16-line block ×3, first 2 shown]
	s_waitcnt lgkmcnt(1)
	v_mul_f64 v[76:77], v[70:71], v[44:45]
	v_fma_f64 v[76:77], v[68:69], v[42:43], -v[76:77]
	v_mul_f64 v[68:69], v[68:69], v[44:45]
	v_fmac_f64_e32 v[68:69], v[70:71], v[42:43]
	v_add_f64 v[72:73], v[72:73], -v[68:69]
	s_waitcnt lgkmcnt(0)
	v_mul_f64 v[68:69], v[56:57], v[48:49]
	v_add_f64 v[74:75], v[74:75], -v[76:77]
	v_fma_f64 v[76:77], v[54:55], v[46:47], -v[68:69]
	ds_read_b128 v[68:71], v66 offset:2448
	v_mul_f64 v[54:55], v[54:55], v[48:49]
	v_fmac_f64_e32 v[54:55], v[56:57], v[46:47]
	v_add_f64 v[76:77], v[74:75], -v[76:77]
	v_add_f64 v[56:57], v[72:73], -v[54:55]
	ds_read_b128 v[72:75], v66 offset:2560
	s_waitcnt lgkmcnt(1)
	v_mul_f64 v[54:55], v[70:71], v[56:57]
	v_mul_f64 v[56:57], v[68:69], v[56:57]
	v_fma_f64 v[54:55], v[68:69], v[76:77], -v[54:55]
	v_fmac_f64_e32 v[56:57], v[70:71], v[76:77]
	ds_write_b128 v1, v[46:49] offset:2048
	ds_write_b128 v1, v[54:57] offset:2304
	ds_read_b128 v[68:71], v66 offset:2576
	ds_read_b128 v[76:79], v66 offset:2592
	;; [unrolled: 1-line block ×3, first 2 shown]
	s_waitcnt lgkmcnt(5)
	v_mul_f64 v[84:85], v[74:75], v[8:9]
	v_fma_f64 v[84:85], v[72:73], v[6:7], -v[84:85]
	v_mul_f64 v[72:73], v[72:73], v[8:9]
	v_fmac_f64_e32 v[72:73], v[74:75], v[6:7]
	v_add_f64 v[64:65], v[64:65], -v[72:73]
	s_waitcnt lgkmcnt(2)
	v_mul_f64 v[72:73], v[70:71], v[12:13]
	v_fma_f64 v[72:73], v[68:69], v[10:11], -v[72:73]
	v_mul_f64 v[68:69], v[68:69], v[12:13]
	v_fmac_f64_e32 v[68:69], v[70:71], v[10:11]
	v_add_f64 v[62:63], v[62:63], -v[84:85]
	v_add_f64 v[64:65], v[64:65], -v[68:69]
	s_waitcnt lgkmcnt(1)
	v_mul_f64 v[68:69], v[78:79], v[16:17]
	v_mul_f64 v[70:71], v[76:77], v[16:17]
	v_add_f64 v[62:63], v[62:63], -v[72:73]
	v_fma_f64 v[68:69], v[76:77], v[14:15], -v[68:69]
	v_fmac_f64_e32 v[70:71], v[78:79], v[14:15]
	v_add_f64 v[68:69], v[62:63], -v[68:69]
	v_add_f64 v[70:71], v[64:65], -v[70:71]
	ds_read_b128 v[62:65], v66 offset:2624
	s_waitcnt lgkmcnt(1)
	v_mul_f64 v[72:73], v[82:83], v[20:21]
	v_fma_f64 v[72:73], v[80:81], v[18:19], -v[72:73]
	v_mul_f64 v[74:75], v[80:81], v[20:21]
	v_fmac_f64_e32 v[74:75], v[82:83], v[18:19]
	v_add_f64 v[72:73], v[68:69], -v[72:73]
	s_waitcnt lgkmcnt(0)
	v_mul_f64 v[68:69], v[64:65], v[24:25]
	v_add_f64 v[74:75], v[70:71], -v[74:75]
	v_fma_f64 v[76:77], v[62:63], v[22:23], -v[68:69]
	ds_read_b128 v[68:71], v66 offset:2640
	v_mul_f64 v[62:63], v[62:63], v[24:25]
	v_fmac_f64_e32 v[62:63], v[64:65], v[22:23]
	v_add_f64 v[74:75], v[74:75], -v[62:63]
	ds_read_b128 v[62:65], v66 offset:2656
	v_add_f64 v[72:73], v[72:73], -v[76:77]
	s_waitcnt lgkmcnt(1)
	v_mul_f64 v[76:77], v[70:71], v[32:33]
	v_fma_f64 v[76:77], v[68:69], v[30:31], -v[76:77]
	v_mul_f64 v[68:69], v[68:69], v[32:33]
	v_fmac_f64_e32 v[68:69], v[70:71], v[30:31]
	v_add_f64 v[74:75], v[74:75], -v[68:69]
	s_waitcnt lgkmcnt(0)
	v_mul_f64 v[68:69], v[64:65], v[36:37]
	v_add_f64 v[72:73], v[72:73], -v[76:77]
	v_fma_f64 v[76:77], v[62:63], v[34:35], -v[68:69]
	ds_read_b128 v[68:71], v66 offset:2672
	v_mul_f64 v[62:63], v[62:63], v[36:37]
	v_fmac_f64_e32 v[62:63], v[64:65], v[34:35]
	v_add_f64 v[74:75], v[74:75], -v[62:63]
	ds_read_b128 v[62:65], v66 offset:2688
	v_add_f64 v[72:73], v[72:73], -v[76:77]
	s_waitcnt lgkmcnt(1)
	v_mul_f64 v[76:77], v[70:71], v[44:45]
	v_fma_f64 v[76:77], v[68:69], v[42:43], -v[76:77]
	v_mul_f64 v[68:69], v[68:69], v[44:45]
	v_fmac_f64_e32 v[68:69], v[70:71], v[42:43]
	v_add_f64 v[74:75], v[74:75], -v[68:69]
	s_waitcnt lgkmcnt(0)
	v_mul_f64 v[68:69], v[64:65], v[48:49]
	v_add_f64 v[72:73], v[72:73], -v[76:77]
	v_fma_f64 v[76:77], v[62:63], v[46:47], -v[68:69]
	ds_read_b128 v[68:71], v66 offset:2704
	v_mul_f64 v[62:63], v[62:63], v[48:49]
	v_fmac_f64_e32 v[62:63], v[64:65], v[46:47]
	v_add_f64 v[64:65], v[72:73], -v[76:77]
	v_add_f64 v[62:63], v[74:75], -v[62:63]
	ds_read_b128 v[72:75], v66 offset:2720
	s_waitcnt lgkmcnt(1)
	v_mul_f64 v[76:77], v[70:71], v[56:57]
	v_fma_f64 v[76:77], v[68:69], v[54:55], -v[76:77]
	v_mul_f64 v[68:69], v[68:69], v[56:57]
	v_fmac_f64_e32 v[68:69], v[70:71], v[54:55]
	v_add_f64 v[76:77], v[64:65], -v[76:77]
	v_add_f64 v[64:65], v[62:63], -v[68:69]
	ds_read_b128 v[68:71], v66 offset:2816
	s_waitcnt lgkmcnt(1)
	v_mul_f64 v[62:63], v[74:75], v[64:65]
	v_mul_f64 v[64:65], v[72:73], v[64:65]
	v_fma_f64 v[62:63], v[72:73], v[76:77], -v[62:63]
	v_fmac_f64_e32 v[64:65], v[74:75], v[76:77]
	ds_read_b128 v[72:75], v66 offset:2832
	s_waitcnt lgkmcnt(1)
	v_mul_f64 v[76:77], v[70:71], v[8:9]
	v_fma_f64 v[76:77], v[68:69], v[6:7], -v[76:77]
	v_mul_f64 v[68:69], v[68:69], v[8:9]
	v_fmac_f64_e32 v[68:69], v[70:71], v[6:7]
	v_add_f64 v[70:71], v[58:59], -v[76:77]
	s_waitcnt lgkmcnt(0)
	v_mul_f64 v[58:59], v[74:75], v[12:13]
	v_add_f64 v[68:69], v[60:61], -v[68:69]
	v_fma_f64 v[76:77], v[72:73], v[10:11], -v[58:59]
	ds_read_b128 v[58:61], v66 offset:2848
	v_mul_f64 v[72:73], v[72:73], v[12:13]
	v_fmac_f64_e32 v[72:73], v[74:75], v[10:11]
	v_add_f64 v[74:75], v[70:71], -v[76:77]
	v_add_f64 v[72:73], v[68:69], -v[72:73]
	ds_read_b128 v[68:71], v66 offset:2864
	s_waitcnt lgkmcnt(1)
	v_mul_f64 v[76:77], v[60:61], v[16:17]
	v_fma_f64 v[76:77], v[58:59], v[14:15], -v[76:77]
	v_mul_f64 v[58:59], v[58:59], v[16:17]
	v_fmac_f64_e32 v[58:59], v[60:61], v[14:15]
	v_add_f64 v[72:73], v[72:73], -v[58:59]
	s_waitcnt lgkmcnt(0)
	v_mul_f64 v[58:59], v[70:71], v[20:21]
	v_add_f64 v[74:75], v[74:75], -v[76:77]
	v_fma_f64 v[76:77], v[68:69], v[18:19], -v[58:59]
	ds_read_b128 v[58:61], v66 offset:2880
	v_mul_f64 v[68:69], v[68:69], v[20:21]
	v_fmac_f64_e32 v[68:69], v[70:71], v[18:19]
	v_add_f64 v[72:73], v[72:73], -v[68:69]
	ds_read_b128 v[68:71], v66 offset:2896
	v_add_f64 v[74:75], v[74:75], -v[76:77]
	s_waitcnt lgkmcnt(1)
	v_mul_f64 v[76:77], v[60:61], v[24:25]
	v_fma_f64 v[76:77], v[58:59], v[22:23], -v[76:77]
	v_mul_f64 v[58:59], v[58:59], v[24:25]
	v_fmac_f64_e32 v[58:59], v[60:61], v[22:23]
	v_add_f64 v[72:73], v[72:73], -v[58:59]
	s_waitcnt lgkmcnt(0)
	v_mul_f64 v[58:59], v[70:71], v[32:33]
	v_add_f64 v[74:75], v[74:75], -v[76:77]
	v_fma_f64 v[76:77], v[68:69], v[30:31], -v[58:59]
	ds_read_b128 v[58:61], v66 offset:2912
	v_mul_f64 v[68:69], v[68:69], v[32:33]
	v_fmac_f64_e32 v[68:69], v[70:71], v[30:31]
	v_add_f64 v[72:73], v[72:73], -v[68:69]
	ds_read_b128 v[68:71], v66 offset:2928
	v_add_f64 v[74:75], v[74:75], -v[76:77]
	;; [unrolled: 16-line block ×4, first 2 shown]
	s_waitcnt lgkmcnt(1)
	v_mul_f64 v[76:77], v[60:61], v[64:65]
	v_fma_f64 v[76:77], v[58:59], v[62:63], -v[76:77]
	v_mul_f64 v[58:59], v[58:59], v[64:65]
	v_fmac_f64_e32 v[58:59], v[60:61], v[62:63]
	v_add_f64 v[60:61], v[72:73], -v[58:59]
	v_add_f64 v[74:75], v[74:75], -v[76:77]
	s_waitcnt lgkmcnt(0)
	v_mul_f64 v[58:59], v[70:71], v[60:61]
	v_mul_f64 v[60:61], v[68:69], v[60:61]
	v_fma_f64 v[58:59], v[68:69], v[74:75], -v[58:59]
	v_fmac_f64_e32 v[60:61], v[70:71], v[74:75]
	ds_read_b128 v[68:71], v66 offset:3072
	ds_write_b128 v1, v[62:65] offset:2560
	ds_write_b128 v1, v[58:61] offset:2816
	ds_read_b128 v[72:75], v66 offset:3088
	ds_read_b128 v[76:79], v66 offset:3104
	ds_read_b128 v[80:83], v66 offset:3120
	s_mov_b32 s10, 16
	s_waitcnt lgkmcnt(5)
	v_mul_f64 v[84:85], v[70:71], v[8:9]
	v_fma_f64 v[84:85], v[68:69], v[6:7], -v[84:85]
	v_mul_f64 v[68:69], v[68:69], v[8:9]
	v_fmac_f64_e32 v[68:69], v[70:71], v[6:7]
	v_add_f64 v[52:53], v[52:53], -v[68:69]
	s_waitcnt lgkmcnt(2)
	v_mul_f64 v[68:69], v[74:75], v[12:13]
	v_add_f64 v[50:51], v[50:51], -v[84:85]
	v_fma_f64 v[68:69], v[72:73], v[10:11], -v[68:69]
	v_mul_f64 v[70:71], v[72:73], v[12:13]
	v_fmac_f64_e32 v[70:71], v[74:75], v[10:11]
	v_add_f64 v[50:51], v[50:51], -v[68:69]
	s_waitcnt lgkmcnt(1)
	v_mul_f64 v[68:69], v[78:79], v[16:17]
	v_add_f64 v[52:53], v[52:53], -v[70:71]
	;; [unrolled: 7-line block ×3, first 2 shown]
	v_fma_f64 v[72:73], v[80:81], v[18:19], -v[50:51]
	ds_read_b128 v[50:53], v66 offset:3136
	v_mul_f64 v[74:75], v[80:81], v[20:21]
	v_fmac_f64_e32 v[74:75], v[82:83], v[18:19]
	v_add_f64 v[72:73], v[68:69], -v[72:73]
	v_add_f64 v[74:75], v[70:71], -v[74:75]
	ds_read_b128 v[68:71], v66 offset:3152
	s_waitcnt lgkmcnt(1)
	v_mul_f64 v[76:77], v[52:53], v[24:25]
	v_fma_f64 v[76:77], v[50:51], v[22:23], -v[76:77]
	v_mul_f64 v[50:51], v[50:51], v[24:25]
	v_fmac_f64_e32 v[50:51], v[52:53], v[22:23]
	v_add_f64 v[74:75], v[74:75], -v[50:51]
	s_waitcnt lgkmcnt(0)
	v_mul_f64 v[50:51], v[70:71], v[32:33]
	v_add_f64 v[72:73], v[72:73], -v[76:77]
	v_fma_f64 v[76:77], v[68:69], v[30:31], -v[50:51]
	ds_read_b128 v[50:53], v66 offset:3168
	v_mul_f64 v[68:69], v[68:69], v[32:33]
	v_fmac_f64_e32 v[68:69], v[70:71], v[30:31]
	v_add_f64 v[74:75], v[74:75], -v[68:69]
	ds_read_b128 v[68:71], v66 offset:3184
	v_add_f64 v[72:73], v[72:73], -v[76:77]
	s_waitcnt lgkmcnt(1)
	v_mul_f64 v[76:77], v[52:53], v[36:37]
	v_fma_f64 v[76:77], v[50:51], v[34:35], -v[76:77]
	v_mul_f64 v[50:51], v[50:51], v[36:37]
	v_fmac_f64_e32 v[50:51], v[52:53], v[34:35]
	v_add_f64 v[74:75], v[74:75], -v[50:51]
	s_waitcnt lgkmcnt(0)
	v_mul_f64 v[50:51], v[70:71], v[44:45]
	v_add_f64 v[72:73], v[72:73], -v[76:77]
	v_fma_f64 v[76:77], v[68:69], v[42:43], -v[50:51]
	ds_read_b128 v[50:53], v66 offset:3200
	v_mul_f64 v[68:69], v[68:69], v[44:45]
	v_fmac_f64_e32 v[68:69], v[70:71], v[42:43]
	v_add_f64 v[74:75], v[74:75], -v[68:69]
	ds_read_b128 v[68:71], v66 offset:3216
	v_add_f64 v[72:73], v[72:73], -v[76:77]
	s_waitcnt lgkmcnt(1)
	v_mul_f64 v[76:77], v[52:53], v[48:49]
	v_fma_f64 v[76:77], v[50:51], v[46:47], -v[76:77]
	v_mul_f64 v[50:51], v[50:51], v[48:49]
	v_fmac_f64_e32 v[50:51], v[52:53], v[46:47]
	v_add_f64 v[74:75], v[74:75], -v[50:51]
	s_waitcnt lgkmcnt(0)
	v_mul_f64 v[50:51], v[70:71], v[56:57]
	v_add_f64 v[72:73], v[72:73], -v[76:77]
	v_fma_f64 v[76:77], v[68:69], v[54:55], -v[50:51]
	v_mul_f64 v[68:69], v[68:69], v[56:57]
	ds_read_b128 v[50:53], v66 offset:3232
	v_fmac_f64_e32 v[68:69], v[70:71], v[54:55]
	v_add_f64 v[74:75], v[74:75], -v[68:69]
	ds_read_b128 v[68:71], v66 offset:3248
	v_add_f64 v[72:73], v[72:73], -v[76:77]
	s_waitcnt lgkmcnt(1)
	v_mul_f64 v[76:77], v[52:53], v[64:65]
	v_fma_f64 v[76:77], v[50:51], v[62:63], -v[76:77]
	v_mul_f64 v[50:51], v[50:51], v[64:65]
	v_fmac_f64_e32 v[50:51], v[52:53], v[62:63]
	v_add_f64 v[52:53], v[72:73], -v[76:77]
	s_waitcnt lgkmcnt(0)
	v_mul_f64 v[72:73], v[70:71], v[60:61]
	v_fma_f64 v[76:77], v[68:69], v[58:59], -v[72:73]
	v_mul_f64 v[68:69], v[68:69], v[60:61]
	v_add_f64 v[50:51], v[74:75], -v[50:51]
	ds_read_b128 v[72:75], v66 offset:3264
	v_fmac_f64_e32 v[68:69], v[70:71], v[58:59]
	v_add_f64 v[76:77], v[52:53], -v[76:77]
	v_add_f64 v[52:53], v[50:51], -v[68:69]
	ds_read_b128 v[68:71], v66 offset:3328
	s_waitcnt lgkmcnt(1)
	v_mul_f64 v[50:51], v[74:75], v[52:53]
	v_fma_f64 v[50:51], v[72:73], v[76:77], -v[50:51]
	v_mul_f64 v[52:53], v[72:73], v[52:53]
	v_fmac_f64_e32 v[52:53], v[74:75], v[76:77]
	s_waitcnt lgkmcnt(0)
	v_mul_f64 v[72:73], v[70:71], v[8:9]
	v_fma_f64 v[76:77], v[68:69], v[6:7], -v[72:73]
	ds_read_b128 v[72:75], v66 offset:3344
	v_mul_f64 v[68:69], v[68:69], v[8:9]
	v_fmac_f64_e32 v[68:69], v[70:71], v[6:7]
	v_add_f64 v[70:71], v[38:39], -v[76:77]
	v_add_f64 v[68:69], v[40:41], -v[68:69]
	ds_read_b128 v[38:41], v66 offset:3360
	s_waitcnt lgkmcnt(1)
	v_mul_f64 v[76:77], v[74:75], v[12:13]
	v_fma_f64 v[76:77], v[72:73], v[10:11], -v[76:77]
	v_mul_f64 v[72:73], v[72:73], v[12:13]
	v_fmac_f64_e32 v[72:73], v[74:75], v[10:11]
	v_add_f64 v[72:73], v[68:69], -v[72:73]
	s_waitcnt lgkmcnt(0)
	v_mul_f64 v[68:69], v[40:41], v[16:17]
	v_add_f64 v[74:75], v[70:71], -v[76:77]
	v_fma_f64 v[76:77], v[38:39], v[14:15], -v[68:69]
	ds_read_b128 v[68:71], v66 offset:3376
	v_mul_f64 v[38:39], v[38:39], v[16:17]
	v_fmac_f64_e32 v[38:39], v[40:41], v[14:15]
	v_add_f64 v[72:73], v[72:73], -v[38:39]
	ds_read_b128 v[38:41], v66 offset:3392
	v_add_f64 v[74:75], v[74:75], -v[76:77]
	s_waitcnt lgkmcnt(1)
	v_mul_f64 v[76:77], v[70:71], v[20:21]
	v_fma_f64 v[76:77], v[68:69], v[18:19], -v[76:77]
	v_mul_f64 v[68:69], v[68:69], v[20:21]
	v_fmac_f64_e32 v[68:69], v[70:71], v[18:19]
	v_add_f64 v[72:73], v[72:73], -v[68:69]
	s_waitcnt lgkmcnt(0)
	v_mul_f64 v[68:69], v[40:41], v[24:25]
	v_add_f64 v[74:75], v[74:75], -v[76:77]
	v_fma_f64 v[76:77], v[38:39], v[22:23], -v[68:69]
	ds_read_b128 v[68:71], v66 offset:3408
	v_mul_f64 v[38:39], v[38:39], v[24:25]
	v_fmac_f64_e32 v[38:39], v[40:41], v[22:23]
	v_add_f64 v[72:73], v[72:73], -v[38:39]
	ds_read_b128 v[38:41], v66 offset:3424
	v_add_f64 v[74:75], v[74:75], -v[76:77]
	;; [unrolled: 16-line block ×5, first 2 shown]
	s_waitcnt lgkmcnt(1)
	v_mul_f64 v[76:77], v[70:71], v[60:61]
	v_fma_f64 v[76:77], v[68:69], v[58:59], -v[76:77]
	v_mul_f64 v[68:69], v[68:69], v[60:61]
	v_fmac_f64_e32 v[68:69], v[70:71], v[58:59]
	v_add_f64 v[72:73], v[72:73], -v[68:69]
	s_waitcnt lgkmcnt(0)
	v_mul_f64 v[68:69], v[40:41], v[52:53]
	v_add_f64 v[74:75], v[74:75], -v[76:77]
	v_fma_f64 v[76:77], v[38:39], v[50:51], -v[68:69]
	ds_read_b128 v[68:71], v66 offset:3536
	v_mul_f64 v[38:39], v[38:39], v[52:53]
	v_fmac_f64_e32 v[38:39], v[40:41], v[50:51]
	v_add_f64 v[76:77], v[74:75], -v[76:77]
	v_add_f64 v[40:41], v[72:73], -v[38:39]
	ds_read_b128 v[72:75], v66 offset:3584
	s_waitcnt lgkmcnt(1)
	v_mul_f64 v[38:39], v[70:71], v[40:41]
	v_mul_f64 v[40:41], v[68:69], v[40:41]
	v_fma_f64 v[38:39], v[68:69], v[76:77], -v[38:39]
	v_fmac_f64_e32 v[40:41], v[70:71], v[76:77]
	ds_write_b128 v1, v[50:53] offset:3072
	ds_write_b128 v1, v[38:41] offset:3328
	ds_read_b128 v[68:71], v66 offset:3600
	ds_read_b128 v[76:79], v66 offset:3616
	;; [unrolled: 1-line block ×3, first 2 shown]
	s_waitcnt lgkmcnt(5)
	v_mul_f64 v[84:85], v[74:75], v[8:9]
	v_fma_f64 v[84:85], v[72:73], v[6:7], -v[84:85]
	v_mul_f64 v[72:73], v[72:73], v[8:9]
	v_fmac_f64_e32 v[72:73], v[74:75], v[6:7]
	v_add_f64 v[28:29], v[28:29], -v[72:73]
	s_waitcnt lgkmcnt(2)
	v_mul_f64 v[72:73], v[70:71], v[12:13]
	v_fma_f64 v[72:73], v[68:69], v[10:11], -v[72:73]
	v_mul_f64 v[68:69], v[68:69], v[12:13]
	v_fmac_f64_e32 v[68:69], v[70:71], v[10:11]
	v_add_f64 v[26:27], v[26:27], -v[84:85]
	v_add_f64 v[28:29], v[28:29], -v[68:69]
	s_waitcnt lgkmcnt(1)
	v_mul_f64 v[68:69], v[78:79], v[16:17]
	v_mul_f64 v[70:71], v[76:77], v[16:17]
	v_add_f64 v[26:27], v[26:27], -v[72:73]
	v_fma_f64 v[68:69], v[76:77], v[14:15], -v[68:69]
	v_fmac_f64_e32 v[70:71], v[78:79], v[14:15]
	v_add_f64 v[68:69], v[26:27], -v[68:69]
	v_add_f64 v[70:71], v[28:29], -v[70:71]
	ds_read_b128 v[26:29], v66 offset:3648
	s_waitcnt lgkmcnt(1)
	v_mul_f64 v[72:73], v[82:83], v[20:21]
	v_fma_f64 v[72:73], v[80:81], v[18:19], -v[72:73]
	v_mul_f64 v[74:75], v[80:81], v[20:21]
	v_fmac_f64_e32 v[74:75], v[82:83], v[18:19]
	v_add_f64 v[72:73], v[68:69], -v[72:73]
	s_waitcnt lgkmcnt(0)
	v_mul_f64 v[68:69], v[28:29], v[24:25]
	v_add_f64 v[74:75], v[70:71], -v[74:75]
	v_fma_f64 v[76:77], v[26:27], v[22:23], -v[68:69]
	ds_read_b128 v[68:71], v66 offset:3664
	v_mul_f64 v[26:27], v[26:27], v[24:25]
	v_fmac_f64_e32 v[26:27], v[28:29], v[22:23]
	v_add_f64 v[74:75], v[74:75], -v[26:27]
	ds_read_b128 v[26:29], v66 offset:3680
	v_add_f64 v[72:73], v[72:73], -v[76:77]
	s_waitcnt lgkmcnt(1)
	v_mul_f64 v[76:77], v[70:71], v[32:33]
	v_fma_f64 v[76:77], v[68:69], v[30:31], -v[76:77]
	v_mul_f64 v[68:69], v[68:69], v[32:33]
	v_fmac_f64_e32 v[68:69], v[70:71], v[30:31]
	v_add_f64 v[74:75], v[74:75], -v[68:69]
	s_waitcnt lgkmcnt(0)
	v_mul_f64 v[68:69], v[28:29], v[36:37]
	v_add_f64 v[72:73], v[72:73], -v[76:77]
	v_fma_f64 v[76:77], v[26:27], v[34:35], -v[68:69]
	ds_read_b128 v[68:71], v66 offset:3696
	v_mul_f64 v[26:27], v[26:27], v[36:37]
	v_fmac_f64_e32 v[26:27], v[28:29], v[34:35]
	v_add_f64 v[74:75], v[74:75], -v[26:27]
	ds_read_b128 v[26:29], v66 offset:3712
	v_add_f64 v[72:73], v[72:73], -v[76:77]
	;; [unrolled: 16-line block ×5, first 2 shown]
	s_waitcnt lgkmcnt(1)
	v_mul_f64 v[76:77], v[70:71], v[40:41]
	v_fma_f64 v[76:77], v[68:69], v[38:39], -v[76:77]
	v_mul_f64 v[68:69], v[68:69], v[40:41]
	v_fmac_f64_e32 v[68:69], v[70:71], v[38:39]
	v_add_f64 v[70:71], v[74:75], -v[68:69]
	v_add_f64 v[72:73], v[72:73], -v[76:77]
	s_waitcnt lgkmcnt(0)
	v_mul_f64 v[68:69], v[28:29], v[70:71]
	v_mul_f64 v[70:71], v[26:27], v[70:71]
	v_fma_f64 v[68:69], v[26:27], v[72:73], -v[68:69]
	v_fmac_f64_e32 v[70:71], v[28:29], v[72:73]
	ds_read_b128 v[26:29], v66 offset:3840
	ds_write_b128 v1, v[68:71] offset:3584
	ds_read_b128 v[72:75], v66 offset:3856
	ds_read_b128 v[76:79], v66 offset:3872
	;; [unrolled: 1-line block ×3, first 2 shown]
	s_waitcnt lgkmcnt(4)
	v_mul_f64 v[84:85], v[28:29], v[8:9]
	v_mul_f64 v[8:9], v[26:27], v[8:9]
	v_fma_f64 v[84:85], v[26:27], v[6:7], -v[84:85]
	v_fmac_f64_e32 v[8:9], v[28:29], v[6:7]
	s_waitcnt lgkmcnt(2)
	v_mul_f64 v[6:7], v[74:75], v[12:13]
	v_add_f64 v[2:3], v[2:3], -v[84:85]
	v_add_f64 v[4:5], v[4:5], -v[8:9]
	v_fma_f64 v[6:7], v[72:73], v[10:11], -v[6:7]
	v_mul_f64 v[8:9], v[72:73], v[12:13]
	v_fmac_f64_e32 v[8:9], v[74:75], v[10:11]
	v_add_f64 v[2:3], v[2:3], -v[6:7]
	s_waitcnt lgkmcnt(1)
	v_mul_f64 v[6:7], v[78:79], v[16:17]
	v_add_f64 v[4:5], v[4:5], -v[8:9]
	v_fma_f64 v[6:7], v[76:77], v[14:15], -v[6:7]
	v_mul_f64 v[8:9], v[76:77], v[16:17]
	v_fmac_f64_e32 v[8:9], v[78:79], v[14:15]
	v_add_f64 v[6:7], v[2:3], -v[6:7]
	s_waitcnt lgkmcnt(0)
	v_mul_f64 v[2:3], v[82:83], v[20:21]
	v_add_f64 v[8:9], v[4:5], -v[8:9]
	v_fma_f64 v[10:11], v[80:81], v[18:19], -v[2:3]
	ds_read_b128 v[2:5], v66 offset:3904
	v_mul_f64 v[12:13], v[80:81], v[20:21]
	v_fmac_f64_e32 v[12:13], v[82:83], v[18:19]
	v_add_f64 v[10:11], v[6:7], -v[10:11]
	v_add_f64 v[12:13], v[8:9], -v[12:13]
	ds_read_b128 v[6:9], v66 offset:3920
	s_waitcnt lgkmcnt(1)
	v_mul_f64 v[14:15], v[4:5], v[24:25]
	v_fma_f64 v[14:15], v[2:3], v[22:23], -v[14:15]
	v_mul_f64 v[2:3], v[2:3], v[24:25]
	v_fmac_f64_e32 v[2:3], v[4:5], v[22:23]
	v_add_f64 v[12:13], v[12:13], -v[2:3]
	s_waitcnt lgkmcnt(0)
	v_mul_f64 v[2:3], v[8:9], v[32:33]
	v_add_f64 v[10:11], v[10:11], -v[14:15]
	v_fma_f64 v[14:15], v[6:7], v[30:31], -v[2:3]
	ds_read_b128 v[2:5], v66 offset:3936
	v_mul_f64 v[6:7], v[6:7], v[32:33]
	v_fmac_f64_e32 v[6:7], v[8:9], v[30:31]
	v_add_f64 v[12:13], v[12:13], -v[6:7]
	ds_read_b128 v[6:9], v66 offset:3952
	v_add_f64 v[10:11], v[10:11], -v[14:15]
	s_waitcnt lgkmcnt(1)
	v_mul_f64 v[14:15], v[4:5], v[36:37]
	v_fma_f64 v[14:15], v[2:3], v[34:35], -v[14:15]
	v_mul_f64 v[2:3], v[2:3], v[36:37]
	v_fmac_f64_e32 v[2:3], v[4:5], v[34:35]
	v_add_f64 v[12:13], v[12:13], -v[2:3]
	s_waitcnt lgkmcnt(0)
	v_mul_f64 v[2:3], v[8:9], v[44:45]
	v_add_f64 v[10:11], v[10:11], -v[14:15]
	v_fma_f64 v[14:15], v[6:7], v[42:43], -v[2:3]
	ds_read_b128 v[2:5], v66 offset:3968
	v_mul_f64 v[6:7], v[6:7], v[44:45]
	v_fmac_f64_e32 v[6:7], v[8:9], v[42:43]
	v_add_f64 v[12:13], v[12:13], -v[6:7]
	ds_read_b128 v[6:9], v66 offset:3984
	v_add_f64 v[10:11], v[10:11], -v[14:15]
	s_waitcnt lgkmcnt(1)
	v_mul_f64 v[14:15], v[4:5], v[48:49]
	v_fma_f64 v[14:15], v[2:3], v[46:47], -v[14:15]
	v_mul_f64 v[2:3], v[2:3], v[48:49]
	v_fmac_f64_e32 v[2:3], v[4:5], v[46:47]
	v_add_f64 v[12:13], v[12:13], -v[2:3]
	s_waitcnt lgkmcnt(0)
	v_mul_f64 v[2:3], v[8:9], v[56:57]
	v_add_f64 v[10:11], v[10:11], -v[14:15]
	v_fma_f64 v[14:15], v[6:7], v[54:55], -v[2:3]
	ds_read_b128 v[2:5], v66 offset:4000
	v_mul_f64 v[6:7], v[6:7], v[56:57]
	v_fmac_f64_e32 v[6:7], v[8:9], v[54:55]
	v_add_f64 v[12:13], v[12:13], -v[6:7]
	ds_read_b128 v[6:9], v66 offset:4016
	v_add_f64 v[10:11], v[10:11], -v[14:15]
	s_waitcnt lgkmcnt(1)
	v_mul_f64 v[14:15], v[4:5], v[64:65]
	v_fma_f64 v[14:15], v[2:3], v[62:63], -v[14:15]
	v_mul_f64 v[2:3], v[2:3], v[64:65]
	v_fmac_f64_e32 v[2:3], v[4:5], v[62:63]
	v_add_f64 v[12:13], v[12:13], -v[2:3]
	s_waitcnt lgkmcnt(0)
	v_mul_f64 v[2:3], v[8:9], v[60:61]
	v_add_f64 v[10:11], v[10:11], -v[14:15]
	v_fma_f64 v[14:15], v[6:7], v[58:59], -v[2:3]
	ds_read_b128 v[2:5], v66 offset:4032
	v_mul_f64 v[6:7], v[6:7], v[60:61]
	v_fmac_f64_e32 v[6:7], v[8:9], v[58:59]
	v_add_f64 v[12:13], v[12:13], -v[6:7]
	ds_read_b128 v[6:9], v66 offset:4048
	v_add_f64 v[10:11], v[10:11], -v[14:15]
	s_waitcnt lgkmcnt(1)
	v_mul_f64 v[14:15], v[4:5], v[52:53]
	v_fma_f64 v[14:15], v[2:3], v[50:51], -v[14:15]
	v_mul_f64 v[2:3], v[2:3], v[52:53]
	v_fmac_f64_e32 v[2:3], v[4:5], v[50:51]
	v_add_f64 v[12:13], v[12:13], -v[2:3]
	s_waitcnt lgkmcnt(0)
	v_mul_f64 v[2:3], v[8:9], v[40:41]
	v_add_f64 v[10:11], v[10:11], -v[14:15]
	v_fma_f64 v[14:15], v[6:7], v[38:39], -v[2:3]
	ds_read_b128 v[2:5], v66 offset:4064
	v_mul_f64 v[6:7], v[6:7], v[40:41]
	v_fmac_f64_e32 v[6:7], v[8:9], v[38:39]
	v_add_f64 v[12:13], v[12:13], -v[6:7]
	ds_read_b128 v[6:9], v66 offset:4080
	v_add_f64 v[10:11], v[10:11], -v[14:15]
	s_waitcnt lgkmcnt(1)
	v_mul_f64 v[14:15], v[4:5], v[70:71]
	v_fma_f64 v[14:15], v[2:3], v[68:69], -v[14:15]
	v_mul_f64 v[2:3], v[2:3], v[70:71]
	v_fmac_f64_e32 v[2:3], v[4:5], v[68:69]
	v_add_f64 v[4:5], v[12:13], -v[2:3]
	v_add_f64 v[10:11], v[10:11], -v[14:15]
	s_waitcnt lgkmcnt(0)
	v_mul_f64 v[2:3], v[8:9], v[4:5]
	v_mul_f64 v[4:5], v[6:7], v[4:5]
	v_fma_f64 v[2:3], v[6:7], v[10:11], -v[2:3]
	v_fmac_f64_e32 v[4:5], v[8:9], v[10:11]
	ds_write_b128 v1, v[2:5] offset:3840
.LBB214_17:
	s_cmp_lt_i32 s10, s24
	s_cbranch_scc0 .LBB214_28
; %bb.18:
	s_or_b32 s6, s10, 11
	s_cmp_ge_u32 s6, s24
	s_cbranch_scc1 .LBB214_23
; %bb.19:
	s_lshl_b32 s7, s10, 8
	v_add_u32_e32 v56, s7, v1
	ds_read_b128 v[50:53], v56
	ds_read_b128 v[18:21], v56 offset:256
	ds_read_b128 v[22:25], v56 offset:512
	;; [unrolled: 1-line block ×9, first 2 shown]
	s_lshl_b32 s6, s6, 8
	v_add_u32_e32 v54, s6, v1
	ds_read_b128 v[6:9], v56 offset:2560
	ds_read_b128 v[2:5], v54
	s_andn2_b64 vcc, exec, s[4:5]
	s_cbranch_vccnz .LBB214_22
; %bb.20:
	v_mov_b32_e32 v14, 0x1000
	v_lshl_or_b32 v14, v0, 4, v14
	s_mov_b32 s4, s7
	s_mov_b32 s5, s10
.LBB214_21:                             ; =>This Inner Loop Header: Depth=1
	v_mov_b32_e32 v15, s4
	ds_read_b128 v[58:61], v14
	ds_read_b128 v[62:65], v15
	s_add_i32 s5, s5, -1
	s_add_i32 s4, s4, 16
	v_add_u32_e32 v14, 0x100, v14
	s_cmp_lg_u32 s5, 0
	s_waitcnt lgkmcnt(0)
	v_mul_f64 v[16:17], v[60:61], v[64:65]
	v_mul_f64 v[64:65], v[58:59], v[64:65]
	v_fmac_f64_e32 v[64:65], v[60:61], v[62:63]
	v_fma_f64 v[16:17], v[58:59], v[62:63], -v[16:17]
	v_add_f64 v[52:53], v[52:53], -v[64:65]
	ds_read_b128 v[62:65], v15 offset:256
	v_add_f64 v[50:51], v[50:51], -v[16:17]
	s_waitcnt lgkmcnt(0)
	v_mul_f64 v[16:17], v[60:61], v[64:65]
	v_mul_f64 v[64:65], v[58:59], v[64:65]
	v_fmac_f64_e32 v[64:65], v[60:61], v[62:63]
	v_fma_f64 v[16:17], v[58:59], v[62:63], -v[16:17]
	v_add_f64 v[20:21], v[20:21], -v[64:65]
	ds_read_b128 v[62:65], v15 offset:512
	v_add_f64 v[18:19], v[18:19], -v[16:17]
	;; [unrolled: 8-line block ×11, first 2 shown]
	s_waitcnt lgkmcnt(0)
	v_mul_f64 v[16:17], v[60:61], v[64:65]
	v_fma_f64 v[16:17], v[58:59], v[62:63], -v[16:17]
	v_mul_f64 v[58:59], v[58:59], v[64:65]
	v_fmac_f64_e32 v[58:59], v[60:61], v[62:63]
	v_add_f64 v[2:3], v[2:3], -v[16:17]
	v_add_f64 v[4:5], v[4:5], -v[58:59]
	s_cbranch_scc1 .LBB214_21
.LBB214_22:
	s_lshl_b32 s5, s10, 4
	s_add_i32 s4, s5, s7
	v_mov_b32_e32 v55, s4
	ds_read_b128 v[58:61], v55
	s_or_b32 s4, s10, 12
	s_or_b32 s10, s7, 0x100
	s_add_i32 s11, s5, s10
	ds_read_b128 v[62:65], v55 offset:272
	s_waitcnt lgkmcnt(1)
	v_mul_f64 v[14:15], v[60:61], v[52:53]
	v_mul_f64 v[16:17], v[58:59], v[52:53]
	v_fma_f64 v[14:15], v[58:59], v[50:51], -v[14:15]
	v_fmac_f64_e32 v[16:17], v[60:61], v[50:51]
	v_mov_b32_e32 v50, s11
	ds_read_b128 v[50:53], v50
	s_or_b32 s11, s7, 0x200
	s_add_i32 s12, s5, s11
	v_mov_b32_e32 v66, s12
	ds_write_b128 v56, v[14:17]
	s_waitcnt lgkmcnt(1)
	v_mul_f64 v[60:61], v[52:53], v[16:17]
	v_fma_f64 v[60:61], v[50:51], v[14:15], -v[60:61]
	v_mul_f64 v[50:51], v[50:51], v[16:17]
	v_fmac_f64_e32 v[50:51], v[52:53], v[14:15]
	v_add_f64 v[20:21], v[20:21], -v[50:51]
	ds_read_b128 v[56:59], v66
	v_add_f64 v[52:53], v[18:19], -v[60:61]
	v_mul_f64 v[18:19], v[64:65], v[20:21]
	v_mul_f64 v[20:21], v[62:63], v[20:21]
	v_fma_f64 v[18:19], v[62:63], v[52:53], -v[18:19]
	v_fmac_f64_e32 v[20:21], v[64:65], v[52:53]
	v_add_u32_e32 v50, s10, v1
	ds_write_b128 v50, v[18:21]
	ds_read_b128 v[50:53], v66 offset:16
	s_waitcnt lgkmcnt(2)
	v_mul_f64 v[60:61], v[58:59], v[16:17]
	v_fma_f64 v[60:61], v[56:57], v[14:15], -v[60:61]
	v_add_f64 v[22:23], v[22:23], -v[60:61]
	v_mul_f64 v[56:57], v[56:57], v[16:17]
	s_waitcnt lgkmcnt(0)
	v_mul_f64 v[60:61], v[52:53], v[20:21]
	v_fma_f64 v[64:65], v[50:51], v[18:19], -v[60:61]
	ds_read_b128 v[60:63], v55 offset:544
	v_fmac_f64_e32 v[56:57], v[58:59], v[14:15]
	s_or_b32 s10, s7, 0x300
	v_mul_f64 v[50:51], v[50:51], v[20:21]
	v_add_f64 v[24:25], v[24:25], -v[56:57]
	s_add_i32 s12, s5, s10
	v_fmac_f64_e32 v[50:51], v[52:53], v[18:19]
	v_mov_b32_e32 v66, s12
	v_add_f64 v[24:25], v[24:25], -v[50:51]
	ds_read_b128 v[56:59], v66
	v_add_f64 v[64:65], v[22:23], -v[64:65]
	ds_read_b128 v[50:53], v55 offset:816
	s_waitcnt lgkmcnt(2)
	v_mul_f64 v[22:23], v[62:63], v[24:25]
	v_mul_f64 v[24:25], v[60:61], v[24:25]
	v_fma_f64 v[22:23], v[60:61], v[64:65], -v[22:23]
	v_fmac_f64_e32 v[24:25], v[62:63], v[64:65]
	v_add_u32_e32 v60, s11, v1
	ds_write_b128 v60, v[22:25]
	ds_read_b128 v[60:63], v66 offset:16
	ds_read_b128 v[64:67], v66 offset:32
	s_waitcnt lgkmcnt(4)
	v_mul_f64 v[68:69], v[58:59], v[16:17]
	v_fma_f64 v[68:69], v[56:57], v[14:15], -v[68:69]
	v_mul_f64 v[56:57], v[56:57], v[16:17]
	v_fmac_f64_e32 v[56:57], v[58:59], v[14:15]
	s_waitcnt lgkmcnt(1)
	v_mul_f64 v[58:59], v[60:61], v[20:21]
	v_add_f64 v[32:33], v[32:33], -v[56:57]
	v_mul_f64 v[56:57], v[62:63], v[20:21]
	v_fmac_f64_e32 v[58:59], v[62:63], v[18:19]
	v_add_f64 v[30:31], v[30:31], -v[68:69]
	v_fma_f64 v[56:57], v[60:61], v[18:19], -v[56:57]
	v_add_f64 v[32:33], v[32:33], -v[58:59]
	s_waitcnt lgkmcnt(0)
	v_mul_f64 v[58:59], v[64:65], v[24:25]
	v_add_f64 v[30:31], v[30:31], -v[56:57]
	v_mul_f64 v[56:57], v[66:67], v[24:25]
	v_fmac_f64_e32 v[58:59], v[66:67], v[22:23]
	v_fma_f64 v[56:57], v[64:65], v[22:23], -v[56:57]
	v_add_f64 v[32:33], v[32:33], -v[58:59]
	v_add_f64 v[56:57], v[30:31], -v[56:57]
	v_mul_f64 v[30:31], v[52:53], v[32:33]
	v_mul_f64 v[32:33], v[50:51], v[32:33]
	v_fma_f64 v[30:31], v[50:51], v[56:57], -v[30:31]
	v_fmac_f64_e32 v[32:33], v[52:53], v[56:57]
	v_add_u32_e32 v56, s10, v1
	s_or_b32 s10, s7, 0x400
	s_add_i32 s11, s5, s10
	v_mov_b32_e32 v64, s11
	ds_read_b128 v[50:53], v64
	ds_write_b128 v56, v[30:33]
	ds_read_b128 v[56:59], v64 offset:16
	ds_read_b128 v[60:63], v64 offset:32
	;; [unrolled: 1-line block ×3, first 2 shown]
	s_or_b32 s11, s7, 0x500
	s_waitcnt lgkmcnt(4)
	v_mul_f64 v[68:69], v[52:53], v[16:17]
	v_fma_f64 v[68:69], v[50:51], v[14:15], -v[68:69]
	v_mul_f64 v[50:51], v[50:51], v[16:17]
	v_fmac_f64_e32 v[50:51], v[52:53], v[14:15]
	v_add_f64 v[40:41], v[40:41], -v[50:51]
	s_waitcnt lgkmcnt(2)
	v_mul_f64 v[50:51], v[58:59], v[20:21]
	v_add_f64 v[38:39], v[38:39], -v[68:69]
	v_fma_f64 v[50:51], v[56:57], v[18:19], -v[50:51]
	v_mul_f64 v[52:53], v[56:57], v[20:21]
	v_fmac_f64_e32 v[52:53], v[58:59], v[18:19]
	v_add_f64 v[38:39], v[38:39], -v[50:51]
	s_waitcnt lgkmcnt(1)
	v_mul_f64 v[50:51], v[62:63], v[24:25]
	v_add_f64 v[40:41], v[40:41], -v[52:53]
	v_fma_f64 v[50:51], v[60:61], v[22:23], -v[50:51]
	v_mul_f64 v[52:53], v[60:61], v[24:25]
	v_fmac_f64_e32 v[52:53], v[62:63], v[22:23]
	v_add_f64 v[38:39], v[38:39], -v[50:51]
	s_waitcnt lgkmcnt(0)
	v_mul_f64 v[50:51], v[66:67], v[32:33]
	v_add_f64 v[40:41], v[40:41], -v[52:53]
	v_fma_f64 v[56:57], v[64:65], v[30:31], -v[50:51]
	ds_read_b128 v[50:53], v55 offset:1088
	v_mul_f64 v[58:59], v[64:65], v[32:33]
	v_fmac_f64_e32 v[58:59], v[66:67], v[30:31]
	v_add_f64 v[40:41], v[40:41], -v[58:59]
	v_add_f64 v[60:61], v[38:39], -v[56:57]
	ds_read_b128 v[56:59], v55 offset:1360
	s_waitcnt lgkmcnt(1)
	v_mul_f64 v[38:39], v[52:53], v[40:41]
	v_mul_f64 v[40:41], v[50:51], v[40:41]
	v_fma_f64 v[38:39], v[50:51], v[60:61], -v[38:39]
	v_fmac_f64_e32 v[40:41], v[52:53], v[60:61]
	v_add_u32_e32 v60, s10, v1
	s_add_i32 s10, s5, s11
	v_mov_b32_e32 v74, s10
	ds_read_b128 v[50:53], v74
	ds_write_b128 v60, v[38:41]
	ds_read_b128 v[60:63], v74 offset:16
	ds_read_b128 v[64:67], v74 offset:32
	;; [unrolled: 1-line block ×3, first 2 shown]
	s_or_b32 s10, s7, 0x600
	s_add_i32 s12, s5, s10
	s_waitcnt lgkmcnt(4)
	v_mul_f64 v[72:73], v[52:53], v[16:17]
	v_fma_f64 v[72:73], v[50:51], v[14:15], -v[72:73]
	v_mul_f64 v[50:51], v[50:51], v[16:17]
	v_fmac_f64_e32 v[50:51], v[52:53], v[14:15]
	v_add_f64 v[44:45], v[44:45], -v[50:51]
	s_waitcnt lgkmcnt(2)
	v_mul_f64 v[50:51], v[62:63], v[20:21]
	v_mul_f64 v[52:53], v[60:61], v[20:21]
	v_add_f64 v[42:43], v[42:43], -v[72:73]
	v_fma_f64 v[50:51], v[60:61], v[18:19], -v[50:51]
	v_fmac_f64_e32 v[52:53], v[62:63], v[18:19]
	v_add_f64 v[42:43], v[42:43], -v[50:51]
	v_add_f64 v[44:45], v[44:45], -v[52:53]
	s_waitcnt lgkmcnt(1)
	v_mul_f64 v[50:51], v[66:67], v[24:25]
	v_mul_f64 v[52:53], v[64:65], v[24:25]
	v_fma_f64 v[50:51], v[64:65], v[22:23], -v[50:51]
	v_fmac_f64_e32 v[52:53], v[66:67], v[22:23]
	v_add_f64 v[42:43], v[42:43], -v[50:51]
	v_add_f64 v[44:45], v[44:45], -v[52:53]
	s_waitcnt lgkmcnt(0)
	v_mul_f64 v[50:51], v[70:71], v[32:33]
	v_mul_f64 v[52:53], v[68:69], v[32:33]
	v_fma_f64 v[50:51], v[68:69], v[30:31], -v[50:51]
	v_fmac_f64_e32 v[52:53], v[70:71], v[30:31]
	v_add_f64 v[60:61], v[42:43], -v[50:51]
	v_add_f64 v[62:63], v[44:45], -v[52:53]
	ds_read_b128 v[42:45], v74 offset:64
	v_mov_b32_e32 v70, s12
	ds_read_b128 v[50:53], v70
	s_waitcnt lgkmcnt(1)
	v_mul_f64 v[64:65], v[44:45], v[40:41]
	v_fma_f64 v[64:65], v[42:43], v[38:39], -v[64:65]
	v_mul_f64 v[42:43], v[42:43], v[40:41]
	v_fmac_f64_e32 v[42:43], v[44:45], v[38:39]
	v_add_f64 v[44:45], v[62:63], -v[42:43]
	v_add_f64 v[60:61], v[60:61], -v[64:65]
	v_mul_f64 v[42:43], v[58:59], v[44:45]
	v_mul_f64 v[44:45], v[56:57], v[44:45]
	v_fma_f64 v[42:43], v[56:57], v[60:61], -v[42:43]
	v_fmac_f64_e32 v[44:45], v[58:59], v[60:61]
	v_add_u32_e32 v56, s11, v1
	ds_write_b128 v56, v[42:45]
	ds_read_b128 v[56:59], v70 offset:16
	ds_read_b128 v[60:63], v70 offset:32
	;; [unrolled: 1-line block ×3, first 2 shown]
	s_waitcnt lgkmcnt(4)
	v_mul_f64 v[68:69], v[52:53], v[16:17]
	v_fma_f64 v[68:69], v[50:51], v[14:15], -v[68:69]
	v_mul_f64 v[50:51], v[50:51], v[16:17]
	v_fmac_f64_e32 v[50:51], v[52:53], v[14:15]
	v_add_f64 v[48:49], v[48:49], -v[50:51]
	s_waitcnt lgkmcnt(2)
	v_mul_f64 v[50:51], v[58:59], v[20:21]
	v_mul_f64 v[52:53], v[56:57], v[20:21]
	v_add_f64 v[46:47], v[46:47], -v[68:69]
	v_fma_f64 v[50:51], v[56:57], v[18:19], -v[50:51]
	v_fmac_f64_e32 v[52:53], v[58:59], v[18:19]
	v_add_f64 v[46:47], v[46:47], -v[50:51]
	v_add_f64 v[48:49], v[48:49], -v[52:53]
	s_waitcnt lgkmcnt(1)
	v_mul_f64 v[50:51], v[62:63], v[24:25]
	v_mul_f64 v[52:53], v[60:61], v[24:25]
	v_fma_f64 v[50:51], v[60:61], v[22:23], -v[50:51]
	v_fmac_f64_e32 v[52:53], v[62:63], v[22:23]
	v_add_f64 v[50:51], v[46:47], -v[50:51]
	v_add_f64 v[52:53], v[48:49], -v[52:53]
	ds_read_b128 v[46:49], v70 offset:64
	s_waitcnt lgkmcnt(1)
	v_mul_f64 v[56:57], v[66:67], v[32:33]
	v_fma_f64 v[56:57], v[64:65], v[30:31], -v[56:57]
	v_mul_f64 v[58:59], v[64:65], v[32:33]
	v_add_f64 v[50:51], v[50:51], -v[56:57]
	s_waitcnt lgkmcnt(0)
	v_mul_f64 v[56:57], v[48:49], v[40:41]
	v_fmac_f64_e32 v[58:59], v[66:67], v[30:31]
	v_fma_f64 v[56:57], v[46:47], v[38:39], -v[56:57]
	v_mul_f64 v[46:47], v[46:47], v[40:41]
	v_add_f64 v[52:53], v[52:53], -v[58:59]
	v_fmac_f64_e32 v[46:47], v[48:49], v[38:39]
	v_add_f64 v[62:63], v[52:53], -v[46:47]
	ds_read_b128 v[46:49], v70 offset:80
	s_or_b32 s11, s7, 0x700
	s_add_i32 s12, s5, s11
	v_mov_b32_e32 v74, s12
	v_add_f64 v[60:61], v[50:51], -v[56:57]
	ds_read_b128 v[50:53], v74
	s_waitcnt lgkmcnt(1)
	v_mul_f64 v[56:57], v[48:49], v[44:45]
	v_fma_f64 v[64:65], v[46:47], v[42:43], -v[56:57]
	ds_read_b128 v[56:59], v55 offset:1632
	v_mul_f64 v[46:47], v[46:47], v[44:45]
	v_fmac_f64_e32 v[46:47], v[48:49], v[42:43]
	v_add_f64 v[48:49], v[62:63], -v[46:47]
	v_add_f64 v[64:65], v[60:61], -v[64:65]
	ds_read_b128 v[60:63], v55 offset:1904
	s_waitcnt lgkmcnt(1)
	v_mul_f64 v[46:47], v[58:59], v[48:49]
	v_mul_f64 v[48:49], v[56:57], v[48:49]
	v_fma_f64 v[46:47], v[56:57], v[64:65], -v[46:47]
	v_fmac_f64_e32 v[48:49], v[58:59], v[64:65]
	v_add_u32_e32 v56, s10, v1
	ds_write_b128 v56, v[46:49]
	ds_read_b128 v[56:59], v74 offset:16
	ds_read_b128 v[64:67], v74 offset:32
	;; [unrolled: 1-line block ×3, first 2 shown]
	v_mul_f64 v[72:73], v[52:53], v[16:17]
	v_fma_f64 v[72:73], v[50:51], v[14:15], -v[72:73]
	v_mul_f64 v[50:51], v[50:51], v[16:17]
	v_fmac_f64_e32 v[50:51], v[52:53], v[14:15]
	v_add_f64 v[36:37], v[36:37], -v[50:51]
	s_waitcnt lgkmcnt(2)
	v_mul_f64 v[50:51], v[58:59], v[20:21]
	v_mul_f64 v[52:53], v[56:57], v[20:21]
	v_add_f64 v[34:35], v[34:35], -v[72:73]
	v_fma_f64 v[50:51], v[56:57], v[18:19], -v[50:51]
	v_fmac_f64_e32 v[52:53], v[58:59], v[18:19]
	v_add_f64 v[34:35], v[34:35], -v[50:51]
	v_add_f64 v[36:37], v[36:37], -v[52:53]
	s_waitcnt lgkmcnt(1)
	v_mul_f64 v[50:51], v[66:67], v[24:25]
	v_mul_f64 v[52:53], v[64:65], v[24:25]
	v_fma_f64 v[50:51], v[64:65], v[22:23], -v[50:51]
	v_fmac_f64_e32 v[52:53], v[66:67], v[22:23]
	v_add_f64 v[50:51], v[34:35], -v[50:51]
	v_add_f64 v[52:53], v[36:37], -v[52:53]
	ds_read_b128 v[34:37], v74 offset:64
	s_waitcnt lgkmcnt(1)
	v_mul_f64 v[56:57], v[70:71], v[32:33]
	v_fma_f64 v[56:57], v[68:69], v[30:31], -v[56:57]
	v_mul_f64 v[58:59], v[68:69], v[32:33]
	v_fmac_f64_e32 v[58:59], v[70:71], v[30:31]
	v_add_f64 v[56:57], v[50:51], -v[56:57]
	s_waitcnt lgkmcnt(0)
	v_mul_f64 v[50:51], v[36:37], v[40:41]
	v_add_f64 v[58:59], v[52:53], -v[58:59]
	v_fma_f64 v[64:65], v[34:35], v[38:39], -v[50:51]
	v_mul_f64 v[34:35], v[34:35], v[40:41]
	ds_read_b128 v[50:53], v74 offset:80
	v_fmac_f64_e32 v[34:35], v[36:37], v[38:39]
	v_add_f64 v[58:59], v[58:59], -v[34:35]
	ds_read_b128 v[34:37], v74 offset:96
	v_add_f64 v[56:57], v[56:57], -v[64:65]
	s_waitcnt lgkmcnt(1)
	v_mul_f64 v[64:65], v[52:53], v[44:45]
	v_fma_f64 v[64:65], v[50:51], v[42:43], -v[64:65]
	v_mul_f64 v[50:51], v[50:51], v[44:45]
	v_fmac_f64_e32 v[50:51], v[52:53], v[42:43]
	v_add_f64 v[52:53], v[56:57], -v[64:65]
	s_waitcnt lgkmcnt(0)
	v_mul_f64 v[56:57], v[36:37], v[48:49]
	v_fma_f64 v[56:57], v[34:35], v[46:47], -v[56:57]
	v_mul_f64 v[34:35], v[34:35], v[48:49]
	v_add_f64 v[50:51], v[58:59], -v[50:51]
	v_fmac_f64_e32 v[34:35], v[36:37], v[46:47]
	s_or_b32 s10, s7, 0x800
	v_add_f64 v[52:53], v[52:53], -v[56:57]
	v_add_f64 v[36:37], v[50:51], -v[34:35]
	v_add_u32_e32 v56, s11, v1
	s_add_i32 s11, s5, s10
	v_mul_f64 v[34:35], v[62:63], v[36:37]
	v_mul_f64 v[36:37], v[60:61], v[36:37]
	v_mov_b32_e32 v70, s11
	v_fma_f64 v[34:35], v[60:61], v[52:53], -v[34:35]
	v_fmac_f64_e32 v[36:37], v[62:63], v[52:53]
	ds_read_b128 v[50:53], v70
	ds_write_b128 v56, v[34:37]
	ds_read_b128 v[56:59], v70 offset:16
	ds_read_b128 v[60:63], v70 offset:32
	;; [unrolled: 1-line block ×3, first 2 shown]
	s_waitcnt lgkmcnt(4)
	v_mul_f64 v[68:69], v[52:53], v[16:17]
	v_fma_f64 v[68:69], v[50:51], v[14:15], -v[68:69]
	v_mul_f64 v[50:51], v[50:51], v[16:17]
	v_fmac_f64_e32 v[50:51], v[52:53], v[14:15]
	v_add_f64 v[28:29], v[28:29], -v[50:51]
	s_waitcnt lgkmcnt(2)
	v_mul_f64 v[50:51], v[58:59], v[20:21]
	v_add_f64 v[26:27], v[26:27], -v[68:69]
	v_fma_f64 v[50:51], v[56:57], v[18:19], -v[50:51]
	v_mul_f64 v[52:53], v[56:57], v[20:21]
	v_fmac_f64_e32 v[52:53], v[58:59], v[18:19]
	v_add_f64 v[26:27], v[26:27], -v[50:51]
	s_waitcnt lgkmcnt(1)
	v_mul_f64 v[50:51], v[62:63], v[24:25]
	v_add_f64 v[28:29], v[28:29], -v[52:53]
	;; [unrolled: 7-line block ×3, first 2 shown]
	v_fma_f64 v[56:57], v[64:65], v[30:31], -v[26:27]
	ds_read_b128 v[26:29], v70 offset:64
	v_mul_f64 v[58:59], v[64:65], v[32:33]
	v_fmac_f64_e32 v[58:59], v[66:67], v[30:31]
	v_add_f64 v[56:57], v[50:51], -v[56:57]
	v_add_f64 v[58:59], v[52:53], -v[58:59]
	ds_read_b128 v[50:53], v70 offset:80
	s_waitcnt lgkmcnt(1)
	v_mul_f64 v[60:61], v[28:29], v[40:41]
	v_fma_f64 v[60:61], v[26:27], v[38:39], -v[60:61]
	v_mul_f64 v[26:27], v[26:27], v[40:41]
	v_fmac_f64_e32 v[26:27], v[28:29], v[38:39]
	v_add_f64 v[58:59], v[58:59], -v[26:27]
	s_waitcnt lgkmcnt(0)
	v_mul_f64 v[26:27], v[52:53], v[44:45]
	v_add_f64 v[56:57], v[56:57], -v[60:61]
	v_fma_f64 v[60:61], v[50:51], v[42:43], -v[26:27]
	v_mul_f64 v[50:51], v[50:51], v[44:45]
	ds_read_b128 v[26:29], v70 offset:96
	v_fmac_f64_e32 v[50:51], v[52:53], v[42:43]
	v_add_f64 v[58:59], v[58:59], -v[50:51]
	ds_read_b128 v[50:53], v70 offset:112
	v_add_f64 v[56:57], v[56:57], -v[60:61]
	s_waitcnt lgkmcnt(1)
	v_mul_f64 v[60:61], v[28:29], v[48:49]
	v_fma_f64 v[60:61], v[26:27], v[46:47], -v[60:61]
	v_mul_f64 v[26:27], v[26:27], v[48:49]
	v_fmac_f64_e32 v[26:27], v[28:29], v[46:47]
	v_add_f64 v[28:29], v[56:57], -v[60:61]
	s_waitcnt lgkmcnt(0)
	v_mul_f64 v[56:57], v[52:53], v[36:37]
	v_add_f64 v[26:27], v[58:59], -v[26:27]
	v_fma_f64 v[60:61], v[50:51], v[34:35], -v[56:57]
	ds_read_b128 v[56:59], v55 offset:2176
	v_mul_f64 v[50:51], v[50:51], v[36:37]
	v_fmac_f64_e32 v[50:51], v[52:53], v[34:35]
	v_add_f64 v[60:61], v[28:29], -v[60:61]
	v_add_f64 v[28:29], v[26:27], -v[50:51]
	ds_read_b128 v[50:53], v55 offset:2448
	s_waitcnt lgkmcnt(1)
	v_mul_f64 v[26:27], v[58:59], v[28:29]
	v_mul_f64 v[28:29], v[56:57], v[28:29]
	v_fma_f64 v[26:27], v[56:57], v[60:61], -v[26:27]
	v_fmac_f64_e32 v[28:29], v[58:59], v[60:61]
	v_add_u32_e32 v60, s10, v1
	s_or_b32 s10, s7, 0x900
	s_add_i32 s11, s5, s10
	v_mov_b32_e32 v74, s11
	ds_read_b128 v[56:59], v74
	ds_write_b128 v60, v[26:29]
	ds_read_b128 v[60:63], v74 offset:16
	ds_read_b128 v[64:67], v74 offset:32
	;; [unrolled: 1-line block ×3, first 2 shown]
	s_or_b32 s7, s7, 0xa00
	s_add_i32 s11, s5, s7
	s_waitcnt lgkmcnt(4)
	v_mul_f64 v[72:73], v[58:59], v[16:17]
	v_fma_f64 v[72:73], v[56:57], v[14:15], -v[72:73]
	v_mul_f64 v[56:57], v[56:57], v[16:17]
	v_fmac_f64_e32 v[56:57], v[58:59], v[14:15]
	v_add_f64 v[12:13], v[12:13], -v[56:57]
	s_waitcnt lgkmcnt(2)
	v_mul_f64 v[56:57], v[62:63], v[20:21]
	v_add_f64 v[10:11], v[10:11], -v[72:73]
	v_fma_f64 v[56:57], v[60:61], v[18:19], -v[56:57]
	v_mul_f64 v[58:59], v[60:61], v[20:21]
	v_fmac_f64_e32 v[58:59], v[62:63], v[18:19]
	v_add_f64 v[10:11], v[10:11], -v[56:57]
	s_waitcnt lgkmcnt(1)
	v_mul_f64 v[56:57], v[66:67], v[24:25]
	v_add_f64 v[12:13], v[12:13], -v[58:59]
	;; [unrolled: 7-line block ×3, first 2 shown]
	v_fma_f64 v[60:61], v[68:69], v[30:31], -v[10:11]
	ds_read_b128 v[10:13], v74 offset:64
	v_mul_f64 v[62:63], v[68:69], v[32:33]
	v_fmac_f64_e32 v[62:63], v[70:71], v[30:31]
	v_add_f64 v[60:61], v[56:57], -v[60:61]
	v_add_f64 v[62:63], v[58:59], -v[62:63]
	ds_read_b128 v[56:59], v74 offset:80
	s_waitcnt lgkmcnt(1)
	v_mul_f64 v[64:65], v[12:13], v[40:41]
	v_fma_f64 v[64:65], v[10:11], v[38:39], -v[64:65]
	v_mul_f64 v[10:11], v[10:11], v[40:41]
	v_fmac_f64_e32 v[10:11], v[12:13], v[38:39]
	v_add_f64 v[62:63], v[62:63], -v[10:11]
	s_waitcnt lgkmcnt(0)
	v_mul_f64 v[10:11], v[58:59], v[44:45]
	v_add_f64 v[60:61], v[60:61], -v[64:65]
	v_fma_f64 v[64:65], v[56:57], v[42:43], -v[10:11]
	v_mul_f64 v[56:57], v[56:57], v[44:45]
	ds_read_b128 v[10:13], v74 offset:96
	v_fmac_f64_e32 v[56:57], v[58:59], v[42:43]
	v_add_f64 v[62:63], v[62:63], -v[56:57]
	ds_read_b128 v[56:59], v74 offset:112
	v_add_f64 v[60:61], v[60:61], -v[64:65]
	s_waitcnt lgkmcnt(1)
	v_mul_f64 v[64:65], v[12:13], v[48:49]
	v_fma_f64 v[64:65], v[10:11], v[46:47], -v[64:65]
	v_mul_f64 v[10:11], v[10:11], v[48:49]
	v_fmac_f64_e32 v[10:11], v[12:13], v[46:47]
	v_add_f64 v[12:13], v[60:61], -v[64:65]
	s_waitcnt lgkmcnt(0)
	v_mul_f64 v[60:61], v[58:59], v[36:37]
	v_fma_f64 v[60:61], v[56:57], v[34:35], -v[60:61]
	v_mul_f64 v[56:57], v[56:57], v[36:37]
	v_add_f64 v[10:11], v[62:63], -v[10:11]
	v_fmac_f64_e32 v[56:57], v[58:59], v[34:35]
	v_add_f64 v[60:61], v[12:13], -v[60:61]
	v_add_f64 v[62:63], v[10:11], -v[56:57]
	ds_read_b128 v[10:13], v74 offset:128
	v_mov_b32_e32 v70, s11
	ds_read_b128 v[56:59], v70
	s_add_i32 s5, s5, s6
	v_mov_b32_e32 v74, s5
	s_waitcnt lgkmcnt(1)
	v_mul_f64 v[64:65], v[12:13], v[28:29]
	v_fma_f64 v[64:65], v[10:11], v[26:27], -v[64:65]
	v_mul_f64 v[10:11], v[10:11], v[28:29]
	v_fmac_f64_e32 v[10:11], v[12:13], v[26:27]
	v_add_f64 v[12:13], v[62:63], -v[10:11]
	v_add_f64 v[60:61], v[60:61], -v[64:65]
	v_mul_f64 v[10:11], v[52:53], v[12:13]
	v_mul_f64 v[12:13], v[50:51], v[12:13]
	v_fma_f64 v[10:11], v[50:51], v[60:61], -v[10:11]
	v_fmac_f64_e32 v[12:13], v[52:53], v[60:61]
	v_add_u32_e32 v50, s10, v1
	ds_write_b128 v50, v[10:13]
	ds_read_b128 v[50:53], v70 offset:16
	ds_read_b128 v[60:63], v70 offset:32
	;; [unrolled: 1-line block ×3, first 2 shown]
	s_waitcnt lgkmcnt(4)
	v_mul_f64 v[68:69], v[58:59], v[16:17]
	v_fma_f64 v[68:69], v[56:57], v[14:15], -v[68:69]
	v_mul_f64 v[56:57], v[56:57], v[16:17]
	v_fmac_f64_e32 v[56:57], v[58:59], v[14:15]
	v_add_f64 v[8:9], v[8:9], -v[56:57]
	s_waitcnt lgkmcnt(2)
	v_mul_f64 v[56:57], v[52:53], v[20:21]
	v_fma_f64 v[56:57], v[50:51], v[18:19], -v[56:57]
	v_mul_f64 v[50:51], v[50:51], v[20:21]
	v_fmac_f64_e32 v[50:51], v[52:53], v[18:19]
	v_add_f64 v[6:7], v[6:7], -v[68:69]
	v_add_f64 v[8:9], v[8:9], -v[50:51]
	s_waitcnt lgkmcnt(1)
	v_mul_f64 v[50:51], v[62:63], v[24:25]
	v_mul_f64 v[52:53], v[60:61], v[24:25]
	v_add_f64 v[6:7], v[6:7], -v[56:57]
	v_fma_f64 v[50:51], v[60:61], v[22:23], -v[50:51]
	v_fmac_f64_e32 v[52:53], v[62:63], v[22:23]
	v_add_f64 v[50:51], v[6:7], -v[50:51]
	v_add_f64 v[52:53], v[8:9], -v[52:53]
	ds_read_b128 v[6:9], v70 offset:64
	s_waitcnt lgkmcnt(1)
	v_mul_f64 v[56:57], v[66:67], v[32:33]
	v_fma_f64 v[56:57], v[64:65], v[30:31], -v[56:57]
	v_mul_f64 v[58:59], v[64:65], v[32:33]
	v_fmac_f64_e32 v[58:59], v[66:67], v[30:31]
	v_add_f64 v[56:57], v[50:51], -v[56:57]
	s_waitcnt lgkmcnt(0)
	v_mul_f64 v[50:51], v[8:9], v[40:41]
	v_add_f64 v[58:59], v[52:53], -v[58:59]
	v_fma_f64 v[60:61], v[6:7], v[38:39], -v[50:51]
	ds_read_b128 v[50:53], v70 offset:80
	v_mul_f64 v[6:7], v[6:7], v[40:41]
	v_fmac_f64_e32 v[6:7], v[8:9], v[38:39]
	v_add_f64 v[58:59], v[58:59], -v[6:7]
	ds_read_b128 v[6:9], v70 offset:96
	v_add_f64 v[56:57], v[56:57], -v[60:61]
	s_waitcnt lgkmcnt(1)
	v_mul_f64 v[60:61], v[52:53], v[44:45]
	v_fma_f64 v[60:61], v[50:51], v[42:43], -v[60:61]
	v_mul_f64 v[50:51], v[50:51], v[44:45]
	v_fmac_f64_e32 v[50:51], v[52:53], v[42:43]
	v_add_f64 v[58:59], v[58:59], -v[50:51]
	s_waitcnt lgkmcnt(0)
	v_mul_f64 v[50:51], v[8:9], v[48:49]
	v_add_f64 v[56:57], v[56:57], -v[60:61]
	v_fma_f64 v[60:61], v[6:7], v[46:47], -v[50:51]
	ds_read_b128 v[50:53], v70 offset:112
	v_mul_f64 v[6:7], v[6:7], v[48:49]
	v_fmac_f64_e32 v[6:7], v[8:9], v[46:47]
	v_add_f64 v[58:59], v[58:59], -v[6:7]
	ds_read_b128 v[6:9], v70 offset:128
	v_add_f64 v[56:57], v[56:57], -v[60:61]
	s_waitcnt lgkmcnt(1)
	v_mul_f64 v[60:61], v[52:53], v[36:37]
	v_fma_f64 v[60:61], v[50:51], v[34:35], -v[60:61]
	v_mul_f64 v[50:51], v[50:51], v[36:37]
	v_fmac_f64_e32 v[50:51], v[52:53], v[34:35]
	v_add_f64 v[52:53], v[56:57], -v[60:61]
	v_add_f64 v[50:51], v[58:59], -v[50:51]
	s_waitcnt lgkmcnt(0)
	v_mul_f64 v[56:57], v[8:9], v[28:29]
	v_mul_f64 v[58:59], v[6:7], v[28:29]
	v_fma_f64 v[56:57], v[6:7], v[26:27], -v[56:57]
	v_fmac_f64_e32 v[58:59], v[8:9], v[26:27]
	ds_read_b128 v[6:9], v70 offset:144
	v_add_f64 v[60:61], v[52:53], -v[56:57]
	v_add_f64 v[62:63], v[50:51], -v[58:59]
	ds_read_b128 v[50:53], v74
	s_mov_b32 s10, s4
	s_waitcnt lgkmcnt(1)
	v_mul_f64 v[56:57], v[8:9], v[12:13]
	v_fma_f64 v[64:65], v[6:7], v[10:11], -v[56:57]
	ds_read_b128 v[56:59], v55 offset:2720
	v_mul_f64 v[6:7], v[6:7], v[12:13]
	v_fmac_f64_e32 v[6:7], v[8:9], v[10:11]
	v_add_f64 v[62:63], v[62:63], -v[6:7]
	v_add_f64 v[64:65], v[60:61], -v[64:65]
	ds_read_b128 v[6:9], v55 offset:2992
	s_waitcnt lgkmcnt(1)
	v_mul_f64 v[60:61], v[58:59], v[62:63]
	v_mul_f64 v[62:63], v[56:57], v[62:63]
	v_fma_f64 v[60:61], v[56:57], v[64:65], -v[60:61]
	v_fmac_f64_e32 v[62:63], v[58:59], v[64:65]
	v_add_u32_e32 v55, s7, v1
	ds_write_b128 v55, v[60:63]
	ds_read_b128 v[56:59], v74 offset:16
	ds_read_b128 v[64:67], v74 offset:32
	;; [unrolled: 1-line block ×3, first 2 shown]
	v_mul_f64 v[72:73], v[52:53], v[16:17]
	v_mul_f64 v[16:17], v[50:51], v[16:17]
	v_fmac_f64_e32 v[16:17], v[52:53], v[14:15]
	v_fma_f64 v[72:73], v[50:51], v[14:15], -v[72:73]
	v_add_f64 v[4:5], v[4:5], -v[16:17]
	s_waitcnt lgkmcnt(2)
	v_mul_f64 v[14:15], v[58:59], v[20:21]
	v_mul_f64 v[16:17], v[56:57], v[20:21]
	v_add_f64 v[2:3], v[2:3], -v[72:73]
	v_fma_f64 v[14:15], v[56:57], v[18:19], -v[14:15]
	v_fmac_f64_e32 v[16:17], v[58:59], v[18:19]
	v_add_f64 v[2:3], v[2:3], -v[14:15]
	v_add_f64 v[4:5], v[4:5], -v[16:17]
	s_waitcnt lgkmcnt(1)
	v_mul_f64 v[14:15], v[66:67], v[24:25]
	v_mul_f64 v[16:17], v[64:65], v[24:25]
	v_fma_f64 v[14:15], v[64:65], v[22:23], -v[14:15]
	v_fmac_f64_e32 v[16:17], v[66:67], v[22:23]
	v_add_f64 v[14:15], v[2:3], -v[14:15]
	v_add_f64 v[16:17], v[4:5], -v[16:17]
	ds_read_b128 v[2:5], v74 offset:64
	s_waitcnt lgkmcnt(1)
	v_mul_f64 v[18:19], v[70:71], v[32:33]
	v_fma_f64 v[18:19], v[68:69], v[30:31], -v[18:19]
	v_mul_f64 v[20:21], v[68:69], v[32:33]
	v_fmac_f64_e32 v[20:21], v[70:71], v[30:31]
	v_add_f64 v[18:19], v[14:15], -v[18:19]
	s_waitcnt lgkmcnt(0)
	v_mul_f64 v[14:15], v[4:5], v[40:41]
	v_add_f64 v[20:21], v[16:17], -v[20:21]
	v_fma_f64 v[22:23], v[2:3], v[38:39], -v[14:15]
	ds_read_b128 v[14:17], v74 offset:80
	v_mul_f64 v[2:3], v[2:3], v[40:41]
	v_fmac_f64_e32 v[2:3], v[4:5], v[38:39]
	v_add_f64 v[20:21], v[20:21], -v[2:3]
	ds_read_b128 v[2:5], v74 offset:96
	v_add_f64 v[18:19], v[18:19], -v[22:23]
	s_waitcnt lgkmcnt(1)
	v_mul_f64 v[22:23], v[16:17], v[44:45]
	v_fma_f64 v[22:23], v[14:15], v[42:43], -v[22:23]
	v_mul_f64 v[14:15], v[14:15], v[44:45]
	v_fmac_f64_e32 v[14:15], v[16:17], v[42:43]
	v_add_f64 v[20:21], v[20:21], -v[14:15]
	s_waitcnt lgkmcnt(0)
	v_mul_f64 v[14:15], v[4:5], v[48:49]
	v_add_f64 v[18:19], v[18:19], -v[22:23]
	v_fma_f64 v[22:23], v[2:3], v[46:47], -v[14:15]
	ds_read_b128 v[14:17], v74 offset:112
	v_mul_f64 v[2:3], v[2:3], v[48:49]
	v_fmac_f64_e32 v[2:3], v[4:5], v[46:47]
	v_add_f64 v[20:21], v[20:21], -v[2:3]
	ds_read_b128 v[2:5], v74 offset:128
	v_add_f64 v[18:19], v[18:19], -v[22:23]
	s_waitcnt lgkmcnt(1)
	v_mul_f64 v[22:23], v[16:17], v[36:37]
	v_fma_f64 v[22:23], v[14:15], v[34:35], -v[22:23]
	v_mul_f64 v[14:15], v[14:15], v[36:37]
	v_fmac_f64_e32 v[14:15], v[16:17], v[34:35]
	v_add_f64 v[20:21], v[20:21], -v[14:15]
	s_waitcnt lgkmcnt(0)
	v_mul_f64 v[14:15], v[4:5], v[28:29]
	v_add_f64 v[18:19], v[18:19], -v[22:23]
	v_fma_f64 v[22:23], v[2:3], v[26:27], -v[14:15]
	v_mul_f64 v[2:3], v[2:3], v[28:29]
	ds_read_b128 v[14:17], v74 offset:144
	v_fmac_f64_e32 v[2:3], v[4:5], v[26:27]
	v_add_f64 v[20:21], v[20:21], -v[2:3]
	ds_read_b128 v[2:5], v74 offset:160
	v_add_f64 v[18:19], v[18:19], -v[22:23]
	s_waitcnt lgkmcnt(1)
	v_mul_f64 v[22:23], v[16:17], v[12:13]
	v_fma_f64 v[22:23], v[14:15], v[10:11], -v[22:23]
	v_mul_f64 v[12:13], v[14:15], v[12:13]
	s_waitcnt lgkmcnt(0)
	v_mul_f64 v[14:15], v[4:5], v[62:63]
	v_fmac_f64_e32 v[12:13], v[16:17], v[10:11]
	v_fma_f64 v[14:15], v[2:3], v[60:61], -v[14:15]
	v_mul_f64 v[2:3], v[2:3], v[62:63]
	v_add_f64 v[12:13], v[20:21], -v[12:13]
	v_fmac_f64_e32 v[2:3], v[4:5], v[60:61]
	v_add_f64 v[10:11], v[18:19], -v[22:23]
	v_add_f64 v[4:5], v[12:13], -v[2:3]
	;; [unrolled: 1-line block ×3, first 2 shown]
	v_mul_f64 v[2:3], v[8:9], v[4:5]
	v_mul_f64 v[4:5], v[6:7], v[4:5]
	v_fma_f64 v[2:3], v[6:7], v[10:11], -v[2:3]
	v_fmac_f64_e32 v[4:5], v[8:9], v[10:11]
	ds_write_b128 v54, v[2:5]
.LBB214_23:
	s_cmp_ge_i32 s10, s24
	s_cbranch_scc1 .LBB214_28
; %bb.24:
	v_mov_b32_e32 v2, 0x1000
	s_lshl_b32 s4, s10, 8
	v_lshl_or_b32 v6, v0, 4, v2
	s_branch .LBB214_26
.LBB214_25:                             ;   in Loop: Header=BB214_26 Depth=1
	s_mul_i32 s5, s10, 0x110
	v_mov_b32_e32 v8, s5
	ds_read_b128 v[8:11], v8
	s_add_i32 s10, s10, 1
	s_addk_i32 s4, 0x100
	s_cmp_ge_i32 s10, s24
	s_waitcnt lgkmcnt(0)
	v_mul_f64 v[12:13], v[10:11], v[4:5]
	v_mul_f64 v[14:15], v[8:9], v[4:5]
	v_fma_f64 v[12:13], v[8:9], v[2:3], -v[12:13]
	v_fmac_f64_e32 v[14:15], v[10:11], v[2:3]
	ds_write_b128 v7, v[12:15]
	s_cbranch_scc1 .LBB214_28
.LBB214_26:                             ; =>This Loop Header: Depth=1
                                        ;     Child Loop BB214_27 Depth 2
	s_lshl_b32 s5, s10, 8
	v_add_u32_e32 v7, s5, v1
	ds_read_b128 v[2:5], v7
	s_cmp_eq_u32 s10, 0
	v_mov_b32_e32 v8, v6
	s_mov_b32 s5, s10
	s_mov_b32 s6, s4
	s_cbranch_scc1 .LBB214_25
.LBB214_27:                             ;   Parent Loop BB214_26 Depth=1
                                        ; =>  This Inner Loop Header: Depth=2
	v_mov_b32_e32 v9, s6
	ds_read_b128 v[10:13], v8
	ds_read_b128 v[14:17], v9
	s_add_i32 s6, s6, 16
	s_add_i32 s5, s5, -1
	v_add_u32_e32 v8, 0x100, v8
	s_cmp_lg_u32 s5, 0
	s_waitcnt lgkmcnt(0)
	v_mul_f64 v[18:19], v[12:13], v[16:17]
	v_mul_f64 v[16:17], v[10:11], v[16:17]
	v_fma_f64 v[10:11], v[10:11], v[14:15], -v[18:19]
	v_fmac_f64_e32 v[16:17], v[12:13], v[14:15]
	v_add_f64 v[2:3], v[2:3], -v[10:11]
	v_add_f64 v[4:5], v[4:5], -v[16:17]
	s_cbranch_scc1 .LBB214_27
	s_branch .LBB214_25
.LBB214_28:
	s_mov_b64 s[4:5], 0
.LBB214_29:
	s_and_b64 vcc, exec, s[4:5]
	s_cbranch_vccz .LBB214_51
; %bb.30:
	s_add_i32 s4, s24, -1
	s_cmp_gt_i32 s14, 15
	s_mov_b32 s5, s4
	s_cbranch_scc0 .LBB214_32
; %bb.31:
	v_mov_b32_e32 v66, 0
	ds_read_b128 v[38:41], v1 offset:3840
	ds_read_b128 v[42:45], v1 offset:3584
	ds_read_b128 v[50:53], v1 offset:3328
	ds_read_b128 v[54:57], v1 offset:3072
	ds_read_b128 v[68:71], v1 offset:2816
	ds_read_b128 v[30:33], v1 offset:2560
	ds_read_b128 v[26:29], v1 offset:2304
	ds_read_b128 v[34:37], v1 offset:2048
	ds_read_b128 v[46:49], v1 offset:1792
	ds_read_b128 v[22:25], v1 offset:1536
	ds_read_b128 v[18:21], v1 offset:1280
	ds_read_b128 v[2:5], v1 offset:1024
	ds_read_b128 v[10:13], v1 offset:768
	ds_read_b128 v[6:9], v1 offset:512
	ds_read_b128 v[14:17], v1 offset:256
	ds_read_b128 v[58:61], v1
	ds_read_b128 v[72:75], v66 offset:4080
	s_mov_b32 s5, -1
	s_waitcnt lgkmcnt(0)
	v_mul_f64 v[62:63], v[74:75], v[40:41]
	v_mul_f64 v[64:65], v[72:73], v[40:41]
	v_fma_f64 v[62:63], v[72:73], v[38:39], -v[62:63]
	v_fmac_f64_e32 v[64:65], v[74:75], v[38:39]
	ds_read_b128 v[38:41], v66 offset:4064
	ds_write_b128 v1, v[62:65] offset:3840
	s_waitcnt lgkmcnt(1)
	v_mul_f64 v[72:73], v[40:41], v[64:65]
	v_fma_f64 v[72:73], v[38:39], v[62:63], -v[72:73]
	v_mul_f64 v[38:39], v[38:39], v[64:65]
	v_fmac_f64_e32 v[38:39], v[40:41], v[62:63]
	v_add_f64 v[72:73], v[42:43], -v[72:73]
	ds_read_b128 v[40:43], v66 offset:3808
	v_add_f64 v[44:45], v[44:45], -v[38:39]
	s_waitcnt lgkmcnt(0)
	v_mul_f64 v[38:39], v[42:43], v[44:45]
	v_fma_f64 v[38:39], v[40:41], v[72:73], -v[38:39]
	v_mul_f64 v[40:41], v[40:41], v[44:45]
	v_fmac_f64_e32 v[40:41], v[42:43], v[72:73]
	ds_read_b128 v[42:45], v66 offset:4048
	ds_write_b128 v1, v[38:41] offset:3584
	s_waitcnt lgkmcnt(1)
	v_mul_f64 v[72:73], v[44:45], v[64:65]
	v_fma_f64 v[72:73], v[42:43], v[62:63], -v[72:73]
	v_mul_f64 v[42:43], v[42:43], v[64:65]
	v_fmac_f64_e32 v[42:43], v[44:45], v[62:63]
	v_add_f64 v[52:53], v[52:53], -v[42:43]
	ds_read_b128 v[42:45], v66 offset:3792
	v_add_f64 v[50:51], v[50:51], -v[72:73]
	s_waitcnt lgkmcnt(0)
	v_mul_f64 v[72:73], v[44:45], v[40:41]
	v_fma_f64 v[72:73], v[42:43], v[38:39], -v[72:73]
	v_mul_f64 v[42:43], v[42:43], v[40:41]
	v_fmac_f64_e32 v[42:43], v[44:45], v[38:39]
	v_add_f64 v[72:73], v[50:51], -v[72:73]
	v_add_f64 v[44:45], v[52:53], -v[42:43]
	ds_read_b128 v[50:53], v66 offset:3536
	s_waitcnt lgkmcnt(0)
	v_mul_f64 v[42:43], v[52:53], v[44:45]
	v_mul_f64 v[44:45], v[50:51], v[44:45]
	v_fma_f64 v[42:43], v[50:51], v[72:73], -v[42:43]
	v_fmac_f64_e32 v[44:45], v[52:53], v[72:73]
	ds_read_b128 v[50:53], v66 offset:4032
	ds_write_b128 v1, v[42:45] offset:3328
	s_waitcnt lgkmcnt(1)
	v_mul_f64 v[72:73], v[52:53], v[64:65]
	v_fma_f64 v[72:73], v[50:51], v[62:63], -v[72:73]
	v_mul_f64 v[50:51], v[50:51], v[64:65]
	v_fmac_f64_e32 v[50:51], v[52:53], v[62:63]
	v_add_f64 v[56:57], v[56:57], -v[50:51]
	ds_read_b128 v[50:53], v66 offset:3776
	v_add_f64 v[54:55], v[54:55], -v[72:73]
	s_waitcnt lgkmcnt(0)
	v_mul_f64 v[72:73], v[52:53], v[40:41]
	v_fma_f64 v[72:73], v[50:51], v[38:39], -v[72:73]
	v_mul_f64 v[50:51], v[50:51], v[40:41]
	v_fmac_f64_e32 v[50:51], v[52:53], v[38:39]
	v_add_f64 v[56:57], v[56:57], -v[50:51]
	ds_read_b128 v[50:53], v66 offset:3520
	v_add_f64 v[54:55], v[54:55], -v[72:73]
	;; [unrolled: 8-line block ×3, first 2 shown]
	s_waitcnt lgkmcnt(0)
	v_mul_f64 v[50:51], v[54:55], v[56:57]
	v_fma_f64 v[50:51], v[52:53], v[72:73], -v[50:51]
	v_mul_f64 v[52:53], v[52:53], v[56:57]
	v_fmac_f64_e32 v[52:53], v[54:55], v[72:73]
	ds_read_b128 v[54:57], v66 offset:4016
	ds_write_b128 v1, v[50:53] offset:3072
	s_waitcnt lgkmcnt(1)
	v_mul_f64 v[72:73], v[56:57], v[64:65]
	v_fma_f64 v[72:73], v[54:55], v[62:63], -v[72:73]
	v_mul_f64 v[54:55], v[54:55], v[64:65]
	v_fmac_f64_e32 v[54:55], v[56:57], v[62:63]
	v_add_f64 v[70:71], v[70:71], -v[54:55]
	ds_read_b128 v[54:57], v66 offset:3760
	v_add_f64 v[68:69], v[68:69], -v[72:73]
	s_waitcnt lgkmcnt(0)
	v_mul_f64 v[72:73], v[56:57], v[40:41]
	v_fma_f64 v[72:73], v[54:55], v[38:39], -v[72:73]
	v_mul_f64 v[54:55], v[54:55], v[40:41]
	v_fmac_f64_e32 v[54:55], v[56:57], v[38:39]
	v_add_f64 v[70:71], v[70:71], -v[54:55]
	ds_read_b128 v[54:57], v66 offset:3504
	v_add_f64 v[68:69], v[68:69], -v[72:73]
	;; [unrolled: 8-line block ×3, first 2 shown]
	s_waitcnt lgkmcnt(0)
	v_mul_f64 v[72:73], v[56:57], v[52:53]
	v_fma_f64 v[72:73], v[54:55], v[50:51], -v[72:73]
	v_mul_f64 v[54:55], v[54:55], v[52:53]
	v_fmac_f64_e32 v[54:55], v[56:57], v[50:51]
	v_add_f64 v[72:73], v[68:69], -v[72:73]
	v_add_f64 v[56:57], v[70:71], -v[54:55]
	ds_read_b128 v[68:71], v66 offset:2992
	s_waitcnt lgkmcnt(0)
	v_mul_f64 v[54:55], v[70:71], v[56:57]
	v_mul_f64 v[56:57], v[68:69], v[56:57]
	v_fma_f64 v[54:55], v[68:69], v[72:73], -v[54:55]
	v_fmac_f64_e32 v[56:57], v[70:71], v[72:73]
	ds_read_b128 v[68:71], v66 offset:4000
	ds_write_b128 v1, v[54:57] offset:2816
	s_waitcnt lgkmcnt(1)
	v_mul_f64 v[72:73], v[70:71], v[64:65]
	v_fma_f64 v[72:73], v[68:69], v[62:63], -v[72:73]
	v_mul_f64 v[68:69], v[68:69], v[64:65]
	v_fmac_f64_e32 v[68:69], v[70:71], v[62:63]
	v_add_f64 v[70:71], v[30:31], -v[72:73]
	v_add_f64 v[68:69], v[32:33], -v[68:69]
	ds_read_b128 v[30:33], v66 offset:3744
	s_waitcnt lgkmcnt(0)
	v_mul_f64 v[72:73], v[32:33], v[40:41]
	v_fma_f64 v[72:73], v[30:31], v[38:39], -v[72:73]
	v_mul_f64 v[30:31], v[30:31], v[40:41]
	v_fmac_f64_e32 v[30:31], v[32:33], v[38:39]
	v_add_f64 v[68:69], v[68:69], -v[30:31]
	ds_read_b128 v[30:33], v66 offset:3488
	v_add_f64 v[70:71], v[70:71], -v[72:73]
	s_waitcnt lgkmcnt(0)
	v_mul_f64 v[72:73], v[32:33], v[44:45]
	v_fma_f64 v[72:73], v[30:31], v[42:43], -v[72:73]
	v_mul_f64 v[30:31], v[30:31], v[44:45]
	v_fmac_f64_e32 v[30:31], v[32:33], v[42:43]
	v_add_f64 v[68:69], v[68:69], -v[30:31]
	ds_read_b128 v[30:33], v66 offset:3232
	v_add_f64 v[70:71], v[70:71], -v[72:73]
	;; [unrolled: 8-line block ×3, first 2 shown]
	s_waitcnt lgkmcnt(0)
	v_mul_f64 v[72:73], v[32:33], v[56:57]
	v_fma_f64 v[72:73], v[30:31], v[54:55], -v[72:73]
	v_mul_f64 v[30:31], v[30:31], v[56:57]
	v_fmac_f64_e32 v[30:31], v[32:33], v[54:55]
	v_add_f64 v[72:73], v[70:71], -v[72:73]
	v_add_f64 v[32:33], v[68:69], -v[30:31]
	ds_read_b128 v[68:71], v66 offset:2720
	s_waitcnt lgkmcnt(0)
	v_mul_f64 v[30:31], v[70:71], v[32:33]
	v_mul_f64 v[32:33], v[68:69], v[32:33]
	v_fma_f64 v[30:31], v[68:69], v[72:73], -v[30:31]
	v_fmac_f64_e32 v[32:33], v[70:71], v[72:73]
	ds_read_b128 v[68:71], v66 offset:3984
	ds_write_b128 v1, v[30:33] offset:2560
	s_waitcnt lgkmcnt(1)
	v_mul_f64 v[72:73], v[70:71], v[64:65]
	v_fma_f64 v[72:73], v[68:69], v[62:63], -v[72:73]
	v_mul_f64 v[68:69], v[68:69], v[64:65]
	v_fmac_f64_e32 v[68:69], v[70:71], v[62:63]
	v_add_f64 v[70:71], v[26:27], -v[72:73]
	v_add_f64 v[68:69], v[28:29], -v[68:69]
	ds_read_b128 v[26:29], v66 offset:3728
	s_waitcnt lgkmcnt(0)
	v_mul_f64 v[72:73], v[28:29], v[40:41]
	v_fma_f64 v[72:73], v[26:27], v[38:39], -v[72:73]
	v_mul_f64 v[26:27], v[26:27], v[40:41]
	v_fmac_f64_e32 v[26:27], v[28:29], v[38:39]
	v_add_f64 v[68:69], v[68:69], -v[26:27]
	ds_read_b128 v[26:29], v66 offset:3472
	v_add_f64 v[70:71], v[70:71], -v[72:73]
	s_waitcnt lgkmcnt(0)
	v_mul_f64 v[72:73], v[28:29], v[44:45]
	v_fma_f64 v[72:73], v[26:27], v[42:43], -v[72:73]
	v_mul_f64 v[26:27], v[26:27], v[44:45]
	v_fmac_f64_e32 v[26:27], v[28:29], v[42:43]
	v_add_f64 v[68:69], v[68:69], -v[26:27]
	ds_read_b128 v[26:29], v66 offset:3216
	v_add_f64 v[70:71], v[70:71], -v[72:73]
	;; [unrolled: 8-line block ×4, first 2 shown]
	s_waitcnt lgkmcnt(0)
	v_mul_f64 v[72:73], v[28:29], v[32:33]
	v_fma_f64 v[72:73], v[26:27], v[30:31], -v[72:73]
	v_mul_f64 v[26:27], v[26:27], v[32:33]
	v_fmac_f64_e32 v[26:27], v[28:29], v[30:31]
	v_add_f64 v[72:73], v[70:71], -v[72:73]
	v_add_f64 v[28:29], v[68:69], -v[26:27]
	ds_read_b128 v[68:71], v66 offset:2448
	s_waitcnt lgkmcnt(0)
	v_mul_f64 v[26:27], v[70:71], v[28:29]
	v_mul_f64 v[28:29], v[68:69], v[28:29]
	v_fma_f64 v[26:27], v[68:69], v[72:73], -v[26:27]
	v_fmac_f64_e32 v[28:29], v[70:71], v[72:73]
	ds_read_b128 v[68:71], v66 offset:3968
	ds_write_b128 v1, v[26:29] offset:2304
	s_waitcnt lgkmcnt(1)
	v_mul_f64 v[72:73], v[70:71], v[64:65]
	v_fma_f64 v[72:73], v[68:69], v[62:63], -v[72:73]
	v_mul_f64 v[68:69], v[68:69], v[64:65]
	v_fmac_f64_e32 v[68:69], v[70:71], v[62:63]
	v_add_f64 v[70:71], v[34:35], -v[72:73]
	v_add_f64 v[68:69], v[36:37], -v[68:69]
	ds_read_b128 v[34:37], v66 offset:3712
	s_waitcnt lgkmcnt(0)
	v_mul_f64 v[72:73], v[36:37], v[40:41]
	v_fma_f64 v[72:73], v[34:35], v[38:39], -v[72:73]
	v_mul_f64 v[34:35], v[34:35], v[40:41]
	v_fmac_f64_e32 v[34:35], v[36:37], v[38:39]
	v_add_f64 v[68:69], v[68:69], -v[34:35]
	ds_read_b128 v[34:37], v66 offset:3456
	v_add_f64 v[70:71], v[70:71], -v[72:73]
	s_waitcnt lgkmcnt(0)
	v_mul_f64 v[72:73], v[36:37], v[44:45]
	v_fma_f64 v[72:73], v[34:35], v[42:43], -v[72:73]
	v_mul_f64 v[34:35], v[34:35], v[44:45]
	v_fmac_f64_e32 v[34:35], v[36:37], v[42:43]
	v_add_f64 v[68:69], v[68:69], -v[34:35]
	ds_read_b128 v[34:37], v66 offset:3200
	v_add_f64 v[70:71], v[70:71], -v[72:73]
	;; [unrolled: 8-line block ×5, first 2 shown]
	s_waitcnt lgkmcnt(0)
	v_mul_f64 v[72:73], v[36:37], v[28:29]
	v_fma_f64 v[72:73], v[34:35], v[26:27], -v[72:73]
	v_mul_f64 v[34:35], v[34:35], v[28:29]
	v_fmac_f64_e32 v[34:35], v[36:37], v[26:27]
	v_add_f64 v[72:73], v[70:71], -v[72:73]
	v_add_f64 v[36:37], v[68:69], -v[34:35]
	ds_read_b128 v[68:71], v66 offset:2176
	s_waitcnt lgkmcnt(0)
	v_mul_f64 v[34:35], v[70:71], v[36:37]
	v_mul_f64 v[36:37], v[68:69], v[36:37]
	v_fma_f64 v[34:35], v[68:69], v[72:73], -v[34:35]
	v_fmac_f64_e32 v[36:37], v[70:71], v[72:73]
	ds_read_b128 v[68:71], v66 offset:3952
	ds_write_b128 v1, v[34:37] offset:2048
	s_waitcnt lgkmcnt(1)
	v_mul_f64 v[72:73], v[70:71], v[64:65]
	v_fma_f64 v[72:73], v[68:69], v[62:63], -v[72:73]
	v_mul_f64 v[68:69], v[68:69], v[64:65]
	v_fmac_f64_e32 v[68:69], v[70:71], v[62:63]
	v_add_f64 v[70:71], v[46:47], -v[72:73]
	v_add_f64 v[68:69], v[48:49], -v[68:69]
	ds_read_b128 v[46:49], v66 offset:3696
	s_waitcnt lgkmcnt(0)
	v_mul_f64 v[72:73], v[48:49], v[40:41]
	v_fma_f64 v[72:73], v[46:47], v[38:39], -v[72:73]
	v_mul_f64 v[46:47], v[46:47], v[40:41]
	v_fmac_f64_e32 v[46:47], v[48:49], v[38:39]
	v_add_f64 v[68:69], v[68:69], -v[46:47]
	ds_read_b128 v[46:49], v66 offset:3440
	v_add_f64 v[70:71], v[70:71], -v[72:73]
	s_waitcnt lgkmcnt(0)
	v_mul_f64 v[72:73], v[48:49], v[44:45]
	v_fma_f64 v[72:73], v[46:47], v[42:43], -v[72:73]
	v_mul_f64 v[46:47], v[46:47], v[44:45]
	v_fmac_f64_e32 v[46:47], v[48:49], v[42:43]
	v_add_f64 v[68:69], v[68:69], -v[46:47]
	ds_read_b128 v[46:49], v66 offset:3184
	v_add_f64 v[70:71], v[70:71], -v[72:73]
	s_waitcnt lgkmcnt(0)
	v_mul_f64 v[72:73], v[48:49], v[52:53]
	v_fma_f64 v[72:73], v[46:47], v[50:51], -v[72:73]
	v_mul_f64 v[46:47], v[46:47], v[52:53]
	v_fmac_f64_e32 v[46:47], v[48:49], v[50:51]
	v_add_f64 v[68:69], v[68:69], -v[46:47]
	ds_read_b128 v[46:49], v66 offset:2928
	v_add_f64 v[70:71], v[70:71], -v[72:73]
	s_waitcnt lgkmcnt(0)
	v_mul_f64 v[72:73], v[48:49], v[56:57]
	v_fma_f64 v[72:73], v[46:47], v[54:55], -v[72:73]
	v_mul_f64 v[46:47], v[46:47], v[56:57]
	v_fmac_f64_e32 v[46:47], v[48:49], v[54:55]
	v_add_f64 v[68:69], v[68:69], -v[46:47]
	ds_read_b128 v[46:49], v66 offset:2672
	v_add_f64 v[70:71], v[70:71], -v[72:73]
	s_waitcnt lgkmcnt(0)
	v_mul_f64 v[72:73], v[48:49], v[32:33]
	v_fma_f64 v[72:73], v[46:47], v[30:31], -v[72:73]
	v_mul_f64 v[46:47], v[46:47], v[32:33]
	v_fmac_f64_e32 v[46:47], v[48:49], v[30:31]
	v_add_f64 v[68:69], v[68:69], -v[46:47]
	ds_read_b128 v[46:49], v66 offset:2416
	v_add_f64 v[70:71], v[70:71], -v[72:73]
	s_waitcnt lgkmcnt(0)
	v_mul_f64 v[72:73], v[48:49], v[28:29]
	v_fma_f64 v[72:73], v[46:47], v[26:27], -v[72:73]
	v_mul_f64 v[46:47], v[46:47], v[28:29]
	v_fmac_f64_e32 v[46:47], v[48:49], v[26:27]
	v_add_f64 v[68:69], v[68:69], -v[46:47]
	ds_read_b128 v[46:49], v66 offset:2160
	v_add_f64 v[70:71], v[70:71], -v[72:73]
	s_waitcnt lgkmcnt(0)
	v_mul_f64 v[72:73], v[48:49], v[36:37]
	v_fma_f64 v[72:73], v[46:47], v[34:35], -v[72:73]
	v_mul_f64 v[46:47], v[46:47], v[36:37]
	v_fmac_f64_e32 v[46:47], v[48:49], v[34:35]
	v_add_f64 v[72:73], v[70:71], -v[72:73]
	v_add_f64 v[48:49], v[68:69], -v[46:47]
	ds_read_b128 v[68:71], v66 offset:1904
	s_waitcnt lgkmcnt(0)
	v_mul_f64 v[46:47], v[70:71], v[48:49]
	v_mul_f64 v[48:49], v[68:69], v[48:49]
	v_fma_f64 v[46:47], v[68:69], v[72:73], -v[46:47]
	v_fmac_f64_e32 v[48:49], v[70:71], v[72:73]
	ds_read_b128 v[68:71], v66 offset:3936
	ds_write_b128 v1, v[46:49] offset:1792
	s_waitcnt lgkmcnt(1)
	v_mul_f64 v[72:73], v[70:71], v[64:65]
	v_fma_f64 v[72:73], v[68:69], v[62:63], -v[72:73]
	v_mul_f64 v[68:69], v[68:69], v[64:65]
	v_fmac_f64_e32 v[68:69], v[70:71], v[62:63]
	v_add_f64 v[70:71], v[22:23], -v[72:73]
	v_add_f64 v[68:69], v[24:25], -v[68:69]
	ds_read_b128 v[22:25], v66 offset:3680
	s_waitcnt lgkmcnt(0)
	v_mul_f64 v[72:73], v[24:25], v[40:41]
	v_fma_f64 v[72:73], v[22:23], v[38:39], -v[72:73]
	v_mul_f64 v[22:23], v[22:23], v[40:41]
	v_fmac_f64_e32 v[22:23], v[24:25], v[38:39]
	v_add_f64 v[68:69], v[68:69], -v[22:23]
	ds_read_b128 v[22:25], v66 offset:3424
	v_add_f64 v[70:71], v[70:71], -v[72:73]
	s_waitcnt lgkmcnt(0)
	v_mul_f64 v[72:73], v[24:25], v[44:45]
	v_fma_f64 v[72:73], v[22:23], v[42:43], -v[72:73]
	v_mul_f64 v[22:23], v[22:23], v[44:45]
	v_fmac_f64_e32 v[22:23], v[24:25], v[42:43]
	v_add_f64 v[68:69], v[68:69], -v[22:23]
	ds_read_b128 v[22:25], v66 offset:3168
	v_add_f64 v[70:71], v[70:71], -v[72:73]
	;; [unrolled: 8-line block ×7, first 2 shown]
	s_waitcnt lgkmcnt(0)
	v_mul_f64 v[72:73], v[24:25], v[48:49]
	v_fma_f64 v[72:73], v[22:23], v[46:47], -v[72:73]
	v_mul_f64 v[22:23], v[22:23], v[48:49]
	v_fmac_f64_e32 v[22:23], v[24:25], v[46:47]
	v_add_f64 v[72:73], v[70:71], -v[72:73]
	v_add_f64 v[24:25], v[68:69], -v[22:23]
	ds_read_b128 v[68:71], v66 offset:1632
	s_waitcnt lgkmcnt(0)
	v_mul_f64 v[22:23], v[70:71], v[24:25]
	v_mul_f64 v[24:25], v[68:69], v[24:25]
	v_fma_f64 v[22:23], v[68:69], v[72:73], -v[22:23]
	v_fmac_f64_e32 v[24:25], v[70:71], v[72:73]
	ds_read_b128 v[68:71], v66 offset:3920
	ds_write_b128 v1, v[22:25] offset:1536
	s_waitcnt lgkmcnt(1)
	v_mul_f64 v[72:73], v[70:71], v[64:65]
	v_fma_f64 v[72:73], v[68:69], v[62:63], -v[72:73]
	v_mul_f64 v[68:69], v[68:69], v[64:65]
	v_fmac_f64_e32 v[68:69], v[70:71], v[62:63]
	v_add_f64 v[70:71], v[18:19], -v[72:73]
	v_add_f64 v[68:69], v[20:21], -v[68:69]
	ds_read_b128 v[18:21], v66 offset:3664
	s_waitcnt lgkmcnt(0)
	v_mul_f64 v[72:73], v[20:21], v[40:41]
	v_fma_f64 v[72:73], v[18:19], v[38:39], -v[72:73]
	v_mul_f64 v[18:19], v[18:19], v[40:41]
	v_fmac_f64_e32 v[18:19], v[20:21], v[38:39]
	v_add_f64 v[68:69], v[68:69], -v[18:19]
	ds_read_b128 v[18:21], v66 offset:3408
	v_add_f64 v[70:71], v[70:71], -v[72:73]
	s_waitcnt lgkmcnt(0)
	v_mul_f64 v[72:73], v[20:21], v[44:45]
	v_fma_f64 v[72:73], v[18:19], v[42:43], -v[72:73]
	v_mul_f64 v[18:19], v[18:19], v[44:45]
	v_fmac_f64_e32 v[18:19], v[20:21], v[42:43]
	v_add_f64 v[68:69], v[68:69], -v[18:19]
	ds_read_b128 v[18:21], v66 offset:3152
	v_add_f64 v[70:71], v[70:71], -v[72:73]
	;; [unrolled: 8-line block ×8, first 2 shown]
	s_waitcnt lgkmcnt(0)
	v_mul_f64 v[72:73], v[20:21], v[24:25]
	v_fma_f64 v[72:73], v[18:19], v[22:23], -v[72:73]
	v_mul_f64 v[18:19], v[18:19], v[24:25]
	v_fmac_f64_e32 v[18:19], v[20:21], v[22:23]
	v_add_f64 v[72:73], v[70:71], -v[72:73]
	v_add_f64 v[20:21], v[68:69], -v[18:19]
	ds_read_b128 v[68:71], v66 offset:1360
	s_waitcnt lgkmcnt(0)
	v_mul_f64 v[18:19], v[70:71], v[20:21]
	v_mul_f64 v[20:21], v[68:69], v[20:21]
	v_fma_f64 v[18:19], v[68:69], v[72:73], -v[18:19]
	v_fmac_f64_e32 v[20:21], v[70:71], v[72:73]
	ds_read_b128 v[68:71], v66 offset:3904
	ds_write_b128 v1, v[18:21] offset:1280
	s_waitcnt lgkmcnt(1)
	v_mul_f64 v[72:73], v[70:71], v[64:65]
	v_fma_f64 v[72:73], v[68:69], v[62:63], -v[72:73]
	v_mul_f64 v[68:69], v[68:69], v[64:65]
	v_fmac_f64_e32 v[68:69], v[70:71], v[62:63]
	v_add_f64 v[70:71], v[2:3], -v[72:73]
	v_add_f64 v[68:69], v[4:5], -v[68:69]
	ds_read_b128 v[2:5], v66 offset:3648
	s_waitcnt lgkmcnt(0)
	v_mul_f64 v[72:73], v[4:5], v[40:41]
	v_fma_f64 v[72:73], v[2:3], v[38:39], -v[72:73]
	v_mul_f64 v[2:3], v[2:3], v[40:41]
	v_fmac_f64_e32 v[2:3], v[4:5], v[38:39]
	v_add_f64 v[68:69], v[68:69], -v[2:3]
	ds_read_b128 v[2:5], v66 offset:3392
	v_add_f64 v[70:71], v[70:71], -v[72:73]
	s_waitcnt lgkmcnt(0)
	v_mul_f64 v[72:73], v[4:5], v[44:45]
	v_fma_f64 v[72:73], v[2:3], v[42:43], -v[72:73]
	v_mul_f64 v[2:3], v[2:3], v[44:45]
	v_fmac_f64_e32 v[2:3], v[4:5], v[42:43]
	v_add_f64 v[68:69], v[68:69], -v[2:3]
	ds_read_b128 v[2:5], v66 offset:3136
	v_add_f64 v[70:71], v[70:71], -v[72:73]
	s_waitcnt lgkmcnt(0)
	v_mul_f64 v[72:73], v[4:5], v[52:53]
	v_fma_f64 v[72:73], v[2:3], v[50:51], -v[72:73]
	v_mul_f64 v[2:3], v[2:3], v[52:53]
	v_fmac_f64_e32 v[2:3], v[4:5], v[50:51]
	v_add_f64 v[68:69], v[68:69], -v[2:3]
	ds_read_b128 v[2:5], v66 offset:2880
	v_add_f64 v[70:71], v[70:71], -v[72:73]
	s_waitcnt lgkmcnt(0)
	v_mul_f64 v[72:73], v[4:5], v[56:57]
	v_fma_f64 v[72:73], v[2:3], v[54:55], -v[72:73]
	v_mul_f64 v[2:3], v[2:3], v[56:57]
	v_fmac_f64_e32 v[2:3], v[4:5], v[54:55]
	v_add_f64 v[68:69], v[68:69], -v[2:3]
	ds_read_b128 v[2:5], v66 offset:2624
	v_add_f64 v[70:71], v[70:71], -v[72:73]
	s_waitcnt lgkmcnt(0)
	v_mul_f64 v[72:73], v[4:5], v[32:33]
	v_fma_f64 v[72:73], v[2:3], v[30:31], -v[72:73]
	v_mul_f64 v[2:3], v[2:3], v[32:33]
	v_fmac_f64_e32 v[2:3], v[4:5], v[30:31]
	v_add_f64 v[68:69], v[68:69], -v[2:3]
	ds_read_b128 v[2:5], v66 offset:2368
	v_add_f64 v[70:71], v[70:71], -v[72:73]
	s_waitcnt lgkmcnt(0)
	v_mul_f64 v[72:73], v[4:5], v[28:29]
	v_fma_f64 v[72:73], v[2:3], v[26:27], -v[72:73]
	v_mul_f64 v[2:3], v[2:3], v[28:29]
	v_fmac_f64_e32 v[2:3], v[4:5], v[26:27]
	v_add_f64 v[68:69], v[68:69], -v[2:3]
	ds_read_b128 v[2:5], v66 offset:2112
	v_add_f64 v[70:71], v[70:71], -v[72:73]
	s_waitcnt lgkmcnt(0)
	v_mul_f64 v[72:73], v[4:5], v[36:37]
	v_fma_f64 v[72:73], v[2:3], v[34:35], -v[72:73]
	v_mul_f64 v[2:3], v[2:3], v[36:37]
	v_fmac_f64_e32 v[2:3], v[4:5], v[34:35]
	v_add_f64 v[68:69], v[68:69], -v[2:3]
	ds_read_b128 v[2:5], v66 offset:1856
	v_add_f64 v[70:71], v[70:71], -v[72:73]
	s_waitcnt lgkmcnt(0)
	v_mul_f64 v[72:73], v[4:5], v[48:49]
	v_fma_f64 v[72:73], v[2:3], v[46:47], -v[72:73]
	v_mul_f64 v[2:3], v[2:3], v[48:49]
	v_fmac_f64_e32 v[2:3], v[4:5], v[46:47]
	v_add_f64 v[68:69], v[68:69], -v[2:3]
	ds_read_b128 v[2:5], v66 offset:1600
	v_add_f64 v[70:71], v[70:71], -v[72:73]
	s_waitcnt lgkmcnt(0)
	v_mul_f64 v[72:73], v[4:5], v[24:25]
	v_fma_f64 v[72:73], v[2:3], v[22:23], -v[72:73]
	v_mul_f64 v[2:3], v[2:3], v[24:25]
	v_fmac_f64_e32 v[2:3], v[4:5], v[22:23]
	v_add_f64 v[68:69], v[68:69], -v[2:3]
	ds_read_b128 v[2:5], v66 offset:1344
	v_add_f64 v[70:71], v[70:71], -v[72:73]
	s_waitcnt lgkmcnt(0)
	v_mul_f64 v[72:73], v[4:5], v[20:21]
	v_fma_f64 v[72:73], v[2:3], v[18:19], -v[72:73]
	v_mul_f64 v[2:3], v[2:3], v[20:21]
	v_fmac_f64_e32 v[2:3], v[4:5], v[18:19]
	v_add_f64 v[72:73], v[70:71], -v[72:73]
	v_add_f64 v[4:5], v[68:69], -v[2:3]
	ds_read_b128 v[68:71], v66 offset:1088
	s_waitcnt lgkmcnt(0)
	v_mul_f64 v[2:3], v[70:71], v[4:5]
	v_mul_f64 v[4:5], v[68:69], v[4:5]
	v_fma_f64 v[2:3], v[68:69], v[72:73], -v[2:3]
	v_fmac_f64_e32 v[4:5], v[70:71], v[72:73]
	ds_read_b128 v[68:71], v66 offset:3888
	ds_write_b128 v1, v[2:5] offset:1024
	s_waitcnt lgkmcnt(1)
	v_mul_f64 v[72:73], v[70:71], v[64:65]
	v_fma_f64 v[72:73], v[68:69], v[62:63], -v[72:73]
	v_mul_f64 v[68:69], v[68:69], v[64:65]
	v_fmac_f64_e32 v[68:69], v[70:71], v[62:63]
	v_add_f64 v[70:71], v[10:11], -v[72:73]
	v_add_f64 v[68:69], v[12:13], -v[68:69]
	ds_read_b128 v[10:13], v66 offset:3632
	s_waitcnt lgkmcnt(0)
	v_mul_f64 v[72:73], v[12:13], v[40:41]
	v_fma_f64 v[72:73], v[10:11], v[38:39], -v[72:73]
	v_mul_f64 v[10:11], v[10:11], v[40:41]
	v_fmac_f64_e32 v[10:11], v[12:13], v[38:39]
	v_add_f64 v[68:69], v[68:69], -v[10:11]
	ds_read_b128 v[10:13], v66 offset:3376
	v_add_f64 v[70:71], v[70:71], -v[72:73]
	s_waitcnt lgkmcnt(0)
	v_mul_f64 v[72:73], v[12:13], v[44:45]
	v_fma_f64 v[72:73], v[10:11], v[42:43], -v[72:73]
	v_mul_f64 v[10:11], v[10:11], v[44:45]
	v_fmac_f64_e32 v[10:11], v[12:13], v[42:43]
	v_add_f64 v[68:69], v[68:69], -v[10:11]
	ds_read_b128 v[10:13], v66 offset:3120
	v_add_f64 v[70:71], v[70:71], -v[72:73]
	;; [unrolled: 8-line block ×10, first 2 shown]
	s_waitcnt lgkmcnt(0)
	v_mul_f64 v[72:73], v[12:13], v[4:5]
	v_fma_f64 v[72:73], v[10:11], v[2:3], -v[72:73]
	v_mul_f64 v[10:11], v[10:11], v[4:5]
	v_fmac_f64_e32 v[10:11], v[12:13], v[2:3]
	v_add_f64 v[72:73], v[70:71], -v[72:73]
	v_add_f64 v[12:13], v[68:69], -v[10:11]
	ds_read_b128 v[68:71], v66 offset:816
	s_waitcnt lgkmcnt(0)
	v_mul_f64 v[10:11], v[70:71], v[12:13]
	v_mul_f64 v[12:13], v[68:69], v[12:13]
	v_fma_f64 v[10:11], v[68:69], v[72:73], -v[10:11]
	v_fmac_f64_e32 v[12:13], v[70:71], v[72:73]
	ds_read_b128 v[68:71], v66 offset:3872
	ds_write_b128 v1, v[10:13] offset:768
	s_waitcnt lgkmcnt(1)
	v_mul_f64 v[72:73], v[70:71], v[64:65]
	v_fma_f64 v[72:73], v[68:69], v[62:63], -v[72:73]
	v_mul_f64 v[68:69], v[68:69], v[64:65]
	v_fmac_f64_e32 v[68:69], v[70:71], v[62:63]
	v_add_f64 v[70:71], v[6:7], -v[72:73]
	v_add_f64 v[68:69], v[8:9], -v[68:69]
	ds_read_b128 v[6:9], v66 offset:3616
	s_waitcnt lgkmcnt(0)
	v_mul_f64 v[72:73], v[8:9], v[40:41]
	v_fma_f64 v[72:73], v[6:7], v[38:39], -v[72:73]
	v_mul_f64 v[6:7], v[6:7], v[40:41]
	v_fmac_f64_e32 v[6:7], v[8:9], v[38:39]
	v_add_f64 v[68:69], v[68:69], -v[6:7]
	ds_read_b128 v[6:9], v66 offset:3360
	v_add_f64 v[70:71], v[70:71], -v[72:73]
	s_waitcnt lgkmcnt(0)
	v_mul_f64 v[72:73], v[8:9], v[44:45]
	v_fma_f64 v[72:73], v[6:7], v[42:43], -v[72:73]
	v_mul_f64 v[6:7], v[6:7], v[44:45]
	v_fmac_f64_e32 v[6:7], v[8:9], v[42:43]
	v_add_f64 v[68:69], v[68:69], -v[6:7]
	ds_read_b128 v[6:9], v66 offset:3104
	v_add_f64 v[70:71], v[70:71], -v[72:73]
	;; [unrolled: 8-line block ×11, first 2 shown]
	s_waitcnt lgkmcnt(0)
	v_mul_f64 v[72:73], v[8:9], v[12:13]
	v_fma_f64 v[72:73], v[6:7], v[10:11], -v[72:73]
	v_mul_f64 v[6:7], v[6:7], v[12:13]
	v_fmac_f64_e32 v[6:7], v[8:9], v[10:11]
	v_add_f64 v[72:73], v[70:71], -v[72:73]
	v_add_f64 v[8:9], v[68:69], -v[6:7]
	ds_read_b128 v[68:71], v66 offset:544
	s_waitcnt lgkmcnt(0)
	v_mul_f64 v[6:7], v[70:71], v[8:9]
	v_mul_f64 v[8:9], v[68:69], v[8:9]
	v_fma_f64 v[6:7], v[68:69], v[72:73], -v[6:7]
	v_fmac_f64_e32 v[8:9], v[70:71], v[72:73]
	ds_read_b128 v[68:71], v66 offset:3856
	ds_write_b128 v1, v[6:9] offset:512
	s_waitcnt lgkmcnt(1)
	v_mul_f64 v[72:73], v[70:71], v[64:65]
	v_fma_f64 v[72:73], v[68:69], v[62:63], -v[72:73]
	v_mul_f64 v[68:69], v[68:69], v[64:65]
	v_fmac_f64_e32 v[68:69], v[70:71], v[62:63]
	v_add_f64 v[70:71], v[14:15], -v[72:73]
	v_add_f64 v[68:69], v[16:17], -v[68:69]
	ds_read_b128 v[14:17], v66 offset:3600
	s_waitcnt lgkmcnt(0)
	v_mul_f64 v[72:73], v[16:17], v[40:41]
	v_fma_f64 v[72:73], v[14:15], v[38:39], -v[72:73]
	v_mul_f64 v[14:15], v[14:15], v[40:41]
	v_fmac_f64_e32 v[14:15], v[16:17], v[38:39]
	v_add_f64 v[68:69], v[68:69], -v[14:15]
	ds_read_b128 v[14:17], v66 offset:3344
	v_add_f64 v[70:71], v[70:71], -v[72:73]
	s_waitcnt lgkmcnt(0)
	v_mul_f64 v[72:73], v[16:17], v[44:45]
	v_fma_f64 v[72:73], v[14:15], v[42:43], -v[72:73]
	v_mul_f64 v[14:15], v[14:15], v[44:45]
	v_fmac_f64_e32 v[14:15], v[16:17], v[42:43]
	v_add_f64 v[68:69], v[68:69], -v[14:15]
	ds_read_b128 v[14:17], v66 offset:3088
	v_add_f64 v[70:71], v[70:71], -v[72:73]
	;; [unrolled: 8-line block ×12, first 2 shown]
	s_waitcnt lgkmcnt(0)
	v_mul_f64 v[72:73], v[16:17], v[8:9]
	v_fma_f64 v[72:73], v[14:15], v[6:7], -v[72:73]
	v_mul_f64 v[14:15], v[14:15], v[8:9]
	v_fmac_f64_e32 v[14:15], v[16:17], v[6:7]
	v_add_f64 v[72:73], v[70:71], -v[72:73]
	v_add_f64 v[16:17], v[68:69], -v[14:15]
	ds_read_b128 v[68:71], v66 offset:272
	s_waitcnt lgkmcnt(0)
	v_mul_f64 v[14:15], v[70:71], v[16:17]
	v_mul_f64 v[16:17], v[68:69], v[16:17]
	v_fma_f64 v[14:15], v[68:69], v[72:73], -v[14:15]
	v_fmac_f64_e32 v[16:17], v[70:71], v[72:73]
	ds_read_b128 v[68:71], v66 offset:3840
	ds_write_b128 v1, v[14:17] offset:256
	s_waitcnt lgkmcnt(1)
	v_mul_f64 v[72:73], v[70:71], v[64:65]
	v_mul_f64 v[64:65], v[68:69], v[64:65]
	v_fmac_f64_e32 v[64:65], v[70:71], v[62:63]
	v_fma_f64 v[72:73], v[68:69], v[62:63], -v[72:73]
	v_add_f64 v[60:61], v[60:61], -v[64:65]
	ds_read_b128 v[62:65], v66 offset:3584
	v_add_f64 v[58:59], v[58:59], -v[72:73]
	s_waitcnt lgkmcnt(0)
	v_mul_f64 v[68:69], v[64:65], v[40:41]
	v_mul_f64 v[40:41], v[62:63], v[40:41]
	v_fmac_f64_e32 v[40:41], v[64:65], v[38:39]
	v_fma_f64 v[68:69], v[62:63], v[38:39], -v[68:69]
	v_add_f64 v[60:61], v[60:61], -v[40:41]
	ds_read_b128 v[38:41], v66 offset:3328
	v_add_f64 v[58:59], v[58:59], -v[68:69]
	s_waitcnt lgkmcnt(0)
	v_mul_f64 v[62:63], v[40:41], v[44:45]
	v_fma_f64 v[62:63], v[38:39], v[42:43], -v[62:63]
	v_mul_f64 v[38:39], v[38:39], v[44:45]
	v_fmac_f64_e32 v[38:39], v[40:41], v[42:43]
	v_add_f64 v[44:45], v[60:61], -v[38:39]
	ds_read_b128 v[38:41], v66 offset:3072
	v_add_f64 v[42:43], v[58:59], -v[62:63]
	s_waitcnt lgkmcnt(0)
	v_mul_f64 v[58:59], v[40:41], v[52:53]
	v_fma_f64 v[58:59], v[38:39], v[50:51], -v[58:59]
	v_mul_f64 v[38:39], v[38:39], v[52:53]
	v_fmac_f64_e32 v[38:39], v[40:41], v[50:51]
	;; [unrolled: 8-line block ×3, first 2 shown]
	v_add_f64 v[44:45], v[44:45], -v[38:39]
	ds_read_b128 v[38:41], v66 offset:2560
	v_add_f64 v[42:43], v[42:43], -v[50:51]
	s_waitcnt lgkmcnt(0)
	v_mul_f64 v[50:51], v[40:41], v[32:33]
	v_mul_f64 v[32:33], v[38:39], v[32:33]
	v_fmac_f64_e32 v[32:33], v[40:41], v[30:31]
	v_fma_f64 v[50:51], v[38:39], v[30:31], -v[50:51]
	v_add_f64 v[40:41], v[44:45], -v[32:33]
	ds_read_b128 v[30:33], v66 offset:2304
	v_add_f64 v[38:39], v[42:43], -v[50:51]
	s_waitcnt lgkmcnt(0)
	v_mul_f64 v[42:43], v[32:33], v[28:29]
	v_mul_f64 v[28:29], v[30:31], v[28:29]
	v_fmac_f64_e32 v[28:29], v[32:33], v[26:27]
	v_fma_f64 v[42:43], v[30:31], v[26:27], -v[42:43]
	v_add_f64 v[32:33], v[40:41], -v[28:29]
	ds_read_b128 v[26:29], v66 offset:2048
	v_add_f64 v[30:31], v[38:39], -v[42:43]
	s_waitcnt lgkmcnt(0)
	v_mul_f64 v[38:39], v[28:29], v[36:37]
	v_fma_f64 v[38:39], v[26:27], v[34:35], -v[38:39]
	v_mul_f64 v[26:27], v[26:27], v[36:37]
	v_fmac_f64_e32 v[26:27], v[28:29], v[34:35]
	v_add_f64 v[32:33], v[32:33], -v[26:27]
	ds_read_b128 v[26:29], v66 offset:1792
	v_add_f64 v[30:31], v[30:31], -v[38:39]
	s_waitcnt lgkmcnt(0)
	v_mul_f64 v[34:35], v[28:29], v[48:49]
	v_fma_f64 v[34:35], v[26:27], v[46:47], -v[34:35]
	v_mul_f64 v[26:27], v[26:27], v[48:49]
	v_fmac_f64_e32 v[26:27], v[28:29], v[46:47]
	v_add_f64 v[32:33], v[32:33], -v[26:27]
	ds_read_b128 v[26:29], v66 offset:1536
	v_add_f64 v[30:31], v[30:31], -v[34:35]
	s_waitcnt lgkmcnt(0)
	v_mul_f64 v[34:35], v[28:29], v[24:25]
	v_mul_f64 v[24:25], v[26:27], v[24:25]
	v_fmac_f64_e32 v[24:25], v[28:29], v[22:23]
	v_fma_f64 v[34:35], v[26:27], v[22:23], -v[34:35]
	v_add_f64 v[28:29], v[32:33], -v[24:25]
	ds_read_b128 v[22:25], v66 offset:1280
	v_add_f64 v[26:27], v[30:31], -v[34:35]
	s_waitcnt lgkmcnt(0)
	v_mul_f64 v[30:31], v[24:25], v[20:21]
	v_mul_f64 v[20:21], v[22:23], v[20:21]
	v_fma_f64 v[30:31], v[22:23], v[18:19], -v[30:31]
	v_fmac_f64_e32 v[20:21], v[24:25], v[18:19]
	ds_read_b128 v[22:25], v66 offset:1024
	v_add_f64 v[18:19], v[26:27], -v[30:31]
	v_add_f64 v[20:21], v[28:29], -v[20:21]
	s_waitcnt lgkmcnt(0)
	v_mul_f64 v[26:27], v[24:25], v[4:5]
	v_mul_f64 v[4:5], v[22:23], v[4:5]
	v_fmac_f64_e32 v[4:5], v[24:25], v[2:3]
	v_fma_f64 v[26:27], v[22:23], v[2:3], -v[26:27]
	v_add_f64 v[20:21], v[20:21], -v[4:5]
	ds_read_b128 v[2:5], v66 offset:768
	v_add_f64 v[18:19], v[18:19], -v[26:27]
	s_waitcnt lgkmcnt(0)
	v_mul_f64 v[22:23], v[4:5], v[12:13]
	v_fma_f64 v[22:23], v[2:3], v[10:11], -v[22:23]
	v_mul_f64 v[2:3], v[2:3], v[12:13]
	v_fmac_f64_e32 v[2:3], v[4:5], v[10:11]
	v_add_f64 v[12:13], v[20:21], -v[2:3]
	ds_read_b128 v[2:5], v66 offset:512
	v_add_f64 v[10:11], v[18:19], -v[22:23]
	s_waitcnt lgkmcnt(0)
	v_mul_f64 v[18:19], v[4:5], v[8:9]
	v_fma_f64 v[18:19], v[2:3], v[6:7], -v[18:19]
	v_mul_f64 v[2:3], v[2:3], v[8:9]
	v_fmac_f64_e32 v[2:3], v[4:5], v[6:7]
	;; [unrolled: 8-line block ×3, first 2 shown]
	v_add_f64 v[8:9], v[8:9], -v[2:3]
	ds_read_b128 v[2:5], v66
	v_add_f64 v[10:11], v[6:7], -v[10:11]
	s_waitcnt lgkmcnt(0)
	v_mul_f64 v[6:7], v[4:5], v[8:9]
	v_mul_f64 v[8:9], v[2:3], v[8:9]
	v_fma_f64 v[6:7], v[2:3], v[10:11], -v[6:7]
	v_fmac_f64_e32 v[8:9], v[4:5], v[10:11]
	ds_write_b128 v1, v[6:9]
.LBB214_32:
	s_cmp_gt_i32 s5, -1
	s_cbranch_scc0 .LBB214_51
; %bb.33:
	s_cmp_lt_u32 s5, 11
	s_cbranch_scc1 .LBB214_38
; %bb.34:
	s_lshl_b32 s6, s5, 8
	v_add_u32_e32 v54, s6, v1
	v_add_u32_e32 v2, 0xffffff00, v54
	ds_read_b128 v[50:53], v54
	ds_read_b128 v[18:21], v2
	v_add_u32_e32 v2, 0xfffffe00, v54
	v_add_u32_e32 v3, 0xfffffd00, v54
	ds_read_b128 v[22:25], v2
	ds_read_b128 v[30:33], v3
	v_add_u32_e32 v2, 0xfffffc00, v54
	v_add_u32_e32 v3, 0xfffffb00, v54
	ds_read_b128 v[38:41], v2
	ds_read_b128 v[42:45], v3
	v_add_u32_e32 v2, 0xfffffa00, v54
	v_add_u32_e32 v3, 0xfffff900, v54
	ds_read_b128 v[46:49], v2
	ds_read_b128 v[34:37], v3
	v_add_u32_e32 v2, 0xfffff800, v54
	v_add_u32_e32 v3, 0xfffff700, v54
	ds_read_b128 v[26:29], v2
	ds_read_b128 v[10:13], v3
	v_add_u32_e32 v2, 0xfffff600, v54
	v_add_u32_e32 v3, 0xfffff500, v54
	ds_read_b128 v[6:9], v2
	ds_read_b128 v[2:5], v3
	s_cmp_le_i32 s4, s5
	s_cbranch_scc1 .LBB214_37
; %bb.35:
	s_lshl_b32 s7, s24, 8
	s_lshl_b32 s10, s5, 4
	v_lshl_or_b32 v14, v0, 4, s7
	s_add_i32 s7, s7, s10
	v_add_u32_e32 v14, 0xf00, v14
	s_addk_i32 s7, 0xfe50
	s_mov_b32 s10, s4
.LBB214_36:                             ; =>This Inner Loop Header: Depth=1
	v_mov_b32_e32 v15, s7
	ds_read_b128 v[56:59], v14
	ds_read_b128 v[60:63], v15 offset:176
	s_add_i32 s10, s10, -1
	s_addk_i32 s7, 0xff00
	v_add_u32_e32 v14, 0xffffff00, v14
	s_cmp_gt_i32 s10, s5
	s_waitcnt lgkmcnt(0)
	v_mul_f64 v[16:17], v[58:59], v[62:63]
	v_mul_f64 v[62:63], v[56:57], v[62:63]
	v_fmac_f64_e32 v[62:63], v[58:59], v[60:61]
	v_fma_f64 v[16:17], v[56:57], v[60:61], -v[16:17]
	v_add_f64 v[52:53], v[52:53], -v[62:63]
	ds_read_b128 v[60:63], v15 offset:160
	v_add_f64 v[50:51], v[50:51], -v[16:17]
	s_waitcnt lgkmcnt(0)
	v_mul_f64 v[16:17], v[58:59], v[62:63]
	v_mul_f64 v[62:63], v[56:57], v[62:63]
	v_fmac_f64_e32 v[62:63], v[58:59], v[60:61]
	v_fma_f64 v[16:17], v[56:57], v[60:61], -v[16:17]
	v_add_f64 v[20:21], v[20:21], -v[62:63]
	ds_read_b128 v[60:63], v15 offset:144
	v_add_f64 v[18:19], v[18:19], -v[16:17]
	;; [unrolled: 8-line block ×7, first 2 shown]
	s_waitcnt lgkmcnt(0)
	v_mul_f64 v[16:17], v[58:59], v[62:63]
	v_mul_f64 v[62:63], v[56:57], v[62:63]
	v_fmac_f64_e32 v[62:63], v[58:59], v[60:61]
	v_fma_f64 v[16:17], v[56:57], v[60:61], -v[16:17]
	v_add_f64 v[36:37], v[36:37], -v[62:63]
	ds_read_b128 v[60:63], v15
	ds_read_b128 v[64:67], v15 offset:16
	ds_read_b128 v[68:71], v15 offset:32
	;; [unrolled: 1-line block ×3, first 2 shown]
	v_add_f64 v[34:35], v[34:35], -v[16:17]
	s_waitcnt lgkmcnt(0)
	v_mul_f64 v[16:17], v[58:59], v[74:75]
	v_fma_f64 v[16:17], v[56:57], v[72:73], -v[16:17]
	v_add_f64 v[26:27], v[26:27], -v[16:17]
	v_mul_f64 v[16:17], v[58:59], v[70:71]
	v_fma_f64 v[16:17], v[56:57], v[68:69], -v[16:17]
	v_add_f64 v[10:11], v[10:11], -v[16:17]
	;; [unrolled: 3-line block ×3, first 2 shown]
	v_mul_f64 v[16:17], v[58:59], v[62:63]
	v_mul_f64 v[74:75], v[56:57], v[74:75]
	;; [unrolled: 1-line block ×4, first 2 shown]
	v_fma_f64 v[16:17], v[56:57], v[60:61], -v[16:17]
	v_mul_f64 v[56:57], v[56:57], v[62:63]
	v_fmac_f64_e32 v[74:75], v[58:59], v[72:73]
	v_fmac_f64_e32 v[70:71], v[58:59], v[68:69]
	;; [unrolled: 1-line block ×4, first 2 shown]
	v_add_f64 v[28:29], v[28:29], -v[74:75]
	v_add_f64 v[12:13], v[12:13], -v[70:71]
	;; [unrolled: 1-line block ×5, first 2 shown]
	s_cbranch_scc1 .LBB214_36
.LBB214_37:
	s_mul_i32 s7, s5, 0x110
	v_mov_b32_e32 v14, s7
	s_add_i32 s7, s5, -1
	s_lshl_b32 s10, s7, 4
	ds_read_b128 v[56:59], v14
	s_add_i32 s11, s10, s6
	v_mov_b32_e32 v14, s11
	ds_read_b128 v[60:63], v14
	s_lshl_b32 s7, s7, 8
	s_waitcnt lgkmcnt(1)
	v_mul_f64 v[16:17], v[56:57], v[52:53]
	v_mul_f64 v[14:15], v[58:59], v[52:53]
	v_fmac_f64_e32 v[16:17], v[58:59], v[50:51]
	v_fma_f64 v[14:15], v[56:57], v[50:51], -v[14:15]
	s_waitcnt lgkmcnt(0)
	v_mul_f64 v[50:51], v[62:63], v[16:17]
	v_fma_f64 v[50:51], v[60:61], v[14:15], -v[50:51]
	s_add_i32 s10, s10, s7
	v_mul_f64 v[52:53], v[60:61], v[16:17]
	v_add_f64 v[58:59], v[18:19], -v[50:51]
	v_mov_b32_e32 v18, s10
	s_add_i32 s10, s5, -2
	v_fmac_f64_e32 v[52:53], v[62:63], v[14:15]
	s_lshl_b32 s11, s10, 4
	v_add_f64 v[20:21], v[20:21], -v[52:53]
	ds_read_b128 v[50:53], v18
	s_add_i32 s12, s11, s6
	v_mov_b32_e32 v18, s12
	ds_write_b128 v54, v[14:17]
	ds_read_b128 v[54:57], v18
	s_waitcnt lgkmcnt(2)
	v_mul_f64 v[18:19], v[52:53], v[20:21]
	v_mul_f64 v[20:21], v[50:51], v[20:21]
	v_fma_f64 v[18:19], v[50:51], v[58:59], -v[18:19]
	v_fmac_f64_e32 v[20:21], v[52:53], v[58:59]
	v_add_u32_e32 v50, s7, v1
	ds_write_b128 v50, v[18:21]
	s_waitcnt lgkmcnt(1)
	v_mul_f64 v[50:51], v[56:57], v[16:17]
	v_fma_f64 v[50:51], v[54:55], v[14:15], -v[50:51]
	v_mul_f64 v[52:53], v[54:55], v[16:17]
	s_add_i32 s12, s11, s7
	v_fmac_f64_e32 v[52:53], v[56:57], v[14:15]
	v_add_f64 v[54:55], v[22:23], -v[50:51]
	v_mov_b32_e32 v22, s12
	v_add_f64 v[56:57], v[24:25], -v[52:53]
	ds_read_b128 v[22:25], v22
	s_lshl_b32 s10, s10, 8
	s_add_i32 s11, s11, s10
	v_mov_b32_e32 v50, s11
	ds_read_b128 v[50:53], v50
	s_waitcnt lgkmcnt(1)
	v_mul_f64 v[58:59], v[24:25], v[20:21]
	v_fma_f64 v[58:59], v[22:23], v[18:19], -v[58:59]
	v_mul_f64 v[22:23], v[22:23], v[20:21]
	v_fmac_f64_e32 v[22:23], v[24:25], v[18:19]
	s_add_i32 s11, s5, -3
	v_add_f64 v[24:25], v[56:57], -v[22:23]
	s_lshl_b32 s12, s11, 4
	v_add_f64 v[54:55], v[54:55], -v[58:59]
	s_waitcnt lgkmcnt(0)
	v_mul_f64 v[22:23], v[52:53], v[24:25]
	s_add_i32 s14, s12, s6
	v_fma_f64 v[22:23], v[50:51], v[54:55], -v[22:23]
	v_mul_f64 v[24:25], v[50:51], v[24:25]
	v_mov_b32_e32 v50, s14
	v_fmac_f64_e32 v[24:25], v[52:53], v[54:55]
	ds_read_b128 v[50:53], v50
	v_add_u32_e32 v54, s10, v1
	s_add_i32 s14, s12, s7
	ds_write_b128 v54, v[22:25]
	v_mov_b32_e32 v54, s14
	ds_read_b128 v[54:57], v54
	s_waitcnt lgkmcnt(2)
	v_mul_f64 v[58:59], v[52:53], v[16:17]
	v_fma_f64 v[58:59], v[50:51], v[14:15], -v[58:59]
	v_mul_f64 v[50:51], v[50:51], v[16:17]
	v_fmac_f64_e32 v[50:51], v[52:53], v[14:15]
	v_add_f64 v[32:33], v[32:33], -v[50:51]
	s_waitcnt lgkmcnt(0)
	v_mul_f64 v[50:51], v[56:57], v[20:21]
	v_add_f64 v[30:31], v[30:31], -v[58:59]
	v_fma_f64 v[50:51], v[54:55], v[18:19], -v[50:51]
	v_mul_f64 v[52:53], v[54:55], v[20:21]
	s_add_i32 s14, s12, s10
	v_fmac_f64_e32 v[52:53], v[56:57], v[18:19]
	v_add_f64 v[54:55], v[30:31], -v[50:51]
	v_mov_b32_e32 v30, s14
	v_add_f64 v[56:57], v[32:33], -v[52:53]
	ds_read_b128 v[30:33], v30
	s_lshl_b32 s11, s11, 8
	s_add_i32 s12, s12, s11
	v_mov_b32_e32 v50, s12
	ds_read_b128 v[50:53], v50
	s_waitcnt lgkmcnt(1)
	v_mul_f64 v[58:59], v[32:33], v[24:25]
	v_fma_f64 v[58:59], v[30:31], v[22:23], -v[58:59]
	v_mul_f64 v[30:31], v[30:31], v[24:25]
	v_fmac_f64_e32 v[30:31], v[32:33], v[22:23]
	s_add_i32 s12, s5, -4
	v_add_f64 v[32:33], v[56:57], -v[30:31]
	s_lshl_b32 s14, s12, 4
	v_add_f64 v[54:55], v[54:55], -v[58:59]
	s_waitcnt lgkmcnt(0)
	v_mul_f64 v[30:31], v[52:53], v[32:33]
	s_add_i32 s15, s14, s6
	v_fma_f64 v[30:31], v[50:51], v[54:55], -v[30:31]
	v_mul_f64 v[32:33], v[50:51], v[32:33]
	v_mov_b32_e32 v50, s15
	v_fmac_f64_e32 v[32:33], v[52:53], v[54:55]
	ds_read_b128 v[50:53], v50
	v_add_u32_e32 v54, s11, v1
	s_add_i32 s15, s14, s7
	ds_write_b128 v54, v[30:33]
	v_mov_b32_e32 v54, s15
	ds_read_b128 v[54:57], v54
	s_waitcnt lgkmcnt(2)
	v_mul_f64 v[58:59], v[52:53], v[16:17]
	v_fma_f64 v[58:59], v[50:51], v[14:15], -v[58:59]
	v_mul_f64 v[50:51], v[50:51], v[16:17]
	v_fmac_f64_e32 v[50:51], v[52:53], v[14:15]
	v_add_f64 v[50:51], v[40:41], -v[50:51]
	s_waitcnt lgkmcnt(0)
	v_mul_f64 v[40:41], v[56:57], v[20:21]
	v_add_f64 v[38:39], v[38:39], -v[58:59]
	v_fma_f64 v[40:41], v[54:55], v[18:19], -v[40:41]
	s_add_i32 s15, s14, s10
	v_mul_f64 v[52:53], v[54:55], v[20:21]
	v_add_f64 v[54:55], v[38:39], -v[40:41]
	v_mov_b32_e32 v38, s15
	v_fmac_f64_e32 v[52:53], v[56:57], v[18:19]
	ds_read_b128 v[38:41], v38
	s_add_i32 s15, s14, s11
	v_add_f64 v[56:57], v[50:51], -v[52:53]
	v_mov_b32_e32 v50, s15
	ds_read_b128 v[50:53], v50
	s_waitcnt lgkmcnt(1)
	v_mul_f64 v[58:59], v[40:41], v[24:25]
	v_fma_f64 v[58:59], v[38:39], v[22:23], -v[58:59]
	v_mul_f64 v[38:39], v[38:39], v[24:25]
	v_fmac_f64_e32 v[38:39], v[40:41], v[22:23]
	v_add_f64 v[40:41], v[54:55], -v[58:59]
	s_waitcnt lgkmcnt(0)
	v_mul_f64 v[54:55], v[52:53], v[32:33]
	v_fma_f64 v[54:55], v[50:51], v[30:31], -v[54:55]
	v_mul_f64 v[50:51], v[50:51], v[32:33]
	s_lshl_b32 s12, s12, 8
	v_add_f64 v[38:39], v[56:57], -v[38:39]
	v_fmac_f64_e32 v[50:51], v[52:53], v[30:31]
	s_add_i32 s14, s14, s12
	v_add_f64 v[58:59], v[40:41], -v[54:55]
	v_add_f64 v[40:41], v[38:39], -v[50:51]
	v_mov_b32_e32 v38, s14
	s_add_i32 s14, s5, -5
	s_lshl_b32 s15, s14, 4
	ds_read_b128 v[50:53], v38
	s_add_i32 s16, s15, s6
	v_mov_b32_e32 v38, s16
	ds_read_b128 v[54:57], v38
	s_add_i32 s16, s15, s7
	s_waitcnt lgkmcnt(1)
	v_mul_f64 v[38:39], v[52:53], v[40:41]
	v_mul_f64 v[40:41], v[50:51], v[40:41]
	v_fma_f64 v[38:39], v[50:51], v[58:59], -v[38:39]
	v_fmac_f64_e32 v[40:41], v[52:53], v[58:59]
	v_add_u32_e32 v50, s12, v1
	ds_write_b128 v50, v[38:41]
	s_waitcnt lgkmcnt(1)
	v_mul_f64 v[50:51], v[56:57], v[16:17]
	v_fma_f64 v[50:51], v[54:55], v[14:15], -v[50:51]
	v_mul_f64 v[54:55], v[54:55], v[16:17]
	v_fmac_f64_e32 v[54:55], v[56:57], v[14:15]
	v_add_f64 v[56:57], v[42:43], -v[50:51]
	v_mov_b32_e32 v42, s16
	ds_read_b128 v[50:53], v42
	s_add_i32 s16, s15, s10
	v_mov_b32_e32 v42, s16
	v_add_f64 v[54:55], v[44:45], -v[54:55]
	ds_read_b128 v[42:45], v42
	s_waitcnt lgkmcnt(1)
	v_mul_f64 v[58:59], v[52:53], v[20:21]
	v_fma_f64 v[58:59], v[50:51], v[18:19], -v[58:59]
	v_mul_f64 v[50:51], v[50:51], v[20:21]
	v_fmac_f64_e32 v[50:51], v[52:53], v[18:19]
	v_add_f64 v[50:51], v[54:55], -v[50:51]
	s_waitcnt lgkmcnt(0)
	v_mul_f64 v[54:55], v[44:45], v[24:25]
	s_add_i32 s16, s15, s11
	v_add_f64 v[52:53], v[56:57], -v[58:59]
	v_fma_f64 v[54:55], v[42:43], v[22:23], -v[54:55]
	v_mul_f64 v[56:57], v[42:43], v[24:25]
	v_mov_b32_e32 v42, s16
	v_fmac_f64_e32 v[56:57], v[44:45], v[22:23]
	ds_read_b128 v[42:45], v42
	s_add_i32 s16, s15, s12
	v_add_f64 v[56:57], v[50:51], -v[56:57]
	v_mov_b32_e32 v50, s16
	v_add_f64 v[54:55], v[52:53], -v[54:55]
	ds_read_b128 v[50:53], v50
	s_waitcnt lgkmcnt(1)
	v_mul_f64 v[58:59], v[44:45], v[32:33]
	v_fma_f64 v[58:59], v[42:43], v[30:31], -v[58:59]
	v_mul_f64 v[42:43], v[42:43], v[32:33]
	v_fmac_f64_e32 v[42:43], v[44:45], v[30:31]
	v_add_f64 v[44:45], v[54:55], -v[58:59]
	s_waitcnt lgkmcnt(0)
	v_mul_f64 v[54:55], v[52:53], v[40:41]
	v_fma_f64 v[54:55], v[50:51], v[38:39], -v[54:55]
	v_mul_f64 v[50:51], v[50:51], v[40:41]
	s_lshl_b32 s14, s14, 8
	v_add_f64 v[42:43], v[56:57], -v[42:43]
	v_fmac_f64_e32 v[50:51], v[52:53], v[38:39]
	s_add_i32 s15, s15, s14
	v_add_f64 v[58:59], v[44:45], -v[54:55]
	v_add_f64 v[44:45], v[42:43], -v[50:51]
	v_mov_b32_e32 v42, s15
	s_add_i32 s15, s5, -6
	s_lshl_b32 s16, s15, 4
	ds_read_b128 v[50:53], v42
	s_add_i32 s17, s16, s6
	v_mov_b32_e32 v42, s17
	ds_read_b128 v[54:57], v42
	s_add_i32 s17, s16, s7
	s_waitcnt lgkmcnt(1)
	v_mul_f64 v[42:43], v[52:53], v[44:45]
	v_mul_f64 v[44:45], v[50:51], v[44:45]
	v_fma_f64 v[42:43], v[50:51], v[58:59], -v[42:43]
	v_fmac_f64_e32 v[44:45], v[52:53], v[58:59]
	v_add_u32_e32 v50, s14, v1
	ds_write_b128 v50, v[42:45]
	s_waitcnt lgkmcnt(1)
	v_mul_f64 v[50:51], v[56:57], v[16:17]
	v_fma_f64 v[50:51], v[54:55], v[14:15], -v[50:51]
	v_mul_f64 v[54:55], v[54:55], v[16:17]
	v_fmac_f64_e32 v[54:55], v[56:57], v[14:15]
	v_add_f64 v[56:57], v[46:47], -v[50:51]
	v_mov_b32_e32 v46, s17
	ds_read_b128 v[50:53], v46
	s_add_i32 s17, s16, s10
	v_mov_b32_e32 v46, s17
	v_add_f64 v[54:55], v[48:49], -v[54:55]
	ds_read_b128 v[46:49], v46
	s_waitcnt lgkmcnt(1)
	v_mul_f64 v[58:59], v[52:53], v[20:21]
	v_fma_f64 v[58:59], v[50:51], v[18:19], -v[58:59]
	v_mul_f64 v[50:51], v[50:51], v[20:21]
	v_fmac_f64_e32 v[50:51], v[52:53], v[18:19]
	v_add_f64 v[50:51], v[54:55], -v[50:51]
	s_waitcnt lgkmcnt(0)
	v_mul_f64 v[54:55], v[48:49], v[24:25]
	s_add_i32 s17, s16, s11
	v_add_f64 v[52:53], v[56:57], -v[58:59]
	v_fma_f64 v[54:55], v[46:47], v[22:23], -v[54:55]
	v_mul_f64 v[56:57], v[46:47], v[24:25]
	v_mov_b32_e32 v46, s17
	v_fmac_f64_e32 v[56:57], v[48:49], v[22:23]
	ds_read_b128 v[46:49], v46
	s_add_i32 s17, s16, s12
	v_add_f64 v[56:57], v[50:51], -v[56:57]
	v_mov_b32_e32 v50, s17
	v_add_f64 v[54:55], v[52:53], -v[54:55]
	ds_read_b128 v[50:53], v50
	s_waitcnt lgkmcnt(1)
	v_mul_f64 v[58:59], v[48:49], v[32:33]
	v_fma_f64 v[58:59], v[46:47], v[30:31], -v[58:59]
	v_mul_f64 v[46:47], v[46:47], v[32:33]
	v_fmac_f64_e32 v[46:47], v[48:49], v[30:31]
	v_add_f64 v[48:49], v[54:55], -v[58:59]
	s_waitcnt lgkmcnt(0)
	v_mul_f64 v[54:55], v[52:53], v[40:41]
	v_fma_f64 v[54:55], v[50:51], v[38:39], -v[54:55]
	v_mul_f64 v[50:51], v[50:51], v[40:41]
	v_add_f64 v[46:47], v[56:57], -v[46:47]
	v_fmac_f64_e32 v[50:51], v[52:53], v[38:39]
	s_add_i32 s17, s16, s14
	v_add_f64 v[56:57], v[46:47], -v[50:51]
	v_mov_b32_e32 v46, s17
	v_add_f64 v[54:55], v[48:49], -v[54:55]
	ds_read_b128 v[46:49], v46
	s_lshl_b32 s15, s15, 8
	s_add_i32 s16, s16, s15
	v_mov_b32_e32 v50, s16
	ds_read_b128 v[50:53], v50
	s_waitcnt lgkmcnt(1)
	v_mul_f64 v[58:59], v[48:49], v[44:45]
	v_fma_f64 v[58:59], v[46:47], v[42:43], -v[58:59]
	v_mul_f64 v[46:47], v[46:47], v[44:45]
	v_fmac_f64_e32 v[46:47], v[48:49], v[42:43]
	s_add_i32 s16, s5, -7
	v_add_f64 v[48:49], v[56:57], -v[46:47]
	s_lshl_b32 s17, s16, 4
	v_add_f64 v[54:55], v[54:55], -v[58:59]
	s_waitcnt lgkmcnt(0)
	v_mul_f64 v[46:47], v[52:53], v[48:49]
	s_add_i32 s18, s17, s6
	v_fma_f64 v[46:47], v[50:51], v[54:55], -v[46:47]
	v_mul_f64 v[48:49], v[50:51], v[48:49]
	v_mov_b32_e32 v50, s18
	v_fmac_f64_e32 v[48:49], v[52:53], v[54:55]
	ds_read_b128 v[50:53], v50
	v_add_u32_e32 v54, s15, v1
	s_add_i32 s18, s17, s7
	ds_write_b128 v54, v[46:49]
	v_mov_b32_e32 v54, s18
	ds_read_b128 v[54:57], v54
	s_waitcnt lgkmcnt(2)
	v_mul_f64 v[58:59], v[52:53], v[16:17]
	v_fma_f64 v[58:59], v[50:51], v[14:15], -v[58:59]
	v_mul_f64 v[50:51], v[50:51], v[16:17]
	v_fmac_f64_e32 v[50:51], v[52:53], v[14:15]
	v_add_f64 v[50:51], v[36:37], -v[50:51]
	s_waitcnt lgkmcnt(0)
	v_mul_f64 v[36:37], v[56:57], v[20:21]
	v_add_f64 v[34:35], v[34:35], -v[58:59]
	v_fma_f64 v[36:37], v[54:55], v[18:19], -v[36:37]
	s_add_i32 s18, s17, s10
	v_mul_f64 v[52:53], v[54:55], v[20:21]
	v_add_f64 v[54:55], v[34:35], -v[36:37]
	v_mov_b32_e32 v34, s18
	ds_read_b128 v[34:37], v34
	v_fmac_f64_e32 v[52:53], v[56:57], v[18:19]
	s_add_i32 s18, s17, s11
	v_add_f64 v[56:57], v[50:51], -v[52:53]
	v_mov_b32_e32 v50, s18
	ds_read_b128 v[50:53], v50
	s_waitcnt lgkmcnt(1)
	v_mul_f64 v[58:59], v[36:37], v[24:25]
	v_fma_f64 v[58:59], v[34:35], v[22:23], -v[58:59]
	v_mul_f64 v[34:35], v[34:35], v[24:25]
	v_fmac_f64_e32 v[34:35], v[36:37], v[22:23]
	v_add_f64 v[36:37], v[54:55], -v[58:59]
	v_add_f64 v[54:55], v[56:57], -v[34:35]
	s_waitcnt lgkmcnt(0)
	v_mul_f64 v[34:35], v[52:53], v[32:33]
	v_fma_f64 v[34:35], v[50:51], v[30:31], -v[34:35]
	s_add_i32 s18, s17, s12
	v_add_f64 v[56:57], v[36:37], -v[34:35]
	v_mov_b32_e32 v34, s18
	v_mul_f64 v[50:51], v[50:51], v[32:33]
	ds_read_b128 v[34:37], v34
	v_fmac_f64_e32 v[50:51], v[52:53], v[30:31]
	s_add_i32 s18, s17, s14
	v_add_f64 v[54:55], v[54:55], -v[50:51]
	v_mov_b32_e32 v50, s18
	ds_read_b128 v[50:53], v50
	s_waitcnt lgkmcnt(1)
	v_mul_f64 v[58:59], v[36:37], v[40:41]
	v_fma_f64 v[58:59], v[34:35], v[38:39], -v[58:59]
	v_mul_f64 v[34:35], v[34:35], v[40:41]
	v_fmac_f64_e32 v[34:35], v[36:37], v[38:39]
	v_add_f64 v[34:35], v[54:55], -v[34:35]
	s_waitcnt lgkmcnt(0)
	v_mul_f64 v[54:55], v[52:53], v[44:45]
	v_fma_f64 v[54:55], v[50:51], v[42:43], -v[54:55]
	v_mul_f64 v[50:51], v[50:51], v[44:45]
	v_fmac_f64_e32 v[50:51], v[52:53], v[42:43]
	s_add_i32 s18, s17, s15
	v_add_f64 v[36:37], v[56:57], -v[58:59]
	v_add_f64 v[56:57], v[34:35], -v[50:51]
	v_mov_b32_e32 v34, s18
	v_add_f64 v[54:55], v[36:37], -v[54:55]
	ds_read_b128 v[34:37], v34
	s_lshl_b32 s16, s16, 8
	s_add_i32 s17, s17, s16
	v_mov_b32_e32 v50, s17
	ds_read_b128 v[50:53], v50
	s_waitcnt lgkmcnt(1)
	v_mul_f64 v[58:59], v[36:37], v[48:49]
	v_fma_f64 v[58:59], v[34:35], v[46:47], -v[58:59]
	v_mul_f64 v[34:35], v[34:35], v[48:49]
	v_fmac_f64_e32 v[34:35], v[36:37], v[46:47]
	s_add_i32 s17, s5, -8
	v_add_f64 v[36:37], v[56:57], -v[34:35]
	s_lshl_b32 s18, s17, 4
	v_add_f64 v[54:55], v[54:55], -v[58:59]
	s_waitcnt lgkmcnt(0)
	v_mul_f64 v[34:35], v[52:53], v[36:37]
	s_add_i32 s19, s18, s6
	v_fma_f64 v[34:35], v[50:51], v[54:55], -v[34:35]
	v_mul_f64 v[36:37], v[50:51], v[36:37]
	v_mov_b32_e32 v50, s19
	v_fmac_f64_e32 v[36:37], v[52:53], v[54:55]
	ds_read_b128 v[50:53], v50
	v_add_u32_e32 v54, s16, v1
	s_add_i32 s19, s18, s7
	ds_write_b128 v54, v[34:37]
	v_mov_b32_e32 v54, s19
	ds_read_b128 v[54:57], v54
	s_waitcnt lgkmcnt(2)
	v_mul_f64 v[58:59], v[52:53], v[16:17]
	v_fma_f64 v[58:59], v[50:51], v[14:15], -v[58:59]
	v_mul_f64 v[50:51], v[50:51], v[16:17]
	v_fmac_f64_e32 v[50:51], v[52:53], v[14:15]
	v_add_f64 v[50:51], v[28:29], -v[50:51]
	s_waitcnt lgkmcnt(0)
	v_mul_f64 v[28:29], v[56:57], v[20:21]
	v_add_f64 v[26:27], v[26:27], -v[58:59]
	v_fma_f64 v[28:29], v[54:55], v[18:19], -v[28:29]
	s_add_i32 s19, s18, s10
	v_mul_f64 v[52:53], v[54:55], v[20:21]
	v_add_f64 v[54:55], v[26:27], -v[28:29]
	v_mov_b32_e32 v26, s19
	ds_read_b128 v[26:29], v26
	v_fmac_f64_e32 v[52:53], v[56:57], v[18:19]
	s_add_i32 s19, s18, s11
	v_add_f64 v[56:57], v[50:51], -v[52:53]
	v_mov_b32_e32 v50, s19
	ds_read_b128 v[50:53], v50
	s_waitcnt lgkmcnt(1)
	v_mul_f64 v[58:59], v[28:29], v[24:25]
	v_fma_f64 v[58:59], v[26:27], v[22:23], -v[58:59]
	v_mul_f64 v[26:27], v[26:27], v[24:25]
	v_fmac_f64_e32 v[26:27], v[28:29], v[22:23]
	v_add_f64 v[28:29], v[54:55], -v[58:59]
	v_add_f64 v[54:55], v[56:57], -v[26:27]
	s_waitcnt lgkmcnt(0)
	v_mul_f64 v[26:27], v[52:53], v[32:33]
	v_fma_f64 v[26:27], v[50:51], v[30:31], -v[26:27]
	s_add_i32 s19, s18, s12
	v_add_f64 v[56:57], v[28:29], -v[26:27]
	v_mov_b32_e32 v26, s19
	v_mul_f64 v[50:51], v[50:51], v[32:33]
	ds_read_b128 v[26:29], v26
	v_fmac_f64_e32 v[50:51], v[52:53], v[30:31]
	s_add_i32 s19, s18, s14
	v_add_f64 v[54:55], v[54:55], -v[50:51]
	v_mov_b32_e32 v50, s19
	ds_read_b128 v[50:53], v50
	s_waitcnt lgkmcnt(1)
	v_mul_f64 v[58:59], v[28:29], v[40:41]
	v_fma_f64 v[58:59], v[26:27], v[38:39], -v[58:59]
	v_mul_f64 v[26:27], v[26:27], v[40:41]
	v_fmac_f64_e32 v[26:27], v[28:29], v[38:39]
	v_add_f64 v[54:55], v[54:55], -v[26:27]
	s_waitcnt lgkmcnt(0)
	v_mul_f64 v[26:27], v[52:53], v[44:45]
	v_add_f64 v[28:29], v[56:57], -v[58:59]
	v_fma_f64 v[26:27], v[50:51], v[42:43], -v[26:27]
	s_add_i32 s19, s18, s15
	v_add_f64 v[56:57], v[28:29], -v[26:27]
	v_mov_b32_e32 v26, s19
	v_mul_f64 v[50:51], v[50:51], v[44:45]
	ds_read_b128 v[26:29], v26
	v_fmac_f64_e32 v[50:51], v[52:53], v[42:43]
	s_add_i32 s19, s18, s16
	v_add_f64 v[54:55], v[54:55], -v[50:51]
	v_mov_b32_e32 v50, s19
	ds_read_b128 v[50:53], v50
	s_waitcnt lgkmcnt(1)
	v_mul_f64 v[58:59], v[28:29], v[48:49]
	v_fma_f64 v[58:59], v[26:27], v[46:47], -v[58:59]
	v_mul_f64 v[26:27], v[26:27], v[48:49]
	v_fmac_f64_e32 v[26:27], v[28:29], v[46:47]
	v_add_f64 v[26:27], v[54:55], -v[26:27]
	s_waitcnt lgkmcnt(0)
	v_mul_f64 v[54:55], v[52:53], v[36:37]
	v_fma_f64 v[54:55], v[50:51], v[34:35], -v[54:55]
	v_mul_f64 v[50:51], v[50:51], v[36:37]
	s_lshl_b32 s17, s17, 8
	v_add_f64 v[28:29], v[56:57], -v[58:59]
	v_fmac_f64_e32 v[50:51], v[52:53], v[34:35]
	s_add_i32 s18, s18, s17
	v_add_f64 v[58:59], v[28:29], -v[54:55]
	v_add_f64 v[28:29], v[26:27], -v[50:51]
	v_mov_b32_e32 v26, s18
	s_add_i32 s18, s5, -9
	s_lshl_b32 s19, s18, 4
	ds_read_b128 v[50:53], v26
	s_add_i32 s20, s19, s6
	v_mov_b32_e32 v26, s20
	ds_read_b128 v[54:57], v26
	s_add_i32 s20, s19, s7
	s_waitcnt lgkmcnt(1)
	v_mul_f64 v[26:27], v[52:53], v[28:29]
	v_mul_f64 v[28:29], v[50:51], v[28:29]
	v_fma_f64 v[26:27], v[50:51], v[58:59], -v[26:27]
	v_fmac_f64_e32 v[28:29], v[52:53], v[58:59]
	v_add_u32_e32 v50, s17, v1
	ds_write_b128 v50, v[26:29]
	s_waitcnt lgkmcnt(1)
	v_mul_f64 v[50:51], v[56:57], v[16:17]
	v_fma_f64 v[50:51], v[54:55], v[14:15], -v[50:51]
	v_mul_f64 v[54:55], v[54:55], v[16:17]
	v_fmac_f64_e32 v[54:55], v[56:57], v[14:15]
	v_add_f64 v[56:57], v[10:11], -v[50:51]
	v_mov_b32_e32 v10, s20
	ds_read_b128 v[50:53], v10
	s_add_i32 s20, s19, s10
	v_mov_b32_e32 v10, s20
	v_add_f64 v[54:55], v[12:13], -v[54:55]
	ds_read_b128 v[10:13], v10
	s_waitcnt lgkmcnt(1)
	v_mul_f64 v[58:59], v[52:53], v[20:21]
	v_fma_f64 v[58:59], v[50:51], v[18:19], -v[58:59]
	v_mul_f64 v[50:51], v[50:51], v[20:21]
	v_fmac_f64_e32 v[50:51], v[52:53], v[18:19]
	v_add_f64 v[50:51], v[54:55], -v[50:51]
	s_waitcnt lgkmcnt(0)
	v_mul_f64 v[54:55], v[12:13], v[24:25]
	s_add_i32 s20, s19, s11
	v_add_f64 v[52:53], v[56:57], -v[58:59]
	v_fma_f64 v[54:55], v[10:11], v[22:23], -v[54:55]
	v_mul_f64 v[56:57], v[10:11], v[24:25]
	v_mov_b32_e32 v10, s20
	v_fmac_f64_e32 v[56:57], v[12:13], v[22:23]
	ds_read_b128 v[10:13], v10
	s_add_i32 s20, s19, s12
	v_add_f64 v[56:57], v[50:51], -v[56:57]
	v_mov_b32_e32 v50, s20
	v_add_f64 v[54:55], v[52:53], -v[54:55]
	ds_read_b128 v[50:53], v50
	s_waitcnt lgkmcnt(1)
	v_mul_f64 v[58:59], v[12:13], v[32:33]
	v_fma_f64 v[58:59], v[10:11], v[30:31], -v[58:59]
	v_mul_f64 v[10:11], v[10:11], v[32:33]
	v_fmac_f64_e32 v[10:11], v[12:13], v[30:31]
	v_add_f64 v[12:13], v[54:55], -v[58:59]
	v_add_f64 v[54:55], v[56:57], -v[10:11]
	s_waitcnt lgkmcnt(0)
	v_mul_f64 v[10:11], v[52:53], v[40:41]
	v_fma_f64 v[10:11], v[50:51], v[38:39], -v[10:11]
	s_add_i32 s20, s19, s14
	v_add_f64 v[56:57], v[12:13], -v[10:11]
	v_mov_b32_e32 v10, s20
	v_mul_f64 v[50:51], v[50:51], v[40:41]
	ds_read_b128 v[10:13], v10
	v_fmac_f64_e32 v[50:51], v[52:53], v[38:39]
	s_add_i32 s20, s19, s15
	v_add_f64 v[54:55], v[54:55], -v[50:51]
	v_mov_b32_e32 v50, s20
	ds_read_b128 v[50:53], v50
	s_waitcnt lgkmcnt(1)
	v_mul_f64 v[58:59], v[12:13], v[44:45]
	v_fma_f64 v[58:59], v[10:11], v[42:43], -v[58:59]
	v_mul_f64 v[10:11], v[10:11], v[44:45]
	v_fmac_f64_e32 v[10:11], v[12:13], v[42:43]
	v_add_f64 v[54:55], v[54:55], -v[10:11]
	s_waitcnt lgkmcnt(0)
	v_mul_f64 v[10:11], v[52:53], v[48:49]
	v_add_f64 v[12:13], v[56:57], -v[58:59]
	v_fma_f64 v[10:11], v[50:51], v[46:47], -v[10:11]
	s_add_i32 s20, s19, s16
	v_add_f64 v[56:57], v[12:13], -v[10:11]
	v_mov_b32_e32 v10, s20
	v_mul_f64 v[50:51], v[50:51], v[48:49]
	ds_read_b128 v[10:13], v10
	v_fmac_f64_e32 v[50:51], v[52:53], v[46:47]
	s_add_i32 s20, s19, s17
	v_add_f64 v[54:55], v[54:55], -v[50:51]
	v_mov_b32_e32 v50, s20
	ds_read_b128 v[50:53], v50
	s_waitcnt lgkmcnt(1)
	v_mul_f64 v[58:59], v[12:13], v[36:37]
	v_fma_f64 v[58:59], v[10:11], v[34:35], -v[58:59]
	v_mul_f64 v[10:11], v[10:11], v[36:37]
	v_fmac_f64_e32 v[10:11], v[12:13], v[34:35]
	v_add_f64 v[10:11], v[54:55], -v[10:11]
	s_waitcnt lgkmcnt(0)
	v_mul_f64 v[54:55], v[52:53], v[28:29]
	v_fma_f64 v[54:55], v[50:51], v[26:27], -v[54:55]
	v_mul_f64 v[50:51], v[50:51], v[28:29]
	s_lshl_b32 s18, s18, 8
	v_add_f64 v[12:13], v[56:57], -v[58:59]
	v_fmac_f64_e32 v[50:51], v[52:53], v[26:27]
	s_add_i32 s19, s19, s18
	v_add_f64 v[58:59], v[12:13], -v[54:55]
	v_add_f64 v[12:13], v[10:11], -v[50:51]
	v_mov_b32_e32 v10, s19
	s_add_i32 s19, s5, -10
	s_lshl_b32 s20, s19, 4
	ds_read_b128 v[50:53], v10
	s_add_i32 s21, s20, s6
	v_mov_b32_e32 v10, s21
	ds_read_b128 v[54:57], v10
	s_add_i32 s21, s20, s7
	s_waitcnt lgkmcnt(1)
	v_mul_f64 v[10:11], v[52:53], v[12:13]
	v_mul_f64 v[12:13], v[50:51], v[12:13]
	v_fma_f64 v[10:11], v[50:51], v[58:59], -v[10:11]
	v_fmac_f64_e32 v[12:13], v[52:53], v[58:59]
	v_add_u32_e32 v50, s18, v1
	ds_write_b128 v50, v[10:13]
	s_waitcnt lgkmcnt(1)
	v_mul_f64 v[50:51], v[56:57], v[16:17]
	v_fma_f64 v[50:51], v[54:55], v[14:15], -v[50:51]
	v_mul_f64 v[54:55], v[54:55], v[16:17]
	v_fmac_f64_e32 v[54:55], v[56:57], v[14:15]
	v_add_f64 v[56:57], v[6:7], -v[50:51]
	v_mov_b32_e32 v6, s21
	ds_read_b128 v[50:53], v6
	s_add_i32 s21, s20, s10
	v_mov_b32_e32 v6, s21
	v_add_f64 v[54:55], v[8:9], -v[54:55]
	ds_read_b128 v[6:9], v6
	s_waitcnt lgkmcnt(1)
	v_mul_f64 v[58:59], v[52:53], v[20:21]
	v_fma_f64 v[58:59], v[50:51], v[18:19], -v[58:59]
	v_mul_f64 v[50:51], v[50:51], v[20:21]
	v_fmac_f64_e32 v[50:51], v[52:53], v[18:19]
	v_add_f64 v[50:51], v[54:55], -v[50:51]
	s_waitcnt lgkmcnt(0)
	v_mul_f64 v[54:55], v[8:9], v[24:25]
	s_add_i32 s21, s20, s11
	v_add_f64 v[52:53], v[56:57], -v[58:59]
	v_fma_f64 v[54:55], v[6:7], v[22:23], -v[54:55]
	v_mul_f64 v[56:57], v[6:7], v[24:25]
	v_mov_b32_e32 v6, s21
	v_fmac_f64_e32 v[56:57], v[8:9], v[22:23]
	ds_read_b128 v[6:9], v6
	s_add_i32 s21, s20, s12
	v_add_f64 v[56:57], v[50:51], -v[56:57]
	v_mov_b32_e32 v50, s21
	v_add_f64 v[54:55], v[52:53], -v[54:55]
	ds_read_b128 v[50:53], v50
	s_waitcnt lgkmcnt(1)
	v_mul_f64 v[58:59], v[8:9], v[32:33]
	v_fma_f64 v[58:59], v[6:7], v[30:31], -v[58:59]
	v_mul_f64 v[6:7], v[6:7], v[32:33]
	v_fmac_f64_e32 v[6:7], v[8:9], v[30:31]
	v_add_f64 v[8:9], v[54:55], -v[58:59]
	v_add_f64 v[54:55], v[56:57], -v[6:7]
	s_waitcnt lgkmcnt(0)
	v_mul_f64 v[6:7], v[52:53], v[40:41]
	v_fma_f64 v[6:7], v[50:51], v[38:39], -v[6:7]
	s_add_i32 s21, s20, s14
	v_add_f64 v[56:57], v[8:9], -v[6:7]
	v_mov_b32_e32 v6, s21
	v_mul_f64 v[50:51], v[50:51], v[40:41]
	ds_read_b128 v[6:9], v6
	v_fmac_f64_e32 v[50:51], v[52:53], v[38:39]
	s_add_i32 s21, s20, s15
	v_add_f64 v[54:55], v[54:55], -v[50:51]
	v_mov_b32_e32 v50, s21
	ds_read_b128 v[50:53], v50
	s_waitcnt lgkmcnt(1)
	v_mul_f64 v[58:59], v[8:9], v[44:45]
	v_fma_f64 v[58:59], v[6:7], v[42:43], -v[58:59]
	v_mul_f64 v[6:7], v[6:7], v[44:45]
	v_fmac_f64_e32 v[6:7], v[8:9], v[42:43]
	v_add_f64 v[54:55], v[54:55], -v[6:7]
	s_waitcnt lgkmcnt(0)
	v_mul_f64 v[6:7], v[52:53], v[48:49]
	v_add_f64 v[8:9], v[56:57], -v[58:59]
	v_fma_f64 v[6:7], v[50:51], v[46:47], -v[6:7]
	s_add_i32 s21, s20, s16
	v_add_f64 v[56:57], v[8:9], -v[6:7]
	v_mov_b32_e32 v6, s21
	v_mul_f64 v[50:51], v[50:51], v[48:49]
	ds_read_b128 v[6:9], v6
	v_fmac_f64_e32 v[50:51], v[52:53], v[46:47]
	s_add_i32 s21, s20, s17
	v_add_f64 v[54:55], v[54:55], -v[50:51]
	v_mov_b32_e32 v50, s21
	ds_read_b128 v[50:53], v50
	s_waitcnt lgkmcnt(1)
	v_mul_f64 v[58:59], v[8:9], v[36:37]
	v_fma_f64 v[58:59], v[6:7], v[34:35], -v[58:59]
	v_mul_f64 v[6:7], v[6:7], v[36:37]
	v_fmac_f64_e32 v[6:7], v[8:9], v[34:35]
	v_add_f64 v[6:7], v[54:55], -v[6:7]
	s_waitcnt lgkmcnt(0)
	v_mul_f64 v[54:55], v[52:53], v[28:29]
	v_fma_f64 v[54:55], v[50:51], v[26:27], -v[54:55]
	v_mul_f64 v[50:51], v[50:51], v[28:29]
	v_fmac_f64_e32 v[50:51], v[52:53], v[26:27]
	s_add_i32 s21, s20, s18
	v_add_f64 v[8:9], v[56:57], -v[58:59]
	v_add_f64 v[56:57], v[6:7], -v[50:51]
	v_mov_b32_e32 v6, s21
	v_add_f64 v[54:55], v[8:9], -v[54:55]
	ds_read_b128 v[6:9], v6
	s_lshl_b32 s19, s19, 8
	s_add_i32 s20, s20, s19
	v_mov_b32_e32 v50, s20
	ds_read_b128 v[50:53], v50
	s_waitcnt lgkmcnt(1)
	v_mul_f64 v[58:59], v[8:9], v[12:13]
	v_fma_f64 v[58:59], v[6:7], v[10:11], -v[58:59]
	v_mul_f64 v[6:7], v[6:7], v[12:13]
	v_fmac_f64_e32 v[6:7], v[8:9], v[10:11]
	s_add_i32 s20, s5, -11
	v_add_f64 v[8:9], v[56:57], -v[6:7]
	s_lshl_b32 s21, s20, 4
	v_add_f64 v[54:55], v[54:55], -v[58:59]
	s_waitcnt lgkmcnt(0)
	v_mul_f64 v[6:7], v[52:53], v[8:9]
	s_add_i32 s6, s21, s6
	v_fma_f64 v[6:7], v[50:51], v[54:55], -v[6:7]
	v_mul_f64 v[8:9], v[50:51], v[8:9]
	v_mov_b32_e32 v50, s6
	v_fmac_f64_e32 v[8:9], v[52:53], v[54:55]
	v_add_u32_e32 v54, s19, v1
	ds_read_b128 v[50:53], v50
	s_add_i32 s6, s21, s7
	ds_write_b128 v54, v[6:9]
	v_mov_b32_e32 v54, s6
	ds_read_b128 v[54:57], v54
	s_waitcnt lgkmcnt(2)
	v_mul_f64 v[58:59], v[52:53], v[16:17]
	v_mul_f64 v[16:17], v[50:51], v[16:17]
	v_fmac_f64_e32 v[16:17], v[52:53], v[14:15]
	v_fma_f64 v[58:59], v[50:51], v[14:15], -v[58:59]
	v_add_f64 v[14:15], v[4:5], -v[16:17]
	s_waitcnt lgkmcnt(0)
	v_mul_f64 v[4:5], v[56:57], v[20:21]
	v_add_f64 v[2:3], v[2:3], -v[58:59]
	v_fma_f64 v[4:5], v[54:55], v[18:19], -v[4:5]
	v_mul_f64 v[16:17], v[54:55], v[20:21]
	s_add_i32 s6, s21, s10
	v_fmac_f64_e32 v[16:17], v[56:57], v[18:19]
	v_add_f64 v[18:19], v[2:3], -v[4:5]
	v_mov_b32_e32 v2, s6
	ds_read_b128 v[2:5], v2
	s_add_i32 s6, s21, s11
	v_add_f64 v[20:21], v[14:15], -v[16:17]
	v_mov_b32_e32 v14, s6
	ds_read_b128 v[14:17], v14
	s_waitcnt lgkmcnt(1)
	v_mul_f64 v[50:51], v[4:5], v[24:25]
	v_fma_f64 v[50:51], v[2:3], v[22:23], -v[50:51]
	v_mul_f64 v[2:3], v[2:3], v[24:25]
	v_fmac_f64_e32 v[2:3], v[4:5], v[22:23]
	v_add_f64 v[4:5], v[18:19], -v[50:51]
	v_add_f64 v[18:19], v[20:21], -v[2:3]
	s_waitcnt lgkmcnt(0)
	v_mul_f64 v[2:3], v[16:17], v[32:33]
	v_fma_f64 v[2:3], v[14:15], v[30:31], -v[2:3]
	s_add_i32 s6, s21, s12
	v_add_f64 v[20:21], v[4:5], -v[2:3]
	v_mov_b32_e32 v2, s6
	v_mul_f64 v[14:15], v[14:15], v[32:33]
	ds_read_b128 v[2:5], v2
	v_fmac_f64_e32 v[14:15], v[16:17], v[30:31]
	s_add_i32 s6, s21, s14
	v_add_f64 v[18:19], v[18:19], -v[14:15]
	v_mov_b32_e32 v14, s6
	ds_read_b128 v[14:17], v14
	s_waitcnt lgkmcnt(1)
	v_mul_f64 v[22:23], v[4:5], v[40:41]
	v_fma_f64 v[22:23], v[2:3], v[38:39], -v[22:23]
	v_mul_f64 v[2:3], v[2:3], v[40:41]
	v_fmac_f64_e32 v[2:3], v[4:5], v[38:39]
	v_add_f64 v[18:19], v[18:19], -v[2:3]
	s_waitcnt lgkmcnt(0)
	v_mul_f64 v[2:3], v[16:17], v[44:45]
	v_add_f64 v[4:5], v[20:21], -v[22:23]
	v_fma_f64 v[2:3], v[14:15], v[42:43], -v[2:3]
	s_add_i32 s6, s21, s15
	v_add_f64 v[20:21], v[4:5], -v[2:3]
	v_mov_b32_e32 v2, s6
	v_mul_f64 v[14:15], v[14:15], v[44:45]
	ds_read_b128 v[2:5], v2
	v_fmac_f64_e32 v[14:15], v[16:17], v[42:43]
	s_add_i32 s6, s21, s16
	v_add_f64 v[18:19], v[18:19], -v[14:15]
	v_mov_b32_e32 v14, s6
	ds_read_b128 v[14:17], v14
	s_waitcnt lgkmcnt(1)
	v_mul_f64 v[22:23], v[4:5], v[48:49]
	v_fma_f64 v[22:23], v[2:3], v[46:47], -v[22:23]
	v_mul_f64 v[2:3], v[2:3], v[48:49]
	v_fmac_f64_e32 v[2:3], v[4:5], v[46:47]
	v_add_f64 v[18:19], v[18:19], -v[2:3]
	s_waitcnt lgkmcnt(0)
	v_mul_f64 v[2:3], v[16:17], v[36:37]
	v_add_f64 v[4:5], v[20:21], -v[22:23]
	v_fma_f64 v[2:3], v[14:15], v[34:35], -v[2:3]
	s_add_i32 s6, s21, s17
	v_add_f64 v[20:21], v[4:5], -v[2:3]
	v_mov_b32_e32 v2, s6
	v_mul_f64 v[14:15], v[14:15], v[36:37]
	ds_read_b128 v[2:5], v2
	v_fmac_f64_e32 v[14:15], v[16:17], v[34:35]
	s_add_i32 s6, s21, s18
	v_add_f64 v[18:19], v[18:19], -v[14:15]
	v_mov_b32_e32 v14, s6
	ds_read_b128 v[14:17], v14
	s_waitcnt lgkmcnt(1)
	v_mul_f64 v[22:23], v[4:5], v[28:29]
	v_fma_f64 v[22:23], v[2:3], v[26:27], -v[22:23]
	v_mul_f64 v[2:3], v[2:3], v[28:29]
	v_fmac_f64_e32 v[2:3], v[4:5], v[26:27]
	v_add_f64 v[2:3], v[18:19], -v[2:3]
	s_waitcnt lgkmcnt(0)
	v_mul_f64 v[18:19], v[16:17], v[12:13]
	v_mul_f64 v[12:13], v[14:15], v[12:13]
	v_fmac_f64_e32 v[12:13], v[16:17], v[10:11]
	s_add_i32 s6, s21, s19
	v_add_f64 v[4:5], v[20:21], -v[22:23]
	v_fma_f64 v[18:19], v[14:15], v[10:11], -v[18:19]
	v_add_f64 v[16:17], v[2:3], -v[12:13]
	v_mov_b32_e32 v2, s6
	v_add_f64 v[14:15], v[4:5], -v[18:19]
	ds_read_b128 v[2:5], v2
	s_lshl_b32 s6, s20, 8
	s_add_i32 s7, s21, s6
	v_mov_b32_e32 v10, s7
	ds_read_b128 v[10:13], v10
	s_waitcnt lgkmcnt(1)
	v_mul_f64 v[18:19], v[4:5], v[8:9]
	v_fma_f64 v[18:19], v[2:3], v[6:7], -v[18:19]
	v_mul_f64 v[2:3], v[2:3], v[8:9]
	v_fmac_f64_e32 v[2:3], v[4:5], v[6:7]
	v_add_f64 v[4:5], v[16:17], -v[2:3]
	v_add_f64 v[6:7], v[14:15], -v[18:19]
	s_waitcnt lgkmcnt(0)
	v_mul_f64 v[2:3], v[12:13], v[4:5]
	v_mul_f64 v[4:5], v[10:11], v[4:5]
	v_fma_f64 v[2:3], v[10:11], v[6:7], -v[2:3]
	v_fmac_f64_e32 v[4:5], v[12:13], v[6:7]
	v_add_u32_e32 v6, s6, v1
	s_add_i32 s5, s5, -12
	ds_write_b128 v6, v[2:5]
.LBB214_38:
	s_cmp_lt_i32 s5, 0
	s_cbranch_scc1 .LBB214_51
; %bb.39:
	s_bitcmp1_b32 s5, 0
	s_cselect_b64 s[6:7], -1, 0
	s_and_b64 vcc, exec, s[6:7]
	s_mov_b32 s6, s5
	s_cbranch_vccnz .LBB214_44
; %bb.40:
	s_lshl_b32 s6, s5, 8
	v_add_u32_e32 v6, s6, v1
	ds_read_b128 v[2:5], v6
	s_cmp_le_i32 s4, s5
	s_cbranch_scc1 .LBB214_43
; %bb.41:
	s_lshl_b32 s7, s24, 8
	s_lshl_b32 s6, s5, 4
	s_add_i32 s6, s7, s6
	v_lshl_or_b32 v7, v0, 4, s7
	s_addk_i32 s6, 0xff00
	v_add_u32_e32 v7, 0xf00, v7
	s_mov_b32 s7, s4
.LBB214_42:                             ; =>This Inner Loop Header: Depth=1
	v_mov_b32_e32 v12, s6
	ds_read_b128 v[8:11], v7
	ds_read_b128 v[12:15], v12
	s_add_i32 s7, s7, -1
	s_addk_i32 s6, 0xff00
	v_add_u32_e32 v7, 0xffffff00, v7
	s_cmp_gt_i32 s7, s5
	s_waitcnt lgkmcnt(0)
	v_mul_f64 v[16:17], v[10:11], v[14:15]
	v_mul_f64 v[14:15], v[8:9], v[14:15]
	v_fma_f64 v[8:9], v[8:9], v[12:13], -v[16:17]
	v_fmac_f64_e32 v[14:15], v[10:11], v[12:13]
	v_add_f64 v[2:3], v[2:3], -v[8:9]
	v_add_f64 v[4:5], v[4:5], -v[14:15]
	s_cbranch_scc1 .LBB214_42
.LBB214_43:
	s_mul_i32 s6, s5, 0x110
	v_mov_b32_e32 v7, s6
	ds_read_b128 v[8:11], v7
	s_add_i32 s6, s5, -1
	s_waitcnt lgkmcnt(0)
	v_mul_f64 v[12:13], v[10:11], v[4:5]
	v_mul_f64 v[14:15], v[8:9], v[4:5]
	v_fma_f64 v[12:13], v[8:9], v[2:3], -v[12:13]
	v_fmac_f64_e32 v[14:15], v[10:11], v[2:3]
	ds_write_b128 v6, v[12:15]
.LBB214_44:
	s_cmp_eq_u32 s5, 0
	s_cbranch_scc1 .LBB214_51
; %bb.45:
	s_lshl_b32 s7, s24, 8
	s_lshl_b32 s5, s6, 4
	s_add_i32 s10, s7, s5
	v_lshl_or_b32 v2, v0, 4, s7
	s_add_i32 s5, s10, 0xffffff00
	v_add_u32_e32 v10, 0xf00, v2
	s_add_i32 s7, s10, 0xfffffef0
	s_branch .LBB214_47
.LBB214_46:                             ;   in Loop: Header=BB214_47 Depth=1
	s_addk_i32 s10, 0xfef0
	v_mov_b32_e32 v6, s10
	ds_read_b128 v[6:9], v6
	s_add_i32 s10, s6, -2
	s_sub_i32 s5, s5, 32
	s_sub_i32 s7, s7, 32
	s_cmp_lt_i32 s6, 2
	s_waitcnt lgkmcnt(0)
	v_mul_f64 v[12:13], v[8:9], v[4:5]
	v_mul_f64 v[14:15], v[6:7], v[4:5]
	v_fma_f64 v[12:13], v[6:7], v[2:3], -v[12:13]
	v_fmac_f64_e32 v[14:15], v[8:9], v[2:3]
	s_mov_b32 s6, s10
	ds_write_b128 v11, v[12:15]
	s_cbranch_scc1 .LBB214_51
.LBB214_47:                             ; =>This Loop Header: Depth=1
                                        ;     Child Loop BB214_48 Depth 2
                                        ;     Child Loop BB214_50 Depth 2
	s_lshl_b32 s11, s6, 8
	v_add_u32_e32 v12, s11, v1
	ds_read_b128 v[6:9], v12
	s_cmp_le_i32 s4, s6
	v_mov_b32_e32 v2, v10
	s_mov_b32 s10, s5
	s_mov_b32 s12, s4
	s_cbranch_scc1 .LBB214_49
.LBB214_48:                             ;   Parent Loop BB214_47 Depth=1
                                        ; =>  This Inner Loop Header: Depth=2
	v_mov_b32_e32 v3, s10
	ds_read_b128 v[14:17], v2
	ds_read_b128 v[18:21], v3
	s_add_i32 s12, s12, -1
	s_addk_i32 s10, 0xff00
	v_add_u32_e32 v2, 0xffffff00, v2
	s_cmp_gt_i32 s12, s6
	s_waitcnt lgkmcnt(0)
	v_mul_f64 v[4:5], v[16:17], v[20:21]
	v_mul_f64 v[20:21], v[14:15], v[20:21]
	v_fma_f64 v[4:5], v[14:15], v[18:19], -v[4:5]
	v_fmac_f64_e32 v[20:21], v[16:17], v[18:19]
	v_add_f64 v[6:7], v[6:7], -v[4:5]
	v_add_f64 v[8:9], v[8:9], -v[20:21]
	s_cbranch_scc1 .LBB214_48
.LBB214_49:                             ;   in Loop: Header=BB214_47 Depth=1
	s_mul_i32 s10, s6, 0x110
	v_mov_b32_e32 v2, s10
	ds_read_b128 v[14:17], v2
	s_addk_i32 s11, 0xff00
	v_add_u32_e32 v11, s11, v1
	ds_read_b128 v[2:5], v11
	s_cmp_le_i32 s24, s6
	s_waitcnt lgkmcnt(1)
	v_mul_f64 v[18:19], v[16:17], v[8:9]
	v_mul_f64 v[20:21], v[14:15], v[8:9]
	v_fma_f64 v[18:19], v[14:15], v[6:7], -v[18:19]
	v_fmac_f64_e32 v[20:21], v[16:17], v[6:7]
	s_mov_b32 s11, s7
	v_mov_b32_e32 v6, v10
	s_mov_b32 s12, s24
	ds_write_b128 v12, v[18:21]
	s_cbranch_scc1 .LBB214_46
.LBB214_50:                             ;   Parent Loop BB214_47 Depth=1
                                        ; =>  This Inner Loop Header: Depth=2
	v_mov_b32_e32 v7, s11
	ds_read_b128 v[12:15], v6
	ds_read_b128 v[16:19], v7
	s_add_i32 s12, s12, -1
	s_addk_i32 s11, 0xff00
	v_add_u32_e32 v6, 0xffffff00, v6
	s_cmp_gt_i32 s12, s6
	s_waitcnt lgkmcnt(0)
	v_mul_f64 v[8:9], v[14:15], v[18:19]
	v_mul_f64 v[18:19], v[12:13], v[18:19]
	v_fma_f64 v[8:9], v[12:13], v[16:17], -v[8:9]
	v_fmac_f64_e32 v[18:19], v[14:15], v[16:17]
	v_add_f64 v[2:3], v[2:3], -v[8:9]
	v_add_f64 v[4:5], v[4:5], -v[18:19]
	s_cbranch_scc1 .LBB214_50
	s_branch .LBB214_46
.LBB214_51:
	s_waitcnt lgkmcnt(0)
	; wave barrier
	s_and_saveexec_b64 s[4:5], s[0:1]
	s_cbranch_execz .LBB214_55
; %bb.52:
	s_andn2_b64 vcc, exec, s[8:9]
	s_cbranch_vccnz .LBB214_55
; %bb.53:
	v_mad_i64_i32 v[2:3], s[0:1], s13, v0, 0
	v_mov_b32_e32 v1, 0x1000
	v_lshl_add_u64 v[2:3], v[2:3], 4, s[2:3]
	v_lshl_or_b32 v0, v0, 4, v1
.LBB214_54:                             ; =>This Inner Loop Header: Depth=1
	ds_read2_b64 v[4:7], v0 offset1:1
	s_add_i32 s24, s24, -1
	v_add_u32_e32 v0, 0x100, v0
	s_cmp_lg_u32 s24, 0
	s_waitcnt lgkmcnt(0)
	flat_store_dwordx4 v[2:3], v[4:7]
	v_lshl_add_u64 v[2:3], v[2:3], 0, 16
	s_cbranch_scc1 .LBB214_54
.LBB214_55:
	s_endpgm
	.section	.rodata,"a",@progbits
	.p2align	6, 0x0
	.amdhsa_kernel _ZL38rocblas_trsm_small_left_device_sharedBILi16ELi16ELb0E19rocblas_complex_numIdES1_PKPKS1_PKPS1_Ev13rocblas_fill_18rocblas_operation_17rocblas_diagonal_iiT3_T4_lilT5_lili
		.amdhsa_group_segment_fixed_size 8192
		.amdhsa_private_segment_fixed_size 0
		.amdhsa_kernarg_size 368
		.amdhsa_user_sgpr_count 2
		.amdhsa_user_sgpr_dispatch_ptr 0
		.amdhsa_user_sgpr_queue_ptr 0
		.amdhsa_user_sgpr_kernarg_segment_ptr 1
		.amdhsa_user_sgpr_dispatch_id 0
		.amdhsa_user_sgpr_kernarg_preload_length 0
		.amdhsa_user_sgpr_kernarg_preload_offset 0
		.amdhsa_user_sgpr_private_segment_size 0
		.amdhsa_uses_dynamic_stack 0
		.amdhsa_enable_private_segment 0
		.amdhsa_system_sgpr_workgroup_id_x 1
		.amdhsa_system_sgpr_workgroup_id_y 0
		.amdhsa_system_sgpr_workgroup_id_z 1
		.amdhsa_system_sgpr_workgroup_info 0
		.amdhsa_system_vgpr_workitem_id 0
		.amdhsa_next_free_vgpr 86
		.amdhsa_next_free_sgpr 96
		.amdhsa_accum_offset 88
		.amdhsa_reserve_vcc 1
		.amdhsa_float_round_mode_32 0
		.amdhsa_float_round_mode_16_64 0
		.amdhsa_float_denorm_mode_32 3
		.amdhsa_float_denorm_mode_16_64 3
		.amdhsa_dx10_clamp 1
		.amdhsa_ieee_mode 1
		.amdhsa_fp16_overflow 0
		.amdhsa_tg_split 0
		.amdhsa_exception_fp_ieee_invalid_op 0
		.amdhsa_exception_fp_denorm_src 0
		.amdhsa_exception_fp_ieee_div_zero 0
		.amdhsa_exception_fp_ieee_overflow 0
		.amdhsa_exception_fp_ieee_underflow 0
		.amdhsa_exception_fp_ieee_inexact 0
		.amdhsa_exception_int_div_zero 0
	.end_amdhsa_kernel
	.section	.text._ZL38rocblas_trsm_small_left_device_sharedBILi16ELi16ELb0E19rocblas_complex_numIdES1_PKPKS1_PKPS1_Ev13rocblas_fill_18rocblas_operation_17rocblas_diagonal_iiT3_T4_lilT5_lili,"axG",@progbits,_ZL38rocblas_trsm_small_left_device_sharedBILi16ELi16ELb0E19rocblas_complex_numIdES1_PKPKS1_PKPS1_Ev13rocblas_fill_18rocblas_operation_17rocblas_diagonal_iiT3_T4_lilT5_lili,comdat
.Lfunc_end214:
	.size	_ZL38rocblas_trsm_small_left_device_sharedBILi16ELi16ELb0E19rocblas_complex_numIdES1_PKPKS1_PKPS1_Ev13rocblas_fill_18rocblas_operation_17rocblas_diagonal_iiT3_T4_lilT5_lili, .Lfunc_end214-_ZL38rocblas_trsm_small_left_device_sharedBILi16ELi16ELb0E19rocblas_complex_numIdES1_PKPKS1_PKPS1_Ev13rocblas_fill_18rocblas_operation_17rocblas_diagonal_iiT3_T4_lilT5_lili
                                        ; -- End function
	.set _ZL38rocblas_trsm_small_left_device_sharedBILi16ELi16ELb0E19rocblas_complex_numIdES1_PKPKS1_PKPS1_Ev13rocblas_fill_18rocblas_operation_17rocblas_diagonal_iiT3_T4_lilT5_lili.num_vgpr, 86
	.set _ZL38rocblas_trsm_small_left_device_sharedBILi16ELi16ELb0E19rocblas_complex_numIdES1_PKPKS1_PKPS1_Ev13rocblas_fill_18rocblas_operation_17rocblas_diagonal_iiT3_T4_lilT5_lili.num_agpr, 0
	.set _ZL38rocblas_trsm_small_left_device_sharedBILi16ELi16ELb0E19rocblas_complex_numIdES1_PKPKS1_PKPS1_Ev13rocblas_fill_18rocblas_operation_17rocblas_diagonal_iiT3_T4_lilT5_lili.numbered_sgpr, 28
	.set _ZL38rocblas_trsm_small_left_device_sharedBILi16ELi16ELb0E19rocblas_complex_numIdES1_PKPKS1_PKPS1_Ev13rocblas_fill_18rocblas_operation_17rocblas_diagonal_iiT3_T4_lilT5_lili.num_named_barrier, 0
	.set _ZL38rocblas_trsm_small_left_device_sharedBILi16ELi16ELb0E19rocblas_complex_numIdES1_PKPKS1_PKPS1_Ev13rocblas_fill_18rocblas_operation_17rocblas_diagonal_iiT3_T4_lilT5_lili.private_seg_size, 0
	.set _ZL38rocblas_trsm_small_left_device_sharedBILi16ELi16ELb0E19rocblas_complex_numIdES1_PKPKS1_PKPS1_Ev13rocblas_fill_18rocblas_operation_17rocblas_diagonal_iiT3_T4_lilT5_lili.uses_vcc, 1
	.set _ZL38rocblas_trsm_small_left_device_sharedBILi16ELi16ELb0E19rocblas_complex_numIdES1_PKPKS1_PKPS1_Ev13rocblas_fill_18rocblas_operation_17rocblas_diagonal_iiT3_T4_lilT5_lili.uses_flat_scratch, 0
	.set _ZL38rocblas_trsm_small_left_device_sharedBILi16ELi16ELb0E19rocblas_complex_numIdES1_PKPKS1_PKPS1_Ev13rocblas_fill_18rocblas_operation_17rocblas_diagonal_iiT3_T4_lilT5_lili.has_dyn_sized_stack, 0
	.set _ZL38rocblas_trsm_small_left_device_sharedBILi16ELi16ELb0E19rocblas_complex_numIdES1_PKPKS1_PKPS1_Ev13rocblas_fill_18rocblas_operation_17rocblas_diagonal_iiT3_T4_lilT5_lili.has_recursion, 0
	.set _ZL38rocblas_trsm_small_left_device_sharedBILi16ELi16ELb0E19rocblas_complex_numIdES1_PKPKS1_PKPS1_Ev13rocblas_fill_18rocblas_operation_17rocblas_diagonal_iiT3_T4_lilT5_lili.has_indirect_call, 0
	.section	.AMDGPU.csdata,"",@progbits
; Kernel info:
; codeLenInByte = 28648
; TotalNumSgprs: 34
; NumVgprs: 86
; NumAgprs: 0
; TotalNumVgprs: 86
; ScratchSize: 0
; MemoryBound: 0
; FloatMode: 240
; IeeeMode: 1
; LDSByteSize: 8192 bytes/workgroup (compile time only)
; SGPRBlocks: 12
; VGPRBlocks: 10
; NumSGPRsForWavesPerEU: 102
; NumVGPRsForWavesPerEU: 86
; AccumOffset: 88
; Occupancy: 5
; WaveLimiterHint : 0
; COMPUTE_PGM_RSRC2:SCRATCH_EN: 0
; COMPUTE_PGM_RSRC2:USER_SGPR: 2
; COMPUTE_PGM_RSRC2:TRAP_HANDLER: 0
; COMPUTE_PGM_RSRC2:TGID_X_EN: 1
; COMPUTE_PGM_RSRC2:TGID_Y_EN: 0
; COMPUTE_PGM_RSRC2:TGID_Z_EN: 1
; COMPUTE_PGM_RSRC2:TIDIG_COMP_CNT: 0
; COMPUTE_PGM_RSRC3_GFX90A:ACCUM_OFFSET: 21
; COMPUTE_PGM_RSRC3_GFX90A:TG_SPLIT: 0
	.section	.text._ZL30rocblas_trsm_small_left_deviceILi16ELi16ELb0E19rocblas_complex_numIdES1_PKPKS1_PKPS1_Ev13rocblas_fill_18rocblas_operation_17rocblas_diagonal_iiT3_T4_lilT5_lili,"axG",@progbits,_ZL30rocblas_trsm_small_left_deviceILi16ELi16ELb0E19rocblas_complex_numIdES1_PKPKS1_PKPS1_Ev13rocblas_fill_18rocblas_operation_17rocblas_diagonal_iiT3_T4_lilT5_lili,comdat
	.globl	_ZL30rocblas_trsm_small_left_deviceILi16ELi16ELb0E19rocblas_complex_numIdES1_PKPKS1_PKPS1_Ev13rocblas_fill_18rocblas_operation_17rocblas_diagonal_iiT3_T4_lilT5_lili ; -- Begin function _ZL30rocblas_trsm_small_left_deviceILi16ELi16ELb0E19rocblas_complex_numIdES1_PKPKS1_PKPS1_Ev13rocblas_fill_18rocblas_operation_17rocblas_diagonal_iiT3_T4_lilT5_lili
	.p2align	8
	.type	_ZL30rocblas_trsm_small_left_deviceILi16ELi16ELb0E19rocblas_complex_numIdES1_PKPKS1_PKPS1_Ev13rocblas_fill_18rocblas_operation_17rocblas_diagonal_iiT3_T4_lilT5_lili,@function
_ZL30rocblas_trsm_small_left_deviceILi16ELi16ELb0E19rocblas_complex_numIdES1_PKPKS1_PKPS1_Ev13rocblas_fill_18rocblas_operation_17rocblas_diagonal_iiT3_T4_lilT5_lili: ; @_ZL30rocblas_trsm_small_left_deviceILi16ELi16ELb0E19rocblas_complex_numIdES1_PKPKS1_PKPS1_Ev13rocblas_fill_18rocblas_operation_17rocblas_diagonal_iiT3_T4_lilT5_lili
; %bb.0:
	s_load_dwordx4 s[12:15], s[0:1], 0x4
	s_load_dwordx4 s[16:19], s[0:1], 0x48
	s_load_dwordx8 s[4:11], s[0:1], 0x18
	s_mov_b32 s20, s3
	s_mov_b32 s21, 0
	s_lshl_b64 s[22:23], s[20:21], 3
	s_waitcnt lgkmcnt(0)
	s_add_u32 s16, s16, s22
	s_addc_u32 s17, s17, s23
	s_load_dword s3, s[0:1], 0x70
	s_min_i32 s24, s14, 16
	s_load_dwordx2 s[16:17], s[16:17], 0x0
	v_cmp_gt_i32_e32 vcc, s24, v0
	s_and_saveexec_b64 s[20:21], vcc
	s_cbranch_execz .LBB215_11
; %bb.1:
	s_load_dword s26, s[0:1], 0x38
	v_lshlrev_b32_e32 v2, 4, v0
	v_mov_b32_e32 v3, 0
	v_mov_b32_e32 v1, v2
	s_waitcnt lgkmcnt(0)
	s_ashr_i32 s27, s26, 31
	s_cmpk_eq_i32 s12, 0x71
	s_cselect_b64 vcc, -1, 0
	s_add_u32 s8, s8, s22
	s_addc_u32 s9, s9, s23
	s_load_dwordx2 s[8:9], s[8:9], 0x0
	s_lshl_b64 s[10:11], s[10:11], 4
	s_waitcnt lgkmcnt(0)
	s_add_u32 s10, s8, s10
	s_addc_u32 s11, s9, s11
	s_lshl_b64 s[8:9], s[26:27], 4
	v_lshl_add_u64 v[4:5], s[10:11], 0, v[2:3]
	s_mov_b32 s10, s24
.LBB215_2:                              ; =>This Inner Loop Header: Depth=1
	flat_load_dwordx4 v[6:9], v[4:5]
	s_add_i32 s10, s10, -1
	v_lshl_add_u64 v[4:5], v[4:5], 0, s[8:9]
	s_cmp_eq_u32 s10, 0
	s_waitcnt vmcnt(0) lgkmcnt(0)
	v_xor_b32_e32 v3, 0x80000000, v9
	v_cndmask_b32_e32 v9, v9, v3, vcc
	ds_write_b128 v1, v[6:9]
	v_add_u32_e32 v1, 0x100, v1
	s_cbranch_scc0 .LBB215_2
; %bb.3:
	v_lshlrev_b32_e32 v1, 8, v0
	s_cmpk_lg_i32 s13, 0x84
	v_add_u32_e32 v1, v2, v1
	s_cbranch_scc0 .LBB215_9
; %bb.4:
	ds_read_b128 v[2:5], v1
                                        ; implicit-def: $vgpr8_vgpr9
	s_waitcnt lgkmcnt(0)
	v_cmp_ngt_f64_e64 s[8:9], |v[2:3]|, |v[4:5]|
	s_and_saveexec_b64 s[10:11], s[8:9]
	s_xor_b64 s[8:9], exec, s[10:11]
	s_cbranch_execz .LBB215_6
; %bb.5:
	v_div_scale_f64 v[6:7], s[10:11], v[4:5], v[4:5], v[2:3]
	v_rcp_f64_e32 v[8:9], v[6:7]
	v_div_scale_f64 v[10:11], vcc, v[2:3], v[4:5], v[2:3]
	v_fma_f64 v[12:13], -v[6:7], v[8:9], 1.0
	v_fmac_f64_e32 v[8:9], v[8:9], v[12:13]
	v_fma_f64 v[12:13], -v[6:7], v[8:9], 1.0
	v_fmac_f64_e32 v[8:9], v[8:9], v[12:13]
	v_mul_f64 v[12:13], v[10:11], v[8:9]
	v_fma_f64 v[6:7], -v[6:7], v[12:13], v[10:11]
	v_div_fmas_f64 v[6:7], v[6:7], v[8:9], v[12:13]
	v_div_fixup_f64 v[8:9], v[6:7], v[4:5], v[2:3]
	v_fmac_f64_e32 v[4:5], v[2:3], v[8:9]
	v_div_scale_f64 v[2:3], s[10:11], v[4:5], v[4:5], 1.0
	v_rcp_f64_e32 v[6:7], v[2:3]
	s_nop 0
	v_fma_f64 v[10:11], -v[2:3], v[6:7], 1.0
	v_fmac_f64_e32 v[6:7], v[6:7], v[10:11]
	v_fma_f64 v[10:11], -v[2:3], v[6:7], 1.0
	v_fmac_f64_e32 v[6:7], v[6:7], v[10:11]
	v_div_scale_f64 v[10:11], vcc, 1.0, v[4:5], 1.0
	v_mul_f64 v[12:13], v[10:11], v[6:7]
	v_fma_f64 v[2:3], -v[2:3], v[12:13], v[10:11]
	s_nop 1
	v_div_fmas_f64 v[2:3], v[2:3], v[6:7], v[12:13]
	v_div_fixup_f64 v[2:3], v[2:3], v[4:5], 1.0
	v_add_f64 v[4:5], v[8:9], 0
	v_mul_f64 v[6:7], v[4:5], v[2:3]
	v_fma_f64 v[4:5], v[8:9], 0, -1.0
	v_mul_f64 v[8:9], v[4:5], v[2:3]
                                        ; implicit-def: $vgpr2_vgpr3
.LBB215_6:
	s_andn2_saveexec_b64 s[8:9], s[8:9]
	s_cbranch_execz .LBB215_8
; %bb.7:
	v_div_scale_f64 v[6:7], s[10:11], v[2:3], v[2:3], v[4:5]
	v_rcp_f64_e32 v[8:9], v[6:7]
	v_div_scale_f64 v[10:11], vcc, v[4:5], v[2:3], v[4:5]
	v_fma_f64 v[12:13], -v[6:7], v[8:9], 1.0
	v_fmac_f64_e32 v[8:9], v[8:9], v[12:13]
	v_fma_f64 v[12:13], -v[6:7], v[8:9], 1.0
	v_fmac_f64_e32 v[8:9], v[8:9], v[12:13]
	v_mul_f64 v[12:13], v[10:11], v[8:9]
	v_fma_f64 v[6:7], -v[6:7], v[12:13], v[10:11]
	v_div_fmas_f64 v[6:7], v[6:7], v[8:9], v[12:13]
	v_div_fixup_f64 v[8:9], v[6:7], v[2:3], v[4:5]
	v_fmac_f64_e32 v[2:3], v[4:5], v[8:9]
	v_div_scale_f64 v[4:5], s[10:11], v[2:3], v[2:3], 1.0
	v_rcp_f64_e32 v[6:7], v[4:5]
	s_nop 0
	v_fma_f64 v[10:11], -v[4:5], v[6:7], 1.0
	v_fmac_f64_e32 v[6:7], v[6:7], v[10:11]
	v_fma_f64 v[10:11], -v[4:5], v[6:7], 1.0
	v_fmac_f64_e32 v[6:7], v[6:7], v[10:11]
	v_div_scale_f64 v[10:11], vcc, 1.0, v[2:3], 1.0
	v_mul_f64 v[12:13], v[10:11], v[6:7]
	v_fma_f64 v[4:5], -v[4:5], v[12:13], v[10:11]
	s_nop 1
	v_div_fmas_f64 v[4:5], v[4:5], v[6:7], v[12:13]
	v_div_fixup_f64 v[2:3], v[4:5], v[2:3], 1.0
	v_fma_f64 v[4:5], v[8:9], 0, 1.0
	v_mul_f64 v[6:7], v[4:5], v[2:3]
	v_add_f64 v[4:5], -v[8:9], 0
	v_mul_f64 v[8:9], v[4:5], v[2:3]
.LBB215_8:
	s_or_b64 exec, exec, s[8:9]
	s_branch .LBB215_10
.LBB215_9:
	v_mov_b64_e32 v[8:9], 0
	v_mov_b64_e32 v[6:7], 1.0
.LBB215_10:
	ds_write_b128 v1, v[6:9]
.LBB215_11:
	s_or_b64 exec, exec, s[20:21]
	s_waitcnt lgkmcnt(0)
	s_add_i32 s8, s3, -1
	s_lshl_b32 s3, s2, 4
	s_sub_i32 s9, s15, s3
	s_cmp_ge_u32 s2, s8
	s_cselect_b32 s2, s9, 16
	v_cmp_gt_i32_e32 vcc, s2, v0
	; wave barrier
	s_and_saveexec_b64 s[8:9], vcc
	s_cbranch_execz .LBB215_54
; %bb.12:
	s_load_dword s2, s[0:1], 0x58
	s_lshl_b64 s[0:1], s[18:19], 4
	s_add_u32 s8, s16, s0
	v_add_u32_e32 v0, s3, v0
	s_addc_u32 s9, s17, s1
	s_waitcnt lgkmcnt(0)
	v_mad_i64_i32 v[6:7], s[2:3], s2, v0, 0
	v_lshl_add_u64 v[4:5], v[6:7], 4, s[8:9]
	s_cmpk_eq_i32 s12, 0x6f
	s_mov_b64 s[2:3], -1
	s_cbranch_scc1 .LBB215_34
; %bb.13:
	s_add_u32 s2, s16, s0
	s_addc_u32 s3, s17, s1
	v_lshl_add_u64 v[8:9], v[6:7], 4, s[2:3]
	s_mov_b32 s3, 0
	s_mov_b32 s8, s3
	;; [unrolled: 1-line block ×3, first 2 shown]
	s_branch .LBB215_15
.LBB215_14:                             ;   in Loop: Header=BB215_15 Depth=1
	s_cmp_ge_i32 s10, s24
	s_cselect_b64 s[12:13], -1, 0
	s_add_i32 s8, s8, 1
	s_cmp_eq_u32 s8, 3
	s_cselect_b64 s[14:15], -1, 0
	s_or_b64 s[12:13], s[12:13], s[14:15]
	s_andn2_b64 vcc, exec, s[12:13]
	s_cbranch_vccz .LBB215_33
.LBB215_15:                             ; =>This Loop Header: Depth=1
                                        ;     Child Loop BB215_18 Depth 2
                                        ;       Child Loop BB215_19 Depth 3
                                        ;       Child Loop BB215_22 Depth 3
                                        ;         Child Loop BB215_23 Depth 4
                                        ;       Child Loop BB215_27 Depth 3
                                        ;         Child Loop BB215_29 Depth 4
	s_mov_b32 s9, s3
	s_lshl_b64 s[12:13], s[8:9], 2
	s_getpc_b64 s[14:15]
	s_add_u32 s14, s14, __const._ZL30rocblas_trsm_small_left_deviceILi16ELi16ELb0E19rocblas_complex_numIdES1_PKPKS1_PKPS1_Ev13rocblas_fill_18rocblas_operation_17rocblas_diagonal_iiT3_T4_lilT5_lili.step_sizes@rel32@lo+4
	s_addc_u32 s15, s15, __const._ZL30rocblas_trsm_small_left_deviceILi16ELi16ELb0E19rocblas_complex_numIdES1_PKPKS1_PKPS1_Ev13rocblas_fill_18rocblas_operation_17rocblas_diagonal_iiT3_T4_lilT5_lili.step_sizes@rel32@hi+12
	s_add_u32 s12, s14, s12
	s_addc_u32 s13, s15, s13
	s_load_dword s12, s[12:13], 0x0
	s_waitcnt lgkmcnt(0)
	s_add_i32 s9, s12, -1
	s_add_i32 s2, s9, s10
	s_cmp_ge_i32 s2, s24
	s_cbranch_scc1 .LBB215_14
; %bb.16:                               ;   in Loop: Header=BB215_15 Depth=1
	s_ashr_i32 s11, s10, 31
	s_ashr_i32 s13, s12, 31
	s_max_i32 s22, s12, 1
	v_lshl_add_u64 v[10:11], s[10:11], 4, v[8:9]
	s_lshl_b64 s[14:15], s[12:13], 4
	s_lshl_b32 s11, s10, 8
	s_lshl_b32 s13, s12, 8
	s_mul_i32 s23, s10, 0x110
	s_mul_i32 s25, s12, 0x110
	s_branch .LBB215_18
.LBB215_17:                             ;   in Loop: Header=BB215_18 Depth=2
	s_add_i32 s10, s10, s12
	s_add_i32 s2, s9, s10
	;; [unrolled: 1-line block ×4, first 2 shown]
	s_cmp_ge_i32 s2, s24
	v_lshl_add_u64 v[10:11], v[10:11], 0, s[14:15]
	s_cbranch_scc1 .LBB215_14
.LBB215_18:                             ;   Parent Loop BB215_15 Depth=1
                                        ; =>  This Loop Header: Depth=2
                                        ;       Child Loop BB215_19 Depth 3
                                        ;       Child Loop BB215_22 Depth 3
                                        ;         Child Loop BB215_23 Depth 4
                                        ;       Child Loop BB215_27 Depth 3
                                        ;         Child Loop BB215_29 Depth 4
	s_mov_b32 s2, 0
	v_mov_b64_e32 v[0:1], v[10:11]
	s_mov_b32 s18, s22
.LBB215_19:                             ;   Parent Loop BB215_15 Depth=1
                                        ;     Parent Loop BB215_18 Depth=2
                                        ; =>    This Inner Loop Header: Depth=3
	flat_load_dwordx4 v[12:15], v[0:1]
	s_add_i32 s18, s18, -1
	v_lshl_add_u64 v[0:1], v[0:1], 0, 16
	s_waitcnt vmcnt(0) lgkmcnt(0)
	v_mul_f64 v[2:3], s[6:7], v[14:15]
	v_mul_f64 v[16:17], s[4:5], v[14:15]
	v_fma_f64 v[14:15], s[4:5], v[12:13], -v[2:3]
	v_fmac_f64_e32 v[16:17], s[6:7], v[12:13]
	scratch_store_dwordx4 off, v[14:17], s2
	s_add_i32 s2, s2, 16
	s_cmp_eq_u32 s18, 0
	s_cbranch_scc0 .LBB215_19
; %bb.20:                               ;   in Loop: Header=BB215_18 Depth=2
	s_cmp_lt_i32 s10, 1
	s_cbranch_scc1 .LBB215_25
; %bb.21:                               ;   in Loop: Header=BB215_18 Depth=2
	s_mov_b32 s2, 0
	s_mov_b32 s18, s11
.LBB215_22:                             ;   Parent Loop BB215_15 Depth=1
                                        ;     Parent Loop BB215_18 Depth=2
                                        ; =>    This Loop Header: Depth=3
                                        ;         Child Loop BB215_23 Depth 4
	v_lshl_add_u64 v[0:1], s[2:3], 4, v[4:5]
	flat_load_dwordx4 v[0:3], v[0:1]
	s_mov_b32 s19, 0
	s_mov_b32 s20, s18
	;; [unrolled: 1-line block ×3, first 2 shown]
.LBB215_23:                             ;   Parent Loop BB215_15 Depth=1
                                        ;     Parent Loop BB215_18 Depth=2
                                        ;       Parent Loop BB215_22 Depth=3
                                        ; =>      This Inner Loop Header: Depth=4
	scratch_load_dwordx4 v[12:15], off, s19
	v_mov_b32_e32 v16, s20
	ds_read_b128 v[16:19], v16
	s_add_i32 s21, s21, -1
	s_addk_i32 s20, 0x100
	s_waitcnt vmcnt(0) lgkmcnt(0)
	v_mul_f64 v[20:21], v[2:3], v[18:19]
	v_mul_f64 v[18:19], v[0:1], v[18:19]
	v_fma_f64 v[20:21], v[0:1], v[16:17], -v[20:21]
	v_fmac_f64_e32 v[18:19], v[2:3], v[16:17]
	v_add_f64 v[12:13], v[12:13], -v[20:21]
	v_add_f64 v[14:15], v[14:15], -v[18:19]
	scratch_store_dwordx4 off, v[12:15], s19
	s_add_i32 s19, s19, 16
	s_cmp_eq_u32 s21, 0
	s_cbranch_scc0 .LBB215_23
; %bb.24:                               ;   in Loop: Header=BB215_22 Depth=3
	s_add_i32 s2, s2, 1
	s_add_i32 s18, s18, 16
	s_cmp_eq_u32 s2, s10
	s_cbranch_scc0 .LBB215_22
.LBB215_25:                             ;   in Loop: Header=BB215_18 Depth=2
	s_mov_b32 s2, 0
	s_mov_b32 s26, s23
	s_branch .LBB215_27
.LBB215_26:                             ;   in Loop: Header=BB215_27 Depth=3
	s_mul_i32 s19, s18, 0x110
	v_mov_b32_e32 v12, s19
	ds_read_b128 v[12:15], v12
	s_lshl_b32 s19, s2, 4
	s_add_i32 s2, s2, 1
	s_addk_i32 s26, 0x100
	s_waitcnt vmcnt(0) lgkmcnt(0)
	v_mul_f64 v[16:17], v[14:15], v[2:3]
	v_mul_f64 v[18:19], v[12:13], v[2:3]
	v_fma_f64 v[16:17], v[12:13], v[0:1], -v[16:17]
	v_fmac_f64_e32 v[18:19], v[14:15], v[0:1]
	scratch_store_dwordx4 off, v[16:19], s19
	s_ashr_i32 s19, s18, 31
	v_lshl_add_u64 v[0:1], s[18:19], 4, v[4:5]
	s_cmp_eq_u32 s2, s22
	flat_store_dwordx4 v[0:1], v[16:19]
	s_cbranch_scc1 .LBB215_17
.LBB215_27:                             ;   Parent Loop BB215_15 Depth=1
                                        ;     Parent Loop BB215_18 Depth=2
                                        ; =>    This Loop Header: Depth=3
                                        ;         Child Loop BB215_29 Depth 4
	s_cmp_lg_u32 s2, 0
	s_cbranch_scc0 .LBB215_31
; %bb.28:                               ;   in Loop: Header=BB215_27 Depth=3
	s_lshl_b32 s19, s2, 4
	scratch_load_dwordx4 v[0:3], off, s19
	s_add_i32 s18, s2, s10
	s_mov_b32 s20, 0
	s_mov_b32 s21, s26
	;; [unrolled: 1-line block ×3, first 2 shown]
.LBB215_29:                             ;   Parent Loop BB215_15 Depth=1
                                        ;     Parent Loop BB215_18 Depth=2
                                        ;       Parent Loop BB215_27 Depth=3
                                        ; =>      This Inner Loop Header: Depth=4
	scratch_load_dwordx4 v[12:15], off, s20
	v_mov_b32_e32 v16, s21
	ds_read_b128 v[16:19], v16
	s_add_i32 s27, s27, -1
	s_add_i32 s20, s20, 16
	s_add_i32 s21, s21, 16
	s_cmp_eq_u32 s27, 0
	s_waitcnt vmcnt(0) lgkmcnt(0)
	v_mul_f64 v[20:21], v[18:19], v[14:15]
	v_mul_f64 v[14:15], v[16:17], v[14:15]
	v_fma_f64 v[16:17], v[16:17], v[12:13], -v[20:21]
	v_fmac_f64_e32 v[14:15], v[18:19], v[12:13]
	v_add_f64 v[0:1], v[0:1], -v[16:17]
	v_add_f64 v[2:3], v[2:3], -v[14:15]
	scratch_store_dwordx4 off, v[0:3], s19
	s_cbranch_scc0 .LBB215_29
; %bb.30:                               ;   in Loop: Header=BB215_27 Depth=3
	s_branch .LBB215_26
.LBB215_31:                             ;   in Loop: Header=BB215_27 Depth=3
                                        ; implicit-def: $vgpr0_vgpr1
                                        ; implicit-def: $sgpr18
	s_cbranch_execz .LBB215_26
; %bb.32:                               ;   in Loop: Header=BB215_27 Depth=3
	scratch_load_dwordx4 v[0:3], off, off
	s_mov_b32 s18, s10
	s_branch .LBB215_26
.LBB215_33:
	s_mov_b64 s[2:3], 0
.LBB215_34:
	s_and_b64 vcc, exec, s[2:3]
	s_cbranch_vccz .LBB215_54
; %bb.35:
	s_add_i32 s14, s24, -1
	s_add_u32 s0, s16, s0
	s_addc_u32 s1, s17, s1
	v_lshl_add_u64 v[6:7], v[6:7], 4, s[0:1]
	s_lshl_b32 s15, s24, 8
	s_mov_b32 s1, 0
	s_addk_i32 s15, 0xff00
	s_mov_b32 s2, s14
	s_mov_b32 s0, s1
	s_branch .LBB215_37
.LBB215_36:                             ;   in Loop: Header=BB215_37 Depth=1
	s_cmp_lt_i32 s2, 0
	s_cselect_b64 s[8:9], -1, 0
	s_add_i32 s0, s0, 1
	s_cmp_eq_u32 s0, 3
	s_cselect_b64 s[10:11], -1, 0
	s_or_b64 s[8:9], s[8:9], s[10:11]
	s_and_b64 vcc, exec, s[8:9]
	s_cbranch_vccnz .LBB215_54
.LBB215_37:                             ; =>This Loop Header: Depth=1
                                        ;     Child Loop BB215_40 Depth 2
                                        ;       Child Loop BB215_41 Depth 3
                                        ;       Child Loop BB215_43 Depth 3
                                        ;         Child Loop BB215_44 Depth 4
                                        ;       Child Loop BB215_48 Depth 3
                                        ;         Child Loop BB215_50 Depth 4
	s_lshl_b64 s[8:9], s[0:1], 2
	s_getpc_b64 s[10:11]
	s_add_u32 s10, s10, __const._ZL30rocblas_trsm_small_left_deviceILi16ELi16ELb0E19rocblas_complex_numIdES1_PKPKS1_PKPS1_Ev13rocblas_fill_18rocblas_operation_17rocblas_diagonal_iiT3_T4_lilT5_lili.step_sizes@rel32@lo+4
	s_addc_u32 s11, s11, __const._ZL30rocblas_trsm_small_left_deviceILi16ELi16ELb0E19rocblas_complex_numIdES1_PKPKS1_PKPS1_Ev13rocblas_fill_18rocblas_operation_17rocblas_diagonal_iiT3_T4_lilT5_lili.step_sizes@rel32@hi+12
	s_add_u32 s8, s10, s8
	s_addc_u32 s9, s11, s9
	s_load_dword s16, s[8:9], 0x0
	s_waitcnt lgkmcnt(0)
	s_add_i32 s17, s16, -1
	s_cmp_lt_i32 s2, s17
	s_cbranch_scc1 .LBB215_36
; %bb.38:                               ;   in Loop: Header=BB215_37 Depth=1
	s_lshl_b32 s3, s2, 4
	s_add_i32 s19, s15, s3
	s_lshl_b32 s3, s16, 4
	s_max_i32 s18, s16, 1
	s_sub_i32 s20, 0, s3
	s_mul_i32 s21, s2, 0x110
	s_mul_i32 s22, s16, 0xfffffef0
	s_branch .LBB215_40
.LBB215_39:                             ;   in Loop: Header=BB215_40 Depth=2
	s_sub_i32 s2, s2, s16
	s_add_i32 s19, s19, s20
	s_add_i32 s21, s21, s22
	s_cmp_lt_i32 s2, s17
	s_cbranch_scc1 .LBB215_36
.LBB215_40:                             ;   Parent Loop BB215_37 Depth=1
                                        ; =>  This Loop Header: Depth=2
                                        ;       Child Loop BB215_41 Depth 3
                                        ;       Child Loop BB215_43 Depth 3
                                        ;         Child Loop BB215_44 Depth 4
                                        ;       Child Loop BB215_48 Depth 3
                                        ;         Child Loop BB215_50 Depth 4
	s_ashr_i32 s3, s2, 31
	v_lshl_add_u64 v[0:1], s[2:3], 4, v[6:7]
	s_mov_b32 s8, 0
	s_mov_b32 s9, s18
.LBB215_41:                             ;   Parent Loop BB215_37 Depth=1
                                        ;     Parent Loop BB215_40 Depth=2
                                        ; =>    This Inner Loop Header: Depth=3
	flat_load_dwordx4 v[8:11], v[0:1]
	s_add_i32 s9, s9, -1
	v_lshl_add_u64 v[0:1], v[0:1], 0, -16
	s_waitcnt vmcnt(0) lgkmcnt(0)
	v_mul_f64 v[2:3], s[6:7], v[10:11]
	v_mul_f64 v[12:13], s[4:5], v[10:11]
	v_fma_f64 v[10:11], s[4:5], v[8:9], -v[2:3]
	v_fmac_f64_e32 v[12:13], s[6:7], v[8:9]
	scratch_store_dwordx4 off, v[10:13], s8
	s_add_i32 s8, s8, 16
	s_cmp_eq_u32 s9, 0
	s_cbranch_scc0 .LBB215_41
; %bb.42:                               ;   in Loop: Header=BB215_40 Depth=2
	s_cmp_le_i32 s14, s2
	s_mov_b32 s10, s19
	s_mov_b32 s8, s14
	s_cbranch_scc1 .LBB215_46
.LBB215_43:                             ;   Parent Loop BB215_37 Depth=1
                                        ;     Parent Loop BB215_40 Depth=2
                                        ; =>    This Loop Header: Depth=3
                                        ;         Child Loop BB215_44 Depth 4
	s_ashr_i32 s9, s8, 31
	v_lshl_add_u64 v[0:1], s[8:9], 4, v[4:5]
	flat_load_dwordx4 v[0:3], v[0:1]
	s_mov_b32 s9, 0
	s_mov_b32 s11, s10
	;; [unrolled: 1-line block ×3, first 2 shown]
.LBB215_44:                             ;   Parent Loop BB215_37 Depth=1
                                        ;     Parent Loop BB215_40 Depth=2
                                        ;       Parent Loop BB215_43 Depth=3
                                        ; =>      This Inner Loop Header: Depth=4
	scratch_load_dwordx4 v[8:11], off, s9
	v_mov_b32_e32 v12, s11
	ds_read_b128 v[12:15], v12
	s_add_i32 s12, s12, -1
	s_add_i32 s11, s11, -16
	s_waitcnt vmcnt(0) lgkmcnt(0)
	v_mul_f64 v[16:17], v[2:3], v[14:15]
	v_mul_f64 v[14:15], v[0:1], v[14:15]
	v_fma_f64 v[16:17], v[0:1], v[12:13], -v[16:17]
	v_fmac_f64_e32 v[14:15], v[2:3], v[12:13]
	v_add_f64 v[8:9], v[8:9], -v[16:17]
	v_add_f64 v[10:11], v[10:11], -v[14:15]
	scratch_store_dwordx4 off, v[8:11], s9
	s_add_i32 s9, s9, 16
	s_cmp_eq_u32 s12, 0
	s_cbranch_scc0 .LBB215_44
; %bb.45:                               ;   in Loop: Header=BB215_43 Depth=3
	s_add_i32 s8, s8, -1
	s_addk_i32 s10, 0xff00
	s_cmp_le_i32 s8, s2
	s_cbranch_scc0 .LBB215_43
.LBB215_46:                             ;   in Loop: Header=BB215_40 Depth=2
	s_mov_b32 s23, 0
	s_mov_b32 s24, s21
	s_branch .LBB215_48
.LBB215_47:                             ;   in Loop: Header=BB215_48 Depth=3
	s_mulk_i32 s10, 0x110
	v_mov_b32_e32 v8, s10
	ds_read_b128 v[8:11], v8
	s_lshl_b32 s10, s23, 4
	s_add_i32 s23, s23, 1
	s_add_i32 s24, s24, -16
	s_cmp_eq_u32 s23, s18
	s_waitcnt vmcnt(0) lgkmcnt(0)
	v_mul_f64 v[12:13], v[10:11], v[2:3]
	v_mul_f64 v[14:15], v[8:9], v[2:3]
	v_fma_f64 v[12:13], v[8:9], v[0:1], -v[12:13]
	v_fmac_f64_e32 v[14:15], v[10:11], v[0:1]
	v_lshl_add_u64 v[0:1], s[8:9], 4, v[4:5]
	scratch_store_dwordx4 off, v[12:15], s10
	flat_store_dwordx4 v[0:1], v[12:15]
	s_cbranch_scc1 .LBB215_39
.LBB215_48:                             ;   Parent Loop BB215_37 Depth=1
                                        ;     Parent Loop BB215_40 Depth=2
                                        ; =>    This Loop Header: Depth=3
                                        ;         Child Loop BB215_50 Depth 4
	s_cmp_lg_u32 s23, 0
	s_cbranch_scc0 .LBB215_52
; %bb.49:                               ;   in Loop: Header=BB215_48 Depth=3
	s_lshl_b32 s8, s23, 4
	scratch_load_dwordx4 v[0:3], off, s8
	s_mov_b32 s9, 0
	s_mov_b32 s10, s24
	;; [unrolled: 1-line block ×3, first 2 shown]
.LBB215_50:                             ;   Parent Loop BB215_37 Depth=1
                                        ;     Parent Loop BB215_40 Depth=2
                                        ;       Parent Loop BB215_48 Depth=3
                                        ; =>      This Inner Loop Header: Depth=4
	scratch_load_dwordx4 v[8:11], off, s9
	v_mov_b32_e32 v12, s10
	ds_read_b128 v[12:15], v12
	s_add_i32 s11, s11, -1
	s_addk_i32 s10, 0xff00
	s_add_i32 s9, s9, 16
	s_cmp_eq_u32 s11, 0
	s_waitcnt vmcnt(0) lgkmcnt(0)
	v_mul_f64 v[16:17], v[14:15], v[10:11]
	v_mul_f64 v[10:11], v[12:13], v[10:11]
	v_fma_f64 v[12:13], v[12:13], v[8:9], -v[16:17]
	v_fmac_f64_e32 v[10:11], v[14:15], v[8:9]
	v_add_f64 v[0:1], v[0:1], -v[12:13]
	v_add_f64 v[2:3], v[2:3], -v[10:11]
	scratch_store_dwordx4 off, v[0:3], s8
	s_cbranch_scc0 .LBB215_50
; %bb.51:                               ;   in Loop: Header=BB215_48 Depth=3
	s_sub_i32 s10, s2, s23
	s_ashr_i32 s11, s10, 31
	s_mov_b64 s[8:9], s[10:11]
	s_branch .LBB215_47
.LBB215_52:                             ;   in Loop: Header=BB215_48 Depth=3
                                        ; implicit-def: $vgpr0_vgpr1
                                        ; implicit-def: $sgpr10
                                        ; implicit-def: $sgpr8_sgpr9
	s_cbranch_execz .LBB215_47
; %bb.53:                               ;   in Loop: Header=BB215_48 Depth=3
	scratch_load_dwordx4 v[0:3], off, off
	s_mov_b64 s[8:9], s[2:3]
	s_mov_b32 s10, s2
	s_branch .LBB215_47
.LBB215_54:
	s_endpgm
	.section	.rodata,"a",@progbits
	.p2align	6, 0x0
	.amdhsa_kernel _ZL30rocblas_trsm_small_left_deviceILi16ELi16ELb0E19rocblas_complex_numIdES1_PKPKS1_PKPS1_Ev13rocblas_fill_18rocblas_operation_17rocblas_diagonal_iiT3_T4_lilT5_lili
		.amdhsa_group_segment_fixed_size 4096
		.amdhsa_private_segment_fixed_size 272
		.amdhsa_kernarg_size 368
		.amdhsa_user_sgpr_count 2
		.amdhsa_user_sgpr_dispatch_ptr 0
		.amdhsa_user_sgpr_queue_ptr 0
		.amdhsa_user_sgpr_kernarg_segment_ptr 1
		.amdhsa_user_sgpr_dispatch_id 0
		.amdhsa_user_sgpr_kernarg_preload_length 0
		.amdhsa_user_sgpr_kernarg_preload_offset 0
		.amdhsa_user_sgpr_private_segment_size 0
		.amdhsa_uses_dynamic_stack 0
		.amdhsa_enable_private_segment 1
		.amdhsa_system_sgpr_workgroup_id_x 1
		.amdhsa_system_sgpr_workgroup_id_y 0
		.amdhsa_system_sgpr_workgroup_id_z 1
		.amdhsa_system_sgpr_workgroup_info 0
		.amdhsa_system_vgpr_workitem_id 0
		.amdhsa_next_free_vgpr 22
		.amdhsa_next_free_sgpr 28
		.amdhsa_accum_offset 24
		.amdhsa_reserve_vcc 1
		.amdhsa_float_round_mode_32 0
		.amdhsa_float_round_mode_16_64 0
		.amdhsa_float_denorm_mode_32 3
		.amdhsa_float_denorm_mode_16_64 3
		.amdhsa_dx10_clamp 1
		.amdhsa_ieee_mode 1
		.amdhsa_fp16_overflow 0
		.amdhsa_tg_split 0
		.amdhsa_exception_fp_ieee_invalid_op 0
		.amdhsa_exception_fp_denorm_src 0
		.amdhsa_exception_fp_ieee_div_zero 0
		.amdhsa_exception_fp_ieee_overflow 0
		.amdhsa_exception_fp_ieee_underflow 0
		.amdhsa_exception_fp_ieee_inexact 0
		.amdhsa_exception_int_div_zero 0
	.end_amdhsa_kernel
	.section	.text._ZL30rocblas_trsm_small_left_deviceILi16ELi16ELb0E19rocblas_complex_numIdES1_PKPKS1_PKPS1_Ev13rocblas_fill_18rocblas_operation_17rocblas_diagonal_iiT3_T4_lilT5_lili,"axG",@progbits,_ZL30rocblas_trsm_small_left_deviceILi16ELi16ELb0E19rocblas_complex_numIdES1_PKPKS1_PKPS1_Ev13rocblas_fill_18rocblas_operation_17rocblas_diagonal_iiT3_T4_lilT5_lili,comdat
.Lfunc_end215:
	.size	_ZL30rocblas_trsm_small_left_deviceILi16ELi16ELb0E19rocblas_complex_numIdES1_PKPKS1_PKPS1_Ev13rocblas_fill_18rocblas_operation_17rocblas_diagonal_iiT3_T4_lilT5_lili, .Lfunc_end215-_ZL30rocblas_trsm_small_left_deviceILi16ELi16ELb0E19rocblas_complex_numIdES1_PKPKS1_PKPS1_Ev13rocblas_fill_18rocblas_operation_17rocblas_diagonal_iiT3_T4_lilT5_lili
                                        ; -- End function
	.set _ZL30rocblas_trsm_small_left_deviceILi16ELi16ELb0E19rocblas_complex_numIdES1_PKPKS1_PKPS1_Ev13rocblas_fill_18rocblas_operation_17rocblas_diagonal_iiT3_T4_lilT5_lili.num_vgpr, 22
	.set _ZL30rocblas_trsm_small_left_deviceILi16ELi16ELb0E19rocblas_complex_numIdES1_PKPKS1_PKPS1_Ev13rocblas_fill_18rocblas_operation_17rocblas_diagonal_iiT3_T4_lilT5_lili.num_agpr, 0
	.set _ZL30rocblas_trsm_small_left_deviceILi16ELi16ELb0E19rocblas_complex_numIdES1_PKPKS1_PKPS1_Ev13rocblas_fill_18rocblas_operation_17rocblas_diagonal_iiT3_T4_lilT5_lili.numbered_sgpr, 28
	.set _ZL30rocblas_trsm_small_left_deviceILi16ELi16ELb0E19rocblas_complex_numIdES1_PKPKS1_PKPS1_Ev13rocblas_fill_18rocblas_operation_17rocblas_diagonal_iiT3_T4_lilT5_lili.num_named_barrier, 0
	.set _ZL30rocblas_trsm_small_left_deviceILi16ELi16ELb0E19rocblas_complex_numIdES1_PKPKS1_PKPS1_Ev13rocblas_fill_18rocblas_operation_17rocblas_diagonal_iiT3_T4_lilT5_lili.private_seg_size, 272
	.set _ZL30rocblas_trsm_small_left_deviceILi16ELi16ELb0E19rocblas_complex_numIdES1_PKPKS1_PKPS1_Ev13rocblas_fill_18rocblas_operation_17rocblas_diagonal_iiT3_T4_lilT5_lili.uses_vcc, 1
	.set _ZL30rocblas_trsm_small_left_deviceILi16ELi16ELb0E19rocblas_complex_numIdES1_PKPKS1_PKPS1_Ev13rocblas_fill_18rocblas_operation_17rocblas_diagonal_iiT3_T4_lilT5_lili.uses_flat_scratch, 0
	.set _ZL30rocblas_trsm_small_left_deviceILi16ELi16ELb0E19rocblas_complex_numIdES1_PKPKS1_PKPS1_Ev13rocblas_fill_18rocblas_operation_17rocblas_diagonal_iiT3_T4_lilT5_lili.has_dyn_sized_stack, 0
	.set _ZL30rocblas_trsm_small_left_deviceILi16ELi16ELb0E19rocblas_complex_numIdES1_PKPKS1_PKPS1_Ev13rocblas_fill_18rocblas_operation_17rocblas_diagonal_iiT3_T4_lilT5_lili.has_recursion, 0
	.set _ZL30rocblas_trsm_small_left_deviceILi16ELi16ELb0E19rocblas_complex_numIdES1_PKPKS1_PKPS1_Ev13rocblas_fill_18rocblas_operation_17rocblas_diagonal_iiT3_T4_lilT5_lili.has_indirect_call, 0
	.section	.AMDGPU.csdata,"",@progbits
; Kernel info:
; codeLenInByte = 2244
; TotalNumSgprs: 34
; NumVgprs: 22
; NumAgprs: 0
; TotalNumVgprs: 22
; ScratchSize: 272
; MemoryBound: 0
; FloatMode: 240
; IeeeMode: 1
; LDSByteSize: 4096 bytes/workgroup (compile time only)
; SGPRBlocks: 4
; VGPRBlocks: 2
; NumSGPRsForWavesPerEU: 34
; NumVGPRsForWavesPerEU: 22
; AccumOffset: 24
; Occupancy: 8
; WaveLimiterHint : 1
; COMPUTE_PGM_RSRC2:SCRATCH_EN: 1
; COMPUTE_PGM_RSRC2:USER_SGPR: 2
; COMPUTE_PGM_RSRC2:TRAP_HANDLER: 0
; COMPUTE_PGM_RSRC2:TGID_X_EN: 1
; COMPUTE_PGM_RSRC2:TGID_Y_EN: 0
; COMPUTE_PGM_RSRC2:TGID_Z_EN: 1
; COMPUTE_PGM_RSRC2:TIDIG_COMP_CNT: 0
; COMPUTE_PGM_RSRC3_GFX90A:ACCUM_OFFSET: 5
; COMPUTE_PGM_RSRC3_GFX90A:TG_SPLIT: 0
	.section	.text._ZL38rocblas_trsm_small_left_device_sharedBILi16ELi16ELb1E19rocblas_complex_numIdES1_PKPKS1_PKPS1_Ev13rocblas_fill_18rocblas_operation_17rocblas_diagonal_iiT3_T4_lilT5_lili,"axG",@progbits,_ZL38rocblas_trsm_small_left_device_sharedBILi16ELi16ELb1E19rocblas_complex_numIdES1_PKPKS1_PKPS1_Ev13rocblas_fill_18rocblas_operation_17rocblas_diagonal_iiT3_T4_lilT5_lili,comdat
	.globl	_ZL38rocblas_trsm_small_left_device_sharedBILi16ELi16ELb1E19rocblas_complex_numIdES1_PKPKS1_PKPS1_Ev13rocblas_fill_18rocblas_operation_17rocblas_diagonal_iiT3_T4_lilT5_lili ; -- Begin function _ZL38rocblas_trsm_small_left_device_sharedBILi16ELi16ELb1E19rocblas_complex_numIdES1_PKPKS1_PKPS1_Ev13rocblas_fill_18rocblas_operation_17rocblas_diagonal_iiT3_T4_lilT5_lili
	.p2align	8
	.type	_ZL38rocblas_trsm_small_left_device_sharedBILi16ELi16ELb1E19rocblas_complex_numIdES1_PKPKS1_PKPS1_Ev13rocblas_fill_18rocblas_operation_17rocblas_diagonal_iiT3_T4_lilT5_lili,@function
_ZL38rocblas_trsm_small_left_device_sharedBILi16ELi16ELb1E19rocblas_complex_numIdES1_PKPKS1_PKPS1_Ev13rocblas_fill_18rocblas_operation_17rocblas_diagonal_iiT3_T4_lilT5_lili: ; @_ZL38rocblas_trsm_small_left_device_sharedBILi16ELi16ELb1E19rocblas_complex_numIdES1_PKPKS1_PKPS1_Ev13rocblas_fill_18rocblas_operation_17rocblas_diagonal_iiT3_T4_lilT5_lili
; %bb.0:
	s_load_dwordx4 s[12:15], s[0:1], 0x4
	s_load_dwordx4 s[16:19], s[0:1], 0x48
	s_load_dwordx8 s[4:11], s[0:1], 0x18
	s_mov_b32 s20, s3
	s_mov_b32 s21, 0
	s_lshl_b64 s[22:23], s[20:21], 3
	s_waitcnt lgkmcnt(0)
	s_add_u32 s16, s16, s22
	s_addc_u32 s17, s17, s23
	s_load_dword s3, s[0:1], 0x70
	s_min_i32 s24, s14, 16
	s_load_dwordx2 s[16:17], s[16:17], 0x0
	v_cmp_gt_i32_e32 vcc, s24, v0
	s_and_saveexec_b64 s[20:21], vcc
	s_cbranch_execz .LBB216_11
; %bb.1:
	s_load_dword s26, s[0:1], 0x38
	v_lshlrev_b32_e32 v2, 4, v0
	v_mov_b32_e32 v3, 0
	v_mov_b32_e32 v1, v2
	s_waitcnt lgkmcnt(0)
	s_ashr_i32 s27, s26, 31
	s_cmpk_eq_i32 s12, 0x71
	s_cselect_b64 vcc, -1, 0
	s_add_u32 s8, s8, s22
	s_addc_u32 s9, s9, s23
	s_load_dwordx2 s[8:9], s[8:9], 0x0
	s_lshl_b64 s[10:11], s[10:11], 4
	s_waitcnt lgkmcnt(0)
	s_add_u32 s10, s8, s10
	s_addc_u32 s11, s9, s11
	s_lshl_b64 s[8:9], s[26:27], 4
	v_lshl_add_u64 v[4:5], s[10:11], 0, v[2:3]
	s_mov_b32 s10, s24
.LBB216_2:                              ; =>This Inner Loop Header: Depth=1
	flat_load_dwordx4 v[6:9], v[4:5]
	s_add_i32 s10, s10, -1
	v_lshl_add_u64 v[4:5], v[4:5], 0, s[8:9]
	s_cmp_eq_u32 s10, 0
	s_waitcnt vmcnt(0) lgkmcnt(0)
	v_xor_b32_e32 v3, 0x80000000, v9
	v_cndmask_b32_e32 v9, v9, v3, vcc
	ds_write_b128 v1, v[6:9]
	v_add_u32_e32 v1, 0x100, v1
	s_cbranch_scc0 .LBB216_2
; %bb.3:
	v_lshlrev_b32_e32 v1, 8, v0
	s_cmpk_lg_i32 s13, 0x84
	v_add_u32_e32 v1, v2, v1
	s_cbranch_scc0 .LBB216_9
; %bb.4:
	ds_read_b128 v[2:5], v1
                                        ; implicit-def: $vgpr8_vgpr9
	s_waitcnt lgkmcnt(0)
	v_cmp_ngt_f64_e64 s[8:9], |v[2:3]|, |v[4:5]|
	s_and_saveexec_b64 s[10:11], s[8:9]
	s_xor_b64 s[8:9], exec, s[10:11]
	s_cbranch_execz .LBB216_6
; %bb.5:
	v_div_scale_f64 v[6:7], s[10:11], v[4:5], v[4:5], v[2:3]
	v_rcp_f64_e32 v[8:9], v[6:7]
	v_div_scale_f64 v[10:11], vcc, v[2:3], v[4:5], v[2:3]
	v_fma_f64 v[12:13], -v[6:7], v[8:9], 1.0
	v_fmac_f64_e32 v[8:9], v[8:9], v[12:13]
	v_fma_f64 v[12:13], -v[6:7], v[8:9], 1.0
	v_fmac_f64_e32 v[8:9], v[8:9], v[12:13]
	v_mul_f64 v[12:13], v[10:11], v[8:9]
	v_fma_f64 v[6:7], -v[6:7], v[12:13], v[10:11]
	v_div_fmas_f64 v[6:7], v[6:7], v[8:9], v[12:13]
	v_div_fixup_f64 v[8:9], v[6:7], v[4:5], v[2:3]
	v_fmac_f64_e32 v[4:5], v[2:3], v[8:9]
	v_div_scale_f64 v[2:3], s[10:11], v[4:5], v[4:5], 1.0
	v_rcp_f64_e32 v[6:7], v[2:3]
	s_nop 0
	v_fma_f64 v[10:11], -v[2:3], v[6:7], 1.0
	v_fmac_f64_e32 v[6:7], v[6:7], v[10:11]
	v_fma_f64 v[10:11], -v[2:3], v[6:7], 1.0
	v_fmac_f64_e32 v[6:7], v[6:7], v[10:11]
	v_div_scale_f64 v[10:11], vcc, 1.0, v[4:5], 1.0
	v_mul_f64 v[12:13], v[10:11], v[6:7]
	v_fma_f64 v[2:3], -v[2:3], v[12:13], v[10:11]
	s_nop 1
	v_div_fmas_f64 v[2:3], v[2:3], v[6:7], v[12:13]
	v_div_fixup_f64 v[2:3], v[2:3], v[4:5], 1.0
	v_add_f64 v[4:5], v[8:9], 0
	v_mul_f64 v[6:7], v[4:5], v[2:3]
	v_fma_f64 v[4:5], v[8:9], 0, -1.0
	v_mul_f64 v[8:9], v[4:5], v[2:3]
                                        ; implicit-def: $vgpr2_vgpr3
.LBB216_6:
	s_andn2_saveexec_b64 s[8:9], s[8:9]
	s_cbranch_execz .LBB216_8
; %bb.7:
	v_div_scale_f64 v[6:7], s[10:11], v[2:3], v[2:3], v[4:5]
	v_rcp_f64_e32 v[8:9], v[6:7]
	v_div_scale_f64 v[10:11], vcc, v[4:5], v[2:3], v[4:5]
	v_fma_f64 v[12:13], -v[6:7], v[8:9], 1.0
	v_fmac_f64_e32 v[8:9], v[8:9], v[12:13]
	v_fma_f64 v[12:13], -v[6:7], v[8:9], 1.0
	v_fmac_f64_e32 v[8:9], v[8:9], v[12:13]
	v_mul_f64 v[12:13], v[10:11], v[8:9]
	v_fma_f64 v[6:7], -v[6:7], v[12:13], v[10:11]
	v_div_fmas_f64 v[6:7], v[6:7], v[8:9], v[12:13]
	v_div_fixup_f64 v[8:9], v[6:7], v[2:3], v[4:5]
	v_fmac_f64_e32 v[2:3], v[4:5], v[8:9]
	v_div_scale_f64 v[4:5], s[10:11], v[2:3], v[2:3], 1.0
	v_rcp_f64_e32 v[6:7], v[4:5]
	s_nop 0
	v_fma_f64 v[10:11], -v[4:5], v[6:7], 1.0
	v_fmac_f64_e32 v[6:7], v[6:7], v[10:11]
	v_fma_f64 v[10:11], -v[4:5], v[6:7], 1.0
	v_fmac_f64_e32 v[6:7], v[6:7], v[10:11]
	v_div_scale_f64 v[10:11], vcc, 1.0, v[2:3], 1.0
	v_mul_f64 v[12:13], v[10:11], v[6:7]
	v_fma_f64 v[4:5], -v[4:5], v[12:13], v[10:11]
	s_nop 1
	v_div_fmas_f64 v[4:5], v[4:5], v[6:7], v[12:13]
	v_div_fixup_f64 v[2:3], v[4:5], v[2:3], 1.0
	v_fma_f64 v[4:5], v[8:9], 0, 1.0
	v_mul_f64 v[6:7], v[4:5], v[2:3]
	v_add_f64 v[4:5], -v[8:9], 0
	v_mul_f64 v[8:9], v[4:5], v[2:3]
.LBB216_8:
	s_or_b64 exec, exec, s[8:9]
	s_branch .LBB216_10
.LBB216_9:
	v_mov_b64_e32 v[8:9], 0
	v_mov_b64_e32 v[6:7], 1.0
.LBB216_10:
	ds_write_b128 v1, v[6:9]
.LBB216_11:
	s_or_b64 exec, exec, s[20:21]
	s_load_dword s13, s[0:1], 0x58
	s_lshl_b64 s[0:1], s[18:19], 4
	s_waitcnt lgkmcnt(0)
	s_add_u32 s8, s16, s0
	s_addc_u32 s9, s17, s1
	s_lshl_b32 s0, s2, 4
	s_add_i32 s3, s3, -1
	s_sub_i32 s1, s15, s0
	s_cmp_ge_u32 s2, s3
	s_cselect_b32 s10, s1, 16
	s_mul_hi_i32 s1, s13, s0
	s_mul_i32 s0, s13, s0
	s_lshl_b64 s[0:1], s[0:1], 4
	s_add_u32 s2, s8, s0
	s_addc_u32 s3, s9, s1
	s_cmp_gt_i32 s14, 0
	v_cmp_gt_i32_e64 s[0:1], s10, v0
	s_cselect_b64 s[8:9], -1, 0
	s_and_b64 s[16:17], s[0:1], s[8:9]
	s_and_saveexec_b64 s[10:11], s[16:17]
	s_cbranch_execz .LBB216_14
; %bb.12:
	v_mad_i64_i32 v[2:3], s[16:17], s13, v0, 0
	v_mov_b32_e32 v1, 0x1000
	v_lshl_add_u64 v[2:3], v[2:3], 4, s[2:3]
	v_lshl_or_b32 v1, v0, 4, v1
	s_mov_b32 s15, s24
.LBB216_13:                             ; =>This Inner Loop Header: Depth=1
	flat_load_dwordx4 v[4:7], v[2:3]
	s_add_i32 s15, s15, -1
	v_lshl_add_u64 v[2:3], v[2:3], 0, 16
	s_cmp_lg_u32 s15, 0
	s_waitcnt vmcnt(0) lgkmcnt(0)
	v_mul_f64 v[10:11], s[6:7], v[6:7]
	v_mul_f64 v[8:9], s[4:5], v[6:7]
	v_fma_f64 v[6:7], s[4:5], v[4:5], -v[10:11]
	v_fmac_f64_e32 v[8:9], s[6:7], v[4:5]
	ds_write_b128 v1, v[6:9]
	v_add_u32_e32 v1, 0x100, v1
	s_cbranch_scc1 .LBB216_13
.LBB216_14:
	s_or_b64 exec, exec, s[10:11]
	v_mov_b32_e32 v1, 0x1000
	s_cmpk_eq_i32 s12, 0x6f
	v_lshl_or_b32 v1, v0, 4, v1
	s_mov_b64 s[4:5], -1
	s_waitcnt lgkmcnt(0)
	; wave barrier
	s_cbranch_scc1 .LBB216_37
; %bb.15:
	s_add_i32 s4, s24, -1
	s_cmp_gt_i32 s14, 15
	s_mov_b32 s5, s4
	s_cbranch_scc0 .LBB216_17
; %bb.16:
	v_mov_b32_e32 v66, 0
	ds_read_b128 v[10:13], v1 offset:3840
	ds_read_b128 v[14:17], v1 offset:3584
	;; [unrolled: 1-line block ×16, first 2 shown]
	ds_read_b128 v[2:5], v1
	ds_read_b128 v[76:79], v66 offset:3824
	s_waitcnt lgkmcnt(5)
	v_mul_f64 v[8:9], v[72:73], v[12:13]
	v_mul_f64 v[6:7], v[74:75], v[12:13]
	v_fmac_f64_e32 v[8:9], v[74:75], v[10:11]
	v_fma_f64 v[6:7], v[72:73], v[10:11], -v[6:7]
	s_waitcnt lgkmcnt(0)
	v_mul_f64 v[10:11], v[78:79], v[8:9]
	v_mul_f64 v[12:13], v[76:77], v[8:9]
	v_fma_f64 v[10:11], v[76:77], v[6:7], -v[10:11]
	ds_read_b128 v[72:75], v66 offset:3808
	v_fmac_f64_e32 v[12:13], v[78:79], v[6:7]
	v_add_f64 v[76:77], v[14:15], -v[10:11]
	v_add_f64 v[12:13], v[16:17], -v[12:13]
	ds_read_b128 v[14:17], v66 offset:3568
	s_waitcnt lgkmcnt(1)
	v_mul_f64 v[10:11], v[74:75], v[12:13]
	v_fma_f64 v[10:11], v[72:73], v[76:77], -v[10:11]
	v_mul_f64 v[12:13], v[72:73], v[12:13]
	v_fmac_f64_e32 v[12:13], v[74:75], v[76:77]
	s_waitcnt lgkmcnt(0)
	v_mul_f64 v[72:73], v[16:17], v[8:9]
	v_fma_f64 v[76:77], v[14:15], v[6:7], -v[72:73]
	ds_read_b128 v[72:75], v66 offset:3552
	v_mul_f64 v[14:15], v[14:15], v[8:9]
	v_fmac_f64_e32 v[14:15], v[16:17], v[6:7]
	v_add_f64 v[76:77], v[18:19], -v[76:77]
	ds_read_b128 v[16:19], v66 offset:3536
	v_add_f64 v[14:15], v[20:21], -v[14:15]
	s_waitcnt lgkmcnt(1)
	v_mul_f64 v[20:21], v[74:75], v[12:13]
	v_fma_f64 v[20:21], v[72:73], v[10:11], -v[20:21]
	v_mul_f64 v[72:73], v[72:73], v[12:13]
	v_fmac_f64_e32 v[72:73], v[74:75], v[10:11]
	v_add_f64 v[20:21], v[76:77], -v[20:21]
	v_add_f64 v[76:77], v[14:15], -v[72:73]
	s_waitcnt lgkmcnt(0)
	v_mul_f64 v[14:15], v[18:19], v[76:77]
	ds_read_b128 v[72:75], v66 offset:3312
	v_fma_f64 v[14:15], v[16:17], v[20:21], -v[14:15]
	v_mul_f64 v[16:17], v[16:17], v[76:77]
	v_fmac_f64_e32 v[16:17], v[18:19], v[20:21]
	ds_read_b128 v[18:21], v66 offset:3296
	s_waitcnt lgkmcnt(1)
	v_mul_f64 v[76:77], v[74:75], v[8:9]
	v_fma_f64 v[76:77], v[72:73], v[6:7], -v[76:77]
	v_mul_f64 v[72:73], v[72:73], v[8:9]
	v_fmac_f64_e32 v[72:73], v[74:75], v[6:7]
	v_add_f64 v[74:75], v[68:69], -v[76:77]
	s_waitcnt lgkmcnt(0)
	v_mul_f64 v[68:69], v[20:21], v[12:13]
	v_add_f64 v[72:73], v[70:71], -v[72:73]
	v_fma_f64 v[76:77], v[18:19], v[10:11], -v[68:69]
	ds_read_b128 v[68:71], v66 offset:3280
	v_mul_f64 v[18:19], v[18:19], v[12:13]
	v_fmac_f64_e32 v[18:19], v[20:21], v[10:11]
	v_add_f64 v[20:21], v[74:75], -v[76:77]
	v_add_f64 v[18:19], v[72:73], -v[18:19]
	ds_read_b128 v[72:75], v66 offset:3264
	s_waitcnt lgkmcnt(1)
	v_mul_f64 v[76:77], v[70:71], v[16:17]
	v_fma_f64 v[76:77], v[68:69], v[14:15], -v[76:77]
	v_mul_f64 v[68:69], v[68:69], v[16:17]
	v_fmac_f64_e32 v[68:69], v[70:71], v[14:15]
	v_add_f64 v[76:77], v[20:21], -v[76:77]
	v_add_f64 v[20:21], v[18:19], -v[68:69]
	ds_read_b128 v[68:71], v66 offset:3056
	s_waitcnt lgkmcnt(1)
	v_mul_f64 v[18:19], v[74:75], v[20:21]
	v_mul_f64 v[20:21], v[72:73], v[20:21]
	v_fma_f64 v[18:19], v[72:73], v[76:77], -v[18:19]
	v_fmac_f64_e32 v[20:21], v[74:75], v[76:77]
	ds_read_b128 v[72:75], v66 offset:3040
	s_waitcnt lgkmcnt(1)
	v_mul_f64 v[76:77], v[70:71], v[8:9]
	v_fma_f64 v[76:77], v[68:69], v[6:7], -v[76:77]
	v_mul_f64 v[68:69], v[68:69], v[8:9]
	ds_write_b128 v1, v[6:9] offset:3840
	ds_write_b128 v1, v[10:13] offset:3584
	;; [unrolled: 1-line block ×4, first 2 shown]
	v_fmac_f64_e32 v[68:69], v[70:71], v[6:7]
	v_add_f64 v[80:81], v[22:23], -v[76:77]
	v_add_f64 v[82:83], v[24:25], -v[68:69]
	ds_read_b128 v[68:71], v66 offset:2992
	ds_read_b128 v[22:25], v66 offset:3008
	;; [unrolled: 1-line block ×3, first 2 shown]
	s_waitcnt lgkmcnt(7)
	v_mul_f64 v[84:85], v[74:75], v[12:13]
	v_fma_f64 v[84:85], v[72:73], v[10:11], -v[84:85]
	v_mul_f64 v[72:73], v[72:73], v[12:13]
	v_fmac_f64_e32 v[72:73], v[74:75], v[10:11]
	v_add_f64 v[74:75], v[80:81], -v[84:85]
	s_waitcnt lgkmcnt(0)
	v_mul_f64 v[80:81], v[78:79], v[16:17]
	v_fma_f64 v[80:81], v[76:77], v[14:15], -v[80:81]
	v_mul_f64 v[76:77], v[76:77], v[16:17]
	v_add_f64 v[72:73], v[82:83], -v[72:73]
	v_fmac_f64_e32 v[76:77], v[78:79], v[14:15]
	v_add_f64 v[72:73], v[72:73], -v[76:77]
	v_mul_f64 v[76:77], v[24:25], v[20:21]
	v_fma_f64 v[76:77], v[22:23], v[18:19], -v[76:77]
	v_mul_f64 v[22:23], v[22:23], v[20:21]
	v_add_f64 v[74:75], v[74:75], -v[80:81]
	v_fmac_f64_e32 v[22:23], v[24:25], v[18:19]
	v_add_f64 v[76:77], v[74:75], -v[76:77]
	v_add_f64 v[24:25], v[72:73], -v[22:23]
	ds_read_b128 v[72:75], v66 offset:2800
	v_mul_f64 v[22:23], v[70:71], v[24:25]
	v_fma_f64 v[22:23], v[68:69], v[76:77], -v[22:23]
	v_mul_f64 v[24:25], v[68:69], v[24:25]
	v_fmac_f64_e32 v[24:25], v[70:71], v[76:77]
	s_waitcnt lgkmcnt(0)
	v_mul_f64 v[68:69], v[74:75], v[8:9]
	v_fma_f64 v[76:77], v[72:73], v[6:7], -v[68:69]
	ds_read_b128 v[68:71], v66 offset:2784
	v_mul_f64 v[72:73], v[72:73], v[8:9]
	v_fmac_f64_e32 v[72:73], v[74:75], v[6:7]
	v_add_f64 v[74:75], v[30:31], -v[76:77]
	v_add_f64 v[72:73], v[32:33], -v[72:73]
	ds_read_b128 v[30:33], v66 offset:2768
	s_waitcnt lgkmcnt(1)
	v_mul_f64 v[76:77], v[70:71], v[12:13]
	v_fma_f64 v[76:77], v[68:69], v[10:11], -v[76:77]
	v_mul_f64 v[68:69], v[68:69], v[12:13]
	v_fmac_f64_e32 v[68:69], v[70:71], v[10:11]
	v_add_f64 v[72:73], v[72:73], -v[68:69]
	s_waitcnt lgkmcnt(0)
	v_mul_f64 v[68:69], v[32:33], v[16:17]
	v_add_f64 v[74:75], v[74:75], -v[76:77]
	v_fma_f64 v[76:77], v[30:31], v[14:15], -v[68:69]
	ds_read_b128 v[68:71], v66 offset:2752
	v_mul_f64 v[30:31], v[30:31], v[16:17]
	v_fmac_f64_e32 v[30:31], v[32:33], v[14:15]
	v_add_f64 v[72:73], v[72:73], -v[30:31]
	ds_read_b128 v[30:33], v66 offset:2736
	v_add_f64 v[74:75], v[74:75], -v[76:77]
	s_waitcnt lgkmcnt(1)
	v_mul_f64 v[76:77], v[70:71], v[20:21]
	v_fma_f64 v[76:77], v[68:69], v[18:19], -v[76:77]
	v_mul_f64 v[68:69], v[68:69], v[20:21]
	v_fmac_f64_e32 v[68:69], v[70:71], v[18:19]
	v_add_f64 v[72:73], v[72:73], -v[68:69]
	s_waitcnt lgkmcnt(0)
	v_mul_f64 v[68:69], v[32:33], v[24:25]
	v_add_f64 v[74:75], v[74:75], -v[76:77]
	v_fma_f64 v[76:77], v[30:31], v[22:23], -v[68:69]
	v_mul_f64 v[30:31], v[30:31], v[24:25]
	ds_read_b128 v[68:71], v66 offset:2720
	v_fmac_f64_e32 v[30:31], v[32:33], v[22:23]
	v_add_f64 v[76:77], v[74:75], -v[76:77]
	v_add_f64 v[32:33], v[72:73], -v[30:31]
	ds_read_b128 v[72:75], v66 offset:2544
	s_waitcnt lgkmcnt(1)
	v_mul_f64 v[30:31], v[70:71], v[32:33]
	v_fma_f64 v[30:31], v[68:69], v[76:77], -v[30:31]
	v_mul_f64 v[32:33], v[68:69], v[32:33]
	v_fmac_f64_e32 v[32:33], v[70:71], v[76:77]
	s_waitcnt lgkmcnt(0)
	v_mul_f64 v[68:69], v[74:75], v[8:9]
	v_fma_f64 v[76:77], v[72:73], v[6:7], -v[68:69]
	ds_read_b128 v[68:71], v66 offset:2528
	v_mul_f64 v[72:73], v[72:73], v[8:9]
	v_fmac_f64_e32 v[72:73], v[74:75], v[6:7]
	v_add_f64 v[74:75], v[34:35], -v[76:77]
	v_add_f64 v[72:73], v[36:37], -v[72:73]
	ds_read_b128 v[34:37], v66 offset:2512
	s_waitcnt lgkmcnt(1)
	v_mul_f64 v[76:77], v[70:71], v[12:13]
	v_fma_f64 v[76:77], v[68:69], v[10:11], -v[76:77]
	v_mul_f64 v[68:69], v[68:69], v[12:13]
	v_fmac_f64_e32 v[68:69], v[70:71], v[10:11]
	v_add_f64 v[72:73], v[72:73], -v[68:69]
	s_waitcnt lgkmcnt(0)
	v_mul_f64 v[68:69], v[36:37], v[16:17]
	v_add_f64 v[74:75], v[74:75], -v[76:77]
	v_fma_f64 v[76:77], v[34:35], v[14:15], -v[68:69]
	ds_read_b128 v[68:71], v66 offset:2496
	v_mul_f64 v[34:35], v[34:35], v[16:17]
	v_fmac_f64_e32 v[34:35], v[36:37], v[14:15]
	v_add_f64 v[72:73], v[72:73], -v[34:35]
	ds_read_b128 v[34:37], v66 offset:2480
	v_add_f64 v[74:75], v[74:75], -v[76:77]
	s_waitcnt lgkmcnt(1)
	v_mul_f64 v[76:77], v[70:71], v[20:21]
	v_fma_f64 v[76:77], v[68:69], v[18:19], -v[76:77]
	v_mul_f64 v[68:69], v[68:69], v[20:21]
	v_fmac_f64_e32 v[68:69], v[70:71], v[18:19]
	v_add_f64 v[72:73], v[72:73], -v[68:69]
	s_waitcnt lgkmcnt(0)
	v_mul_f64 v[68:69], v[36:37], v[24:25]
	v_add_f64 v[74:75], v[74:75], -v[76:77]
	v_fma_f64 v[76:77], v[34:35], v[22:23], -v[68:69]
	ds_read_b128 v[68:71], v66 offset:2464
	v_mul_f64 v[34:35], v[34:35], v[24:25]
	v_fmac_f64_e32 v[34:35], v[36:37], v[22:23]
	v_add_f64 v[36:37], v[74:75], -v[76:77]
	v_add_f64 v[34:35], v[72:73], -v[34:35]
	ds_read_b128 v[72:75], v66 offset:2448
	s_waitcnt lgkmcnt(1)
	v_mul_f64 v[76:77], v[70:71], v[32:33]
	v_fma_f64 v[76:77], v[68:69], v[30:31], -v[76:77]
	v_mul_f64 v[68:69], v[68:69], v[32:33]
	v_fmac_f64_e32 v[68:69], v[70:71], v[30:31]
	v_add_f64 v[76:77], v[36:37], -v[76:77]
	v_add_f64 v[36:37], v[34:35], -v[68:69]
	ds_read_b128 v[68:71], v66 offset:2288
	s_waitcnt lgkmcnt(1)
	v_mul_f64 v[34:35], v[74:75], v[36:37]
	v_mul_f64 v[36:37], v[72:73], v[36:37]
	v_fma_f64 v[34:35], v[72:73], v[76:77], -v[34:35]
	v_fmac_f64_e32 v[36:37], v[74:75], v[76:77]
	ds_read_b128 v[72:75], v66 offset:2272
	s_waitcnt lgkmcnt(1)
	v_mul_f64 v[76:77], v[70:71], v[8:9]
	v_fma_f64 v[76:77], v[68:69], v[6:7], -v[76:77]
	v_mul_f64 v[68:69], v[68:69], v[8:9]
	v_fmac_f64_e32 v[68:69], v[70:71], v[6:7]
	v_add_f64 v[70:71], v[42:43], -v[76:77]
	s_waitcnt lgkmcnt(0)
	v_mul_f64 v[42:43], v[74:75], v[12:13]
	v_add_f64 v[68:69], v[44:45], -v[68:69]
	v_fma_f64 v[76:77], v[72:73], v[10:11], -v[42:43]
	ds_read_b128 v[42:45], v66 offset:2256
	v_mul_f64 v[72:73], v[72:73], v[12:13]
	v_fmac_f64_e32 v[72:73], v[74:75], v[10:11]
	v_add_f64 v[74:75], v[70:71], -v[76:77]
	v_add_f64 v[72:73], v[68:69], -v[72:73]
	ds_read_b128 v[68:71], v66 offset:2240
	s_waitcnt lgkmcnt(1)
	v_mul_f64 v[76:77], v[44:45], v[16:17]
	v_fma_f64 v[76:77], v[42:43], v[14:15], -v[76:77]
	v_mul_f64 v[42:43], v[42:43], v[16:17]
	v_fmac_f64_e32 v[42:43], v[44:45], v[14:15]
	ds_write_b128 v1, v[22:25] offset:2816
	ds_write_b128 v1, v[30:33] offset:2560
	;; [unrolled: 1-line block ×3, first 2 shown]
	v_add_f64 v[72:73], v[72:73], -v[42:43]
	s_waitcnt lgkmcnt(3)
	v_mul_f64 v[42:43], v[70:71], v[20:21]
	v_mul_f64 v[78:79], v[68:69], v[20:21]
	v_add_f64 v[74:75], v[74:75], -v[76:77]
	v_fma_f64 v[76:77], v[68:69], v[18:19], -v[42:43]
	v_fmac_f64_e32 v[78:79], v[70:71], v[18:19]
	ds_read_b128 v[42:45], v66 offset:2208
	ds_read_b128 v[68:71], v66 offset:2224
	v_add_f64 v[80:81], v[74:75], -v[76:77]
	v_add_f64 v[82:83], v[72:73], -v[78:79]
	ds_read_b128 v[72:75], v66 offset:2176
	ds_read_b128 v[76:79], v66 offset:2192
	s_mov_b32 s5, -1
	s_waitcnt lgkmcnt(2)
	v_mul_f64 v[84:85], v[70:71], v[24:25]
	v_fma_f64 v[84:85], v[68:69], v[22:23], -v[84:85]
	v_mul_f64 v[68:69], v[68:69], v[24:25]
	v_fmac_f64_e32 v[68:69], v[70:71], v[22:23]
	v_add_f64 v[70:71], v[80:81], -v[84:85]
	v_mul_f64 v[80:81], v[44:45], v[32:33]
	v_fma_f64 v[80:81], v[42:43], v[30:31], -v[80:81]
	v_mul_f64 v[42:43], v[42:43], v[32:33]
	v_add_f64 v[68:69], v[82:83], -v[68:69]
	v_fmac_f64_e32 v[42:43], v[44:45], v[30:31]
	v_add_f64 v[44:45], v[70:71], -v[80:81]
	v_add_f64 v[42:43], v[68:69], -v[42:43]
	s_waitcnt lgkmcnt(0)
	v_mul_f64 v[68:69], v[78:79], v[36:37]
	v_mul_f64 v[70:71], v[76:77], v[36:37]
	v_fma_f64 v[68:69], v[76:77], v[34:35], -v[68:69]
	v_fmac_f64_e32 v[70:71], v[78:79], v[34:35]
	v_add_f64 v[76:77], v[44:45], -v[68:69]
	v_add_f64 v[44:45], v[42:43], -v[70:71]
	ds_read_b128 v[68:71], v66 offset:2032
	v_mul_f64 v[42:43], v[74:75], v[44:45]
	v_mul_f64 v[44:45], v[72:73], v[44:45]
	v_fma_f64 v[42:43], v[72:73], v[76:77], -v[42:43]
	v_fmac_f64_e32 v[44:45], v[74:75], v[76:77]
	ds_read_b128 v[72:75], v66 offset:2016
	s_waitcnt lgkmcnt(1)
	v_mul_f64 v[76:77], v[70:71], v[8:9]
	v_fma_f64 v[76:77], v[68:69], v[6:7], -v[76:77]
	v_mul_f64 v[68:69], v[68:69], v[8:9]
	v_fmac_f64_e32 v[68:69], v[70:71], v[6:7]
	v_add_f64 v[70:71], v[46:47], -v[76:77]
	s_waitcnt lgkmcnt(0)
	v_mul_f64 v[46:47], v[74:75], v[12:13]
	v_add_f64 v[68:69], v[48:49], -v[68:69]
	v_fma_f64 v[76:77], v[72:73], v[10:11], -v[46:47]
	ds_read_b128 v[46:49], v66 offset:2000
	v_mul_f64 v[72:73], v[72:73], v[12:13]
	v_fmac_f64_e32 v[72:73], v[74:75], v[10:11]
	v_add_f64 v[74:75], v[70:71], -v[76:77]
	v_add_f64 v[72:73], v[68:69], -v[72:73]
	ds_read_b128 v[68:71], v66 offset:1984
	s_waitcnt lgkmcnt(1)
	v_mul_f64 v[76:77], v[48:49], v[16:17]
	v_fma_f64 v[76:77], v[46:47], v[14:15], -v[76:77]
	v_mul_f64 v[46:47], v[46:47], v[16:17]
	v_fmac_f64_e32 v[46:47], v[48:49], v[14:15]
	v_add_f64 v[72:73], v[72:73], -v[46:47]
	s_waitcnt lgkmcnt(0)
	v_mul_f64 v[46:47], v[70:71], v[20:21]
	v_add_f64 v[74:75], v[74:75], -v[76:77]
	v_fma_f64 v[76:77], v[68:69], v[18:19], -v[46:47]
	ds_read_b128 v[46:49], v66 offset:1968
	v_mul_f64 v[68:69], v[68:69], v[20:21]
	v_fmac_f64_e32 v[68:69], v[70:71], v[18:19]
	v_add_f64 v[72:73], v[72:73], -v[68:69]
	ds_read_b128 v[68:71], v66 offset:1952
	v_add_f64 v[74:75], v[74:75], -v[76:77]
	s_waitcnt lgkmcnt(1)
	v_mul_f64 v[76:77], v[48:49], v[24:25]
	v_fma_f64 v[76:77], v[46:47], v[22:23], -v[76:77]
	v_mul_f64 v[46:47], v[46:47], v[24:25]
	v_fmac_f64_e32 v[46:47], v[48:49], v[22:23]
	v_add_f64 v[72:73], v[72:73], -v[46:47]
	s_waitcnt lgkmcnt(0)
	v_mul_f64 v[46:47], v[70:71], v[32:33]
	v_add_f64 v[74:75], v[74:75], -v[76:77]
	v_fma_f64 v[76:77], v[68:69], v[30:31], -v[46:47]
	ds_read_b128 v[46:49], v66 offset:1936
	v_mul_f64 v[68:69], v[68:69], v[32:33]
	v_fmac_f64_e32 v[68:69], v[70:71], v[30:31]
	v_add_f64 v[72:73], v[72:73], -v[68:69]
	ds_read_b128 v[68:71], v66 offset:1920
	v_add_f64 v[74:75], v[74:75], -v[76:77]
	s_waitcnt lgkmcnt(1)
	v_mul_f64 v[76:77], v[48:49], v[36:37]
	v_fma_f64 v[76:77], v[46:47], v[34:35], -v[76:77]
	v_mul_f64 v[46:47], v[46:47], v[36:37]
	v_fmac_f64_e32 v[46:47], v[48:49], v[34:35]
	v_add_f64 v[46:47], v[72:73], -v[46:47]
	s_waitcnt lgkmcnt(0)
	v_mul_f64 v[72:73], v[70:71], v[44:45]
	v_add_f64 v[48:49], v[74:75], -v[76:77]
	v_fma_f64 v[76:77], v[68:69], v[42:43], -v[72:73]
	v_mul_f64 v[68:69], v[68:69], v[44:45]
	ds_read_b128 v[72:75], v66 offset:1904
	v_fmac_f64_e32 v[68:69], v[70:71], v[42:43]
	v_add_f64 v[76:77], v[48:49], -v[76:77]
	v_add_f64 v[48:49], v[46:47], -v[68:69]
	ds_read_b128 v[68:71], v66 offset:1776
	s_waitcnt lgkmcnt(1)
	v_mul_f64 v[46:47], v[74:75], v[48:49]
	v_fma_f64 v[46:47], v[72:73], v[76:77], -v[46:47]
	v_mul_f64 v[48:49], v[72:73], v[48:49]
	v_fmac_f64_e32 v[48:49], v[74:75], v[76:77]
	s_waitcnt lgkmcnt(0)
	v_mul_f64 v[72:73], v[70:71], v[8:9]
	v_fma_f64 v[76:77], v[68:69], v[6:7], -v[72:73]
	ds_read_b128 v[72:75], v66 offset:1760
	v_mul_f64 v[68:69], v[68:69], v[8:9]
	v_fmac_f64_e32 v[68:69], v[70:71], v[6:7]
	v_add_f64 v[70:71], v[54:55], -v[76:77]
	v_add_f64 v[68:69], v[56:57], -v[68:69]
	ds_read_b128 v[54:57], v66 offset:1744
	s_waitcnt lgkmcnt(1)
	v_mul_f64 v[76:77], v[74:75], v[12:13]
	v_fma_f64 v[76:77], v[72:73], v[10:11], -v[76:77]
	v_mul_f64 v[72:73], v[72:73], v[12:13]
	v_fmac_f64_e32 v[72:73], v[74:75], v[10:11]
	v_add_f64 v[72:73], v[68:69], -v[72:73]
	s_waitcnt lgkmcnt(0)
	v_mul_f64 v[68:69], v[56:57], v[16:17]
	v_add_f64 v[74:75], v[70:71], -v[76:77]
	v_fma_f64 v[76:77], v[54:55], v[14:15], -v[68:69]
	ds_read_b128 v[68:71], v66 offset:1728
	v_mul_f64 v[54:55], v[54:55], v[16:17]
	v_fmac_f64_e32 v[54:55], v[56:57], v[14:15]
	v_add_f64 v[72:73], v[72:73], -v[54:55]
	ds_read_b128 v[54:57], v66 offset:1712
	v_add_f64 v[74:75], v[74:75], -v[76:77]
	s_waitcnt lgkmcnt(1)
	v_mul_f64 v[76:77], v[70:71], v[20:21]
	v_fma_f64 v[76:77], v[68:69], v[18:19], -v[76:77]
	v_mul_f64 v[68:69], v[68:69], v[20:21]
	v_fmac_f64_e32 v[68:69], v[70:71], v[18:19]
	v_add_f64 v[72:73], v[72:73], -v[68:69]
	s_waitcnt lgkmcnt(0)
	v_mul_f64 v[68:69], v[56:57], v[24:25]
	v_add_f64 v[74:75], v[74:75], -v[76:77]
	v_fma_f64 v[76:77], v[54:55], v[22:23], -v[68:69]
	ds_read_b128 v[68:71], v66 offset:1696
	v_mul_f64 v[54:55], v[54:55], v[24:25]
	v_fmac_f64_e32 v[54:55], v[56:57], v[22:23]
	v_add_f64 v[74:75], v[74:75], -v[76:77]
	v_add_f64 v[72:73], v[72:73], -v[54:55]
	ds_read_b128 v[54:57], v66 offset:1680
	s_waitcnt lgkmcnt(1)
	v_mul_f64 v[76:77], v[70:71], v[32:33]
	v_fma_f64 v[76:77], v[68:69], v[30:31], -v[76:77]
	v_mul_f64 v[68:69], v[68:69], v[32:33]
	ds_write_b128 v1, v[42:45] offset:2048
	ds_write_b128 v1, v[46:49] offset:1792
	v_fmac_f64_e32 v[68:69], v[70:71], v[30:31]
	v_add_f64 v[80:81], v[74:75], -v[76:77]
	v_add_f64 v[82:83], v[72:73], -v[68:69]
	ds_read_b128 v[68:71], v66 offset:1632
	ds_read_b128 v[72:75], v66 offset:1648
	;; [unrolled: 1-line block ×3, first 2 shown]
	s_waitcnt lgkmcnt(5)
	v_mul_f64 v[84:85], v[56:57], v[36:37]
	v_fma_f64 v[84:85], v[54:55], v[34:35], -v[84:85]
	v_mul_f64 v[54:55], v[54:55], v[36:37]
	v_fmac_f64_e32 v[54:55], v[56:57], v[34:35]
	v_add_f64 v[56:57], v[80:81], -v[84:85]
	s_waitcnt lgkmcnt(0)
	v_mul_f64 v[80:81], v[78:79], v[44:45]
	v_fma_f64 v[80:81], v[76:77], v[42:43], -v[80:81]
	v_mul_f64 v[76:77], v[76:77], v[44:45]
	v_add_f64 v[54:55], v[82:83], -v[54:55]
	v_fmac_f64_e32 v[76:77], v[78:79], v[42:43]
	v_add_f64 v[54:55], v[54:55], -v[76:77]
	v_mul_f64 v[76:77], v[74:75], v[48:49]
	v_fma_f64 v[76:77], v[72:73], v[46:47], -v[76:77]
	v_mul_f64 v[72:73], v[72:73], v[48:49]
	v_add_f64 v[56:57], v[56:57], -v[80:81]
	v_fmac_f64_e32 v[72:73], v[74:75], v[46:47]
	v_add_f64 v[76:77], v[56:57], -v[76:77]
	v_add_f64 v[56:57], v[54:55], -v[72:73]
	ds_read_b128 v[72:75], v66 offset:1520
	v_mul_f64 v[54:55], v[70:71], v[56:57]
	v_fma_f64 v[54:55], v[68:69], v[76:77], -v[54:55]
	v_mul_f64 v[56:57], v[68:69], v[56:57]
	v_fmac_f64_e32 v[56:57], v[70:71], v[76:77]
	s_waitcnt lgkmcnt(0)
	v_mul_f64 v[68:69], v[74:75], v[8:9]
	v_fma_f64 v[76:77], v[72:73], v[6:7], -v[68:69]
	ds_read_b128 v[68:71], v66 offset:1504
	v_mul_f64 v[72:73], v[72:73], v[8:9]
	v_fmac_f64_e32 v[72:73], v[74:75], v[6:7]
	v_add_f64 v[74:75], v[62:63], -v[76:77]
	v_add_f64 v[72:73], v[64:65], -v[72:73]
	ds_read_b128 v[62:65], v66 offset:1488
	s_waitcnt lgkmcnt(1)
	v_mul_f64 v[76:77], v[70:71], v[12:13]
	v_fma_f64 v[76:77], v[68:69], v[10:11], -v[76:77]
	v_mul_f64 v[68:69], v[68:69], v[12:13]
	v_fmac_f64_e32 v[68:69], v[70:71], v[10:11]
	v_add_f64 v[72:73], v[72:73], -v[68:69]
	s_waitcnt lgkmcnt(0)
	v_mul_f64 v[68:69], v[64:65], v[16:17]
	v_add_f64 v[74:75], v[74:75], -v[76:77]
	v_fma_f64 v[76:77], v[62:63], v[14:15], -v[68:69]
	ds_read_b128 v[68:71], v66 offset:1472
	v_mul_f64 v[62:63], v[62:63], v[16:17]
	v_fmac_f64_e32 v[62:63], v[64:65], v[14:15]
	v_add_f64 v[72:73], v[72:73], -v[62:63]
	ds_read_b128 v[62:65], v66 offset:1456
	v_add_f64 v[74:75], v[74:75], -v[76:77]
	s_waitcnt lgkmcnt(1)
	v_mul_f64 v[76:77], v[70:71], v[20:21]
	v_fma_f64 v[76:77], v[68:69], v[18:19], -v[76:77]
	v_mul_f64 v[68:69], v[68:69], v[20:21]
	v_fmac_f64_e32 v[68:69], v[70:71], v[18:19]
	v_add_f64 v[72:73], v[72:73], -v[68:69]
	s_waitcnt lgkmcnt(0)
	v_mul_f64 v[68:69], v[64:65], v[24:25]
	v_add_f64 v[74:75], v[74:75], -v[76:77]
	v_fma_f64 v[76:77], v[62:63], v[22:23], -v[68:69]
	ds_read_b128 v[68:71], v66 offset:1440
	v_mul_f64 v[62:63], v[62:63], v[24:25]
	v_fmac_f64_e32 v[62:63], v[64:65], v[22:23]
	v_add_f64 v[72:73], v[72:73], -v[62:63]
	ds_read_b128 v[62:65], v66 offset:1424
	v_add_f64 v[74:75], v[74:75], -v[76:77]
	s_waitcnt lgkmcnt(1)
	v_mul_f64 v[76:77], v[70:71], v[32:33]
	v_fma_f64 v[76:77], v[68:69], v[30:31], -v[76:77]
	v_mul_f64 v[68:69], v[68:69], v[32:33]
	v_fmac_f64_e32 v[68:69], v[70:71], v[30:31]
	ds_write_b128 v1, v[54:57] offset:1536
	v_add_f64 v[72:73], v[72:73], -v[68:69]
	s_waitcnt lgkmcnt(1)
	v_mul_f64 v[68:69], v[64:65], v[36:37]
	v_mul_f64 v[78:79], v[62:63], v[36:37]
	v_add_f64 v[74:75], v[74:75], -v[76:77]
	v_fma_f64 v[76:77], v[62:63], v[34:35], -v[68:69]
	v_fmac_f64_e32 v[78:79], v[64:65], v[34:35]
	ds_read_b128 v[62:65], v66 offset:1392
	ds_read_b128 v[68:71], v66 offset:1408
	v_add_f64 v[80:81], v[74:75], -v[76:77]
	v_add_f64 v[82:83], v[72:73], -v[78:79]
	ds_read_b128 v[72:75], v66 offset:1360
	ds_read_b128 v[76:79], v66 offset:1376
	s_waitcnt lgkmcnt(2)
	v_mul_f64 v[84:85], v[70:71], v[44:45]
	v_fma_f64 v[84:85], v[68:69], v[42:43], -v[84:85]
	v_mul_f64 v[68:69], v[68:69], v[44:45]
	v_fmac_f64_e32 v[68:69], v[70:71], v[42:43]
	v_add_f64 v[70:71], v[80:81], -v[84:85]
	v_mul_f64 v[80:81], v[64:65], v[48:49]
	v_fma_f64 v[80:81], v[62:63], v[46:47], -v[80:81]
	v_mul_f64 v[62:63], v[62:63], v[48:49]
	v_add_f64 v[68:69], v[82:83], -v[68:69]
	v_fmac_f64_e32 v[62:63], v[64:65], v[46:47]
	v_add_f64 v[64:65], v[70:71], -v[80:81]
	v_add_f64 v[62:63], v[68:69], -v[62:63]
	s_waitcnt lgkmcnt(0)
	v_mul_f64 v[68:69], v[78:79], v[56:57]
	v_mul_f64 v[70:71], v[76:77], v[56:57]
	v_fma_f64 v[68:69], v[76:77], v[54:55], -v[68:69]
	v_fmac_f64_e32 v[70:71], v[78:79], v[54:55]
	v_add_f64 v[76:77], v[64:65], -v[68:69]
	v_add_f64 v[64:65], v[62:63], -v[70:71]
	ds_read_b128 v[68:71], v66 offset:1264
	v_mul_f64 v[62:63], v[74:75], v[64:65]
	v_mul_f64 v[64:65], v[72:73], v[64:65]
	v_fma_f64 v[62:63], v[72:73], v[76:77], -v[62:63]
	v_fmac_f64_e32 v[64:65], v[74:75], v[76:77]
	ds_read_b128 v[72:75], v66 offset:1248
	s_waitcnt lgkmcnt(1)
	v_mul_f64 v[76:77], v[70:71], v[8:9]
	v_fma_f64 v[76:77], v[68:69], v[6:7], -v[76:77]
	v_mul_f64 v[68:69], v[68:69], v[8:9]
	v_fmac_f64_e32 v[68:69], v[70:71], v[6:7]
	v_add_f64 v[70:71], v[58:59], -v[76:77]
	s_waitcnt lgkmcnt(0)
	v_mul_f64 v[58:59], v[74:75], v[12:13]
	v_add_f64 v[68:69], v[60:61], -v[68:69]
	v_fma_f64 v[76:77], v[72:73], v[10:11], -v[58:59]
	ds_read_b128 v[58:61], v66 offset:1232
	v_mul_f64 v[72:73], v[72:73], v[12:13]
	v_fmac_f64_e32 v[72:73], v[74:75], v[10:11]
	v_add_f64 v[74:75], v[70:71], -v[76:77]
	v_add_f64 v[72:73], v[68:69], -v[72:73]
	ds_read_b128 v[68:71], v66 offset:1216
	s_waitcnt lgkmcnt(1)
	v_mul_f64 v[76:77], v[60:61], v[16:17]
	v_fma_f64 v[76:77], v[58:59], v[14:15], -v[76:77]
	v_mul_f64 v[58:59], v[58:59], v[16:17]
	v_fmac_f64_e32 v[58:59], v[60:61], v[14:15]
	v_add_f64 v[72:73], v[72:73], -v[58:59]
	s_waitcnt lgkmcnt(0)
	v_mul_f64 v[58:59], v[70:71], v[20:21]
	v_add_f64 v[74:75], v[74:75], -v[76:77]
	v_fma_f64 v[76:77], v[68:69], v[18:19], -v[58:59]
	ds_read_b128 v[58:61], v66 offset:1200
	v_mul_f64 v[68:69], v[68:69], v[20:21]
	v_fmac_f64_e32 v[68:69], v[70:71], v[18:19]
	v_add_f64 v[72:73], v[72:73], -v[68:69]
	ds_read_b128 v[68:71], v66 offset:1184
	v_add_f64 v[74:75], v[74:75], -v[76:77]
	s_waitcnt lgkmcnt(1)
	v_mul_f64 v[76:77], v[60:61], v[24:25]
	v_fma_f64 v[76:77], v[58:59], v[22:23], -v[76:77]
	v_mul_f64 v[58:59], v[58:59], v[24:25]
	v_fmac_f64_e32 v[58:59], v[60:61], v[22:23]
	v_add_f64 v[72:73], v[72:73], -v[58:59]
	s_waitcnt lgkmcnt(0)
	v_mul_f64 v[58:59], v[70:71], v[32:33]
	v_add_f64 v[74:75], v[74:75], -v[76:77]
	v_fma_f64 v[76:77], v[68:69], v[30:31], -v[58:59]
	ds_read_b128 v[58:61], v66 offset:1168
	v_mul_f64 v[68:69], v[68:69], v[32:33]
	v_fmac_f64_e32 v[68:69], v[70:71], v[30:31]
	v_add_f64 v[72:73], v[72:73], -v[68:69]
	ds_read_b128 v[68:71], v66 offset:1152
	v_add_f64 v[74:75], v[74:75], -v[76:77]
	s_waitcnt lgkmcnt(1)
	v_mul_f64 v[76:77], v[60:61], v[36:37]
	v_fma_f64 v[76:77], v[58:59], v[34:35], -v[76:77]
	v_mul_f64 v[58:59], v[58:59], v[36:37]
	v_fmac_f64_e32 v[58:59], v[60:61], v[34:35]
	ds_write_b128 v1, v[62:65] offset:1280
	v_add_f64 v[72:73], v[72:73], -v[58:59]
	s_waitcnt lgkmcnt(1)
	v_mul_f64 v[58:59], v[70:71], v[44:45]
	v_mul_f64 v[78:79], v[68:69], v[44:45]
	v_add_f64 v[74:75], v[74:75], -v[76:77]
	v_fma_f64 v[76:77], v[68:69], v[42:43], -v[58:59]
	v_fmac_f64_e32 v[78:79], v[70:71], v[42:43]
	ds_read_b128 v[58:61], v66 offset:1120
	ds_read_b128 v[68:71], v66 offset:1136
	v_add_f64 v[80:81], v[74:75], -v[76:77]
	v_add_f64 v[82:83], v[72:73], -v[78:79]
	ds_read_b128 v[72:75], v66 offset:1088
	ds_read_b128 v[76:79], v66 offset:1104
	s_waitcnt lgkmcnt(2)
	v_mul_f64 v[84:85], v[70:71], v[48:49]
	v_fma_f64 v[84:85], v[68:69], v[46:47], -v[84:85]
	v_mul_f64 v[68:69], v[68:69], v[48:49]
	v_fmac_f64_e32 v[68:69], v[70:71], v[46:47]
	v_add_f64 v[70:71], v[80:81], -v[84:85]
	v_mul_f64 v[80:81], v[60:61], v[56:57]
	v_fma_f64 v[80:81], v[58:59], v[54:55], -v[80:81]
	v_mul_f64 v[58:59], v[58:59], v[56:57]
	v_add_f64 v[68:69], v[82:83], -v[68:69]
	v_fmac_f64_e32 v[58:59], v[60:61], v[54:55]
	v_add_f64 v[60:61], v[70:71], -v[80:81]
	v_add_f64 v[58:59], v[68:69], -v[58:59]
	s_waitcnt lgkmcnt(0)
	v_mul_f64 v[68:69], v[78:79], v[64:65]
	v_mul_f64 v[70:71], v[76:77], v[64:65]
	v_fma_f64 v[68:69], v[76:77], v[62:63], -v[68:69]
	v_fmac_f64_e32 v[70:71], v[78:79], v[62:63]
	v_add_f64 v[76:77], v[60:61], -v[68:69]
	v_add_f64 v[60:61], v[58:59], -v[70:71]
	ds_read_b128 v[68:71], v66 offset:1008
	v_mul_f64 v[58:59], v[74:75], v[60:61]
	v_mul_f64 v[60:61], v[72:73], v[60:61]
	v_fma_f64 v[58:59], v[72:73], v[76:77], -v[58:59]
	v_fmac_f64_e32 v[60:61], v[74:75], v[76:77]
	ds_read_b128 v[72:75], v66 offset:992
	s_waitcnt lgkmcnt(1)
	v_mul_f64 v[76:77], v[70:71], v[8:9]
	v_fma_f64 v[76:77], v[68:69], v[6:7], -v[76:77]
	v_mul_f64 v[68:69], v[68:69], v[8:9]
	v_fmac_f64_e32 v[68:69], v[70:71], v[6:7]
	v_add_f64 v[70:71], v[50:51], -v[76:77]
	s_waitcnt lgkmcnt(0)
	v_mul_f64 v[50:51], v[74:75], v[12:13]
	v_add_f64 v[68:69], v[52:53], -v[68:69]
	v_fma_f64 v[76:77], v[72:73], v[10:11], -v[50:51]
	ds_read_b128 v[50:53], v66 offset:976
	v_mul_f64 v[72:73], v[72:73], v[12:13]
	v_fmac_f64_e32 v[72:73], v[74:75], v[10:11]
	v_add_f64 v[74:75], v[70:71], -v[76:77]
	v_add_f64 v[72:73], v[68:69], -v[72:73]
	ds_read_b128 v[68:71], v66 offset:960
	s_waitcnt lgkmcnt(1)
	v_mul_f64 v[76:77], v[52:53], v[16:17]
	v_fma_f64 v[76:77], v[50:51], v[14:15], -v[76:77]
	v_mul_f64 v[50:51], v[50:51], v[16:17]
	v_fmac_f64_e32 v[50:51], v[52:53], v[14:15]
	v_add_f64 v[72:73], v[72:73], -v[50:51]
	s_waitcnt lgkmcnt(0)
	v_mul_f64 v[50:51], v[70:71], v[20:21]
	v_add_f64 v[74:75], v[74:75], -v[76:77]
	v_fma_f64 v[76:77], v[68:69], v[18:19], -v[50:51]
	ds_read_b128 v[50:53], v66 offset:944
	v_mul_f64 v[68:69], v[68:69], v[20:21]
	v_fmac_f64_e32 v[68:69], v[70:71], v[18:19]
	v_add_f64 v[72:73], v[72:73], -v[68:69]
	ds_read_b128 v[68:71], v66 offset:928
	v_add_f64 v[74:75], v[74:75], -v[76:77]
	s_waitcnt lgkmcnt(1)
	v_mul_f64 v[76:77], v[52:53], v[24:25]
	v_fma_f64 v[76:77], v[50:51], v[22:23], -v[76:77]
	v_mul_f64 v[50:51], v[50:51], v[24:25]
	v_fmac_f64_e32 v[50:51], v[52:53], v[22:23]
	v_add_f64 v[72:73], v[72:73], -v[50:51]
	s_waitcnt lgkmcnt(0)
	v_mul_f64 v[50:51], v[70:71], v[32:33]
	v_add_f64 v[74:75], v[74:75], -v[76:77]
	v_fma_f64 v[76:77], v[68:69], v[30:31], -v[50:51]
	ds_read_b128 v[50:53], v66 offset:912
	v_mul_f64 v[68:69], v[68:69], v[32:33]
	v_fmac_f64_e32 v[68:69], v[70:71], v[30:31]
	v_add_f64 v[72:73], v[72:73], -v[68:69]
	ds_read_b128 v[68:71], v66 offset:896
	v_add_f64 v[74:75], v[74:75], -v[76:77]
	s_waitcnt lgkmcnt(1)
	v_mul_f64 v[76:77], v[52:53], v[36:37]
	v_fma_f64 v[76:77], v[50:51], v[34:35], -v[76:77]
	v_mul_f64 v[50:51], v[50:51], v[36:37]
	v_fmac_f64_e32 v[50:51], v[52:53], v[34:35]
	v_add_f64 v[72:73], v[72:73], -v[50:51]
	s_waitcnt lgkmcnt(0)
	v_mul_f64 v[50:51], v[70:71], v[44:45]
	v_add_f64 v[74:75], v[74:75], -v[76:77]
	v_fma_f64 v[76:77], v[68:69], v[42:43], -v[50:51]
	ds_read_b128 v[50:53], v66 offset:880
	v_mul_f64 v[68:69], v[68:69], v[44:45]
	v_fmac_f64_e32 v[68:69], v[70:71], v[42:43]
	v_add_f64 v[74:75], v[74:75], -v[76:77]
	v_add_f64 v[72:73], v[72:73], -v[68:69]
	ds_read_b128 v[68:71], v66 offset:864
	s_waitcnt lgkmcnt(1)
	v_mul_f64 v[76:77], v[52:53], v[48:49]
	v_fma_f64 v[76:77], v[50:51], v[46:47], -v[76:77]
	v_mul_f64 v[50:51], v[50:51], v[48:49]
	ds_write_b128 v1, v[58:61] offset:1024
	v_fmac_f64_e32 v[50:51], v[52:53], v[46:47]
	v_add_f64 v[80:81], v[74:75], -v[76:77]
	v_add_f64 v[82:83], v[72:73], -v[50:51]
	ds_read_b128 v[72:75], v66 offset:816
	ds_read_b128 v[50:53], v66 offset:832
	;; [unrolled: 1-line block ×3, first 2 shown]
	s_waitcnt lgkmcnt(4)
	v_mul_f64 v[84:85], v[70:71], v[56:57]
	v_fma_f64 v[84:85], v[68:69], v[54:55], -v[84:85]
	v_mul_f64 v[68:69], v[68:69], v[56:57]
	v_fmac_f64_e32 v[68:69], v[70:71], v[54:55]
	v_add_f64 v[70:71], v[80:81], -v[84:85]
	s_waitcnt lgkmcnt(0)
	v_mul_f64 v[80:81], v[78:79], v[64:65]
	v_fma_f64 v[80:81], v[76:77], v[62:63], -v[80:81]
	v_mul_f64 v[76:77], v[76:77], v[64:65]
	v_add_f64 v[68:69], v[82:83], -v[68:69]
	v_fmac_f64_e32 v[76:77], v[78:79], v[62:63]
	v_add_f64 v[68:69], v[68:69], -v[76:77]
	v_mul_f64 v[76:77], v[52:53], v[60:61]
	v_fma_f64 v[76:77], v[50:51], v[58:59], -v[76:77]
	v_mul_f64 v[50:51], v[50:51], v[60:61]
	v_add_f64 v[70:71], v[70:71], -v[80:81]
	v_fmac_f64_e32 v[50:51], v[52:53], v[58:59]
	v_add_f64 v[76:77], v[70:71], -v[76:77]
	v_add_f64 v[52:53], v[68:69], -v[50:51]
	ds_read_b128 v[68:71], v66 offset:752
	v_mul_f64 v[50:51], v[74:75], v[52:53]
	v_fma_f64 v[50:51], v[72:73], v[76:77], -v[50:51]
	v_mul_f64 v[52:53], v[72:73], v[52:53]
	v_fmac_f64_e32 v[52:53], v[74:75], v[76:77]
	s_waitcnt lgkmcnt(0)
	v_mul_f64 v[72:73], v[70:71], v[8:9]
	v_fma_f64 v[76:77], v[68:69], v[6:7], -v[72:73]
	ds_read_b128 v[72:75], v66 offset:736
	v_mul_f64 v[68:69], v[68:69], v[8:9]
	v_fmac_f64_e32 v[68:69], v[70:71], v[6:7]
	v_add_f64 v[70:71], v[38:39], -v[76:77]
	v_add_f64 v[68:69], v[40:41], -v[68:69]
	ds_read_b128 v[38:41], v66 offset:720
	s_waitcnt lgkmcnt(1)
	v_mul_f64 v[76:77], v[74:75], v[12:13]
	v_fma_f64 v[76:77], v[72:73], v[10:11], -v[76:77]
	v_mul_f64 v[72:73], v[72:73], v[12:13]
	v_fmac_f64_e32 v[72:73], v[74:75], v[10:11]
	v_add_f64 v[72:73], v[68:69], -v[72:73]
	s_waitcnt lgkmcnt(0)
	v_mul_f64 v[68:69], v[40:41], v[16:17]
	v_add_f64 v[74:75], v[70:71], -v[76:77]
	v_fma_f64 v[76:77], v[38:39], v[14:15], -v[68:69]
	ds_read_b128 v[68:71], v66 offset:704
	v_mul_f64 v[38:39], v[38:39], v[16:17]
	v_fmac_f64_e32 v[38:39], v[40:41], v[14:15]
	v_add_f64 v[72:73], v[72:73], -v[38:39]
	ds_read_b128 v[38:41], v66 offset:688
	v_add_f64 v[74:75], v[74:75], -v[76:77]
	s_waitcnt lgkmcnt(1)
	v_mul_f64 v[76:77], v[70:71], v[20:21]
	v_fma_f64 v[76:77], v[68:69], v[18:19], -v[76:77]
	v_mul_f64 v[68:69], v[68:69], v[20:21]
	v_fmac_f64_e32 v[68:69], v[70:71], v[18:19]
	v_add_f64 v[72:73], v[72:73], -v[68:69]
	s_waitcnt lgkmcnt(0)
	v_mul_f64 v[68:69], v[40:41], v[24:25]
	v_add_f64 v[74:75], v[74:75], -v[76:77]
	v_fma_f64 v[76:77], v[38:39], v[22:23], -v[68:69]
	ds_read_b128 v[68:71], v66 offset:672
	v_mul_f64 v[38:39], v[38:39], v[24:25]
	v_fmac_f64_e32 v[38:39], v[40:41], v[22:23]
	v_add_f64 v[72:73], v[72:73], -v[38:39]
	ds_read_b128 v[38:41], v66 offset:656
	v_add_f64 v[74:75], v[74:75], -v[76:77]
	;; [unrolled: 16-line block ×3, first 2 shown]
	s_waitcnt lgkmcnt(1)
	v_mul_f64 v[76:77], v[70:71], v[44:45]
	v_fma_f64 v[76:77], v[68:69], v[42:43], -v[76:77]
	v_mul_f64 v[68:69], v[68:69], v[44:45]
	v_fmac_f64_e32 v[68:69], v[70:71], v[42:43]
	v_add_f64 v[72:73], v[72:73], -v[68:69]
	s_waitcnt lgkmcnt(0)
	v_mul_f64 v[68:69], v[40:41], v[48:49]
	v_add_f64 v[74:75], v[74:75], -v[76:77]
	v_fma_f64 v[76:77], v[38:39], v[46:47], -v[68:69]
	ds_read_b128 v[68:71], v66 offset:608
	v_mul_f64 v[38:39], v[38:39], v[48:49]
	v_fmac_f64_e32 v[38:39], v[40:41], v[46:47]
	v_add_f64 v[74:75], v[74:75], -v[76:77]
	v_add_f64 v[72:73], v[72:73], -v[38:39]
	ds_read_b128 v[38:41], v66 offset:592
	s_waitcnt lgkmcnt(1)
	v_mul_f64 v[76:77], v[70:71], v[56:57]
	v_fma_f64 v[76:77], v[68:69], v[54:55], -v[76:77]
	v_mul_f64 v[68:69], v[68:69], v[56:57]
	ds_write_b128 v1, v[50:53] offset:768
	v_fmac_f64_e32 v[68:69], v[70:71], v[54:55]
	v_add_f64 v[80:81], v[74:75], -v[76:77]
	v_add_f64 v[82:83], v[72:73], -v[68:69]
	ds_read_b128 v[68:71], v66 offset:544
	ds_read_b128 v[72:75], v66 offset:560
	;; [unrolled: 1-line block ×3, first 2 shown]
	s_waitcnt lgkmcnt(4)
	v_mul_f64 v[84:85], v[40:41], v[64:65]
	v_fma_f64 v[84:85], v[38:39], v[62:63], -v[84:85]
	v_mul_f64 v[38:39], v[38:39], v[64:65]
	v_fmac_f64_e32 v[38:39], v[40:41], v[62:63]
	v_add_f64 v[40:41], v[80:81], -v[84:85]
	s_waitcnt lgkmcnt(0)
	v_mul_f64 v[80:81], v[78:79], v[60:61]
	v_fma_f64 v[80:81], v[76:77], v[58:59], -v[80:81]
	v_mul_f64 v[76:77], v[76:77], v[60:61]
	v_add_f64 v[38:39], v[82:83], -v[38:39]
	v_fmac_f64_e32 v[76:77], v[78:79], v[58:59]
	v_add_f64 v[38:39], v[38:39], -v[76:77]
	v_mul_f64 v[76:77], v[74:75], v[52:53]
	v_fma_f64 v[76:77], v[72:73], v[50:51], -v[76:77]
	v_mul_f64 v[72:73], v[72:73], v[52:53]
	v_add_f64 v[40:41], v[40:41], -v[80:81]
	v_fmac_f64_e32 v[72:73], v[74:75], v[50:51]
	v_add_f64 v[76:77], v[40:41], -v[76:77]
	v_add_f64 v[40:41], v[38:39], -v[72:73]
	ds_read_b128 v[72:75], v66 offset:496
	v_mul_f64 v[38:39], v[70:71], v[40:41]
	v_fma_f64 v[38:39], v[68:69], v[76:77], -v[38:39]
	v_mul_f64 v[40:41], v[68:69], v[40:41]
	v_fmac_f64_e32 v[40:41], v[70:71], v[76:77]
	s_waitcnt lgkmcnt(0)
	v_mul_f64 v[68:69], v[74:75], v[8:9]
	v_fma_f64 v[76:77], v[72:73], v[6:7], -v[68:69]
	ds_read_b128 v[68:71], v66 offset:480
	v_mul_f64 v[72:73], v[72:73], v[8:9]
	v_fmac_f64_e32 v[72:73], v[74:75], v[6:7]
	v_add_f64 v[74:75], v[26:27], -v[76:77]
	v_add_f64 v[72:73], v[28:29], -v[72:73]
	ds_read_b128 v[26:29], v66 offset:464
	s_waitcnt lgkmcnt(1)
	v_mul_f64 v[76:77], v[70:71], v[12:13]
	v_fma_f64 v[76:77], v[68:69], v[10:11], -v[76:77]
	v_mul_f64 v[68:69], v[68:69], v[12:13]
	v_fmac_f64_e32 v[68:69], v[70:71], v[10:11]
	v_add_f64 v[72:73], v[72:73], -v[68:69]
	s_waitcnt lgkmcnt(0)
	v_mul_f64 v[68:69], v[28:29], v[16:17]
	v_add_f64 v[74:75], v[74:75], -v[76:77]
	v_fma_f64 v[76:77], v[26:27], v[14:15], -v[68:69]
	ds_read_b128 v[68:71], v66 offset:448
	v_mul_f64 v[26:27], v[26:27], v[16:17]
	v_fmac_f64_e32 v[26:27], v[28:29], v[14:15]
	v_add_f64 v[72:73], v[72:73], -v[26:27]
	ds_read_b128 v[26:29], v66 offset:432
	v_add_f64 v[74:75], v[74:75], -v[76:77]
	s_waitcnt lgkmcnt(1)
	v_mul_f64 v[76:77], v[70:71], v[20:21]
	v_fma_f64 v[76:77], v[68:69], v[18:19], -v[76:77]
	v_mul_f64 v[68:69], v[68:69], v[20:21]
	v_fmac_f64_e32 v[68:69], v[70:71], v[18:19]
	v_add_f64 v[72:73], v[72:73], -v[68:69]
	s_waitcnt lgkmcnt(0)
	v_mul_f64 v[68:69], v[28:29], v[24:25]
	v_add_f64 v[74:75], v[74:75], -v[76:77]
	v_fma_f64 v[76:77], v[26:27], v[22:23], -v[68:69]
	ds_read_b128 v[68:71], v66 offset:416
	v_mul_f64 v[26:27], v[26:27], v[24:25]
	v_fmac_f64_e32 v[26:27], v[28:29], v[22:23]
	v_add_f64 v[72:73], v[72:73], -v[26:27]
	ds_read_b128 v[26:29], v66 offset:400
	v_add_f64 v[74:75], v[74:75], -v[76:77]
	;; [unrolled: 16-line block ×4, first 2 shown]
	s_waitcnt lgkmcnt(1)
	v_mul_f64 v[76:77], v[70:71], v[56:57]
	v_fma_f64 v[76:77], v[68:69], v[54:55], -v[76:77]
	v_mul_f64 v[68:69], v[68:69], v[56:57]
	v_fmac_f64_e32 v[68:69], v[70:71], v[54:55]
	ds_write_b128 v1, v[38:41] offset:512
	v_add_f64 v[72:73], v[72:73], -v[68:69]
	s_waitcnt lgkmcnt(1)
	v_mul_f64 v[68:69], v[28:29], v[64:65]
	v_mul_f64 v[78:79], v[26:27], v[64:65]
	v_add_f64 v[74:75], v[74:75], -v[76:77]
	v_fma_f64 v[76:77], v[26:27], v[62:63], -v[68:69]
	v_fmac_f64_e32 v[78:79], v[28:29], v[62:63]
	ds_read_b128 v[26:29], v66 offset:304
	ds_read_b128 v[68:71], v66 offset:320
	v_add_f64 v[80:81], v[74:75], -v[76:77]
	v_add_f64 v[82:83], v[72:73], -v[78:79]
	ds_read_b128 v[72:75], v66 offset:272
	ds_read_b128 v[76:79], v66 offset:288
	s_waitcnt lgkmcnt(2)
	v_mul_f64 v[84:85], v[70:71], v[60:61]
	v_fma_f64 v[84:85], v[68:69], v[58:59], -v[84:85]
	v_mul_f64 v[68:69], v[68:69], v[60:61]
	v_fmac_f64_e32 v[68:69], v[70:71], v[58:59]
	v_add_f64 v[70:71], v[80:81], -v[84:85]
	v_mul_f64 v[80:81], v[28:29], v[52:53]
	v_fma_f64 v[80:81], v[26:27], v[50:51], -v[80:81]
	v_mul_f64 v[26:27], v[26:27], v[52:53]
	v_add_f64 v[68:69], v[82:83], -v[68:69]
	v_fmac_f64_e32 v[26:27], v[28:29], v[50:51]
	v_add_f64 v[28:29], v[70:71], -v[80:81]
	v_add_f64 v[26:27], v[68:69], -v[26:27]
	s_waitcnt lgkmcnt(0)
	v_mul_f64 v[68:69], v[78:79], v[40:41]
	v_mul_f64 v[70:71], v[76:77], v[40:41]
	v_fma_f64 v[68:69], v[76:77], v[38:39], -v[68:69]
	v_fmac_f64_e32 v[70:71], v[78:79], v[38:39]
	v_add_f64 v[76:77], v[28:29], -v[68:69]
	v_add_f64 v[28:29], v[26:27], -v[70:71]
	ds_read_b128 v[68:71], v66 offset:240
	v_mul_f64 v[26:27], v[74:75], v[28:29]
	v_mul_f64 v[28:29], v[72:73], v[28:29]
	v_fma_f64 v[26:27], v[72:73], v[76:77], -v[26:27]
	v_fmac_f64_e32 v[28:29], v[74:75], v[76:77]
	ds_read_b128 v[72:75], v66 offset:224
	s_waitcnt lgkmcnt(1)
	v_mul_f64 v[76:77], v[70:71], v[8:9]
	v_fma_f64 v[76:77], v[68:69], v[6:7], -v[76:77]
	v_mul_f64 v[8:9], v[68:69], v[8:9]
	v_fmac_f64_e32 v[8:9], v[70:71], v[6:7]
	v_add_f64 v[6:7], v[2:3], -v[76:77]
	s_waitcnt lgkmcnt(0)
	v_mul_f64 v[2:3], v[74:75], v[12:13]
	v_add_f64 v[8:9], v[4:5], -v[8:9]
	v_fma_f64 v[68:69], v[72:73], v[10:11], -v[2:3]
	ds_read_b128 v[2:5], v66 offset:208
	v_mul_f64 v[12:13], v[72:73], v[12:13]
	v_fmac_f64_e32 v[12:13], v[74:75], v[10:11]
	v_add_f64 v[10:11], v[6:7], -v[68:69]
	v_add_f64 v[12:13], v[8:9], -v[12:13]
	ds_read_b128 v[6:9], v66 offset:192
	s_waitcnt lgkmcnt(1)
	v_mul_f64 v[68:69], v[4:5], v[16:17]
	v_fma_f64 v[68:69], v[2:3], v[14:15], -v[68:69]
	v_mul_f64 v[2:3], v[2:3], v[16:17]
	v_fmac_f64_e32 v[2:3], v[4:5], v[14:15]
	v_add_f64 v[12:13], v[12:13], -v[2:3]
	s_waitcnt lgkmcnt(0)
	v_mul_f64 v[2:3], v[8:9], v[20:21]
	v_fma_f64 v[14:15], v[6:7], v[18:19], -v[2:3]
	ds_read_b128 v[2:5], v66 offset:176
	v_mul_f64 v[6:7], v[6:7], v[20:21]
	v_fmac_f64_e32 v[6:7], v[8:9], v[18:19]
	v_add_f64 v[12:13], v[12:13], -v[6:7]
	ds_read_b128 v[6:9], v66 offset:160
	v_add_f64 v[10:11], v[10:11], -v[68:69]
	v_add_f64 v[10:11], v[10:11], -v[14:15]
	s_waitcnt lgkmcnt(1)
	v_mul_f64 v[14:15], v[4:5], v[24:25]
	v_fma_f64 v[14:15], v[2:3], v[22:23], -v[14:15]
	v_mul_f64 v[2:3], v[2:3], v[24:25]
	v_fmac_f64_e32 v[2:3], v[4:5], v[22:23]
	v_add_f64 v[12:13], v[12:13], -v[2:3]
	s_waitcnt lgkmcnt(0)
	v_mul_f64 v[2:3], v[8:9], v[32:33]
	v_add_f64 v[10:11], v[10:11], -v[14:15]
	v_fma_f64 v[14:15], v[6:7], v[30:31], -v[2:3]
	ds_read_b128 v[2:5], v66 offset:144
	v_mul_f64 v[6:7], v[6:7], v[32:33]
	v_fmac_f64_e32 v[6:7], v[8:9], v[30:31]
	v_add_f64 v[12:13], v[12:13], -v[6:7]
	ds_read_b128 v[6:9], v66 offset:128
	v_add_f64 v[10:11], v[10:11], -v[14:15]
	s_waitcnt lgkmcnt(1)
	v_mul_f64 v[14:15], v[4:5], v[36:37]
	v_fma_f64 v[14:15], v[2:3], v[34:35], -v[14:15]
	v_mul_f64 v[2:3], v[2:3], v[36:37]
	v_fmac_f64_e32 v[2:3], v[4:5], v[34:35]
	v_add_f64 v[12:13], v[12:13], -v[2:3]
	s_waitcnt lgkmcnt(0)
	v_mul_f64 v[2:3], v[8:9], v[44:45]
	v_add_f64 v[10:11], v[10:11], -v[14:15]
	v_fma_f64 v[14:15], v[6:7], v[42:43], -v[2:3]
	ds_read_b128 v[2:5], v66 offset:112
	v_mul_f64 v[6:7], v[6:7], v[44:45]
	v_fmac_f64_e32 v[6:7], v[8:9], v[42:43]
	v_add_f64 v[12:13], v[12:13], -v[6:7]
	ds_read_b128 v[6:9], v66 offset:96
	;; [unrolled: 16-line block ×3, first 2 shown]
	v_add_f64 v[10:11], v[10:11], -v[14:15]
	s_waitcnt lgkmcnt(1)
	v_mul_f64 v[14:15], v[4:5], v[64:65]
	v_fma_f64 v[14:15], v[2:3], v[62:63], -v[14:15]
	v_mul_f64 v[2:3], v[2:3], v[64:65]
	v_fmac_f64_e32 v[2:3], v[4:5], v[62:63]
	ds_write_b128 v1, v[26:29] offset:256
	v_add_f64 v[12:13], v[12:13], -v[2:3]
	s_waitcnt lgkmcnt(1)
	v_mul_f64 v[2:3], v[8:9], v[60:61]
	v_mul_f64 v[16:17], v[6:7], v[60:61]
	v_add_f64 v[10:11], v[10:11], -v[14:15]
	v_fma_f64 v[14:15], v[6:7], v[58:59], -v[2:3]
	v_fmac_f64_e32 v[16:17], v[8:9], v[58:59]
	ds_read_b128 v[2:5], v66 offset:32
	ds_read_b128 v[6:9], v66 offset:48
	v_add_f64 v[18:19], v[10:11], -v[14:15]
	v_add_f64 v[20:21], v[12:13], -v[16:17]
	ds_read_b128 v[10:13], v66
	ds_read_b128 v[14:17], v66 offset:16
	s_waitcnt lgkmcnt(2)
	v_mul_f64 v[22:23], v[8:9], v[52:53]
	v_fma_f64 v[22:23], v[6:7], v[50:51], -v[22:23]
	v_mul_f64 v[6:7], v[6:7], v[52:53]
	v_fmac_f64_e32 v[6:7], v[8:9], v[50:51]
	v_add_f64 v[8:9], v[18:19], -v[22:23]
	v_mul_f64 v[18:19], v[4:5], v[40:41]
	v_fma_f64 v[18:19], v[2:3], v[38:39], -v[18:19]
	v_mul_f64 v[2:3], v[2:3], v[40:41]
	v_add_f64 v[6:7], v[20:21], -v[6:7]
	v_fmac_f64_e32 v[2:3], v[4:5], v[38:39]
	v_add_f64 v[4:5], v[8:9], -v[18:19]
	v_add_f64 v[2:3], v[6:7], -v[2:3]
	s_waitcnt lgkmcnt(0)
	v_mul_f64 v[6:7], v[16:17], v[28:29]
	v_mul_f64 v[8:9], v[14:15], v[28:29]
	v_fma_f64 v[6:7], v[14:15], v[26:27], -v[6:7]
	v_fmac_f64_e32 v[8:9], v[16:17], v[26:27]
	v_add_f64 v[6:7], v[4:5], -v[6:7]
	v_add_f64 v[4:5], v[2:3], -v[8:9]
	v_mul_f64 v[2:3], v[12:13], v[4:5]
	v_mul_f64 v[4:5], v[10:11], v[4:5]
	v_fma_f64 v[2:3], v[10:11], v[6:7], -v[2:3]
	v_fmac_f64_e32 v[4:5], v[12:13], v[6:7]
	ds_write_b128 v1, v[2:5]
.LBB216_17:
	s_cmp_gt_i32 s5, -1
	s_cbranch_scc0 .LBB216_36
; %bb.18:
	s_cmp_lt_u32 s5, 11
	s_cbranch_scc1 .LBB216_23
; %bb.19:
	s_lshl_b32 s6, s5, 8
	v_add_u32_e32 v54, s6, v1
	v_add_u32_e32 v2, 0xffffff00, v54
	ds_read_b128 v[50:53], v54
	ds_read_b128 v[18:21], v2
	v_add_u32_e32 v2, 0xfffffe00, v54
	v_add_u32_e32 v3, 0xfffffd00, v54
	ds_read_b128 v[22:25], v2
	ds_read_b128 v[30:33], v3
	;; [unrolled: 4-line block ×6, first 2 shown]
	s_cmp_le_i32 s4, s5
	s_cbranch_scc1 .LBB216_22
; %bb.20:
	v_lshlrev_b32_e32 v14, 4, v0
	s_lshl_b32 s7, s24, 4
	v_lshl_or_b32 v14, s24, 8, v14
	s_add_i32 s6, s6, s7
	v_add_u32_e32 v14, 0xf00, v14
	s_addk_i32 s6, 0xf4f0
	s_mov_b32 s7, s4
.LBB216_21:                             ; =>This Inner Loop Header: Depth=1
	ds_read_b128 v[56:59], v14
	v_mov_b32_e32 v15, s6
	ds_read_b128 v[60:63], v15 offset:2816
	ds_read_b128 v[64:67], v15 offset:2560
	;; [unrolled: 1-line block ×11, first 2 shown]
	ds_read_b128 v[104:107], v15
	s_add_i32 s7, s7, -1
	s_add_i32 s6, s6, -16
	s_waitcnt lgkmcnt(11)
	v_mul_f64 v[16:17], v[58:59], v[62:63]
	v_mul_f64 v[62:63], v[56:57], v[62:63]
	s_waitcnt lgkmcnt(10)
	v_mul_f64 v[108:109], v[58:59], v[66:67]
	v_mul_f64 v[66:67], v[56:57], v[66:67]
	;; [unrolled: 3-line block ×5, first 2 shown]
	s_waitcnt lgkmcnt(6)
	v_mul_f64 v[116:117], v[58:59], v[82:83]
	v_fma_f64 v[16:17], v[56:57], v[60:61], -v[16:17]
	v_fmac_f64_e32 v[62:63], v[58:59], v[60:61]
	v_mul_f64 v[60:61], v[56:57], v[82:83]
	s_waitcnt lgkmcnt(5)
	v_mul_f64 v[82:83], v[58:59], v[86:87]
	v_fma_f64 v[108:109], v[56:57], v[64:65], -v[108:109]
	v_fmac_f64_e32 v[66:67], v[58:59], v[64:65]
	v_mul_f64 v[64:65], v[56:57], v[86:87]
	;; [unrolled: 5-line block ×7, first 2 shown]
	v_fma_f64 v[86:87], v[56:57], v[88:89], -v[86:87]
	v_fmac_f64_e32 v[68:69], v[58:59], v[88:89]
	v_fma_f64 v[88:89], v[56:57], v[92:93], -v[90:91]
	v_fmac_f64_e32 v[72:73], v[58:59], v[92:93]
	;; [unrolled: 2-line block ×5, first 2 shown]
	v_add_u32_e32 v14, 0xffffff00, v14
	s_cmp_gt_i32 s7, s5
	v_add_f64 v[50:51], v[50:51], -v[16:17]
	v_add_f64 v[52:53], v[52:53], -v[62:63]
	;; [unrolled: 1-line block ×24, first 2 shown]
	s_cbranch_scc1 .LBB216_21
.LBB216_22:
	s_mul_i32 s6, s5, 0x110
	s_add_i32 s7, s5, -1
	v_mov_b32_e32 v14, s6
	s_lshl_b32 s10, s7, 8
	s_lshl_b32 s6, s5, 4
	ds_read_b128 v[56:59], v14
	s_add_i32 s11, s10, s6
	v_mov_b32_e32 v14, s11
	ds_read_b128 v[60:63], v14
	s_lshl_b32 s7, s7, 4
	s_waitcnt lgkmcnt(1)
	v_mul_f64 v[16:17], v[56:57], v[52:53]
	v_mul_f64 v[14:15], v[58:59], v[52:53]
	v_fmac_f64_e32 v[16:17], v[58:59], v[50:51]
	v_fma_f64 v[14:15], v[56:57], v[50:51], -v[14:15]
	s_waitcnt lgkmcnt(0)
	v_mul_f64 v[50:51], v[62:63], v[16:17]
	v_fma_f64 v[50:51], v[60:61], v[14:15], -v[50:51]
	s_add_i32 s7, s10, s7
	v_mul_f64 v[52:53], v[60:61], v[16:17]
	v_add_f64 v[58:59], v[18:19], -v[50:51]
	v_mov_b32_e32 v18, s7
	s_add_i32 s7, s5, -2
	v_fmac_f64_e32 v[52:53], v[62:63], v[14:15]
	s_lshl_b32 s11, s7, 8
	v_add_f64 v[20:21], v[20:21], -v[52:53]
	ds_read_b128 v[50:53], v18
	s_add_i32 s12, s11, s6
	v_mov_b32_e32 v18, s12
	ds_write_b128 v54, v[14:17]
	ds_read_b128 v[54:57], v18
	s_waitcnt lgkmcnt(2)
	v_mul_f64 v[18:19], v[52:53], v[20:21]
	v_mul_f64 v[20:21], v[50:51], v[20:21]
	v_fma_f64 v[18:19], v[50:51], v[58:59], -v[18:19]
	v_fmac_f64_e32 v[20:21], v[52:53], v[58:59]
	v_add_u32_e32 v50, s10, v1
	ds_write_b128 v50, v[18:21]
	s_waitcnt lgkmcnt(1)
	v_mul_f64 v[50:51], v[56:57], v[16:17]
	v_fma_f64 v[50:51], v[54:55], v[14:15], -v[50:51]
	v_mul_f64 v[52:53], v[54:55], v[16:17]
	s_add_i32 s10, s12, -16
	v_fmac_f64_e32 v[52:53], v[56:57], v[14:15]
	v_add_f64 v[54:55], v[22:23], -v[50:51]
	v_mov_b32_e32 v22, s10
	v_add_f64 v[56:57], v[24:25], -v[52:53]
	ds_read_b128 v[22:25], v22
	s_lshl_b32 s7, s7, 4
	s_add_i32 s7, s11, s7
	v_mov_b32_e32 v50, s7
	ds_read_b128 v[50:53], v50
	s_waitcnt lgkmcnt(1)
	v_mul_f64 v[58:59], v[24:25], v[20:21]
	v_fma_f64 v[58:59], v[22:23], v[18:19], -v[58:59]
	v_mul_f64 v[22:23], v[22:23], v[20:21]
	v_fmac_f64_e32 v[22:23], v[24:25], v[18:19]
	v_add_f64 v[24:25], v[56:57], -v[22:23]
	s_add_i32 s7, s5, -3
	v_add_f64 v[54:55], v[54:55], -v[58:59]
	s_waitcnt lgkmcnt(0)
	v_mul_f64 v[22:23], v[52:53], v[24:25]
	v_mul_f64 v[24:25], v[50:51], v[24:25]
	s_lshl_b32 s10, s7, 8
	v_fma_f64 v[22:23], v[50:51], v[54:55], -v[22:23]
	v_fmac_f64_e32 v[24:25], v[52:53], v[54:55]
	v_add_u32_e32 v54, s11, v1
	s_add_i32 s11, s10, s6
	v_mov_b32_e32 v50, s11
	ds_read_b128 v[50:53], v50
	s_add_i32 s12, s11, -16
	ds_write_b128 v54, v[22:25]
	v_mov_b32_e32 v54, s12
	ds_read_b128 v[54:57], v54
	s_waitcnt lgkmcnt(2)
	v_mul_f64 v[58:59], v[52:53], v[16:17]
	v_fma_f64 v[58:59], v[50:51], v[14:15], -v[58:59]
	v_mul_f64 v[50:51], v[50:51], v[16:17]
	v_fmac_f64_e32 v[50:51], v[52:53], v[14:15]
	v_add_f64 v[32:33], v[32:33], -v[50:51]
	s_waitcnt lgkmcnt(0)
	v_mul_f64 v[50:51], v[56:57], v[20:21]
	v_add_f64 v[30:31], v[30:31], -v[58:59]
	v_fma_f64 v[50:51], v[54:55], v[18:19], -v[50:51]
	v_mul_f64 v[52:53], v[54:55], v[20:21]
	s_sub_i32 s11, s11, 32
	v_fmac_f64_e32 v[52:53], v[56:57], v[18:19]
	v_add_f64 v[54:55], v[30:31], -v[50:51]
	v_mov_b32_e32 v30, s11
	v_add_f64 v[56:57], v[32:33], -v[52:53]
	ds_read_b128 v[30:33], v30
	s_lshl_b32 s7, s7, 4
	s_add_i32 s7, s10, s7
	v_mov_b32_e32 v50, s7
	ds_read_b128 v[50:53], v50
	s_waitcnt lgkmcnt(1)
	v_mul_f64 v[58:59], v[32:33], v[24:25]
	v_fma_f64 v[58:59], v[30:31], v[22:23], -v[58:59]
	v_mul_f64 v[30:31], v[30:31], v[24:25]
	v_fmac_f64_e32 v[30:31], v[32:33], v[22:23]
	v_add_f64 v[32:33], v[56:57], -v[30:31]
	v_add_f64 v[54:55], v[54:55], -v[58:59]
	s_waitcnt lgkmcnt(0)
	v_mul_f64 v[30:31], v[52:53], v[32:33]
	v_mul_f64 v[32:33], v[50:51], v[32:33]
	s_add_i32 s7, s5, -4
	v_fma_f64 v[30:31], v[50:51], v[54:55], -v[30:31]
	v_fmac_f64_e32 v[32:33], v[52:53], v[54:55]
	v_add_u32_e32 v54, s10, v1
	s_lshl_b32 s10, s7, 8
	s_add_i32 s11, s10, s6
	v_mov_b32_e32 v50, s11
	ds_read_b128 v[50:53], v50
	s_add_i32 s12, s11, -16
	ds_write_b128 v54, v[30:33]
	v_mov_b32_e32 v54, s12
	ds_read_b128 v[54:57], v54
	s_waitcnt lgkmcnt(2)
	v_mul_f64 v[58:59], v[52:53], v[16:17]
	v_fma_f64 v[58:59], v[50:51], v[14:15], -v[58:59]
	v_mul_f64 v[50:51], v[50:51], v[16:17]
	v_fmac_f64_e32 v[50:51], v[52:53], v[14:15]
	v_add_f64 v[50:51], v[36:37], -v[50:51]
	s_waitcnt lgkmcnt(0)
	v_mul_f64 v[36:37], v[56:57], v[20:21]
	v_add_f64 v[34:35], v[34:35], -v[58:59]
	v_fma_f64 v[36:37], v[54:55], v[18:19], -v[36:37]
	s_sub_i32 s12, s11, 32
	v_mul_f64 v[52:53], v[54:55], v[20:21]
	v_add_f64 v[54:55], v[34:35], -v[36:37]
	v_mov_b32_e32 v34, s12
	v_fmac_f64_e32 v[52:53], v[56:57], v[18:19]
	ds_read_b128 v[34:37], v34
	s_sub_i32 s11, s11, 48
	v_add_f64 v[56:57], v[50:51], -v[52:53]
	v_mov_b32_e32 v50, s11
	ds_read_b128 v[50:53], v50
	s_waitcnt lgkmcnt(1)
	v_mul_f64 v[58:59], v[36:37], v[24:25]
	v_fma_f64 v[58:59], v[34:35], v[22:23], -v[58:59]
	v_mul_f64 v[34:35], v[34:35], v[24:25]
	v_fmac_f64_e32 v[34:35], v[36:37], v[22:23]
	v_add_f64 v[36:37], v[54:55], -v[58:59]
	s_waitcnt lgkmcnt(0)
	v_mul_f64 v[54:55], v[52:53], v[32:33]
	v_fma_f64 v[54:55], v[50:51], v[30:31], -v[54:55]
	v_mul_f64 v[50:51], v[50:51], v[32:33]
	s_lshl_b32 s7, s7, 4
	v_add_f64 v[34:35], v[56:57], -v[34:35]
	v_fmac_f64_e32 v[50:51], v[52:53], v[30:31]
	s_add_i32 s7, s10, s7
	v_add_f64 v[58:59], v[36:37], -v[54:55]
	v_add_f64 v[36:37], v[34:35], -v[50:51]
	v_mov_b32_e32 v34, s7
	s_add_i32 s7, s5, -5
	s_lshl_b32 s11, s7, 8
	ds_read_b128 v[50:53], v34
	s_add_i32 s12, s11, s6
	v_mov_b32_e32 v34, s12
	ds_read_b128 v[54:57], v34
	s_lshl_b32 s7, s7, 4
	s_waitcnt lgkmcnt(1)
	v_mul_f64 v[34:35], v[52:53], v[36:37]
	v_mul_f64 v[36:37], v[50:51], v[36:37]
	v_fma_f64 v[34:35], v[50:51], v[58:59], -v[34:35]
	v_fmac_f64_e32 v[36:37], v[52:53], v[58:59]
	v_add_u32_e32 v50, s10, v1
	ds_write_b128 v50, v[34:37]
	s_waitcnt lgkmcnt(1)
	v_mul_f64 v[50:51], v[56:57], v[16:17]
	v_fma_f64 v[50:51], v[54:55], v[14:15], -v[50:51]
	v_mul_f64 v[54:55], v[54:55], v[16:17]
	s_add_i32 s10, s12, -16
	v_fmac_f64_e32 v[54:55], v[56:57], v[14:15]
	v_add_f64 v[56:57], v[42:43], -v[50:51]
	v_mov_b32_e32 v42, s10
	ds_read_b128 v[50:53], v42
	s_sub_i32 s10, s12, 32
	v_mov_b32_e32 v42, s10
	v_add_f64 v[54:55], v[44:45], -v[54:55]
	ds_read_b128 v[42:45], v42
	s_waitcnt lgkmcnt(1)
	v_mul_f64 v[58:59], v[52:53], v[20:21]
	v_fma_f64 v[58:59], v[50:51], v[18:19], -v[58:59]
	v_mul_f64 v[50:51], v[50:51], v[20:21]
	v_fmac_f64_e32 v[50:51], v[52:53], v[18:19]
	v_add_f64 v[50:51], v[54:55], -v[50:51]
	s_waitcnt lgkmcnt(0)
	v_mul_f64 v[54:55], v[44:45], v[24:25]
	s_sub_i32 s10, s12, 48
	v_add_f64 v[52:53], v[56:57], -v[58:59]
	v_fma_f64 v[54:55], v[42:43], v[22:23], -v[54:55]
	v_mul_f64 v[56:57], v[42:43], v[24:25]
	v_mov_b32_e32 v42, s10
	v_fmac_f64_e32 v[56:57], v[44:45], v[22:23]
	ds_read_b128 v[42:45], v42
	s_sub_i32 s10, s12, 64
	v_add_f64 v[56:57], v[50:51], -v[56:57]
	v_mov_b32_e32 v50, s10
	v_add_f64 v[54:55], v[52:53], -v[54:55]
	ds_read_b128 v[50:53], v50
	s_waitcnt lgkmcnt(1)
	v_mul_f64 v[58:59], v[44:45], v[32:33]
	v_fma_f64 v[58:59], v[42:43], v[30:31], -v[58:59]
	v_mul_f64 v[42:43], v[42:43], v[32:33]
	v_fmac_f64_e32 v[42:43], v[44:45], v[30:31]
	v_add_f64 v[44:45], v[54:55], -v[58:59]
	s_waitcnt lgkmcnt(0)
	v_mul_f64 v[54:55], v[52:53], v[36:37]
	v_fma_f64 v[54:55], v[50:51], v[34:35], -v[54:55]
	v_mul_f64 v[50:51], v[50:51], v[36:37]
	v_add_f64 v[42:43], v[56:57], -v[42:43]
	v_fmac_f64_e32 v[50:51], v[52:53], v[34:35]
	s_add_i32 s7, s11, s7
	v_add_f64 v[58:59], v[44:45], -v[54:55]
	v_add_f64 v[44:45], v[42:43], -v[50:51]
	v_mov_b32_e32 v42, s7
	s_add_i32 s7, s5, -6
	s_lshl_b32 s10, s7, 8
	ds_read_b128 v[50:53], v42
	s_add_i32 s12, s10, s6
	v_mov_b32_e32 v42, s12
	ds_read_b128 v[54:57], v42
	s_lshl_b32 s7, s7, 4
	s_waitcnt lgkmcnt(1)
	v_mul_f64 v[42:43], v[52:53], v[44:45]
	v_mul_f64 v[44:45], v[50:51], v[44:45]
	v_fma_f64 v[42:43], v[50:51], v[58:59], -v[42:43]
	v_fmac_f64_e32 v[44:45], v[52:53], v[58:59]
	v_add_u32_e32 v50, s11, v1
	ds_write_b128 v50, v[42:45]
	s_waitcnt lgkmcnt(1)
	v_mul_f64 v[50:51], v[56:57], v[16:17]
	v_fma_f64 v[50:51], v[54:55], v[14:15], -v[50:51]
	v_mul_f64 v[54:55], v[54:55], v[16:17]
	s_add_i32 s11, s12, -16
	v_fmac_f64_e32 v[54:55], v[56:57], v[14:15]
	v_add_f64 v[56:57], v[46:47], -v[50:51]
	v_mov_b32_e32 v46, s11
	ds_read_b128 v[50:53], v46
	s_sub_i32 s11, s12, 32
	v_mov_b32_e32 v46, s11
	v_add_f64 v[54:55], v[48:49], -v[54:55]
	ds_read_b128 v[46:49], v46
	s_waitcnt lgkmcnt(1)
	v_mul_f64 v[58:59], v[52:53], v[20:21]
	v_fma_f64 v[58:59], v[50:51], v[18:19], -v[58:59]
	v_mul_f64 v[50:51], v[50:51], v[20:21]
	v_fmac_f64_e32 v[50:51], v[52:53], v[18:19]
	v_add_f64 v[50:51], v[54:55], -v[50:51]
	s_waitcnt lgkmcnt(0)
	v_mul_f64 v[54:55], v[48:49], v[24:25]
	s_sub_i32 s11, s12, 48
	v_add_f64 v[52:53], v[56:57], -v[58:59]
	v_fma_f64 v[54:55], v[46:47], v[22:23], -v[54:55]
	v_mul_f64 v[56:57], v[46:47], v[24:25]
	v_mov_b32_e32 v46, s11
	v_fmac_f64_e32 v[56:57], v[48:49], v[22:23]
	ds_read_b128 v[46:49], v46
	s_sub_i32 s11, s12, 64
	v_add_f64 v[56:57], v[50:51], -v[56:57]
	v_mov_b32_e32 v50, s11
	v_add_f64 v[54:55], v[52:53], -v[54:55]
	ds_read_b128 v[50:53], v50
	s_waitcnt lgkmcnt(1)
	v_mul_f64 v[58:59], v[48:49], v[32:33]
	v_fma_f64 v[58:59], v[46:47], v[30:31], -v[58:59]
	v_mul_f64 v[46:47], v[46:47], v[32:33]
	v_fmac_f64_e32 v[46:47], v[48:49], v[30:31]
	v_add_f64 v[48:49], v[54:55], -v[58:59]
	s_waitcnt lgkmcnt(0)
	v_mul_f64 v[54:55], v[52:53], v[36:37]
	v_fma_f64 v[54:55], v[50:51], v[34:35], -v[54:55]
	v_mul_f64 v[50:51], v[50:51], v[36:37]
	v_add_f64 v[46:47], v[56:57], -v[46:47]
	v_fmac_f64_e32 v[50:51], v[52:53], v[34:35]
	s_add_i32 s11, s12, 0xffffffb0
	v_add_f64 v[56:57], v[46:47], -v[50:51]
	v_mov_b32_e32 v46, s11
	v_add_f64 v[54:55], v[48:49], -v[54:55]
	ds_read_b128 v[46:49], v46
	s_add_i32 s7, s10, s7
	v_mov_b32_e32 v50, s7
	ds_read_b128 v[50:53], v50
	s_add_i32 s7, s5, -7
	s_waitcnt lgkmcnt(1)
	v_mul_f64 v[58:59], v[48:49], v[44:45]
	v_fma_f64 v[58:59], v[46:47], v[42:43], -v[58:59]
	v_mul_f64 v[46:47], v[46:47], v[44:45]
	v_fmac_f64_e32 v[46:47], v[48:49], v[42:43]
	v_add_f64 v[48:49], v[56:57], -v[46:47]
	v_add_f64 v[54:55], v[54:55], -v[58:59]
	s_waitcnt lgkmcnt(0)
	v_mul_f64 v[46:47], v[52:53], v[48:49]
	v_mul_f64 v[48:49], v[50:51], v[48:49]
	v_fma_f64 v[46:47], v[50:51], v[54:55], -v[46:47]
	v_fmac_f64_e32 v[48:49], v[52:53], v[54:55]
	v_add_u32_e32 v54, s10, v1
	s_lshl_b32 s10, s7, 8
	s_add_i32 s11, s10, s6
	v_mov_b32_e32 v50, s11
	ds_read_b128 v[50:53], v50
	s_add_i32 s12, s11, -16
	ds_write_b128 v54, v[46:49]
	v_mov_b32_e32 v54, s12
	ds_read_b128 v[54:57], v54
	s_waitcnt lgkmcnt(2)
	v_mul_f64 v[58:59], v[52:53], v[16:17]
	v_fma_f64 v[58:59], v[50:51], v[14:15], -v[58:59]
	v_mul_f64 v[50:51], v[50:51], v[16:17]
	v_fmac_f64_e32 v[50:51], v[52:53], v[14:15]
	v_add_f64 v[50:51], v[40:41], -v[50:51]
	s_waitcnt lgkmcnt(0)
	v_mul_f64 v[40:41], v[56:57], v[20:21]
	v_add_f64 v[38:39], v[38:39], -v[58:59]
	v_fma_f64 v[40:41], v[54:55], v[18:19], -v[40:41]
	s_sub_i32 s12, s11, 32
	v_mul_f64 v[52:53], v[54:55], v[20:21]
	v_add_f64 v[54:55], v[38:39], -v[40:41]
	v_mov_b32_e32 v38, s12
	ds_read_b128 v[38:41], v38
	v_fmac_f64_e32 v[52:53], v[56:57], v[18:19]
	s_sub_i32 s12, s11, 48
	v_add_f64 v[56:57], v[50:51], -v[52:53]
	v_mov_b32_e32 v50, s12
	ds_read_b128 v[50:53], v50
	s_waitcnt lgkmcnt(1)
	v_mul_f64 v[58:59], v[40:41], v[24:25]
	v_fma_f64 v[58:59], v[38:39], v[22:23], -v[58:59]
	v_mul_f64 v[38:39], v[38:39], v[24:25]
	v_fmac_f64_e32 v[38:39], v[40:41], v[22:23]
	v_add_f64 v[40:41], v[54:55], -v[58:59]
	v_add_f64 v[54:55], v[56:57], -v[38:39]
	s_waitcnt lgkmcnt(0)
	v_mul_f64 v[38:39], v[52:53], v[32:33]
	v_fma_f64 v[38:39], v[50:51], v[30:31], -v[38:39]
	s_sub_i32 s12, s11, 64
	v_add_f64 v[56:57], v[40:41], -v[38:39]
	v_mov_b32_e32 v38, s12
	v_mul_f64 v[50:51], v[50:51], v[32:33]
	ds_read_b128 v[38:41], v38
	v_fmac_f64_e32 v[50:51], v[52:53], v[30:31]
	s_add_i32 s12, s11, 0xffffffb0
	v_add_f64 v[54:55], v[54:55], -v[50:51]
	v_mov_b32_e32 v50, s12
	ds_read_b128 v[50:53], v50
	s_waitcnt lgkmcnt(1)
	v_mul_f64 v[58:59], v[40:41], v[36:37]
	v_fma_f64 v[58:59], v[38:39], v[34:35], -v[58:59]
	v_mul_f64 v[38:39], v[38:39], v[36:37]
	v_fmac_f64_e32 v[38:39], v[40:41], v[34:35]
	v_add_f64 v[38:39], v[54:55], -v[38:39]
	s_waitcnt lgkmcnt(0)
	v_mul_f64 v[54:55], v[52:53], v[44:45]
	v_fma_f64 v[54:55], v[50:51], v[42:43], -v[54:55]
	v_mul_f64 v[50:51], v[50:51], v[44:45]
	v_fmac_f64_e32 v[50:51], v[52:53], v[42:43]
	s_addk_i32 s11, 0xffa0
	v_add_f64 v[40:41], v[56:57], -v[58:59]
	v_add_f64 v[56:57], v[38:39], -v[50:51]
	v_mov_b32_e32 v38, s11
	v_add_f64 v[54:55], v[40:41], -v[54:55]
	ds_read_b128 v[38:41], v38
	s_lshl_b32 s7, s7, 4
	s_add_i32 s7, s10, s7
	v_mov_b32_e32 v50, s7
	ds_read_b128 v[50:53], v50
	s_waitcnt lgkmcnt(1)
	v_mul_f64 v[58:59], v[40:41], v[48:49]
	v_fma_f64 v[58:59], v[38:39], v[46:47], -v[58:59]
	v_mul_f64 v[38:39], v[38:39], v[48:49]
	v_fmac_f64_e32 v[38:39], v[40:41], v[46:47]
	v_add_f64 v[40:41], v[56:57], -v[38:39]
	v_add_f64 v[54:55], v[54:55], -v[58:59]
	s_waitcnt lgkmcnt(0)
	v_mul_f64 v[38:39], v[52:53], v[40:41]
	v_mul_f64 v[40:41], v[50:51], v[40:41]
	s_add_i32 s7, s5, -8
	v_fma_f64 v[38:39], v[50:51], v[54:55], -v[38:39]
	v_fmac_f64_e32 v[40:41], v[52:53], v[54:55]
	v_add_u32_e32 v54, s10, v1
	s_lshl_b32 s10, s7, 8
	s_add_i32 s11, s10, s6
	v_mov_b32_e32 v50, s11
	ds_read_b128 v[50:53], v50
	s_add_i32 s12, s11, -16
	ds_write_b128 v54, v[38:41]
	v_mov_b32_e32 v54, s12
	ds_read_b128 v[54:57], v54
	s_waitcnt lgkmcnt(2)
	v_mul_f64 v[58:59], v[52:53], v[16:17]
	v_fma_f64 v[58:59], v[50:51], v[14:15], -v[58:59]
	v_mul_f64 v[50:51], v[50:51], v[16:17]
	v_fmac_f64_e32 v[50:51], v[52:53], v[14:15]
	v_add_f64 v[50:51], v[28:29], -v[50:51]
	s_waitcnt lgkmcnt(0)
	v_mul_f64 v[28:29], v[56:57], v[20:21]
	v_add_f64 v[26:27], v[26:27], -v[58:59]
	v_fma_f64 v[28:29], v[54:55], v[18:19], -v[28:29]
	s_sub_i32 s12, s11, 32
	v_mul_f64 v[52:53], v[54:55], v[20:21]
	v_add_f64 v[54:55], v[26:27], -v[28:29]
	v_mov_b32_e32 v26, s12
	ds_read_b128 v[26:29], v26
	v_fmac_f64_e32 v[52:53], v[56:57], v[18:19]
	s_sub_i32 s12, s11, 48
	v_add_f64 v[56:57], v[50:51], -v[52:53]
	v_mov_b32_e32 v50, s12
	ds_read_b128 v[50:53], v50
	s_waitcnt lgkmcnt(1)
	v_mul_f64 v[58:59], v[28:29], v[24:25]
	v_fma_f64 v[58:59], v[26:27], v[22:23], -v[58:59]
	v_mul_f64 v[26:27], v[26:27], v[24:25]
	v_fmac_f64_e32 v[26:27], v[28:29], v[22:23]
	v_add_f64 v[28:29], v[54:55], -v[58:59]
	v_add_f64 v[54:55], v[56:57], -v[26:27]
	s_waitcnt lgkmcnt(0)
	v_mul_f64 v[26:27], v[52:53], v[32:33]
	v_fma_f64 v[26:27], v[50:51], v[30:31], -v[26:27]
	s_sub_i32 s12, s11, 64
	v_add_f64 v[56:57], v[28:29], -v[26:27]
	v_mov_b32_e32 v26, s12
	v_mul_f64 v[50:51], v[50:51], v[32:33]
	ds_read_b128 v[26:29], v26
	v_fmac_f64_e32 v[50:51], v[52:53], v[30:31]
	s_add_i32 s12, s11, 0xffffffb0
	v_add_f64 v[54:55], v[54:55], -v[50:51]
	v_mov_b32_e32 v50, s12
	ds_read_b128 v[50:53], v50
	s_waitcnt lgkmcnt(1)
	v_mul_f64 v[58:59], v[28:29], v[36:37]
	v_fma_f64 v[58:59], v[26:27], v[34:35], -v[58:59]
	v_mul_f64 v[26:27], v[26:27], v[36:37]
	v_fmac_f64_e32 v[26:27], v[28:29], v[34:35]
	v_add_f64 v[54:55], v[54:55], -v[26:27]
	s_waitcnt lgkmcnt(0)
	v_mul_f64 v[26:27], v[52:53], v[44:45]
	v_add_f64 v[28:29], v[56:57], -v[58:59]
	v_fma_f64 v[26:27], v[50:51], v[42:43], -v[26:27]
	s_add_i32 s12, s11, 0xffffffa0
	v_add_f64 v[56:57], v[28:29], -v[26:27]
	v_mov_b32_e32 v26, s12
	v_mul_f64 v[50:51], v[50:51], v[44:45]
	ds_read_b128 v[26:29], v26
	v_fmac_f64_e32 v[50:51], v[52:53], v[42:43]
	s_addk_i32 s11, 0xff90
	v_add_f64 v[54:55], v[54:55], -v[50:51]
	v_mov_b32_e32 v50, s11
	ds_read_b128 v[50:53], v50
	s_waitcnt lgkmcnt(1)
	v_mul_f64 v[58:59], v[28:29], v[48:49]
	v_fma_f64 v[58:59], v[26:27], v[46:47], -v[58:59]
	v_mul_f64 v[26:27], v[26:27], v[48:49]
	v_fmac_f64_e32 v[26:27], v[28:29], v[46:47]
	v_add_f64 v[26:27], v[54:55], -v[26:27]
	s_waitcnt lgkmcnt(0)
	v_mul_f64 v[54:55], v[52:53], v[40:41]
	v_fma_f64 v[54:55], v[50:51], v[38:39], -v[54:55]
	v_mul_f64 v[50:51], v[50:51], v[40:41]
	s_lshl_b32 s7, s7, 4
	v_add_f64 v[28:29], v[56:57], -v[58:59]
	v_fmac_f64_e32 v[50:51], v[52:53], v[38:39]
	s_add_i32 s7, s10, s7
	v_add_f64 v[58:59], v[28:29], -v[54:55]
	v_add_f64 v[28:29], v[26:27], -v[50:51]
	v_mov_b32_e32 v26, s7
	s_add_i32 s7, s5, -9
	s_lshl_b32 s11, s7, 8
	ds_read_b128 v[50:53], v26
	s_add_i32 s12, s11, s6
	v_mov_b32_e32 v26, s12
	ds_read_b128 v[54:57], v26
	s_lshl_b32 s7, s7, 4
	s_waitcnt lgkmcnt(1)
	v_mul_f64 v[26:27], v[52:53], v[28:29]
	v_mul_f64 v[28:29], v[50:51], v[28:29]
	v_fma_f64 v[26:27], v[50:51], v[58:59], -v[26:27]
	v_fmac_f64_e32 v[28:29], v[52:53], v[58:59]
	v_add_u32_e32 v50, s10, v1
	ds_write_b128 v50, v[26:29]
	s_waitcnt lgkmcnt(1)
	v_mul_f64 v[50:51], v[56:57], v[16:17]
	v_fma_f64 v[50:51], v[54:55], v[14:15], -v[50:51]
	v_mul_f64 v[54:55], v[54:55], v[16:17]
	s_add_i32 s10, s12, -16
	v_fmac_f64_e32 v[54:55], v[56:57], v[14:15]
	v_add_f64 v[56:57], v[10:11], -v[50:51]
	v_mov_b32_e32 v10, s10
	ds_read_b128 v[50:53], v10
	s_sub_i32 s10, s12, 32
	v_mov_b32_e32 v10, s10
	v_add_f64 v[54:55], v[12:13], -v[54:55]
	ds_read_b128 v[10:13], v10
	s_waitcnt lgkmcnt(1)
	v_mul_f64 v[58:59], v[52:53], v[20:21]
	v_fma_f64 v[58:59], v[50:51], v[18:19], -v[58:59]
	v_mul_f64 v[50:51], v[50:51], v[20:21]
	v_fmac_f64_e32 v[50:51], v[52:53], v[18:19]
	v_add_f64 v[50:51], v[54:55], -v[50:51]
	s_waitcnt lgkmcnt(0)
	v_mul_f64 v[54:55], v[12:13], v[24:25]
	s_sub_i32 s10, s12, 48
	v_add_f64 v[52:53], v[56:57], -v[58:59]
	v_fma_f64 v[54:55], v[10:11], v[22:23], -v[54:55]
	v_mul_f64 v[56:57], v[10:11], v[24:25]
	v_mov_b32_e32 v10, s10
	v_fmac_f64_e32 v[56:57], v[12:13], v[22:23]
	ds_read_b128 v[10:13], v10
	s_sub_i32 s10, s12, 64
	v_add_f64 v[56:57], v[50:51], -v[56:57]
	v_mov_b32_e32 v50, s10
	v_add_f64 v[54:55], v[52:53], -v[54:55]
	ds_read_b128 v[50:53], v50
	s_waitcnt lgkmcnt(1)
	v_mul_f64 v[58:59], v[12:13], v[32:33]
	v_fma_f64 v[58:59], v[10:11], v[30:31], -v[58:59]
	v_mul_f64 v[10:11], v[10:11], v[32:33]
	v_fmac_f64_e32 v[10:11], v[12:13], v[30:31]
	v_add_f64 v[12:13], v[54:55], -v[58:59]
	v_add_f64 v[54:55], v[56:57], -v[10:11]
	s_waitcnt lgkmcnt(0)
	v_mul_f64 v[10:11], v[52:53], v[36:37]
	v_fma_f64 v[10:11], v[50:51], v[34:35], -v[10:11]
	s_add_i32 s10, s12, 0xffffffb0
	v_add_f64 v[56:57], v[12:13], -v[10:11]
	v_mov_b32_e32 v10, s10
	v_mul_f64 v[50:51], v[50:51], v[36:37]
	ds_read_b128 v[10:13], v10
	v_fmac_f64_e32 v[50:51], v[52:53], v[34:35]
	s_add_i32 s10, s12, 0xffffffa0
	v_add_f64 v[54:55], v[54:55], -v[50:51]
	v_mov_b32_e32 v50, s10
	ds_read_b128 v[50:53], v50
	s_waitcnt lgkmcnt(1)
	v_mul_f64 v[58:59], v[12:13], v[44:45]
	v_fma_f64 v[58:59], v[10:11], v[42:43], -v[58:59]
	v_mul_f64 v[10:11], v[10:11], v[44:45]
	v_fmac_f64_e32 v[10:11], v[12:13], v[42:43]
	v_add_f64 v[54:55], v[54:55], -v[10:11]
	s_waitcnt lgkmcnt(0)
	v_mul_f64 v[10:11], v[52:53], v[48:49]
	v_add_f64 v[12:13], v[56:57], -v[58:59]
	v_fma_f64 v[10:11], v[50:51], v[46:47], -v[10:11]
	s_add_i32 s10, s12, 0xffffff90
	v_add_f64 v[56:57], v[12:13], -v[10:11]
	v_mov_b32_e32 v10, s10
	v_mul_f64 v[50:51], v[50:51], v[48:49]
	ds_read_b128 v[10:13], v10
	v_fmac_f64_e32 v[50:51], v[52:53], v[46:47]
	s_add_i32 s10, s12, 0xffffff80
	v_add_f64 v[54:55], v[54:55], -v[50:51]
	v_mov_b32_e32 v50, s10
	ds_read_b128 v[50:53], v50
	s_waitcnt lgkmcnt(1)
	v_mul_f64 v[58:59], v[12:13], v[40:41]
	v_fma_f64 v[58:59], v[10:11], v[38:39], -v[58:59]
	v_mul_f64 v[10:11], v[10:11], v[40:41]
	v_fmac_f64_e32 v[10:11], v[12:13], v[38:39]
	v_add_f64 v[10:11], v[54:55], -v[10:11]
	s_waitcnt lgkmcnt(0)
	v_mul_f64 v[54:55], v[52:53], v[28:29]
	v_fma_f64 v[54:55], v[50:51], v[26:27], -v[54:55]
	v_mul_f64 v[50:51], v[50:51], v[28:29]
	v_add_f64 v[12:13], v[56:57], -v[58:59]
	v_fmac_f64_e32 v[50:51], v[52:53], v[26:27]
	s_add_i32 s7, s11, s7
	v_add_f64 v[58:59], v[12:13], -v[54:55]
	v_add_f64 v[12:13], v[10:11], -v[50:51]
	v_mov_b32_e32 v10, s7
	s_add_i32 s7, s5, -10
	s_lshl_b32 s10, s7, 8
	ds_read_b128 v[50:53], v10
	s_add_i32 s12, s10, s6
	v_mov_b32_e32 v10, s12
	ds_read_b128 v[54:57], v10
	s_lshl_b32 s7, s7, 4
	s_waitcnt lgkmcnt(1)
	v_mul_f64 v[10:11], v[52:53], v[12:13]
	v_mul_f64 v[12:13], v[50:51], v[12:13]
	v_fma_f64 v[10:11], v[50:51], v[58:59], -v[10:11]
	v_fmac_f64_e32 v[12:13], v[52:53], v[58:59]
	v_add_u32_e32 v50, s11, v1
	ds_write_b128 v50, v[10:13]
	s_waitcnt lgkmcnt(1)
	v_mul_f64 v[50:51], v[56:57], v[16:17]
	v_fma_f64 v[50:51], v[54:55], v[14:15], -v[50:51]
	v_mul_f64 v[54:55], v[54:55], v[16:17]
	s_add_i32 s11, s12, -16
	v_fmac_f64_e32 v[54:55], v[56:57], v[14:15]
	v_add_f64 v[56:57], v[6:7], -v[50:51]
	v_mov_b32_e32 v6, s11
	ds_read_b128 v[50:53], v6
	s_sub_i32 s11, s12, 32
	v_mov_b32_e32 v6, s11
	v_add_f64 v[54:55], v[8:9], -v[54:55]
	ds_read_b128 v[6:9], v6
	s_waitcnt lgkmcnt(1)
	v_mul_f64 v[58:59], v[52:53], v[20:21]
	v_fma_f64 v[58:59], v[50:51], v[18:19], -v[58:59]
	v_mul_f64 v[50:51], v[50:51], v[20:21]
	v_fmac_f64_e32 v[50:51], v[52:53], v[18:19]
	v_add_f64 v[50:51], v[54:55], -v[50:51]
	s_waitcnt lgkmcnt(0)
	v_mul_f64 v[54:55], v[8:9], v[24:25]
	s_sub_i32 s11, s12, 48
	v_add_f64 v[52:53], v[56:57], -v[58:59]
	v_fma_f64 v[54:55], v[6:7], v[22:23], -v[54:55]
	v_mul_f64 v[56:57], v[6:7], v[24:25]
	v_mov_b32_e32 v6, s11
	v_fmac_f64_e32 v[56:57], v[8:9], v[22:23]
	ds_read_b128 v[6:9], v6
	s_sub_i32 s11, s12, 64
	v_add_f64 v[56:57], v[50:51], -v[56:57]
	v_mov_b32_e32 v50, s11
	v_add_f64 v[54:55], v[52:53], -v[54:55]
	ds_read_b128 v[50:53], v50
	s_waitcnt lgkmcnt(1)
	v_mul_f64 v[58:59], v[8:9], v[32:33]
	v_fma_f64 v[58:59], v[6:7], v[30:31], -v[58:59]
	v_mul_f64 v[6:7], v[6:7], v[32:33]
	v_fmac_f64_e32 v[6:7], v[8:9], v[30:31]
	v_add_f64 v[8:9], v[54:55], -v[58:59]
	v_add_f64 v[54:55], v[56:57], -v[6:7]
	s_waitcnt lgkmcnt(0)
	v_mul_f64 v[6:7], v[52:53], v[36:37]
	v_fma_f64 v[6:7], v[50:51], v[34:35], -v[6:7]
	s_add_i32 s11, s12, 0xffffffb0
	v_add_f64 v[56:57], v[8:9], -v[6:7]
	v_mov_b32_e32 v6, s11
	v_mul_f64 v[50:51], v[50:51], v[36:37]
	ds_read_b128 v[6:9], v6
	v_fmac_f64_e32 v[50:51], v[52:53], v[34:35]
	s_add_i32 s11, s12, 0xffffffa0
	v_add_f64 v[54:55], v[54:55], -v[50:51]
	v_mov_b32_e32 v50, s11
	ds_read_b128 v[50:53], v50
	s_waitcnt lgkmcnt(1)
	v_mul_f64 v[58:59], v[8:9], v[44:45]
	v_fma_f64 v[58:59], v[6:7], v[42:43], -v[58:59]
	v_mul_f64 v[6:7], v[6:7], v[44:45]
	v_fmac_f64_e32 v[6:7], v[8:9], v[42:43]
	v_add_f64 v[54:55], v[54:55], -v[6:7]
	s_waitcnt lgkmcnt(0)
	v_mul_f64 v[6:7], v[52:53], v[48:49]
	v_add_f64 v[8:9], v[56:57], -v[58:59]
	v_fma_f64 v[6:7], v[50:51], v[46:47], -v[6:7]
	s_add_i32 s11, s12, 0xffffff90
	v_add_f64 v[56:57], v[8:9], -v[6:7]
	v_mov_b32_e32 v6, s11
	v_mul_f64 v[50:51], v[50:51], v[48:49]
	ds_read_b128 v[6:9], v6
	v_fmac_f64_e32 v[50:51], v[52:53], v[46:47]
	s_add_i32 s11, s12, 0xffffff80
	v_add_f64 v[54:55], v[54:55], -v[50:51]
	v_mov_b32_e32 v50, s11
	ds_read_b128 v[50:53], v50
	s_waitcnt lgkmcnt(1)
	v_mul_f64 v[58:59], v[8:9], v[40:41]
	v_fma_f64 v[58:59], v[6:7], v[38:39], -v[58:59]
	v_mul_f64 v[6:7], v[6:7], v[40:41]
	v_fmac_f64_e32 v[6:7], v[8:9], v[38:39]
	v_add_f64 v[6:7], v[54:55], -v[6:7]
	s_waitcnt lgkmcnt(0)
	v_mul_f64 v[54:55], v[52:53], v[28:29]
	v_fma_f64 v[54:55], v[50:51], v[26:27], -v[54:55]
	v_mul_f64 v[50:51], v[50:51], v[28:29]
	v_fmac_f64_e32 v[50:51], v[52:53], v[26:27]
	s_add_i32 s11, s12, 0xffffff70
	v_add_f64 v[8:9], v[56:57], -v[58:59]
	v_add_f64 v[56:57], v[6:7], -v[50:51]
	v_mov_b32_e32 v6, s11
	v_add_f64 v[54:55], v[8:9], -v[54:55]
	ds_read_b128 v[6:9], v6
	s_add_i32 s7, s10, s7
	v_mov_b32_e32 v50, s7
	ds_read_b128 v[50:53], v50
	s_waitcnt lgkmcnt(1)
	v_mul_f64 v[58:59], v[8:9], v[12:13]
	v_fma_f64 v[58:59], v[6:7], v[10:11], -v[58:59]
	v_mul_f64 v[6:7], v[6:7], v[12:13]
	v_fmac_f64_e32 v[6:7], v[8:9], v[10:11]
	v_add_f64 v[8:9], v[56:57], -v[6:7]
	v_add_f64 v[54:55], v[54:55], -v[58:59]
	s_waitcnt lgkmcnt(0)
	v_mul_f64 v[6:7], v[52:53], v[8:9]
	v_mul_f64 v[8:9], v[50:51], v[8:9]
	v_fma_f64 v[6:7], v[50:51], v[54:55], -v[6:7]
	v_fmac_f64_e32 v[8:9], v[52:53], v[54:55]
	v_add_u32_e32 v54, s10, v1
	s_add_i32 s10, s5, -11
	s_lshl_b32 s7, s10, 8
	s_add_i32 s6, s7, s6
	v_mov_b32_e32 v50, s6
	ds_read_b128 v[50:53], v50
	s_add_i32 s11, s6, -16
	ds_write_b128 v54, v[6:9]
	v_mov_b32_e32 v54, s11
	ds_read_b128 v[54:57], v54
	s_waitcnt lgkmcnt(2)
	v_mul_f64 v[58:59], v[52:53], v[16:17]
	v_mul_f64 v[16:17], v[50:51], v[16:17]
	v_fmac_f64_e32 v[16:17], v[52:53], v[14:15]
	v_fma_f64 v[58:59], v[50:51], v[14:15], -v[58:59]
	v_add_f64 v[14:15], v[4:5], -v[16:17]
	s_waitcnt lgkmcnt(0)
	v_mul_f64 v[4:5], v[56:57], v[20:21]
	v_add_f64 v[2:3], v[2:3], -v[58:59]
	v_fma_f64 v[4:5], v[54:55], v[18:19], -v[4:5]
	v_mul_f64 v[16:17], v[54:55], v[20:21]
	s_sub_i32 s11, s6, 32
	v_fmac_f64_e32 v[16:17], v[56:57], v[18:19]
	v_add_f64 v[18:19], v[2:3], -v[4:5]
	v_mov_b32_e32 v2, s11
	ds_read_b128 v[2:5], v2
	s_sub_i32 s11, s6, 48
	v_add_f64 v[20:21], v[14:15], -v[16:17]
	v_mov_b32_e32 v14, s11
	ds_read_b128 v[14:17], v14
	s_waitcnt lgkmcnt(1)
	v_mul_f64 v[50:51], v[4:5], v[24:25]
	v_fma_f64 v[50:51], v[2:3], v[22:23], -v[50:51]
	v_mul_f64 v[2:3], v[2:3], v[24:25]
	v_fmac_f64_e32 v[2:3], v[4:5], v[22:23]
	v_add_f64 v[4:5], v[18:19], -v[50:51]
	v_add_f64 v[18:19], v[20:21], -v[2:3]
	s_waitcnt lgkmcnt(0)
	v_mul_f64 v[2:3], v[16:17], v[32:33]
	v_fma_f64 v[2:3], v[14:15], v[30:31], -v[2:3]
	s_sub_i32 s11, s6, 64
	v_add_f64 v[20:21], v[4:5], -v[2:3]
	v_mov_b32_e32 v2, s11
	v_mul_f64 v[14:15], v[14:15], v[32:33]
	ds_read_b128 v[2:5], v2
	v_fmac_f64_e32 v[14:15], v[16:17], v[30:31]
	s_add_i32 s11, s6, 0xffffffb0
	v_add_f64 v[18:19], v[18:19], -v[14:15]
	v_mov_b32_e32 v14, s11
	ds_read_b128 v[14:17], v14
	s_waitcnt lgkmcnt(1)
	v_mul_f64 v[22:23], v[4:5], v[36:37]
	v_fma_f64 v[22:23], v[2:3], v[34:35], -v[22:23]
	v_mul_f64 v[2:3], v[2:3], v[36:37]
	v_fmac_f64_e32 v[2:3], v[4:5], v[34:35]
	v_add_f64 v[18:19], v[18:19], -v[2:3]
	s_waitcnt lgkmcnt(0)
	v_mul_f64 v[2:3], v[16:17], v[44:45]
	v_add_f64 v[4:5], v[20:21], -v[22:23]
	v_fma_f64 v[2:3], v[14:15], v[42:43], -v[2:3]
	s_add_i32 s11, s6, 0xffffffa0
	v_add_f64 v[20:21], v[4:5], -v[2:3]
	v_mov_b32_e32 v2, s11
	v_mul_f64 v[14:15], v[14:15], v[44:45]
	ds_read_b128 v[2:5], v2
	v_fmac_f64_e32 v[14:15], v[16:17], v[42:43]
	s_add_i32 s11, s6, 0xffffff90
	v_add_f64 v[18:19], v[18:19], -v[14:15]
	v_mov_b32_e32 v14, s11
	ds_read_b128 v[14:17], v14
	s_waitcnt lgkmcnt(1)
	v_mul_f64 v[22:23], v[4:5], v[48:49]
	v_fma_f64 v[22:23], v[2:3], v[46:47], -v[22:23]
	v_mul_f64 v[2:3], v[2:3], v[48:49]
	v_fmac_f64_e32 v[2:3], v[4:5], v[46:47]
	v_add_f64 v[18:19], v[18:19], -v[2:3]
	s_waitcnt lgkmcnt(0)
	v_mul_f64 v[2:3], v[16:17], v[40:41]
	v_add_f64 v[4:5], v[20:21], -v[22:23]
	v_fma_f64 v[2:3], v[14:15], v[38:39], -v[2:3]
	s_add_i32 s11, s6, 0xffffff80
	v_add_f64 v[20:21], v[4:5], -v[2:3]
	v_mov_b32_e32 v2, s11
	v_mul_f64 v[14:15], v[14:15], v[40:41]
	ds_read_b128 v[2:5], v2
	v_fmac_f64_e32 v[14:15], v[16:17], v[38:39]
	s_add_i32 s11, s6, 0xffffff70
	v_add_f64 v[18:19], v[18:19], -v[14:15]
	v_mov_b32_e32 v14, s11
	ds_read_b128 v[14:17], v14
	s_waitcnt lgkmcnt(1)
	v_mul_f64 v[22:23], v[4:5], v[28:29]
	v_fma_f64 v[22:23], v[2:3], v[26:27], -v[22:23]
	v_mul_f64 v[2:3], v[2:3], v[28:29]
	v_fmac_f64_e32 v[2:3], v[4:5], v[26:27]
	v_add_f64 v[2:3], v[18:19], -v[2:3]
	s_waitcnt lgkmcnt(0)
	v_mul_f64 v[18:19], v[16:17], v[12:13]
	v_mul_f64 v[12:13], v[14:15], v[12:13]
	v_fmac_f64_e32 v[12:13], v[16:17], v[10:11]
	s_addk_i32 s6, 0xff60
	v_add_f64 v[4:5], v[20:21], -v[22:23]
	v_fma_f64 v[18:19], v[14:15], v[10:11], -v[18:19]
	v_add_f64 v[16:17], v[2:3], -v[12:13]
	v_mov_b32_e32 v2, s6
	v_add_f64 v[14:15], v[4:5], -v[18:19]
	ds_read_b128 v[2:5], v2
	s_lshl_b32 s6, s10, 4
	s_add_i32 s6, s7, s6
	v_mov_b32_e32 v10, s6
	ds_read_b128 v[10:13], v10
	s_waitcnt lgkmcnt(1)
	v_mul_f64 v[18:19], v[4:5], v[8:9]
	v_fma_f64 v[18:19], v[2:3], v[6:7], -v[18:19]
	v_mul_f64 v[2:3], v[2:3], v[8:9]
	v_fmac_f64_e32 v[2:3], v[4:5], v[6:7]
	v_add_f64 v[4:5], v[16:17], -v[2:3]
	v_add_f64 v[6:7], v[14:15], -v[18:19]
	s_waitcnt lgkmcnt(0)
	v_mul_f64 v[2:3], v[12:13], v[4:5]
	v_mul_f64 v[4:5], v[10:11], v[4:5]
	v_fma_f64 v[2:3], v[10:11], v[6:7], -v[2:3]
	v_fmac_f64_e32 v[4:5], v[12:13], v[6:7]
	v_add_u32_e32 v6, s7, v1
	s_add_i32 s5, s5, -12
	ds_write_b128 v6, v[2:5]
.LBB216_23:
	s_cmp_lt_i32 s5, 0
	s_cbranch_scc1 .LBB216_36
; %bb.24:
	s_bitcmp1_b32 s5, 0
	s_cselect_b64 s[6:7], -1, 0
	s_and_b64 vcc, exec, s[6:7]
	s_mov_b32 s6, s5
	s_cbranch_vccnz .LBB216_29
; %bb.25:
	s_lshl_b32 s6, s5, 8
	v_add_u32_e32 v6, s6, v1
	ds_read_b128 v[2:5], v6
	s_cmp_le_i32 s4, s5
	s_cbranch_scc1 .LBB216_28
; %bb.26:
	s_lshl_b32 s7, s24, 4
	v_lshlrev_b32_e32 v7, 4, v0
	s_add_i32 s6, s6, s7
	v_lshl_or_b32 v7, s24, 8, v7
	s_add_i32 s6, s6, -16
	v_add_u32_e32 v7, 0xf00, v7
	s_mov_b32 s7, s4
.LBB216_27:                             ; =>This Inner Loop Header: Depth=1
	v_mov_b32_e32 v12, s6
	ds_read_b128 v[8:11], v7
	ds_read_b128 v[12:15], v12
	s_add_i32 s7, s7, -1
	s_add_i32 s6, s6, -16
	v_add_u32_e32 v7, 0xffffff00, v7
	s_cmp_gt_i32 s7, s5
	s_waitcnt lgkmcnt(0)
	v_mul_f64 v[16:17], v[10:11], v[14:15]
	v_mul_f64 v[14:15], v[8:9], v[14:15]
	v_fma_f64 v[8:9], v[8:9], v[12:13], -v[16:17]
	v_fmac_f64_e32 v[14:15], v[10:11], v[12:13]
	v_add_f64 v[2:3], v[2:3], -v[8:9]
	v_add_f64 v[4:5], v[4:5], -v[14:15]
	s_cbranch_scc1 .LBB216_27
.LBB216_28:
	s_mul_i32 s6, s5, 0x110
	v_mov_b32_e32 v7, s6
	ds_read_b128 v[8:11], v7
	s_add_i32 s6, s5, -1
	s_waitcnt lgkmcnt(0)
	v_mul_f64 v[12:13], v[10:11], v[4:5]
	v_mul_f64 v[14:15], v[8:9], v[4:5]
	v_fma_f64 v[12:13], v[8:9], v[2:3], -v[12:13]
	v_fmac_f64_e32 v[14:15], v[10:11], v[2:3]
	ds_write_b128 v6, v[12:15]
.LBB216_29:
	s_cmp_eq_u32 s5, 0
	s_cbranch_scc1 .LBB216_36
; %bb.30:
	s_lshl_b32 s5, s6, 8
	s_lshl_b32 s7, s24, 4
	v_lshlrev_b32_e32 v2, 4, v0
	s_add_i32 s7, s5, s7
	v_lshl_or_b32 v2, s24, 8, v2
	s_add_i32 s5, s7, -16
	v_add_u32_e32 v10, 0xf00, v2
	s_addk_i32 s7, 0xfef0
	s_branch .LBB216_32
.LBB216_31:                             ;   in Loop: Header=BB216_32 Depth=1
	s_addk_i32 s10, 0xfef0
	v_mov_b32_e32 v6, s10
	ds_read_b128 v[6:9], v6
	s_add_i32 s10, s6, -2
	s_addk_i32 s5, 0xfe00
	s_addk_i32 s7, 0xfe00
	s_cmp_lt_i32 s6, 2
	s_waitcnt lgkmcnt(0)
	v_mul_f64 v[12:13], v[8:9], v[4:5]
	v_mul_f64 v[14:15], v[6:7], v[4:5]
	v_fma_f64 v[12:13], v[6:7], v[2:3], -v[12:13]
	v_fmac_f64_e32 v[14:15], v[8:9], v[2:3]
	s_mov_b32 s6, s10
	ds_write_b128 v11, v[12:15]
	s_cbranch_scc1 .LBB216_36
.LBB216_32:                             ; =>This Loop Header: Depth=1
                                        ;     Child Loop BB216_33 Depth 2
                                        ;     Child Loop BB216_35 Depth 2
	s_lshl_b32 s11, s6, 8
	v_add_u32_e32 v12, s11, v1
	ds_read_b128 v[6:9], v12
	s_cmp_le_i32 s4, s6
	v_mov_b32_e32 v2, v10
	s_mov_b32 s10, s5
	s_mov_b32 s12, s4
	s_cbranch_scc1 .LBB216_34
.LBB216_33:                             ;   Parent Loop BB216_32 Depth=1
                                        ; =>  This Inner Loop Header: Depth=2
	v_mov_b32_e32 v3, s10
	ds_read_b128 v[14:17], v2
	ds_read_b128 v[18:21], v3
	s_add_i32 s12, s12, -1
	s_add_i32 s10, s10, -16
	v_add_u32_e32 v2, 0xffffff00, v2
	s_cmp_gt_i32 s12, s6
	s_waitcnt lgkmcnt(0)
	v_mul_f64 v[4:5], v[16:17], v[20:21]
	v_mul_f64 v[20:21], v[14:15], v[20:21]
	v_fma_f64 v[4:5], v[14:15], v[18:19], -v[4:5]
	v_fmac_f64_e32 v[20:21], v[16:17], v[18:19]
	v_add_f64 v[6:7], v[6:7], -v[4:5]
	v_add_f64 v[8:9], v[8:9], -v[20:21]
	s_cbranch_scc1 .LBB216_33
.LBB216_34:                             ;   in Loop: Header=BB216_32 Depth=1
	s_mul_i32 s10, s6, 0x110
	v_mov_b32_e32 v2, s10
	ds_read_b128 v[14:17], v2
	s_addk_i32 s11, 0xff00
	v_add_u32_e32 v11, s11, v1
	ds_read_b128 v[2:5], v11
	s_cmp_le_i32 s24, s6
	s_waitcnt lgkmcnt(1)
	v_mul_f64 v[18:19], v[16:17], v[8:9]
	v_mul_f64 v[20:21], v[14:15], v[8:9]
	v_fma_f64 v[18:19], v[14:15], v[6:7], -v[18:19]
	v_fmac_f64_e32 v[20:21], v[16:17], v[6:7]
	v_mov_b32_e32 v6, v10
	s_mov_b32 s11, s7
	s_mov_b32 s12, s24
	ds_write_b128 v12, v[18:21]
	s_cbranch_scc1 .LBB216_31
.LBB216_35:                             ;   Parent Loop BB216_32 Depth=1
                                        ; =>  This Inner Loop Header: Depth=2
	v_mov_b32_e32 v7, s11
	ds_read_b128 v[12:15], v6
	ds_read_b128 v[16:19], v7
	s_add_i32 s12, s12, -1
	s_add_i32 s11, s11, -16
	v_add_u32_e32 v6, 0xffffff00, v6
	s_cmp_gt_i32 s12, s6
	s_waitcnt lgkmcnt(0)
	v_mul_f64 v[8:9], v[14:15], v[18:19]
	v_mul_f64 v[18:19], v[12:13], v[18:19]
	v_fma_f64 v[8:9], v[12:13], v[16:17], -v[8:9]
	v_fmac_f64_e32 v[18:19], v[14:15], v[16:17]
	v_add_f64 v[2:3], v[2:3], -v[8:9]
	v_add_f64 v[4:5], v[4:5], -v[18:19]
	s_cbranch_scc1 .LBB216_35
	s_branch .LBB216_31
.LBB216_36:
	s_mov_b64 s[4:5], 0
.LBB216_37:
	s_and_b64 vcc, exec, s[4:5]
	s_cbranch_vccz .LBB216_51
; %bb.38:
	s_cmp_gt_i32 s14, 15
	s_cselect_b64 s[4:5], -1, 0
	s_mov_b32 s6, 0
	s_and_b64 vcc, exec, s[4:5]
	s_cbranch_vccz .LBB216_40
; %bb.39:
	v_mov_b32_e32 v66, 0
	ds_read_b128 v[42:45], v1
	ds_read_b128 v[46:49], v1 offset:256
	ds_read_b128 v[50:53], v1 offset:512
	;; [unrolled: 1-line block ×15, first 2 shown]
	ds_read_b128 v[72:75], v66
	s_mov_b32 s6, 16
	s_waitcnt lgkmcnt(0)
	v_mul_f64 v[62:63], v[74:75], v[44:45]
	v_mul_f64 v[64:65], v[72:73], v[44:45]
	v_fma_f64 v[62:63], v[72:73], v[42:43], -v[62:63]
	v_fmac_f64_e32 v[64:65], v[74:75], v[42:43]
	ds_write_b128 v1, v[62:65]
	ds_read_b128 v[42:45], v66 offset:16
	ds_read_b128 v[72:75], v66 offset:32
	;; [unrolled: 1-line block ×4, first 2 shown]
	s_waitcnt lgkmcnt(3)
	v_mul_f64 v[84:85], v[44:45], v[64:65]
	v_fma_f64 v[84:85], v[42:43], v[62:63], -v[84:85]
	v_mul_f64 v[42:43], v[42:43], v[64:65]
	v_fmac_f64_e32 v[42:43], v[44:45], v[62:63]
	v_add_f64 v[84:85], v[46:47], -v[84:85]
	ds_read_b128 v[44:47], v66 offset:272
	v_add_f64 v[48:49], v[48:49], -v[42:43]
	s_waitcnt lgkmcnt(0)
	v_mul_f64 v[42:43], v[46:47], v[48:49]
	v_fma_f64 v[42:43], v[44:45], v[84:85], -v[42:43]
	v_mul_f64 v[44:45], v[44:45], v[48:49]
	v_fmac_f64_e32 v[44:45], v[46:47], v[84:85]
	v_mul_f64 v[46:47], v[74:75], v[64:65]
	v_mul_f64 v[48:49], v[72:73], v[64:65]
	v_fma_f64 v[46:47], v[72:73], v[62:63], -v[46:47]
	v_fmac_f64_e32 v[48:49], v[74:75], v[62:63]
	v_add_f64 v[50:51], v[50:51], -v[46:47]
	v_add_f64 v[52:53], v[52:53], -v[48:49]
	ds_read_b128 v[46:49], v66 offset:288
	ds_write_b128 v1, v[42:45] offset:256
	s_waitcnt lgkmcnt(1)
	v_mul_f64 v[72:73], v[48:49], v[44:45]
	v_fma_f64 v[72:73], v[46:47], v[42:43], -v[72:73]
	v_mul_f64 v[46:47], v[46:47], v[44:45]
	v_fmac_f64_e32 v[46:47], v[48:49], v[42:43]
	v_add_f64 v[72:73], v[50:51], -v[72:73]
	ds_read_b128 v[48:51], v66 offset:544
	v_add_f64 v[52:53], v[52:53], -v[46:47]
	s_waitcnt lgkmcnt(0)
	v_mul_f64 v[46:47], v[50:51], v[52:53]
	v_fma_f64 v[46:47], v[48:49], v[72:73], -v[46:47]
	v_mul_f64 v[48:49], v[48:49], v[52:53]
	v_fmac_f64_e32 v[48:49], v[50:51], v[72:73]
	v_mul_f64 v[50:51], v[78:79], v[64:65]
	v_mul_f64 v[52:53], v[76:77], v[64:65]
	v_fma_f64 v[50:51], v[76:77], v[62:63], -v[50:51]
	v_fmac_f64_e32 v[52:53], v[78:79], v[62:63]
	v_add_f64 v[68:69], v[68:69], -v[50:51]
	v_add_f64 v[70:71], v[70:71], -v[52:53]
	ds_read_b128 v[50:53], v66 offset:304
	ds_write_b128 v1, v[46:49] offset:512
	s_waitcnt lgkmcnt(1)
	v_mul_f64 v[72:73], v[52:53], v[44:45]
	v_fma_f64 v[72:73], v[50:51], v[42:43], -v[72:73]
	v_mul_f64 v[50:51], v[50:51], v[44:45]
	v_fmac_f64_e32 v[50:51], v[52:53], v[42:43]
	v_add_f64 v[70:71], v[70:71], -v[50:51]
	ds_read_b128 v[50:53], v66 offset:560
	v_add_f64 v[68:69], v[68:69], -v[72:73]
	s_waitcnt lgkmcnt(0)
	v_mul_f64 v[72:73], v[52:53], v[48:49]
	v_fma_f64 v[72:73], v[50:51], v[46:47], -v[72:73]
	v_mul_f64 v[50:51], v[50:51], v[48:49]
	v_fmac_f64_e32 v[50:51], v[52:53], v[46:47]
	v_add_f64 v[72:73], v[68:69], -v[72:73]
	v_add_f64 v[52:53], v[70:71], -v[50:51]
	ds_read_b128 v[68:71], v66 offset:816
	s_waitcnt lgkmcnt(0)
	v_mul_f64 v[50:51], v[70:71], v[52:53]
	v_mul_f64 v[52:53], v[68:69], v[52:53]
	v_fma_f64 v[50:51], v[68:69], v[72:73], -v[50:51]
	v_fmac_f64_e32 v[52:53], v[70:71], v[72:73]
	v_mul_f64 v[68:69], v[82:83], v[64:65]
	v_mul_f64 v[70:71], v[80:81], v[64:65]
	v_fma_f64 v[68:69], v[80:81], v[62:63], -v[68:69]
	v_fmac_f64_e32 v[70:71], v[82:83], v[62:63]
	v_add_f64 v[68:69], v[54:55], -v[68:69]
	v_add_f64 v[70:71], v[56:57], -v[70:71]
	ds_read_b128 v[54:57], v66 offset:320
	ds_write_b128 v1, v[50:53] offset:768
	s_waitcnt lgkmcnt(1)
	v_mul_f64 v[72:73], v[56:57], v[44:45]
	v_fma_f64 v[72:73], v[54:55], v[42:43], -v[72:73]
	v_mul_f64 v[54:55], v[54:55], v[44:45]
	v_fmac_f64_e32 v[54:55], v[56:57], v[42:43]
	v_add_f64 v[70:71], v[70:71], -v[54:55]
	ds_read_b128 v[54:57], v66 offset:576
	v_add_f64 v[68:69], v[68:69], -v[72:73]
	s_waitcnt lgkmcnt(0)
	v_mul_f64 v[72:73], v[56:57], v[48:49]
	v_fma_f64 v[72:73], v[54:55], v[46:47], -v[72:73]
	v_mul_f64 v[54:55], v[54:55], v[48:49]
	v_fmac_f64_e32 v[54:55], v[56:57], v[46:47]
	v_add_f64 v[70:71], v[70:71], -v[54:55]
	ds_read_b128 v[54:57], v66 offset:832
	v_add_f64 v[68:69], v[68:69], -v[72:73]
	s_waitcnt lgkmcnt(0)
	v_mul_f64 v[72:73], v[56:57], v[52:53]
	v_fma_f64 v[72:73], v[54:55], v[50:51], -v[72:73]
	v_mul_f64 v[54:55], v[54:55], v[52:53]
	v_fmac_f64_e32 v[54:55], v[56:57], v[50:51]
	v_add_f64 v[72:73], v[68:69], -v[72:73]
	v_add_f64 v[56:57], v[70:71], -v[54:55]
	ds_read_b128 v[68:71], v66 offset:1088
	s_waitcnt lgkmcnt(0)
	v_mul_f64 v[54:55], v[70:71], v[56:57]
	v_mul_f64 v[56:57], v[68:69], v[56:57]
	v_fma_f64 v[54:55], v[68:69], v[72:73], -v[54:55]
	v_fmac_f64_e32 v[56:57], v[70:71], v[72:73]
	ds_write_b128 v1, v[54:57] offset:1024
	ds_read_b128 v[68:71], v66 offset:80
	ds_read_b128 v[72:75], v66 offset:96
	ds_read_b128 v[76:79], v66 offset:112
	s_waitcnt lgkmcnt(2)
	v_mul_f64 v[80:81], v[70:71], v[64:65]
	v_fma_f64 v[80:81], v[68:69], v[62:63], -v[80:81]
	v_mul_f64 v[68:69], v[68:69], v[64:65]
	v_fmac_f64_e32 v[68:69], v[70:71], v[62:63]
	v_add_f64 v[70:71], v[34:35], -v[80:81]
	v_add_f64 v[68:69], v[36:37], -v[68:69]
	ds_read_b128 v[34:37], v66 offset:336
	s_waitcnt lgkmcnt(0)
	v_mul_f64 v[80:81], v[36:37], v[44:45]
	v_fma_f64 v[80:81], v[34:35], v[42:43], -v[80:81]
	v_mul_f64 v[34:35], v[34:35], v[44:45]
	v_fmac_f64_e32 v[34:35], v[36:37], v[42:43]
	v_add_f64 v[68:69], v[68:69], -v[34:35]
	ds_read_b128 v[34:37], v66 offset:592
	v_add_f64 v[70:71], v[70:71], -v[80:81]
	s_waitcnt lgkmcnt(0)
	v_mul_f64 v[80:81], v[36:37], v[48:49]
	v_fma_f64 v[80:81], v[34:35], v[46:47], -v[80:81]
	v_mul_f64 v[34:35], v[34:35], v[48:49]
	v_fmac_f64_e32 v[34:35], v[36:37], v[46:47]
	v_add_f64 v[68:69], v[68:69], -v[34:35]
	ds_read_b128 v[34:37], v66 offset:848
	v_add_f64 v[70:71], v[70:71], -v[80:81]
	s_waitcnt lgkmcnt(0)
	v_mul_f64 v[80:81], v[36:37], v[52:53]
	v_fma_f64 v[80:81], v[34:35], v[50:51], -v[80:81]
	v_mul_f64 v[34:35], v[34:35], v[52:53]
	v_fmac_f64_e32 v[34:35], v[36:37], v[50:51]
	v_add_f64 v[68:69], v[68:69], -v[34:35]
	ds_read_b128 v[34:37], v66 offset:1104
	v_add_f64 v[70:71], v[70:71], -v[80:81]
	s_waitcnt lgkmcnt(0)
	v_mul_f64 v[80:81], v[36:37], v[56:57]
	v_fma_f64 v[80:81], v[34:35], v[54:55], -v[80:81]
	v_mul_f64 v[34:35], v[34:35], v[56:57]
	v_fmac_f64_e32 v[34:35], v[36:37], v[54:55]
	v_add_f64 v[80:81], v[70:71], -v[80:81]
	v_add_f64 v[36:37], v[68:69], -v[34:35]
	ds_read_b128 v[68:71], v66 offset:1360
	s_waitcnt lgkmcnt(0)
	v_mul_f64 v[34:35], v[70:71], v[36:37]
	v_mul_f64 v[36:37], v[68:69], v[36:37]
	v_fma_f64 v[34:35], v[68:69], v[80:81], -v[34:35]
	v_fmac_f64_e32 v[36:37], v[70:71], v[80:81]
	v_mul_f64 v[68:69], v[74:75], v[64:65]
	v_mul_f64 v[70:71], v[72:73], v[64:65]
	v_fma_f64 v[68:69], v[72:73], v[62:63], -v[68:69]
	v_fmac_f64_e32 v[70:71], v[74:75], v[62:63]
	v_add_f64 v[68:69], v[26:27], -v[68:69]
	v_add_f64 v[70:71], v[28:29], -v[70:71]
	ds_read_b128 v[26:29], v66 offset:352
	ds_write_b128 v1, v[34:37] offset:1280
	s_waitcnt lgkmcnt(1)
	v_mul_f64 v[72:73], v[28:29], v[44:45]
	v_fma_f64 v[72:73], v[26:27], v[42:43], -v[72:73]
	v_mul_f64 v[26:27], v[26:27], v[44:45]
	v_fmac_f64_e32 v[26:27], v[28:29], v[42:43]
	v_add_f64 v[70:71], v[70:71], -v[26:27]
	ds_read_b128 v[26:29], v66 offset:608
	v_add_f64 v[68:69], v[68:69], -v[72:73]
	s_waitcnt lgkmcnt(0)
	v_mul_f64 v[72:73], v[28:29], v[48:49]
	v_fma_f64 v[72:73], v[26:27], v[46:47], -v[72:73]
	v_mul_f64 v[26:27], v[26:27], v[48:49]
	v_fmac_f64_e32 v[26:27], v[28:29], v[46:47]
	v_add_f64 v[70:71], v[70:71], -v[26:27]
	ds_read_b128 v[26:29], v66 offset:864
	v_add_f64 v[68:69], v[68:69], -v[72:73]
	s_waitcnt lgkmcnt(0)
	v_mul_f64 v[72:73], v[28:29], v[52:53]
	v_fma_f64 v[72:73], v[26:27], v[50:51], -v[72:73]
	v_mul_f64 v[26:27], v[26:27], v[52:53]
	v_fmac_f64_e32 v[26:27], v[28:29], v[50:51]
	v_add_f64 v[70:71], v[70:71], -v[26:27]
	ds_read_b128 v[26:29], v66 offset:1120
	v_add_f64 v[68:69], v[68:69], -v[72:73]
	s_waitcnt lgkmcnt(0)
	v_mul_f64 v[72:73], v[28:29], v[56:57]
	v_fma_f64 v[72:73], v[26:27], v[54:55], -v[72:73]
	v_mul_f64 v[26:27], v[26:27], v[56:57]
	v_fmac_f64_e32 v[26:27], v[28:29], v[54:55]
	v_add_f64 v[70:71], v[70:71], -v[26:27]
	ds_read_b128 v[26:29], v66 offset:1376
	v_add_f64 v[68:69], v[68:69], -v[72:73]
	s_waitcnt lgkmcnt(0)
	v_mul_f64 v[72:73], v[28:29], v[36:37]
	v_fma_f64 v[72:73], v[26:27], v[34:35], -v[72:73]
	v_mul_f64 v[26:27], v[26:27], v[36:37]
	v_fmac_f64_e32 v[26:27], v[28:29], v[34:35]
	v_add_f64 v[72:73], v[68:69], -v[72:73]
	v_add_f64 v[28:29], v[70:71], -v[26:27]
	ds_read_b128 v[68:71], v66 offset:1632
	s_waitcnt lgkmcnt(0)
	v_mul_f64 v[26:27], v[70:71], v[28:29]
	v_mul_f64 v[28:29], v[68:69], v[28:29]
	v_fma_f64 v[26:27], v[68:69], v[72:73], -v[26:27]
	v_fmac_f64_e32 v[28:29], v[70:71], v[72:73]
	v_mul_f64 v[68:69], v[78:79], v[64:65]
	v_mul_f64 v[70:71], v[76:77], v[64:65]
	v_fma_f64 v[68:69], v[76:77], v[62:63], -v[68:69]
	v_fmac_f64_e32 v[70:71], v[78:79], v[62:63]
	v_add_f64 v[68:69], v[30:31], -v[68:69]
	v_add_f64 v[70:71], v[32:33], -v[70:71]
	ds_read_b128 v[30:33], v66 offset:368
	ds_write_b128 v1, v[26:29] offset:1536
	s_waitcnt lgkmcnt(1)
	v_mul_f64 v[72:73], v[32:33], v[44:45]
	v_fma_f64 v[72:73], v[30:31], v[42:43], -v[72:73]
	v_mul_f64 v[30:31], v[30:31], v[44:45]
	v_fmac_f64_e32 v[30:31], v[32:33], v[42:43]
	v_add_f64 v[70:71], v[70:71], -v[30:31]
	ds_read_b128 v[30:33], v66 offset:624
	v_add_f64 v[68:69], v[68:69], -v[72:73]
	s_waitcnt lgkmcnt(0)
	v_mul_f64 v[72:73], v[32:33], v[48:49]
	v_fma_f64 v[72:73], v[30:31], v[46:47], -v[72:73]
	v_mul_f64 v[30:31], v[30:31], v[48:49]
	v_fmac_f64_e32 v[30:31], v[32:33], v[46:47]
	v_add_f64 v[70:71], v[70:71], -v[30:31]
	ds_read_b128 v[30:33], v66 offset:880
	v_add_f64 v[68:69], v[68:69], -v[72:73]
	;; [unrolled: 8-line block ×5, first 2 shown]
	s_waitcnt lgkmcnt(0)
	v_mul_f64 v[72:73], v[32:33], v[28:29]
	v_fma_f64 v[72:73], v[30:31], v[26:27], -v[72:73]
	v_mul_f64 v[30:31], v[30:31], v[28:29]
	v_fmac_f64_e32 v[30:31], v[32:33], v[26:27]
	v_add_f64 v[72:73], v[68:69], -v[72:73]
	v_add_f64 v[32:33], v[70:71], -v[30:31]
	ds_read_b128 v[68:71], v66 offset:1904
	s_waitcnt lgkmcnt(0)
	v_mul_f64 v[30:31], v[70:71], v[32:33]
	v_mul_f64 v[32:33], v[68:69], v[32:33]
	v_fma_f64 v[30:31], v[68:69], v[72:73], -v[30:31]
	v_fmac_f64_e32 v[32:33], v[70:71], v[72:73]
	ds_write_b128 v1, v[30:33] offset:1792
	ds_read_b128 v[68:71], v66 offset:128
	ds_read_b128 v[72:75], v66 offset:144
	s_waitcnt lgkmcnt(1)
	v_mul_f64 v[76:77], v[70:71], v[64:65]
	v_fma_f64 v[76:77], v[68:69], v[62:63], -v[76:77]
	v_mul_f64 v[68:69], v[68:69], v[64:65]
	v_fmac_f64_e32 v[68:69], v[70:71], v[62:63]
	v_add_f64 v[70:71], v[38:39], -v[76:77]
	v_add_f64 v[68:69], v[40:41], -v[68:69]
	ds_read_b128 v[38:41], v66 offset:384
	s_waitcnt lgkmcnt(0)
	v_mul_f64 v[76:77], v[40:41], v[44:45]
	v_fma_f64 v[76:77], v[38:39], v[42:43], -v[76:77]
	v_mul_f64 v[38:39], v[38:39], v[44:45]
	v_fmac_f64_e32 v[38:39], v[40:41], v[42:43]
	v_add_f64 v[68:69], v[68:69], -v[38:39]
	ds_read_b128 v[38:41], v66 offset:640
	v_add_f64 v[70:71], v[70:71], -v[76:77]
	s_waitcnt lgkmcnt(0)
	v_mul_f64 v[76:77], v[40:41], v[48:49]
	v_fma_f64 v[76:77], v[38:39], v[46:47], -v[76:77]
	v_mul_f64 v[38:39], v[38:39], v[48:49]
	v_fmac_f64_e32 v[38:39], v[40:41], v[46:47]
	v_add_f64 v[68:69], v[68:69], -v[38:39]
	ds_read_b128 v[38:41], v66 offset:896
	v_add_f64 v[70:71], v[70:71], -v[76:77]
	;; [unrolled: 8-line block ×6, first 2 shown]
	s_waitcnt lgkmcnt(0)
	v_mul_f64 v[76:77], v[40:41], v[32:33]
	v_fma_f64 v[76:77], v[38:39], v[30:31], -v[76:77]
	v_mul_f64 v[38:39], v[38:39], v[32:33]
	v_fmac_f64_e32 v[38:39], v[40:41], v[30:31]
	v_add_f64 v[76:77], v[70:71], -v[76:77]
	v_add_f64 v[40:41], v[68:69], -v[38:39]
	ds_read_b128 v[68:71], v66 offset:2176
	s_waitcnt lgkmcnt(0)
	v_mul_f64 v[38:39], v[70:71], v[40:41]
	v_mul_f64 v[40:41], v[68:69], v[40:41]
	v_fma_f64 v[38:39], v[68:69], v[76:77], -v[38:39]
	v_fmac_f64_e32 v[40:41], v[70:71], v[76:77]
	v_mul_f64 v[68:69], v[74:75], v[64:65]
	v_mul_f64 v[70:71], v[72:73], v[64:65]
	v_fma_f64 v[68:69], v[72:73], v[62:63], -v[68:69]
	v_fmac_f64_e32 v[70:71], v[74:75], v[62:63]
	v_add_f64 v[68:69], v[22:23], -v[68:69]
	v_add_f64 v[70:71], v[24:25], -v[70:71]
	ds_read_b128 v[22:25], v66 offset:400
	ds_write_b128 v1, v[38:41] offset:2048
	s_waitcnt lgkmcnt(1)
	v_mul_f64 v[72:73], v[24:25], v[44:45]
	v_fma_f64 v[72:73], v[22:23], v[42:43], -v[72:73]
	v_mul_f64 v[22:23], v[22:23], v[44:45]
	v_fmac_f64_e32 v[22:23], v[24:25], v[42:43]
	v_add_f64 v[70:71], v[70:71], -v[22:23]
	ds_read_b128 v[22:25], v66 offset:656
	v_add_f64 v[68:69], v[68:69], -v[72:73]
	s_waitcnt lgkmcnt(0)
	v_mul_f64 v[72:73], v[24:25], v[48:49]
	v_fma_f64 v[72:73], v[22:23], v[46:47], -v[72:73]
	v_mul_f64 v[22:23], v[22:23], v[48:49]
	v_fmac_f64_e32 v[22:23], v[24:25], v[46:47]
	v_add_f64 v[70:71], v[70:71], -v[22:23]
	ds_read_b128 v[22:25], v66 offset:912
	v_add_f64 v[68:69], v[68:69], -v[72:73]
	;; [unrolled: 8-line block ×7, first 2 shown]
	s_waitcnt lgkmcnt(0)
	v_mul_f64 v[72:73], v[24:25], v[40:41]
	v_fma_f64 v[72:73], v[22:23], v[38:39], -v[72:73]
	v_mul_f64 v[22:23], v[22:23], v[40:41]
	v_fmac_f64_e32 v[22:23], v[24:25], v[38:39]
	v_add_f64 v[72:73], v[68:69], -v[72:73]
	v_add_f64 v[24:25], v[70:71], -v[22:23]
	ds_read_b128 v[68:71], v66 offset:2448
	s_waitcnt lgkmcnt(0)
	v_mul_f64 v[22:23], v[70:71], v[24:25]
	v_mul_f64 v[24:25], v[68:69], v[24:25]
	v_fma_f64 v[22:23], v[68:69], v[72:73], -v[22:23]
	v_fmac_f64_e32 v[24:25], v[70:71], v[72:73]
	ds_read_b128 v[68:71], v66 offset:160
	ds_write_b128 v1, v[22:25] offset:2304
	s_waitcnt lgkmcnt(1)
	v_mul_f64 v[72:73], v[70:71], v[64:65]
	v_fma_f64 v[72:73], v[68:69], v[62:63], -v[72:73]
	v_mul_f64 v[68:69], v[68:69], v[64:65]
	v_fmac_f64_e32 v[68:69], v[70:71], v[62:63]
	v_add_f64 v[70:71], v[18:19], -v[72:73]
	v_add_f64 v[68:69], v[20:21], -v[68:69]
	ds_read_b128 v[18:21], v66 offset:416
	s_waitcnt lgkmcnt(0)
	v_mul_f64 v[72:73], v[20:21], v[44:45]
	v_fma_f64 v[72:73], v[18:19], v[42:43], -v[72:73]
	v_mul_f64 v[18:19], v[18:19], v[44:45]
	v_fmac_f64_e32 v[18:19], v[20:21], v[42:43]
	v_add_f64 v[68:69], v[68:69], -v[18:19]
	ds_read_b128 v[18:21], v66 offset:672
	v_add_f64 v[70:71], v[70:71], -v[72:73]
	s_waitcnt lgkmcnt(0)
	v_mul_f64 v[72:73], v[20:21], v[48:49]
	v_fma_f64 v[72:73], v[18:19], v[46:47], -v[72:73]
	v_mul_f64 v[18:19], v[18:19], v[48:49]
	v_fmac_f64_e32 v[18:19], v[20:21], v[46:47]
	v_add_f64 v[68:69], v[68:69], -v[18:19]
	ds_read_b128 v[18:21], v66 offset:928
	v_add_f64 v[70:71], v[70:71], -v[72:73]
	;; [unrolled: 8-line block ×8, first 2 shown]
	s_waitcnt lgkmcnt(0)
	v_mul_f64 v[72:73], v[20:21], v[24:25]
	v_fma_f64 v[72:73], v[18:19], v[22:23], -v[72:73]
	v_mul_f64 v[18:19], v[18:19], v[24:25]
	v_fmac_f64_e32 v[18:19], v[20:21], v[22:23]
	v_add_f64 v[72:73], v[70:71], -v[72:73]
	v_add_f64 v[20:21], v[68:69], -v[18:19]
	ds_read_b128 v[68:71], v66 offset:2720
	s_waitcnt lgkmcnt(0)
	v_mul_f64 v[18:19], v[70:71], v[20:21]
	v_mul_f64 v[20:21], v[68:69], v[20:21]
	v_fma_f64 v[18:19], v[68:69], v[72:73], -v[18:19]
	v_fmac_f64_e32 v[20:21], v[70:71], v[72:73]
	ds_read_b128 v[68:71], v66 offset:176
	ds_write_b128 v1, v[18:21] offset:2560
	s_waitcnt lgkmcnt(1)
	v_mul_f64 v[72:73], v[70:71], v[64:65]
	v_fma_f64 v[72:73], v[68:69], v[62:63], -v[72:73]
	v_mul_f64 v[68:69], v[68:69], v[64:65]
	v_fmac_f64_e32 v[68:69], v[70:71], v[62:63]
	v_add_f64 v[70:71], v[10:11], -v[72:73]
	v_add_f64 v[68:69], v[12:13], -v[68:69]
	ds_read_b128 v[10:13], v66 offset:432
	s_waitcnt lgkmcnt(0)
	v_mul_f64 v[72:73], v[12:13], v[44:45]
	v_fma_f64 v[72:73], v[10:11], v[42:43], -v[72:73]
	v_mul_f64 v[10:11], v[10:11], v[44:45]
	v_fmac_f64_e32 v[10:11], v[12:13], v[42:43]
	v_add_f64 v[68:69], v[68:69], -v[10:11]
	ds_read_b128 v[10:13], v66 offset:688
	v_add_f64 v[70:71], v[70:71], -v[72:73]
	s_waitcnt lgkmcnt(0)
	v_mul_f64 v[72:73], v[12:13], v[48:49]
	v_fma_f64 v[72:73], v[10:11], v[46:47], -v[72:73]
	v_mul_f64 v[10:11], v[10:11], v[48:49]
	v_fmac_f64_e32 v[10:11], v[12:13], v[46:47]
	v_add_f64 v[68:69], v[68:69], -v[10:11]
	ds_read_b128 v[10:13], v66 offset:944
	v_add_f64 v[70:71], v[70:71], -v[72:73]
	;; [unrolled: 8-line block ×9, first 2 shown]
	s_waitcnt lgkmcnt(0)
	v_mul_f64 v[72:73], v[12:13], v[20:21]
	v_fma_f64 v[72:73], v[10:11], v[18:19], -v[72:73]
	v_mul_f64 v[10:11], v[10:11], v[20:21]
	v_fmac_f64_e32 v[10:11], v[12:13], v[18:19]
	v_add_f64 v[72:73], v[70:71], -v[72:73]
	v_add_f64 v[12:13], v[68:69], -v[10:11]
	ds_read_b128 v[68:71], v66 offset:2992
	s_waitcnt lgkmcnt(0)
	v_mul_f64 v[10:11], v[70:71], v[12:13]
	v_mul_f64 v[12:13], v[68:69], v[12:13]
	v_fma_f64 v[10:11], v[68:69], v[72:73], -v[10:11]
	v_fmac_f64_e32 v[12:13], v[70:71], v[72:73]
	ds_read_b128 v[68:71], v66 offset:192
	ds_write_b128 v1, v[10:13] offset:2816
	s_waitcnt lgkmcnt(1)
	v_mul_f64 v[72:73], v[70:71], v[64:65]
	v_fma_f64 v[72:73], v[68:69], v[62:63], -v[72:73]
	v_mul_f64 v[68:69], v[68:69], v[64:65]
	v_fmac_f64_e32 v[68:69], v[70:71], v[62:63]
	v_add_f64 v[70:71], v[14:15], -v[72:73]
	v_add_f64 v[68:69], v[16:17], -v[68:69]
	ds_read_b128 v[14:17], v66 offset:448
	s_waitcnt lgkmcnt(0)
	v_mul_f64 v[72:73], v[16:17], v[44:45]
	v_fma_f64 v[72:73], v[14:15], v[42:43], -v[72:73]
	v_mul_f64 v[14:15], v[14:15], v[44:45]
	v_fmac_f64_e32 v[14:15], v[16:17], v[42:43]
	v_add_f64 v[68:69], v[68:69], -v[14:15]
	ds_read_b128 v[14:17], v66 offset:704
	v_add_f64 v[70:71], v[70:71], -v[72:73]
	s_waitcnt lgkmcnt(0)
	v_mul_f64 v[72:73], v[16:17], v[48:49]
	v_fma_f64 v[72:73], v[14:15], v[46:47], -v[72:73]
	v_mul_f64 v[14:15], v[14:15], v[48:49]
	v_fmac_f64_e32 v[14:15], v[16:17], v[46:47]
	v_add_f64 v[68:69], v[68:69], -v[14:15]
	ds_read_b128 v[14:17], v66 offset:960
	v_add_f64 v[70:71], v[70:71], -v[72:73]
	;; [unrolled: 8-line block ×10, first 2 shown]
	s_waitcnt lgkmcnt(0)
	v_mul_f64 v[72:73], v[16:17], v[12:13]
	v_fma_f64 v[72:73], v[14:15], v[10:11], -v[72:73]
	v_mul_f64 v[14:15], v[14:15], v[12:13]
	v_fmac_f64_e32 v[14:15], v[16:17], v[10:11]
	v_add_f64 v[72:73], v[70:71], -v[72:73]
	v_add_f64 v[16:17], v[68:69], -v[14:15]
	ds_read_b128 v[68:71], v66 offset:3264
	s_waitcnt lgkmcnt(0)
	v_mul_f64 v[14:15], v[70:71], v[16:17]
	v_mul_f64 v[16:17], v[68:69], v[16:17]
	v_fma_f64 v[14:15], v[68:69], v[72:73], -v[14:15]
	v_fmac_f64_e32 v[16:17], v[70:71], v[72:73]
	ds_read_b128 v[68:71], v66 offset:208
	ds_write_b128 v1, v[14:17] offset:3072
	s_waitcnt lgkmcnt(1)
	v_mul_f64 v[72:73], v[70:71], v[64:65]
	v_fma_f64 v[72:73], v[68:69], v[62:63], -v[72:73]
	v_mul_f64 v[68:69], v[68:69], v[64:65]
	v_fmac_f64_e32 v[68:69], v[70:71], v[62:63]
	v_add_f64 v[70:71], v[2:3], -v[72:73]
	v_add_f64 v[68:69], v[4:5], -v[68:69]
	ds_read_b128 v[2:5], v66 offset:464
	s_waitcnt lgkmcnt(0)
	v_mul_f64 v[72:73], v[4:5], v[44:45]
	v_fma_f64 v[72:73], v[2:3], v[42:43], -v[72:73]
	v_mul_f64 v[2:3], v[2:3], v[44:45]
	v_fmac_f64_e32 v[2:3], v[4:5], v[42:43]
	v_add_f64 v[68:69], v[68:69], -v[2:3]
	ds_read_b128 v[2:5], v66 offset:720
	v_add_f64 v[70:71], v[70:71], -v[72:73]
	s_waitcnt lgkmcnt(0)
	v_mul_f64 v[72:73], v[4:5], v[48:49]
	v_fma_f64 v[72:73], v[2:3], v[46:47], -v[72:73]
	v_mul_f64 v[2:3], v[2:3], v[48:49]
	v_fmac_f64_e32 v[2:3], v[4:5], v[46:47]
	v_add_f64 v[68:69], v[68:69], -v[2:3]
	ds_read_b128 v[2:5], v66 offset:976
	v_add_f64 v[70:71], v[70:71], -v[72:73]
	;; [unrolled: 8-line block ×11, first 2 shown]
	s_waitcnt lgkmcnt(0)
	v_mul_f64 v[72:73], v[4:5], v[16:17]
	v_fma_f64 v[72:73], v[2:3], v[14:15], -v[72:73]
	v_mul_f64 v[2:3], v[2:3], v[16:17]
	v_fmac_f64_e32 v[2:3], v[4:5], v[14:15]
	v_add_f64 v[72:73], v[70:71], -v[72:73]
	v_add_f64 v[4:5], v[68:69], -v[2:3]
	ds_read_b128 v[68:71], v66 offset:3536
	s_waitcnt lgkmcnt(0)
	v_mul_f64 v[2:3], v[70:71], v[4:5]
	v_mul_f64 v[4:5], v[68:69], v[4:5]
	v_fma_f64 v[2:3], v[68:69], v[72:73], -v[2:3]
	v_fmac_f64_e32 v[4:5], v[70:71], v[72:73]
	ds_read_b128 v[68:71], v66 offset:224
	ds_write_b128 v1, v[2:5] offset:3328
	s_waitcnt lgkmcnt(1)
	v_mul_f64 v[72:73], v[70:71], v[64:65]
	v_fma_f64 v[72:73], v[68:69], v[62:63], -v[72:73]
	v_mul_f64 v[68:69], v[68:69], v[64:65]
	v_fmac_f64_e32 v[68:69], v[70:71], v[62:63]
	v_add_f64 v[70:71], v[6:7], -v[72:73]
	v_add_f64 v[68:69], v[8:9], -v[68:69]
	ds_read_b128 v[6:9], v66 offset:480
	s_waitcnt lgkmcnt(0)
	v_mul_f64 v[72:73], v[8:9], v[44:45]
	v_fma_f64 v[72:73], v[6:7], v[42:43], -v[72:73]
	v_mul_f64 v[6:7], v[6:7], v[44:45]
	v_fmac_f64_e32 v[6:7], v[8:9], v[42:43]
	v_add_f64 v[68:69], v[68:69], -v[6:7]
	ds_read_b128 v[6:9], v66 offset:736
	v_add_f64 v[70:71], v[70:71], -v[72:73]
	s_waitcnt lgkmcnt(0)
	v_mul_f64 v[72:73], v[8:9], v[48:49]
	v_fma_f64 v[72:73], v[6:7], v[46:47], -v[72:73]
	v_mul_f64 v[6:7], v[6:7], v[48:49]
	v_fmac_f64_e32 v[6:7], v[8:9], v[46:47]
	v_add_f64 v[68:69], v[68:69], -v[6:7]
	ds_read_b128 v[6:9], v66 offset:992
	v_add_f64 v[70:71], v[70:71], -v[72:73]
	;; [unrolled: 8-line block ×12, first 2 shown]
	s_waitcnt lgkmcnt(0)
	v_mul_f64 v[72:73], v[8:9], v[4:5]
	v_fma_f64 v[72:73], v[6:7], v[2:3], -v[72:73]
	v_mul_f64 v[6:7], v[6:7], v[4:5]
	v_fmac_f64_e32 v[6:7], v[8:9], v[2:3]
	v_add_f64 v[72:73], v[70:71], -v[72:73]
	v_add_f64 v[8:9], v[68:69], -v[6:7]
	ds_read_b128 v[68:71], v66 offset:3808
	s_waitcnt lgkmcnt(0)
	v_mul_f64 v[6:7], v[70:71], v[8:9]
	v_mul_f64 v[8:9], v[68:69], v[8:9]
	v_fma_f64 v[6:7], v[68:69], v[72:73], -v[6:7]
	v_fmac_f64_e32 v[8:9], v[70:71], v[72:73]
	ds_read_b128 v[68:71], v66 offset:240
	ds_write_b128 v1, v[6:9] offset:3584
	s_waitcnt lgkmcnt(1)
	v_mul_f64 v[72:73], v[70:71], v[64:65]
	v_mul_f64 v[64:65], v[68:69], v[64:65]
	v_fmac_f64_e32 v[64:65], v[70:71], v[62:63]
	v_fma_f64 v[72:73], v[68:69], v[62:63], -v[72:73]
	v_add_f64 v[60:61], v[60:61], -v[64:65]
	ds_read_b128 v[62:65], v66 offset:496
	v_add_f64 v[58:59], v[58:59], -v[72:73]
	s_waitcnt lgkmcnt(0)
	v_mul_f64 v[68:69], v[64:65], v[44:45]
	v_mul_f64 v[44:45], v[62:63], v[44:45]
	v_fmac_f64_e32 v[44:45], v[64:65], v[42:43]
	v_fma_f64 v[68:69], v[62:63], v[42:43], -v[68:69]
	v_add_f64 v[60:61], v[60:61], -v[44:45]
	ds_read_b128 v[42:45], v66 offset:752
	v_add_f64 v[58:59], v[58:59], -v[68:69]
	s_waitcnt lgkmcnt(0)
	v_mul_f64 v[62:63], v[44:45], v[48:49]
	v_fma_f64 v[62:63], v[42:43], v[46:47], -v[62:63]
	v_mul_f64 v[42:43], v[42:43], v[48:49]
	v_fmac_f64_e32 v[42:43], v[44:45], v[46:47]
	v_add_f64 v[48:49], v[60:61], -v[42:43]
	ds_read_b128 v[42:45], v66 offset:1008
	v_add_f64 v[46:47], v[58:59], -v[62:63]
	s_waitcnt lgkmcnt(0)
	v_mul_f64 v[58:59], v[44:45], v[52:53]
	v_fma_f64 v[58:59], v[42:43], v[50:51], -v[58:59]
	v_mul_f64 v[42:43], v[42:43], v[52:53]
	v_fmac_f64_e32 v[42:43], v[44:45], v[50:51]
	v_add_f64 v[48:49], v[48:49], -v[42:43]
	ds_read_b128 v[42:45], v66 offset:1264
	v_add_f64 v[46:47], v[46:47], -v[58:59]
	s_waitcnt lgkmcnt(0)
	v_mul_f64 v[50:51], v[44:45], v[56:57]
	v_mul_f64 v[52:53], v[42:43], v[56:57]
	v_fma_f64 v[50:51], v[42:43], v[54:55], -v[50:51]
	v_fmac_f64_e32 v[52:53], v[44:45], v[54:55]
	v_add_f64 v[42:43], v[46:47], -v[50:51]
	v_add_f64 v[44:45], v[48:49], -v[52:53]
	ds_read_b128 v[46:49], v66 offset:1520
	s_waitcnt lgkmcnt(0)
	v_mul_f64 v[50:51], v[48:49], v[36:37]
	v_mul_f64 v[36:37], v[46:47], v[36:37]
	v_fmac_f64_e32 v[36:37], v[48:49], v[34:35]
	v_fma_f64 v[50:51], v[46:47], v[34:35], -v[50:51]
	v_add_f64 v[44:45], v[44:45], -v[36:37]
	ds_read_b128 v[34:37], v66 offset:1776
	v_add_f64 v[42:43], v[42:43], -v[50:51]
	s_waitcnt lgkmcnt(0)
	v_mul_f64 v[46:47], v[36:37], v[28:29]
	v_mul_f64 v[28:29], v[34:35], v[28:29]
	v_fmac_f64_e32 v[28:29], v[36:37], v[26:27]
	v_fma_f64 v[46:47], v[34:35], v[26:27], -v[46:47]
	v_add_f64 v[36:37], v[44:45], -v[28:29]
	ds_read_b128 v[26:29], v66 offset:2032
	v_add_f64 v[34:35], v[42:43], -v[46:47]
	s_waitcnt lgkmcnt(0)
	v_mul_f64 v[42:43], v[28:29], v[32:33]
	v_fma_f64 v[42:43], v[26:27], v[30:31], -v[42:43]
	v_mul_f64 v[26:27], v[26:27], v[32:33]
	v_fmac_f64_e32 v[26:27], v[28:29], v[30:31]
	v_add_f64 v[32:33], v[36:37], -v[26:27]
	ds_read_b128 v[26:29], v66 offset:2288
	v_add_f64 v[30:31], v[34:35], -v[42:43]
	s_waitcnt lgkmcnt(0)
	v_mul_f64 v[34:35], v[28:29], v[40:41]
	v_mul_f64 v[36:37], v[26:27], v[40:41]
	v_fma_f64 v[34:35], v[26:27], v[38:39], -v[34:35]
	v_fmac_f64_e32 v[36:37], v[28:29], v[38:39]
	v_add_f64 v[26:27], v[30:31], -v[34:35]
	v_add_f64 v[28:29], v[32:33], -v[36:37]
	ds_read_b128 v[30:33], v66 offset:2544
	s_waitcnt lgkmcnt(0)
	v_mul_f64 v[34:35], v[32:33], v[24:25]
	v_mul_f64 v[24:25], v[30:31], v[24:25]
	v_fmac_f64_e32 v[24:25], v[32:33], v[22:23]
	v_fma_f64 v[34:35], v[30:31], v[22:23], -v[34:35]
	v_add_f64 v[28:29], v[28:29], -v[24:25]
	ds_read_b128 v[22:25], v66 offset:2800
	v_add_f64 v[26:27], v[26:27], -v[34:35]
	s_waitcnt lgkmcnt(0)
	v_mul_f64 v[30:31], v[24:25], v[20:21]
	v_mul_f64 v[20:21], v[22:23], v[20:21]
	v_fma_f64 v[30:31], v[22:23], v[18:19], -v[30:31]
	v_fmac_f64_e32 v[20:21], v[24:25], v[18:19]
	ds_read_b128 v[22:25], v66 offset:3056
	v_add_f64 v[18:19], v[26:27], -v[30:31]
	v_add_f64 v[20:21], v[28:29], -v[20:21]
	s_waitcnt lgkmcnt(0)
	v_mul_f64 v[26:27], v[24:25], v[12:13]
	v_mul_f64 v[12:13], v[22:23], v[12:13]
	v_fmac_f64_e32 v[12:13], v[24:25], v[10:11]
	v_fma_f64 v[26:27], v[22:23], v[10:11], -v[26:27]
	v_add_f64 v[20:21], v[20:21], -v[12:13]
	ds_read_b128 v[10:13], v66 offset:3312
	v_add_f64 v[18:19], v[18:19], -v[26:27]
	s_waitcnt lgkmcnt(0)
	v_mul_f64 v[22:23], v[12:13], v[16:17]
	v_mul_f64 v[16:17], v[10:11], v[16:17]
	v_fmac_f64_e32 v[16:17], v[12:13], v[14:15]
	v_fma_f64 v[22:23], v[10:11], v[14:15], -v[22:23]
	v_add_f64 v[12:13], v[20:21], -v[16:17]
	ds_read_b128 v[14:17], v66 offset:3568
	;; [unrolled: 8-line block ×3, first 2 shown]
	v_add_f64 v[10:11], v[10:11], -v[18:19]
	s_waitcnt lgkmcnt(0)
	v_mul_f64 v[14:15], v[4:5], v[8:9]
	v_fma_f64 v[14:15], v[2:3], v[6:7], -v[14:15]
	v_mul_f64 v[2:3], v[2:3], v[8:9]
	v_fmac_f64_e32 v[2:3], v[4:5], v[6:7]
	v_add_f64 v[8:9], v[12:13], -v[2:3]
	ds_read_b128 v[2:5], v66 offset:4080
	v_add_f64 v[10:11], v[10:11], -v[14:15]
	s_waitcnt lgkmcnt(0)
	v_mul_f64 v[6:7], v[4:5], v[8:9]
	v_mul_f64 v[8:9], v[2:3], v[8:9]
	v_fma_f64 v[6:7], v[2:3], v[10:11], -v[6:7]
	v_fmac_f64_e32 v[8:9], v[4:5], v[10:11]
	ds_write_b128 v1, v[6:9] offset:3840
.LBB216_40:
	s_cmp_lt_i32 s6, s24
	s_cbranch_scc0 .LBB216_51
; %bb.41:
	s_or_b32 s7, s6, 11
	s_cmp_ge_u32 s7, s24
	s_cbranch_scc1 .LBB216_46
; %bb.42:
	s_lshl_b32 s10, s6, 8
	v_add_u32_e32 v71, s10, v1
	ds_read_b128 v[46:49], v71
	ds_read_b128 v[34:37], v71 offset:256
	ds_read_b128 v[30:33], v71 offset:512
	;; [unrolled: 1-line block ×9, first 2 shown]
	s_lshl_b32 s11, s7, 8
	v_add_u32_e32 v70, s11, v1
	ds_read_b128 v[6:9], v71 offset:2560
	ds_read_b128 v[2:5], v70
	s_andn2_b64 vcc, exec, s[4:5]
	s_lshl_b32 s4, s6, 4
	s_cbranch_vccnz .LBB216_45
; %bb.43:
	v_mov_b32_e32 v38, 0x1000
	v_lshl_or_b32 v50, v0, 4, v38
	s_mov_b32 s5, s4
	s_mov_b32 s11, s6
.LBB216_44:                             ; =>This Inner Loop Header: Depth=1
	ds_read_b128 v[38:41], v50
	v_mov_b32_e32 v51, s5
	ds_read_b128 v[58:61], v51
	ds_read_b128 v[62:65], v51 offset:16
	ds_read_b128 v[66:69], v51 offset:32
	;; [unrolled: 1-line block ×11, first 2 shown]
	s_add_i32 s11, s11, -1
	s_addk_i32 s5, 0x100
	s_waitcnt lgkmcnt(11)
	v_mul_f64 v[52:53], v[40:41], v[60:61]
	v_mul_f64 v[60:61], v[38:39], v[60:61]
	s_waitcnt lgkmcnt(10)
	v_mul_f64 v[108:109], v[40:41], v[64:65]
	v_mul_f64 v[64:65], v[38:39], v[64:65]
	;; [unrolled: 3-line block ×5, first 2 shown]
	s_waitcnt lgkmcnt(6)
	v_mul_f64 v[116:117], v[40:41], v[82:83]
	v_fma_f64 v[52:53], v[38:39], v[58:59], -v[52:53]
	v_fmac_f64_e32 v[60:61], v[40:41], v[58:59]
	v_mul_f64 v[58:59], v[38:39], v[82:83]
	s_waitcnt lgkmcnt(5)
	v_mul_f64 v[82:83], v[40:41], v[86:87]
	v_fma_f64 v[108:109], v[38:39], v[62:63], -v[108:109]
	v_fmac_f64_e32 v[64:65], v[40:41], v[62:63]
	v_mul_f64 v[62:63], v[38:39], v[86:87]
	;; [unrolled: 5-line block ×7, first 2 shown]
	v_fma_f64 v[86:87], v[38:39], v[88:89], -v[86:87]
	v_fmac_f64_e32 v[66:67], v[40:41], v[88:89]
	v_fma_f64 v[88:89], v[38:39], v[92:93], -v[90:91]
	v_fmac_f64_e32 v[72:73], v[40:41], v[92:93]
	;; [unrolled: 2-line block ×5, first 2 shown]
	v_add_u32_e32 v50, 0x100, v50
	s_cmp_lg_u32 s11, 0
	v_add_f64 v[46:47], v[46:47], -v[52:53]
	v_add_f64 v[48:49], v[48:49], -v[60:61]
	;; [unrolled: 1-line block ×24, first 2 shown]
	s_cbranch_scc1 .LBB216_44
.LBB216_45:
	s_add_i32 s5, s4, s10
	v_mov_b32_e32 v72, s5
	ds_read_b128 v[50:53], v72
	ds_read_b128 v[58:61], v72 offset:16
	ds_read_b128 v[62:65], v72 offset:32
	;; [unrolled: 1-line block ×3, first 2 shown]
	s_or_b32 s5, s10, 0x100
	s_waitcnt lgkmcnt(3)
	v_mul_f64 v[40:41], v[50:51], v[48:49]
	v_mul_f64 v[38:39], v[52:53], v[48:49]
	v_fmac_f64_e32 v[40:41], v[52:53], v[46:47]
	v_fma_f64 v[38:39], v[50:51], v[46:47], -v[38:39]
	s_waitcnt lgkmcnt(2)
	v_mul_f64 v[46:47], v[60:61], v[40:41]
	v_fma_f64 v[50:51], v[58:59], v[38:39], -v[46:47]
	ds_read_b128 v[46:49], v72 offset:272
	v_mul_f64 v[52:53], v[58:59], v[40:41]
	v_fmac_f64_e32 v[52:53], v[60:61], v[38:39]
	v_add_f64 v[36:37], v[36:37], -v[52:53]
	v_add_f64 v[58:59], v[34:35], -v[50:51]
	ds_read_b128 v[50:53], v72 offset:544
	s_waitcnt lgkmcnt(1)
	v_mul_f64 v[34:35], v[48:49], v[36:37]
	s_add_i32 s11, s4, s5
	v_fma_f64 v[34:35], v[46:47], v[58:59], -v[34:35]
	v_mul_f64 v[36:37], v[46:47], v[36:37]
	v_mul_f64 v[46:47], v[64:65], v[40:41]
	v_mov_b32_e32 v73, s11
	v_fmac_f64_e32 v[36:37], v[48:49], v[58:59]
	v_fma_f64 v[58:59], v[62:63], v[38:39], -v[46:47]
	ds_read_b128 v[46:49], v73 offset:32
	v_mul_f64 v[60:61], v[62:63], v[40:41]
	v_fmac_f64_e32 v[60:61], v[64:65], v[38:39]
	v_add_f64 v[30:31], v[30:31], -v[58:59]
	v_add_f64 v[32:33], v[32:33], -v[60:61]
	s_waitcnt lgkmcnt(0)
	v_mul_f64 v[74:75], v[48:49], v[36:37]
	v_fma_f64 v[74:75], v[46:47], v[34:35], -v[74:75]
	v_mul_f64 v[46:47], v[46:47], v[36:37]
	ds_read_b128 v[58:61], v73 offset:48
	ds_read_b128 v[62:65], v73 offset:64
	v_fmac_f64_e32 v[46:47], v[48:49], v[34:35]
	v_add_f64 v[32:33], v[32:33], -v[46:47]
	v_add_f64 v[48:49], v[30:31], -v[74:75]
	v_mul_f64 v[30:31], v[52:53], v[32:33]
	v_mul_f64 v[32:33], v[50:51], v[32:33]
	s_or_b32 s11, s10, 0x200
	v_mul_f64 v[46:47], v[68:69], v[40:41]
	v_fma_f64 v[30:31], v[50:51], v[48:49], -v[30:31]
	v_fmac_f64_e32 v[32:33], v[52:53], v[48:49]
	v_fma_f64 v[46:47], v[66:67], v[38:39], -v[46:47]
	v_mul_f64 v[48:49], v[66:67], v[40:41]
	s_add_i32 s12, s4, s11
	v_fmac_f64_e32 v[48:49], v[68:69], v[38:39]
	v_add_f64 v[46:47], v[42:43], -v[46:47]
	s_waitcnt lgkmcnt(1)
	v_mul_f64 v[42:43], v[60:61], v[36:37]
	v_mov_b32_e32 v74, s12
	v_add_f64 v[48:49], v[44:45], -v[48:49]
	v_fma_f64 v[50:51], v[58:59], v[34:35], -v[42:43]
	ds_read_b128 v[42:45], v74 offset:48
	v_mul_f64 v[52:53], v[58:59], v[36:37]
	v_fmac_f64_e32 v[52:53], v[60:61], v[34:35]
	v_add_f64 v[46:47], v[46:47], -v[50:51]
	v_add_f64 v[48:49], v[48:49], -v[52:53]
	s_waitcnt lgkmcnt(0)
	v_mul_f64 v[50:51], v[44:45], v[32:33]
	v_fma_f64 v[58:59], v[42:43], v[30:31], -v[50:51]
	ds_read_b128 v[50:53], v72 offset:816
	v_add_f64 v[76:77], v[46:47], -v[58:59]
	ds_read_b128 v[58:61], v72 offset:64
	v_mul_f64 v[42:43], v[42:43], v[32:33]
	v_fmac_f64_e32 v[42:43], v[44:45], v[30:31]
	v_add_f64 v[44:45], v[48:49], -v[42:43]
	ds_read_b128 v[46:49], v72 offset:1088
	s_waitcnt lgkmcnt(2)
	v_mul_f64 v[42:43], v[52:53], v[44:45]
	v_mul_f64 v[44:45], v[50:51], v[44:45]
	ds_read_b128 v[66:69], v74 offset:64
	v_fma_f64 v[42:43], v[50:51], v[76:77], -v[42:43]
	v_fmac_f64_e32 v[44:45], v[52:53], v[76:77]
	ds_read_b128 v[50:53], v72 offset:80
	s_waitcnt lgkmcnt(3)
	v_mul_f64 v[76:77], v[60:61], v[40:41]
	v_fma_f64 v[76:77], v[58:59], v[38:39], -v[76:77]
	v_mul_f64 v[58:59], v[58:59], v[40:41]
	v_fmac_f64_e32 v[58:59], v[60:61], v[38:39]
	v_add_f64 v[60:61], v[54:55], -v[76:77]
	v_mul_f64 v[76:77], v[64:65], v[36:37]
	s_or_b32 s12, s10, 0x300
	v_fma_f64 v[76:77], v[62:63], v[34:35], -v[76:77]
	v_mul_f64 v[62:63], v[62:63], v[36:37]
	v_add_f64 v[58:59], v[56:57], -v[58:59]
	v_fmac_f64_e32 v[62:63], v[64:65], v[34:35]
	s_add_i32 s14, s4, s12
	ds_read_b128 v[54:57], v73 offset:80
	v_add_f64 v[62:63], v[58:59], -v[62:63]
	s_waitcnt lgkmcnt(2)
	v_mul_f64 v[58:59], v[68:69], v[32:33]
	v_mov_b32_e32 v75, s14
	v_add_f64 v[64:65], v[60:61], -v[76:77]
	v_fma_f64 v[76:77], v[66:67], v[30:31], -v[58:59]
	ds_read_b128 v[58:61], v75 offset:64
	v_mul_f64 v[78:79], v[66:67], v[32:33]
	v_fmac_f64_e32 v[78:79], v[68:69], v[30:31]
	v_add_f64 v[66:67], v[64:65], -v[76:77]
	v_add_f64 v[68:69], v[62:63], -v[78:79]
	ds_read_b128 v[62:65], v74 offset:176
	s_waitcnt lgkmcnt(1)
	v_mul_f64 v[76:77], v[60:61], v[44:45]
	v_fma_f64 v[76:77], v[58:59], v[42:43], -v[76:77]
	v_mul_f64 v[58:59], v[58:59], v[44:45]
	v_fmac_f64_e32 v[58:59], v[60:61], v[42:43]
	v_add_f64 v[60:61], v[68:69], -v[58:59]
	v_add_f64 v[66:67], v[66:67], -v[76:77]
	v_mul_f64 v[58:59], v[48:49], v[60:61]
	v_fma_f64 v[58:59], v[46:47], v[66:67], -v[58:59]
	v_mul_f64 v[60:61], v[46:47], v[60:61]
	v_mul_f64 v[46:47], v[52:53], v[40:41]
	v_fmac_f64_e32 v[60:61], v[48:49], v[66:67]
	v_fma_f64 v[46:47], v[50:51], v[38:39], -v[46:47]
	v_mul_f64 v[48:49], v[50:51], v[40:41]
	v_fmac_f64_e32 v[48:49], v[52:53], v[38:39]
	v_add_f64 v[46:47], v[26:27], -v[46:47]
	v_mul_f64 v[26:27], v[56:57], v[36:37]
	ds_read_b128 v[66:69], v72 offset:96
	ds_read_b128 v[76:79], v72 offset:112
	v_add_f64 v[48:49], v[28:29], -v[48:49]
	v_fma_f64 v[50:51], v[54:55], v[34:35], -v[26:27]
	ds_read_b128 v[26:29], v74 offset:80
	v_mul_f64 v[52:53], v[54:55], v[36:37]
	v_fmac_f64_e32 v[52:53], v[56:57], v[34:35]
	v_add_f64 v[54:55], v[46:47], -v[50:51]
	v_add_f64 v[56:57], v[48:49], -v[52:53]
	ds_read_b128 v[50:53], v74 offset:96
	s_waitcnt lgkmcnt(1)
	v_mul_f64 v[46:47], v[28:29], v[32:33]
	v_fma_f64 v[80:81], v[26:27], v[30:31], -v[46:47]
	ds_read_b128 v[46:49], v75 offset:80
	s_or_b32 s14, s10, 0x400
	v_mul_f64 v[26:27], v[26:27], v[32:33]
	v_fmac_f64_e32 v[26:27], v[28:29], v[30:31]
	s_add_i32 s15, s4, s14
	v_add_f64 v[80:81], v[54:55], -v[80:81]
	v_add_f64 v[82:83], v[56:57], -v[26:27]
	ds_read_b128 v[54:57], v75 offset:96
	s_waitcnt lgkmcnt(1)
	v_mul_f64 v[26:27], v[48:49], v[44:45]
	v_mov_b32_e32 v122, s15
	v_fma_f64 v[84:85], v[46:47], v[42:43], -v[26:27]
	ds_read_b128 v[26:29], v122 offset:80
	v_mul_f64 v[46:47], v[46:47], v[44:45]
	v_fmac_f64_e32 v[46:47], v[48:49], v[42:43]
	v_add_f64 v[84:85], v[80:81], -v[84:85]
	v_add_f64 v[86:87], v[82:83], -v[46:47]
	ds_read_b128 v[46:49], v75 offset:176
	s_waitcnt lgkmcnt(1)
	v_mul_f64 v[80:81], v[28:29], v[60:61]
	v_fma_f64 v[88:89], v[26:27], v[58:59], -v[80:81]
	ds_read_b128 v[80:83], v72 offset:1360
	v_mul_f64 v[26:27], v[26:27], v[60:61]
	v_fmac_f64_e32 v[26:27], v[28:29], v[58:59]
	v_add_f64 v[28:29], v[86:87], -v[26:27]
	v_add_f64 v[88:89], v[84:85], -v[88:89]
	ds_read_b128 v[84:87], v72 offset:1632
	s_waitcnt lgkmcnt(1)
	v_mul_f64 v[26:27], v[82:83], v[28:29]
	v_mul_f64 v[28:29], v[80:81], v[28:29]
	v_fma_f64 v[26:27], v[80:81], v[88:89], -v[26:27]
	v_fmac_f64_e32 v[28:29], v[82:83], v[88:89]
	ds_read_b128 v[80:83], v73 offset:96
	v_mul_f64 v[88:89], v[68:69], v[40:41]
	v_fma_f64 v[88:89], v[66:67], v[38:39], -v[88:89]
	v_mul_f64 v[66:67], v[66:67], v[40:41]
	v_fmac_f64_e32 v[66:67], v[68:69], v[38:39]
	v_add_f64 v[88:89], v[22:23], -v[88:89]
	v_add_f64 v[90:91], v[24:25], -v[66:67]
	ds_read_b128 v[66:69], v73 offset:112
	s_waitcnt lgkmcnt(1)
	v_mul_f64 v[22:23], v[82:83], v[36:37]
	v_fma_f64 v[92:93], v[80:81], v[34:35], -v[22:23]
	v_mul_f64 v[22:23], v[52:53], v[32:33]
	v_fma_f64 v[96:97], v[50:51], v[30:31], -v[22:23]
	;; [unrolled: 2-line block ×3, first 2 shown]
	ds_read_b128 v[22:25], v122 offset:96
	s_or_b32 s15, s10, 0x500
	s_add_i32 s16, s4, s15
	v_mul_f64 v[98:99], v[50:51], v[32:33]
	v_mul_f64 v[102:103], v[54:55], v[44:45]
	v_mov_b32_e32 v123, s16
	v_fmac_f64_e32 v[98:99], v[52:53], v[30:31]
	v_fmac_f64_e32 v[102:103], v[56:57], v[42:43]
	ds_read_b128 v[50:53], v123 offset:96
	ds_read_b128 v[54:57], v122 offset:112
	v_mul_f64 v[94:95], v[80:81], v[36:37]
	s_waitcnt lgkmcnt(2)
	v_mul_f64 v[80:81], v[24:25], v[60:61]
	v_fma_f64 v[104:105], v[22:23], v[58:59], -v[80:81]
	v_mul_f64 v[22:23], v[22:23], v[60:61]
	v_fmac_f64_e32 v[22:23], v[24:25], v[58:59]
	s_waitcnt lgkmcnt(1)
	v_mul_f64 v[24:25], v[52:53], v[28:29]
	v_fmac_f64_e32 v[94:95], v[82:83], v[34:35]
	v_fma_f64 v[24:25], v[50:51], v[26:27], -v[24:25]
	v_mul_f64 v[50:51], v[50:51], v[28:29]
	v_fmac_f64_e32 v[50:51], v[52:53], v[26:27]
	v_add_f64 v[52:53], v[88:89], -v[92:93]
	v_add_f64 v[88:89], v[90:91], -v[94:95]
	;; [unrolled: 1-line block ×10, first 2 shown]
	v_mul_f64 v[22:23], v[86:87], v[24:25]
	v_mul_f64 v[24:25], v[84:85], v[24:25]
	ds_read_b128 v[50:53], v74 offset:112
	v_fma_f64 v[22:23], v[84:85], v[88:89], -v[22:23]
	v_fmac_f64_e32 v[24:25], v[86:87], v[88:89]
	v_mul_f64 v[84:85], v[78:79], v[40:41]
	v_mul_f64 v[86:87], v[76:77], v[40:41]
	v_fma_f64 v[84:85], v[76:77], v[38:39], -v[84:85]
	v_fmac_f64_e32 v[86:87], v[78:79], v[38:39]
	ds_read_b128 v[76:79], v75 offset:112
	v_add_f64 v[18:19], v[18:19], -v[84:85]
	v_mul_f64 v[84:85], v[68:69], v[36:37]
	v_fma_f64 v[84:85], v[66:67], v[34:35], -v[84:85]
	v_add_f64 v[18:19], v[18:19], -v[84:85]
	s_waitcnt lgkmcnt(1)
	v_mul_f64 v[84:85], v[52:53], v[32:33]
	v_mul_f64 v[66:67], v[66:67], v[36:37]
	v_fma_f64 v[84:85], v[50:51], v[30:31], -v[84:85]
	ds_read_b128 v[80:83], v123 offset:112
	v_add_f64 v[20:21], v[20:21], -v[86:87]
	v_fmac_f64_e32 v[66:67], v[68:69], v[34:35]
	v_mul_f64 v[50:51], v[50:51], v[32:33]
	v_add_f64 v[18:19], v[18:19], -v[84:85]
	s_waitcnt lgkmcnt(1)
	v_mul_f64 v[84:85], v[78:79], v[44:45]
	v_add_f64 v[20:21], v[20:21], -v[66:67]
	v_fmac_f64_e32 v[50:51], v[52:53], v[30:31]
	v_fma_f64 v[84:85], v[76:77], v[42:43], -v[84:85]
	v_mul_f64 v[76:77], v[76:77], v[44:45]
	v_add_f64 v[20:21], v[20:21], -v[50:51]
	v_fmac_f64_e32 v[76:77], v[78:79], v[42:43]
	s_or_b32 s16, s10, 0x600
	v_add_f64 v[20:21], v[20:21], -v[76:77]
	v_mul_f64 v[76:77], v[56:57], v[60:61]
	v_add_f64 v[18:19], v[18:19], -v[84:85]
	v_fma_f64 v[76:77], v[54:55], v[58:59], -v[76:77]
	v_mul_f64 v[54:55], v[54:55], v[60:61]
	s_add_i32 s17, s4, s16
	v_fmac_f64_e32 v[54:55], v[56:57], v[58:59]
	v_add_f64 v[56:57], v[18:19], -v[76:77]
	s_waitcnt lgkmcnt(0)
	v_mul_f64 v[18:19], v[82:83], v[28:29]
	v_mov_b32_e32 v118, s17
	ds_read_b128 v[50:53], v75 offset:128
	v_add_f64 v[54:55], v[20:21], -v[54:55]
	v_fma_f64 v[76:77], v[80:81], v[26:27], -v[18:19]
	ds_read_b128 v[18:21], v118 offset:112
	v_mul_f64 v[78:79], v[80:81], v[28:29]
	v_fmac_f64_e32 v[78:79], v[82:83], v[26:27]
	v_add_f64 v[80:81], v[56:57], -v[76:77]
	ds_read_b128 v[66:69], v74 offset:128
	s_waitcnt lgkmcnt(1)
	v_mul_f64 v[76:77], v[20:21], v[24:25]
	v_add_f64 v[82:83], v[54:55], -v[78:79]
	v_fma_f64 v[84:85], v[18:19], v[22:23], -v[76:77]
	v_mul_f64 v[18:19], v[18:19], v[24:25]
	ds_read_b128 v[76:79], v72 offset:1904
	v_fmac_f64_e32 v[18:19], v[20:21], v[22:23]
	ds_read_b128 v[54:57], v118 offset:128
	v_add_f64 v[88:89], v[80:81], -v[84:85]
	v_add_f64 v[20:21], v[82:83], -v[18:19]
	ds_read_b128 v[80:83], v72 offset:128
	ds_read_b128 v[84:87], v72 offset:2176
	s_waitcnt lgkmcnt(3)
	v_mul_f64 v[18:19], v[78:79], v[20:21]
	v_mul_f64 v[20:21], v[76:77], v[20:21]
	v_fma_f64 v[18:19], v[76:77], v[88:89], -v[18:19]
	v_fmac_f64_e32 v[20:21], v[78:79], v[88:89]
	s_waitcnt lgkmcnt(1)
	v_mul_f64 v[88:89], v[82:83], v[40:41]
	ds_read_b128 v[76:79], v72 offset:144
	v_fma_f64 v[92:93], v[80:81], v[38:39], -v[88:89]
	ds_read_b128 v[88:91], v73 offset:128
	v_mul_f64 v[80:81], v[80:81], v[40:41]
	v_add_f64 v[92:93], v[14:15], -v[92:93]
	v_fmac_f64_e32 v[80:81], v[82:83], v[38:39]
	v_add_f64 v[94:95], v[16:17], -v[80:81]
	s_waitcnt lgkmcnt(0)
	v_mul_f64 v[14:15], v[90:91], v[36:37]
	v_fma_f64 v[96:97], v[88:89], v[34:35], -v[14:15]
	v_mul_f64 v[14:15], v[68:69], v[32:33]
	ds_read_b128 v[80:83], v73 offset:144
	v_fma_f64 v[100:101], v[66:67], v[30:31], -v[14:15]
	ds_read_b128 v[14:17], v122 offset:128
	v_mul_f64 v[102:103], v[66:67], v[32:33]
	v_mul_f64 v[66:67], v[52:53], v[44:45]
	;; [unrolled: 1-line block ×3, first 2 shown]
	v_fmac_f64_e32 v[102:103], v[68:69], v[30:31]
	v_fma_f64 v[104:105], v[50:51], v[42:43], -v[66:67]
	v_fmac_f64_e32 v[106:107], v[52:53], v[42:43]
	ds_read_b128 v[50:53], v123 offset:128
	ds_read_b128 v[66:69], v122 offset:144
	s_or_b32 s17, s10, 0x700
	v_mul_f64 v[98:99], v[88:89], v[36:37]
	s_waitcnt lgkmcnt(2)
	v_mul_f64 v[88:89], v[16:17], v[60:61]
	s_add_i32 s18, s4, s17
	v_fma_f64 v[108:109], v[14:15], v[58:59], -v[88:89]
	v_mul_f64 v[110:111], v[14:15], v[60:61]
	s_waitcnt lgkmcnt(1)
	v_mul_f64 v[14:15], v[52:53], v[28:29]
	v_mov_b32_e32 v119, s18
	v_fmac_f64_e32 v[98:99], v[90:91], v[34:35]
	v_fmac_f64_e32 v[110:111], v[16:17], v[58:59]
	ds_read_b128 v[88:91], v123 offset:144
	v_fma_f64 v[112:113], v[50:51], v[26:27], -v[14:15]
	ds_read_b128 v[14:17], v119 offset:128
	v_mul_f64 v[114:115], v[50:51], v[28:29]
	v_mul_f64 v[50:51], v[56:57], v[24:25]
	v_fma_f64 v[116:117], v[54:55], v[22:23], -v[50:51]
	v_mul_f64 v[54:55], v[54:55], v[24:25]
	v_fmac_f64_e32 v[54:55], v[56:57], v[22:23]
	s_waitcnt lgkmcnt(0)
	v_mul_f64 v[56:57], v[16:17], v[20:21]
	v_fma_f64 v[56:57], v[14:15], v[18:19], -v[56:57]
	v_mul_f64 v[14:15], v[14:15], v[20:21]
	v_fmac_f64_e32 v[14:15], v[16:17], v[18:19]
	v_add_f64 v[16:17], v[92:93], -v[96:97]
	v_add_f64 v[92:93], v[94:95], -v[98:99]
	;; [unrolled: 1-line block ×6, first 2 shown]
	v_fmac_f64_e32 v[114:115], v[52:53], v[26:27]
	v_add_f64 v[16:17], v[16:17], -v[108:109]
	v_add_f64 v[92:93], v[92:93], -v[110:111]
	;; [unrolled: 1-line block ×8, first 2 shown]
	v_mul_f64 v[14:15], v[86:87], v[16:17]
	v_mul_f64 v[16:17], v[84:85], v[16:17]
	;; [unrolled: 1-line block ×3, first 2 shown]
	ds_read_b128 v[50:53], v118 offset:176
	v_fma_f64 v[14:15], v[84:85], v[56:57], -v[14:15]
	v_fmac_f64_e32 v[16:17], v[86:87], v[56:57]
	v_fma_f64 v[84:85], v[76:77], v[38:39], -v[54:55]
	v_mul_f64 v[76:77], v[76:77], v[40:41]
	ds_read_b128 v[54:57], v74 offset:144
	v_fmac_f64_e32 v[76:77], v[78:79], v[38:39]
	v_add_f64 v[92:93], v[10:11], -v[84:85]
	v_mul_f64 v[10:11], v[82:83], v[36:37]
	v_add_f64 v[94:95], v[12:13], -v[76:77]
	v_fma_f64 v[96:97], v[80:81], v[34:35], -v[10:11]
	ds_read_b128 v[10:13], v75 offset:144
	ds_read_b128 v[76:79], v74 offset:160
	v_mul_f64 v[98:99], v[80:81], v[36:37]
	s_waitcnt lgkmcnt(2)
	v_mul_f64 v[80:81], v[56:57], v[32:33]
	v_mul_f64 v[102:103], v[54:55], v[32:33]
	v_fmac_f64_e32 v[98:99], v[82:83], v[34:35]
	v_fma_f64 v[100:101], v[54:55], v[30:31], -v[80:81]
	v_fmac_f64_e32 v[102:103], v[56:57], v[30:31]
	ds_read_b128 v[54:57], v75 offset:160
	ds_read_b128 v[80:83], v119 offset:144
	s_waitcnt lgkmcnt(3)
	v_mul_f64 v[74:75], v[12:13], v[44:45]
	v_fma_f64 v[74:75], v[10:11], v[42:43], -v[74:75]
	v_mul_f64 v[104:105], v[10:11], v[44:45]
	v_mul_f64 v[10:11], v[68:69], v[60:61]
	v_fmac_f64_e32 v[104:105], v[12:13], v[42:43]
	v_fma_f64 v[106:107], v[66:67], v[58:59], -v[10:11]
	ds_read_b128 v[10:13], v118 offset:144
	s_bitset1_b32 s10, 11
	v_mul_f64 v[108:109], v[66:67], v[60:61]
	v_mul_f64 v[66:67], v[90:91], v[28:29]
	s_add_i32 s18, s4, s10
	v_fmac_f64_e32 v[108:109], v[68:69], v[58:59]
	v_fma_f64 v[110:111], v[88:89], v[26:27], -v[66:67]
	v_mul_f64 v[88:89], v[88:89], v[28:29]
	ds_read_b128 v[66:69], v118 offset:160
	s_waitcnt lgkmcnt(1)
	v_mul_f64 v[84:85], v[12:13], v[24:25]
	v_mov_b32_e32 v124, s18
	v_fmac_f64_e32 v[88:89], v[90:91], v[26:27]
	v_fma_f64 v[90:91], v[10:11], v[22:23], -v[84:85]
	ds_read_b128 v[84:87], v124 offset:144
	v_mul_f64 v[112:113], v[10:11], v[24:25]
	v_mul_f64 v[114:115], v[82:83], v[20:21]
	;; [unrolled: 1-line block ×3, first 2 shown]
	v_fmac_f64_e32 v[112:113], v[12:13], v[22:23]
	ds_read_b128 v[10:13], v119 offset:160
	v_fma_f64 v[114:115], v[80:81], v[18:19], -v[114:115]
	v_fmac_f64_e32 v[116:117], v[82:83], v[18:19]
	ds_read_b128 v[80:83], v119 offset:176
	s_waitcnt lgkmcnt(2)
	v_mul_f64 v[118:119], v[86:87], v[16:17]
	v_mul_f64 v[120:121], v[84:85], v[16:17]
	v_fma_f64 v[118:119], v[84:85], v[14:15], -v[118:119]
	v_fmac_f64_e32 v[120:121], v[86:87], v[14:15]
	v_add_f64 v[84:85], v[92:93], -v[96:97]
	v_add_f64 v[86:87], v[94:95], -v[98:99]
	;; [unrolled: 1-line block ×7, first 2 shown]
	s_or_b32 s18, s6, 9
	v_add_f64 v[84:85], v[84:85], -v[88:89]
	s_mul_i32 s19, s18, 0x110
	v_add_f64 v[88:89], v[84:85], -v[112:113]
	v_mov_b32_e32 v84, s19
	ds_read_b128 v[84:87], v84
	v_add_f64 v[74:75], v[74:75], -v[106:107]
	v_add_f64 v[74:75], v[74:75], -v[110:111]
	s_lshl_b32 s18, s18, 8
	v_add_f64 v[74:75], v[74:75], -v[90:91]
	v_add_f64 v[88:89], v[88:89], -v[116:117]
	s_add_i32 s19, s4, s18
	v_add_f64 v[74:75], v[74:75], -v[114:115]
	v_add_f64 v[98:99], v[88:89], -v[120:121]
	v_mov_b32_e32 v125, s19
	v_add_f64 v[74:75], v[74:75], -v[118:119]
	ds_read_b128 v[88:91], v125 offset:160
	s_waitcnt lgkmcnt(1)
	v_mul_f64 v[96:97], v[86:87], v[98:99]
	ds_read_b128 v[92:95], v72 offset:160
	v_mul_f64 v[98:99], v[84:85], v[98:99]
	v_fma_f64 v[96:97], v[84:85], v[74:75], -v[96:97]
	v_fmac_f64_e32 v[98:99], v[86:87], v[74:75]
	ds_read_b128 v[84:87], v72 offset:176
	s_waitcnt lgkmcnt(1)
	v_mul_f64 v[74:75], v[94:95], v[40:41]
	v_fma_f64 v[74:75], v[92:93], v[38:39], -v[74:75]
	v_mul_f64 v[100:101], v[92:93], v[40:41]
	v_fmac_f64_e32 v[100:101], v[94:95], v[38:39]
	s_waitcnt lgkmcnt(0)
	v_mul_f64 v[92:93], v[86:87], v[40:41]
	v_fma_f64 v[102:103], v[84:85], v[38:39], -v[92:93]
	ds_read_b128 v[92:95], v73 offset:160
	v_mul_f64 v[84:85], v[84:85], v[40:41]
	v_fmac_f64_e32 v[84:85], v[86:87], v[38:39]
	ds_write_b128 v71, v[38:41]
	v_add_f64 v[86:87], v[6:7], -v[74:75]
	v_add_f64 v[100:101], v[8:9], -v[100:101]
	ds_read_b128 v[6:9], v73 offset:176
	s_waitcnt lgkmcnt(2)
	v_mul_f64 v[38:39], v[94:95], v[36:37]
	v_fma_f64 v[104:105], v[92:93], v[34:35], -v[38:39]
	v_mul_f64 v[92:93], v[92:93], v[36:37]
	v_mul_f64 v[38:39], v[78:79], v[32:33]
	v_fmac_f64_e32 v[92:93], v[94:95], v[34:35]
	v_fma_f64 v[94:95], v[76:77], v[30:31], -v[38:39]
	v_mul_f64 v[76:77], v[76:77], v[32:33]
	v_mul_f64 v[72:73], v[56:57], v[44:45]
	;; [unrolled: 1-line block ×3, first 2 shown]
	v_fmac_f64_e32 v[76:77], v[78:79], v[30:31]
	ds_read_b128 v[38:41], v122 offset:160
	v_fma_f64 v[78:79], v[54:55], v[42:43], -v[72:73]
	v_fmac_f64_e32 v[106:107], v[56:57], v[42:43]
	ds_read_b128 v[54:57], v123 offset:160
	ds_read_b128 v[72:75], v122 offset:176
	v_mul_f64 v[118:119], v[10:11], v[20:21]
	v_fmac_f64_e32 v[118:119], v[12:13], v[18:19]
	s_waitcnt lgkmcnt(2)
	v_mul_f64 v[108:109], v[40:41], v[60:61]
	s_waitcnt lgkmcnt(1)
	v_mul_f64 v[112:113], v[56:57], v[28:29]
	v_fma_f64 v[112:113], v[54:55], v[26:27], -v[112:113]
	v_mul_f64 v[114:115], v[54:55], v[28:29]
	v_mul_f64 v[54:55], v[68:69], v[24:25]
	v_fmac_f64_e32 v[114:115], v[56:57], v[26:27]
	v_fma_f64 v[116:117], v[66:67], v[22:23], -v[54:55]
	ds_read_b128 v[54:57], v124 offset:160
	v_mul_f64 v[66:67], v[66:67], v[24:25]
	v_fmac_f64_e32 v[66:67], v[68:69], v[22:23]
	v_mul_f64 v[68:69], v[12:13], v[20:21]
	v_fma_f64 v[68:69], v[10:11], v[18:19], -v[68:69]
	ds_read_b128 v[10:13], v124 offset:176
	s_waitcnt lgkmcnt(1)
	v_mul_f64 v[120:121], v[56:57], v[16:17]
	v_fma_f64 v[120:121], v[54:55], v[14:15], -v[120:121]
	v_mul_f64 v[54:55], v[54:55], v[16:17]
	v_fmac_f64_e32 v[54:55], v[56:57], v[14:15]
	v_add_f64 v[56:57], v[86:87], -v[104:105]
	v_add_f64 v[56:57], v[56:57], -v[94:95]
	v_fma_f64 v[108:109], v[38:39], v[58:59], -v[108:109]
	v_add_f64 v[56:57], v[56:57], -v[78:79]
	v_add_f64 v[86:87], v[100:101], -v[92:93]
	v_add_f64 v[56:57], v[56:57], -v[108:109]
	v_add_f64 v[76:77], v[86:87], -v[76:77]
	v_add_f64 v[56:57], v[56:57], -v[112:113]
	v_mul_f64 v[86:87], v[6:7], v[36:37]
	v_mul_f64 v[78:79], v[8:9], v[36:37]
	v_fmac_f64_e32 v[86:87], v[8:9], v[34:35]
	v_add_f64 v[8:9], v[56:57], -v[116:117]
	v_add_u32_e32 v56, s5, v1
	v_mul_f64 v[110:111], v[38:39], v[60:61]
	v_fma_f64 v[78:79], v[6:7], v[34:35], -v[78:79]
	ds_write_b128 v56, v[34:37]
	v_add_u32_e32 v34, s11, v1
	v_fmac_f64_e32 v[110:111], v[40:41], v[58:59]
	v_add_f64 v[76:77], v[76:77], -v[106:107]
	ds_write_b128 v34, v[30:33]
	v_add_u32_e32 v34, s12, v1
	v_add_f64 v[76:77], v[76:77], -v[110:111]
	ds_write_b128 v34, v[42:45]
	v_add_u32_e32 v34, s14, v1
	;; [unrolled: 3-line block ×5, first 2 shown]
	s_or_b32 s5, s6, 10
	ds_write_b128 v34, v[18:21]
	v_add_u32_e32 v34, s10, v1
	v_add_f64 v[36:37], v[6:7], -v[54:55]
	v_mul_f64 v[6:7], v[90:91], v[98:99]
	s_mul_i32 s10, s5, 0x110
	v_add_f64 v[8:9], v[8:9], -v[68:69]
	v_fma_f64 v[54:55], v[88:89], v[96:97], -v[6:7]
	v_mov_b32_e32 v6, s10
	ds_read_b128 v[38:41], v123 offset:176
	ds_write_b128 v34, v[14:17]
	v_add_f64 v[34:35], v[8:9], -v[120:121]
	ds_read_b128 v[6:9], v6
	v_mul_f64 v[56:57], v[88:89], v[98:99]
	v_fmac_f64_e32 v[56:57], v[90:91], v[96:97]
	v_add_u32_e32 v66, s18, v1
	v_add_f64 v[56:57], v[36:37], -v[56:57]
	ds_write_b128 v66, v[96:99]
	v_add_f64 v[66:67], v[34:35], -v[54:55]
	s_waitcnt lgkmcnt(1)
	v_mul_f64 v[54:55], v[8:9], v[56:57]
	v_mul_f64 v[56:57], v[6:7], v[56:57]
	s_lshl_b32 s5, s5, 8
	v_fma_f64 v[54:55], v[6:7], v[66:67], -v[54:55]
	v_fmac_f64_e32 v[56:57], v[8:9], v[66:67]
	v_add_u32_e32 v6, s5, v1
	ds_write_b128 v6, v[54:57]
	v_add_f64 v[2:3], v[2:3], -v[102:103]
	v_add_f64 v[4:5], v[4:5], -v[84:85]
	v_mul_f64 v[6:7], v[64:65], v[32:33]
	v_mul_f64 v[8:9], v[62:63], v[32:33]
	v_add_f64 v[2:3], v[2:3], -v[78:79]
	v_add_f64 v[4:5], v[4:5], -v[86:87]
	v_fma_f64 v[6:7], v[62:63], v[30:31], -v[6:7]
	v_fmac_f64_e32 v[8:9], v[64:65], v[30:31]
	v_add_f64 v[2:3], v[2:3], -v[6:7]
	v_add_f64 v[4:5], v[4:5], -v[8:9]
	v_mul_f64 v[6:7], v[48:49], v[44:45]
	v_mul_f64 v[8:9], v[46:47], v[44:45]
	v_fma_f64 v[6:7], v[46:47], v[42:43], -v[6:7]
	v_fmac_f64_e32 v[8:9], v[48:49], v[42:43]
	v_add_f64 v[2:3], v[2:3], -v[6:7]
	v_add_f64 v[4:5], v[4:5], -v[8:9]
	v_mul_f64 v[6:7], v[74:75], v[60:61]
	v_mul_f64 v[8:9], v[72:73], v[60:61]
	;; [unrolled: 6-line block ×4, first 2 shown]
	ds_read_b128 v[34:37], v125 offset:176
	v_fma_f64 v[6:7], v[50:51], v[22:23], -v[6:7]
	v_fmac_f64_e32 v[8:9], v[52:53], v[22:23]
	v_add_f64 v[2:3], v[2:3], -v[6:7]
	v_add_f64 v[4:5], v[4:5], -v[8:9]
	v_mul_f64 v[6:7], v[82:83], v[20:21]
	v_mul_f64 v[8:9], v[80:81], v[20:21]
	v_fma_f64 v[6:7], v[80:81], v[18:19], -v[6:7]
	v_fmac_f64_e32 v[8:9], v[82:83], v[18:19]
	v_add_f64 v[2:3], v[2:3], -v[6:7]
	v_add_f64 v[4:5], v[4:5], -v[8:9]
	v_mul_f64 v[6:7], v[12:13], v[16:17]
	v_mul_f64 v[8:9], v[10:11], v[16:17]
	v_fma_f64 v[6:7], v[10:11], v[14:15], -v[6:7]
	v_fmac_f64_e32 v[8:9], v[12:13], v[14:15]
	v_add_f64 v[2:3], v[2:3], -v[6:7]
	v_add_f64 v[6:7], v[4:5], -v[8:9]
	s_waitcnt lgkmcnt(0)
	v_mul_f64 v[4:5], v[36:37], v[98:99]
	v_fma_f64 v[4:5], v[34:35], v[96:97], -v[4:5]
	s_add_i32 s4, s4, s5
	v_add_f64 v[10:11], v[2:3], -v[4:5]
	v_mov_b32_e32 v2, s4
	ds_read_b128 v[2:5], v2 offset:176
	v_mul_f64 v[8:9], v[34:35], v[98:99]
	v_fmac_f64_e32 v[8:9], v[36:37], v[96:97]
	s_mul_i32 s4, s7, 0x110
	v_add_f64 v[12:13], v[6:7], -v[8:9]
	v_mov_b32_e32 v6, s4
	ds_read_b128 v[6:9], v6
	s_waitcnt lgkmcnt(1)
	v_mul_f64 v[14:15], v[4:5], v[56:57]
	v_fma_f64 v[14:15], v[2:3], v[54:55], -v[14:15]
	v_mul_f64 v[2:3], v[2:3], v[56:57]
	v_fmac_f64_e32 v[2:3], v[4:5], v[54:55]
	v_add_f64 v[4:5], v[12:13], -v[2:3]
	v_add_f64 v[10:11], v[10:11], -v[14:15]
	s_waitcnt lgkmcnt(0)
	v_mul_f64 v[2:3], v[8:9], v[4:5]
	v_mul_f64 v[4:5], v[6:7], v[4:5]
	s_or_b32 s6, s6, 12
	v_fma_f64 v[2:3], v[6:7], v[10:11], -v[2:3]
	v_fmac_f64_e32 v[4:5], v[8:9], v[10:11]
	ds_write_b128 v70, v[2:5]
.LBB216_46:
	s_cmp_ge_i32 s6, s24
	s_cbranch_scc1 .LBB216_51
; %bb.47:
	v_mov_b32_e32 v2, 0x1000
	s_lshl_b32 s4, s6, 4
	v_lshl_or_b32 v6, v0, 4, v2
	s_branch .LBB216_49
.LBB216_48:                             ;   in Loop: Header=BB216_49 Depth=1
	s_lshl_b32 s7, s6, 4
	s_add_i32 s5, s7, s5
	v_mov_b32_e32 v8, s5
	ds_read_b128 v[8:11], v8
	s_add_i32 s6, s6, 1
	s_add_i32 s4, s4, 16
	s_cmp_ge_i32 s6, s24
	s_waitcnt lgkmcnt(0)
	v_mul_f64 v[12:13], v[10:11], v[4:5]
	v_mul_f64 v[14:15], v[8:9], v[4:5]
	v_fma_f64 v[12:13], v[8:9], v[2:3], -v[12:13]
	v_fmac_f64_e32 v[14:15], v[10:11], v[2:3]
	ds_write_b128 v7, v[12:15]
	s_cbranch_scc1 .LBB216_51
.LBB216_49:                             ; =>This Loop Header: Depth=1
                                        ;     Child Loop BB216_50 Depth 2
	s_lshl_b32 s5, s6, 8
	v_add_u32_e32 v7, s5, v1
	ds_read_b128 v[2:5], v7
	s_cmp_eq_u32 s6, 0
	v_mov_b32_e32 v8, v6
	s_mov_b32 s7, s4
	s_mov_b32 s10, s6
	s_cbranch_scc1 .LBB216_48
.LBB216_50:                             ;   Parent Loop BB216_49 Depth=1
                                        ; =>  This Inner Loop Header: Depth=2
	v_mov_b32_e32 v9, s7
	ds_read_b128 v[10:13], v8
	ds_read_b128 v[14:17], v9
	s_add_i32 s10, s10, -1
	s_addk_i32 s7, 0x100
	v_add_u32_e32 v8, 0x100, v8
	s_cmp_lg_u32 s10, 0
	s_waitcnt lgkmcnt(0)
	v_mul_f64 v[18:19], v[12:13], v[16:17]
	v_mul_f64 v[16:17], v[10:11], v[16:17]
	v_fma_f64 v[10:11], v[10:11], v[14:15], -v[18:19]
	v_fmac_f64_e32 v[16:17], v[12:13], v[14:15]
	v_add_f64 v[2:3], v[2:3], -v[10:11]
	v_add_f64 v[4:5], v[4:5], -v[16:17]
	s_cbranch_scc1 .LBB216_50
	s_branch .LBB216_48
.LBB216_51:
	s_waitcnt lgkmcnt(0)
	; wave barrier
	s_and_saveexec_b64 s[4:5], s[0:1]
	s_cbranch_execz .LBB216_55
; %bb.52:
	s_andn2_b64 vcc, exec, s[8:9]
	s_cbranch_vccnz .LBB216_55
; %bb.53:
	v_mad_i64_i32 v[2:3], s[0:1], s13, v0, 0
	v_mov_b32_e32 v1, 0x1000
	v_lshl_add_u64 v[2:3], v[2:3], 4, s[2:3]
	v_lshl_or_b32 v0, v0, 4, v1
.LBB216_54:                             ; =>This Inner Loop Header: Depth=1
	ds_read2_b64 v[4:7], v0 offset1:1
	s_add_i32 s24, s24, -1
	v_add_u32_e32 v0, 0x100, v0
	s_cmp_lg_u32 s24, 0
	s_waitcnt lgkmcnt(0)
	flat_store_dwordx4 v[2:3], v[4:7]
	v_lshl_add_u64 v[2:3], v[2:3], 0, 16
	s_cbranch_scc1 .LBB216_54
.LBB216_55:
	s_endpgm
	.section	.rodata,"a",@progbits
	.p2align	6, 0x0
	.amdhsa_kernel _ZL38rocblas_trsm_small_left_device_sharedBILi16ELi16ELb1E19rocblas_complex_numIdES1_PKPKS1_PKPS1_Ev13rocblas_fill_18rocblas_operation_17rocblas_diagonal_iiT3_T4_lilT5_lili
		.amdhsa_group_segment_fixed_size 8192
		.amdhsa_private_segment_fixed_size 0
		.amdhsa_kernarg_size 368
		.amdhsa_user_sgpr_count 2
		.amdhsa_user_sgpr_dispatch_ptr 0
		.amdhsa_user_sgpr_queue_ptr 0
		.amdhsa_user_sgpr_kernarg_segment_ptr 1
		.amdhsa_user_sgpr_dispatch_id 0
		.amdhsa_user_sgpr_kernarg_preload_length 0
		.amdhsa_user_sgpr_kernarg_preload_offset 0
		.amdhsa_user_sgpr_private_segment_size 0
		.amdhsa_uses_dynamic_stack 0
		.amdhsa_enable_private_segment 0
		.amdhsa_system_sgpr_workgroup_id_x 1
		.amdhsa_system_sgpr_workgroup_id_y 0
		.amdhsa_system_sgpr_workgroup_id_z 1
		.amdhsa_system_sgpr_workgroup_info 0
		.amdhsa_system_vgpr_workitem_id 0
		.amdhsa_next_free_vgpr 126
		.amdhsa_next_free_sgpr 96
		.amdhsa_accum_offset 128
		.amdhsa_reserve_vcc 1
		.amdhsa_float_round_mode_32 0
		.amdhsa_float_round_mode_16_64 0
		.amdhsa_float_denorm_mode_32 3
		.amdhsa_float_denorm_mode_16_64 3
		.amdhsa_dx10_clamp 1
		.amdhsa_ieee_mode 1
		.amdhsa_fp16_overflow 0
		.amdhsa_tg_split 0
		.amdhsa_exception_fp_ieee_invalid_op 0
		.amdhsa_exception_fp_denorm_src 0
		.amdhsa_exception_fp_ieee_div_zero 0
		.amdhsa_exception_fp_ieee_overflow 0
		.amdhsa_exception_fp_ieee_underflow 0
		.amdhsa_exception_fp_ieee_inexact 0
		.amdhsa_exception_int_div_zero 0
	.end_amdhsa_kernel
	.section	.text._ZL38rocblas_trsm_small_left_device_sharedBILi16ELi16ELb1E19rocblas_complex_numIdES1_PKPKS1_PKPS1_Ev13rocblas_fill_18rocblas_operation_17rocblas_diagonal_iiT3_T4_lilT5_lili,"axG",@progbits,_ZL38rocblas_trsm_small_left_device_sharedBILi16ELi16ELb1E19rocblas_complex_numIdES1_PKPKS1_PKPS1_Ev13rocblas_fill_18rocblas_operation_17rocblas_diagonal_iiT3_T4_lilT5_lili,comdat
.Lfunc_end216:
	.size	_ZL38rocblas_trsm_small_left_device_sharedBILi16ELi16ELb1E19rocblas_complex_numIdES1_PKPKS1_PKPS1_Ev13rocblas_fill_18rocblas_operation_17rocblas_diagonal_iiT3_T4_lilT5_lili, .Lfunc_end216-_ZL38rocblas_trsm_small_left_device_sharedBILi16ELi16ELb1E19rocblas_complex_numIdES1_PKPKS1_PKPS1_Ev13rocblas_fill_18rocblas_operation_17rocblas_diagonal_iiT3_T4_lilT5_lili
                                        ; -- End function
	.set _ZL38rocblas_trsm_small_left_device_sharedBILi16ELi16ELb1E19rocblas_complex_numIdES1_PKPKS1_PKPS1_Ev13rocblas_fill_18rocblas_operation_17rocblas_diagonal_iiT3_T4_lilT5_lili.num_vgpr, 126
	.set _ZL38rocblas_trsm_small_left_device_sharedBILi16ELi16ELb1E19rocblas_complex_numIdES1_PKPKS1_PKPS1_Ev13rocblas_fill_18rocblas_operation_17rocblas_diagonal_iiT3_T4_lilT5_lili.num_agpr, 0
	.set _ZL38rocblas_trsm_small_left_device_sharedBILi16ELi16ELb1E19rocblas_complex_numIdES1_PKPKS1_PKPS1_Ev13rocblas_fill_18rocblas_operation_17rocblas_diagonal_iiT3_T4_lilT5_lili.numbered_sgpr, 28
	.set _ZL38rocblas_trsm_small_left_device_sharedBILi16ELi16ELb1E19rocblas_complex_numIdES1_PKPKS1_PKPS1_Ev13rocblas_fill_18rocblas_operation_17rocblas_diagonal_iiT3_T4_lilT5_lili.num_named_barrier, 0
	.set _ZL38rocblas_trsm_small_left_device_sharedBILi16ELi16ELb1E19rocblas_complex_numIdES1_PKPKS1_PKPS1_Ev13rocblas_fill_18rocblas_operation_17rocblas_diagonal_iiT3_T4_lilT5_lili.private_seg_size, 0
	.set _ZL38rocblas_trsm_small_left_device_sharedBILi16ELi16ELb1E19rocblas_complex_numIdES1_PKPKS1_PKPS1_Ev13rocblas_fill_18rocblas_operation_17rocblas_diagonal_iiT3_T4_lilT5_lili.uses_vcc, 1
	.set _ZL38rocblas_trsm_small_left_device_sharedBILi16ELi16ELb1E19rocblas_complex_numIdES1_PKPKS1_PKPS1_Ev13rocblas_fill_18rocblas_operation_17rocblas_diagonal_iiT3_T4_lilT5_lili.uses_flat_scratch, 0
	.set _ZL38rocblas_trsm_small_left_device_sharedBILi16ELi16ELb1E19rocblas_complex_numIdES1_PKPKS1_PKPS1_Ev13rocblas_fill_18rocblas_operation_17rocblas_diagonal_iiT3_T4_lilT5_lili.has_dyn_sized_stack, 0
	.set _ZL38rocblas_trsm_small_left_device_sharedBILi16ELi16ELb1E19rocblas_complex_numIdES1_PKPKS1_PKPS1_Ev13rocblas_fill_18rocblas_operation_17rocblas_diagonal_iiT3_T4_lilT5_lili.has_recursion, 0
	.set _ZL38rocblas_trsm_small_left_device_sharedBILi16ELi16ELb1E19rocblas_complex_numIdES1_PKPKS1_PKPS1_Ev13rocblas_fill_18rocblas_operation_17rocblas_diagonal_iiT3_T4_lilT5_lili.has_indirect_call, 0
	.section	.AMDGPU.csdata,"",@progbits
; Kernel info:
; codeLenInByte = 28544
; TotalNumSgprs: 34
; NumVgprs: 126
; NumAgprs: 0
; TotalNumVgprs: 126
; ScratchSize: 0
; MemoryBound: 0
; FloatMode: 240
; IeeeMode: 1
; LDSByteSize: 8192 bytes/workgroup (compile time only)
; SGPRBlocks: 12
; VGPRBlocks: 15
; NumSGPRsForWavesPerEU: 102
; NumVGPRsForWavesPerEU: 126
; AccumOffset: 128
; Occupancy: 4
; WaveLimiterHint : 0
; COMPUTE_PGM_RSRC2:SCRATCH_EN: 0
; COMPUTE_PGM_RSRC2:USER_SGPR: 2
; COMPUTE_PGM_RSRC2:TRAP_HANDLER: 0
; COMPUTE_PGM_RSRC2:TGID_X_EN: 1
; COMPUTE_PGM_RSRC2:TGID_Y_EN: 0
; COMPUTE_PGM_RSRC2:TGID_Z_EN: 1
; COMPUTE_PGM_RSRC2:TIDIG_COMP_CNT: 0
; COMPUTE_PGM_RSRC3_GFX90A:ACCUM_OFFSET: 31
; COMPUTE_PGM_RSRC3_GFX90A:TG_SPLIT: 0
	.section	.text._ZL30rocblas_trsm_small_left_deviceILi16ELi16ELb1E19rocblas_complex_numIdES1_PKPKS1_PKPS1_Ev13rocblas_fill_18rocblas_operation_17rocblas_diagonal_iiT3_T4_lilT5_lili,"axG",@progbits,_ZL30rocblas_trsm_small_left_deviceILi16ELi16ELb1E19rocblas_complex_numIdES1_PKPKS1_PKPS1_Ev13rocblas_fill_18rocblas_operation_17rocblas_diagonal_iiT3_T4_lilT5_lili,comdat
	.globl	_ZL30rocblas_trsm_small_left_deviceILi16ELi16ELb1E19rocblas_complex_numIdES1_PKPKS1_PKPS1_Ev13rocblas_fill_18rocblas_operation_17rocblas_diagonal_iiT3_T4_lilT5_lili ; -- Begin function _ZL30rocblas_trsm_small_left_deviceILi16ELi16ELb1E19rocblas_complex_numIdES1_PKPKS1_PKPS1_Ev13rocblas_fill_18rocblas_operation_17rocblas_diagonal_iiT3_T4_lilT5_lili
	.p2align	8
	.type	_ZL30rocblas_trsm_small_left_deviceILi16ELi16ELb1E19rocblas_complex_numIdES1_PKPKS1_PKPS1_Ev13rocblas_fill_18rocblas_operation_17rocblas_diagonal_iiT3_T4_lilT5_lili,@function
_ZL30rocblas_trsm_small_left_deviceILi16ELi16ELb1E19rocblas_complex_numIdES1_PKPKS1_PKPS1_Ev13rocblas_fill_18rocblas_operation_17rocblas_diagonal_iiT3_T4_lilT5_lili: ; @_ZL30rocblas_trsm_small_left_deviceILi16ELi16ELb1E19rocblas_complex_numIdES1_PKPKS1_PKPS1_Ev13rocblas_fill_18rocblas_operation_17rocblas_diagonal_iiT3_T4_lilT5_lili
; %bb.0:
	s_load_dwordx4 s[12:15], s[0:1], 0x4
	s_load_dwordx4 s[16:19], s[0:1], 0x48
	s_load_dwordx8 s[4:11], s[0:1], 0x18
	s_mov_b32 s20, s3
	s_mov_b32 s21, 0
	s_lshl_b64 s[22:23], s[20:21], 3
	s_waitcnt lgkmcnt(0)
	s_add_u32 s16, s16, s22
	s_addc_u32 s17, s17, s23
	s_load_dword s3, s[0:1], 0x70
	s_min_i32 s24, s14, 16
	s_load_dwordx2 s[16:17], s[16:17], 0x0
	v_cmp_gt_i32_e32 vcc, s24, v0
	s_and_saveexec_b64 s[20:21], vcc
	s_cbranch_execz .LBB217_11
; %bb.1:
	s_load_dword s26, s[0:1], 0x38
	v_lshlrev_b32_e32 v2, 4, v0
	v_mov_b32_e32 v3, 0
	v_mov_b32_e32 v1, v2
	s_waitcnt lgkmcnt(0)
	s_ashr_i32 s27, s26, 31
	s_cmpk_eq_i32 s12, 0x71
	s_cselect_b64 vcc, -1, 0
	s_add_u32 s8, s8, s22
	s_addc_u32 s9, s9, s23
	s_load_dwordx2 s[8:9], s[8:9], 0x0
	s_lshl_b64 s[10:11], s[10:11], 4
	s_waitcnt lgkmcnt(0)
	s_add_u32 s10, s8, s10
	s_addc_u32 s11, s9, s11
	s_lshl_b64 s[8:9], s[26:27], 4
	v_lshl_add_u64 v[4:5], s[10:11], 0, v[2:3]
	s_mov_b32 s10, s24
.LBB217_2:                              ; =>This Inner Loop Header: Depth=1
	flat_load_dwordx4 v[6:9], v[4:5]
	s_add_i32 s10, s10, -1
	v_lshl_add_u64 v[4:5], v[4:5], 0, s[8:9]
	s_cmp_eq_u32 s10, 0
	s_waitcnt vmcnt(0) lgkmcnt(0)
	v_xor_b32_e32 v3, 0x80000000, v9
	v_cndmask_b32_e32 v9, v9, v3, vcc
	ds_write_b128 v1, v[6:9]
	v_add_u32_e32 v1, 0x100, v1
	s_cbranch_scc0 .LBB217_2
; %bb.3:
	v_lshlrev_b32_e32 v1, 8, v0
	s_cmpk_lg_i32 s13, 0x84
	v_add_u32_e32 v1, v2, v1
	s_cbranch_scc0 .LBB217_9
; %bb.4:
	ds_read_b128 v[2:5], v1
                                        ; implicit-def: $vgpr8_vgpr9
	s_waitcnt lgkmcnt(0)
	v_cmp_ngt_f64_e64 s[8:9], |v[2:3]|, |v[4:5]|
	s_and_saveexec_b64 s[10:11], s[8:9]
	s_xor_b64 s[8:9], exec, s[10:11]
	s_cbranch_execz .LBB217_6
; %bb.5:
	v_div_scale_f64 v[6:7], s[10:11], v[4:5], v[4:5], v[2:3]
	v_rcp_f64_e32 v[8:9], v[6:7]
	v_div_scale_f64 v[10:11], vcc, v[2:3], v[4:5], v[2:3]
	v_fma_f64 v[12:13], -v[6:7], v[8:9], 1.0
	v_fmac_f64_e32 v[8:9], v[8:9], v[12:13]
	v_fma_f64 v[12:13], -v[6:7], v[8:9], 1.0
	v_fmac_f64_e32 v[8:9], v[8:9], v[12:13]
	v_mul_f64 v[12:13], v[10:11], v[8:9]
	v_fma_f64 v[6:7], -v[6:7], v[12:13], v[10:11]
	v_div_fmas_f64 v[6:7], v[6:7], v[8:9], v[12:13]
	v_div_fixup_f64 v[8:9], v[6:7], v[4:5], v[2:3]
	v_fmac_f64_e32 v[4:5], v[2:3], v[8:9]
	v_div_scale_f64 v[2:3], s[10:11], v[4:5], v[4:5], 1.0
	v_rcp_f64_e32 v[6:7], v[2:3]
	s_nop 0
	v_fma_f64 v[10:11], -v[2:3], v[6:7], 1.0
	v_fmac_f64_e32 v[6:7], v[6:7], v[10:11]
	v_fma_f64 v[10:11], -v[2:3], v[6:7], 1.0
	v_fmac_f64_e32 v[6:7], v[6:7], v[10:11]
	v_div_scale_f64 v[10:11], vcc, 1.0, v[4:5], 1.0
	v_mul_f64 v[12:13], v[10:11], v[6:7]
	v_fma_f64 v[2:3], -v[2:3], v[12:13], v[10:11]
	s_nop 1
	v_div_fmas_f64 v[2:3], v[2:3], v[6:7], v[12:13]
	v_div_fixup_f64 v[2:3], v[2:3], v[4:5], 1.0
	v_add_f64 v[4:5], v[8:9], 0
	v_mul_f64 v[6:7], v[4:5], v[2:3]
	v_fma_f64 v[4:5], v[8:9], 0, -1.0
	v_mul_f64 v[8:9], v[4:5], v[2:3]
                                        ; implicit-def: $vgpr2_vgpr3
.LBB217_6:
	s_andn2_saveexec_b64 s[8:9], s[8:9]
	s_cbranch_execz .LBB217_8
; %bb.7:
	v_div_scale_f64 v[6:7], s[10:11], v[2:3], v[2:3], v[4:5]
	v_rcp_f64_e32 v[8:9], v[6:7]
	v_div_scale_f64 v[10:11], vcc, v[4:5], v[2:3], v[4:5]
	v_fma_f64 v[12:13], -v[6:7], v[8:9], 1.0
	v_fmac_f64_e32 v[8:9], v[8:9], v[12:13]
	v_fma_f64 v[12:13], -v[6:7], v[8:9], 1.0
	v_fmac_f64_e32 v[8:9], v[8:9], v[12:13]
	v_mul_f64 v[12:13], v[10:11], v[8:9]
	v_fma_f64 v[6:7], -v[6:7], v[12:13], v[10:11]
	v_div_fmas_f64 v[6:7], v[6:7], v[8:9], v[12:13]
	v_div_fixup_f64 v[8:9], v[6:7], v[2:3], v[4:5]
	v_fmac_f64_e32 v[2:3], v[4:5], v[8:9]
	v_div_scale_f64 v[4:5], s[10:11], v[2:3], v[2:3], 1.0
	v_rcp_f64_e32 v[6:7], v[4:5]
	s_nop 0
	v_fma_f64 v[10:11], -v[4:5], v[6:7], 1.0
	v_fmac_f64_e32 v[6:7], v[6:7], v[10:11]
	v_fma_f64 v[10:11], -v[4:5], v[6:7], 1.0
	v_fmac_f64_e32 v[6:7], v[6:7], v[10:11]
	v_div_scale_f64 v[10:11], vcc, 1.0, v[2:3], 1.0
	v_mul_f64 v[12:13], v[10:11], v[6:7]
	v_fma_f64 v[4:5], -v[4:5], v[12:13], v[10:11]
	s_nop 1
	v_div_fmas_f64 v[4:5], v[4:5], v[6:7], v[12:13]
	v_div_fixup_f64 v[2:3], v[4:5], v[2:3], 1.0
	v_fma_f64 v[4:5], v[8:9], 0, 1.0
	v_mul_f64 v[6:7], v[4:5], v[2:3]
	v_add_f64 v[4:5], -v[8:9], 0
	v_mul_f64 v[8:9], v[4:5], v[2:3]
.LBB217_8:
	s_or_b64 exec, exec, s[8:9]
	s_branch .LBB217_10
.LBB217_9:
	v_mov_b64_e32 v[8:9], 0
	v_mov_b64_e32 v[6:7], 1.0
.LBB217_10:
	ds_write_b128 v1, v[6:9]
.LBB217_11:
	s_or_b64 exec, exec, s[20:21]
	s_waitcnt lgkmcnt(0)
	s_add_i32 s8, s3, -1
	s_lshl_b32 s3, s2, 4
	s_sub_i32 s9, s15, s3
	s_cmp_ge_u32 s2, s8
	s_cselect_b32 s2, s9, 16
	v_cmp_gt_i32_e32 vcc, s2, v0
	; wave barrier
	s_and_saveexec_b64 s[8:9], vcc
	s_cbranch_execz .LBB217_54
; %bb.12:
	s_load_dword s2, s[0:1], 0x58
	s_lshl_b64 s[0:1], s[18:19], 4
	s_add_u32 s8, s16, s0
	v_add_u32_e32 v0, s3, v0
	s_addc_u32 s9, s17, s1
	s_waitcnt lgkmcnt(0)
	v_mad_i64_i32 v[6:7], s[2:3], s2, v0, 0
	v_lshl_add_u64 v[4:5], v[6:7], 4, s[8:9]
	s_cmpk_eq_i32 s12, 0x6f
	s_mov_b64 s[2:3], -1
	s_cbranch_scc1 .LBB217_33
; %bb.13:
	s_add_i32 s18, s24, -1
	s_add_u32 s2, s16, s0
	s_addc_u32 s3, s17, s1
	v_lshl_add_u64 v[8:9], v[6:7], 4, s[2:3]
	s_lshl_b32 s19, s24, 4
	s_mov_b32 s3, 0
	s_add_i32 s19, s19, -16
	s_mov_b32 s2, s3
	s_mov_b32 s8, s18
	s_branch .LBB217_15
.LBB217_14:                             ;   in Loop: Header=BB217_15 Depth=1
	s_cmp_lt_i32 s8, 0
	s_cselect_b64 s[10:11], -1, 0
	s_add_i32 s2, s2, 1
	s_cmp_eq_u32 s2, 3
	s_cselect_b64 s[12:13], -1, 0
	s_or_b64 s[10:11], s[10:11], s[12:13]
	s_andn2_b64 vcc, exec, s[10:11]
	s_cbranch_vccz .LBB217_32
.LBB217_15:                             ; =>This Loop Header: Depth=1
                                        ;     Child Loop BB217_18 Depth 2
                                        ;       Child Loop BB217_19 Depth 3
                                        ;       Child Loop BB217_21 Depth 3
                                        ;         Child Loop BB217_22 Depth 4
                                        ;       Child Loop BB217_26 Depth 3
                                        ;         Child Loop BB217_28 Depth 4
	s_lshl_b64 s[10:11], s[2:3], 2
	s_getpc_b64 s[12:13]
	s_add_u32 s12, s12, __const._ZL30rocblas_trsm_small_left_deviceILi16ELi16ELb1E19rocblas_complex_numIdES1_PKPKS1_PKPS1_Ev13rocblas_fill_18rocblas_operation_17rocblas_diagonal_iiT3_T4_lilT5_lili.step_sizes@rel32@lo+4
	s_addc_u32 s13, s13, __const._ZL30rocblas_trsm_small_left_deviceILi16ELi16ELb1E19rocblas_complex_numIdES1_PKPKS1_PKPS1_Ev13rocblas_fill_18rocblas_operation_17rocblas_diagonal_iiT3_T4_lilT5_lili.step_sizes@rel32@hi+12
	s_add_u32 s10, s12, s10
	s_addc_u32 s11, s13, s11
	s_load_dword s20, s[10:11], 0x0
	s_waitcnt lgkmcnt(0)
	s_add_i32 s21, s20, -1
	s_cmp_lt_i32 s8, s21
	s_cbranch_scc1 .LBB217_14
; %bb.16:                               ;   in Loop: Header=BB217_15 Depth=1
	s_lshl_b32 s9, s8, 8
	s_add_i32 s23, s19, s9
	s_lshl_b32 s9, s20, 8
	s_max_i32 s22, s20, 1
	s_sub_i32 s25, 0, s9
	s_mul_i32 s26, s8, 0x110
	s_mul_i32 s27, s20, 0xfffffef0
	s_branch .LBB217_18
.LBB217_17:                             ;   in Loop: Header=BB217_18 Depth=2
	s_sub_i32 s8, s8, s20
	s_add_i32 s23, s23, s25
	s_add_i32 s26, s26, s27
	s_cmp_lt_i32 s8, s21
	s_cbranch_scc1 .LBB217_14
.LBB217_18:                             ;   Parent Loop BB217_15 Depth=1
                                        ; =>  This Loop Header: Depth=2
                                        ;       Child Loop BB217_19 Depth 3
                                        ;       Child Loop BB217_21 Depth 3
                                        ;         Child Loop BB217_22 Depth 4
                                        ;       Child Loop BB217_26 Depth 3
                                        ;         Child Loop BB217_28 Depth 4
	s_ashr_i32 s9, s8, 31
	v_lshl_add_u64 v[0:1], s[8:9], 4, v[8:9]
	s_mov_b32 s10, 0
	s_mov_b32 s11, s22
.LBB217_19:                             ;   Parent Loop BB217_15 Depth=1
                                        ;     Parent Loop BB217_18 Depth=2
                                        ; =>    This Inner Loop Header: Depth=3
	flat_load_dwordx4 v[10:13], v[0:1]
	s_add_i32 s11, s11, -1
	v_lshl_add_u64 v[0:1], v[0:1], 0, -16
	s_waitcnt vmcnt(0) lgkmcnt(0)
	v_mul_f64 v[2:3], s[6:7], v[12:13]
	v_mul_f64 v[14:15], s[4:5], v[12:13]
	v_fma_f64 v[12:13], s[4:5], v[10:11], -v[2:3]
	v_fmac_f64_e32 v[14:15], s[6:7], v[10:11]
	scratch_store_dwordx4 off, v[12:15], s10
	s_add_i32 s10, s10, 16
	s_cmp_eq_u32 s11, 0
	s_cbranch_scc0 .LBB217_19
; %bb.20:                               ;   in Loop: Header=BB217_18 Depth=2
	s_cmp_le_i32 s18, s8
	s_mov_b32 s12, s23
	s_mov_b32 s10, s18
	s_cbranch_scc1 .LBB217_24
.LBB217_21:                             ;   Parent Loop BB217_15 Depth=1
                                        ;     Parent Loop BB217_18 Depth=2
                                        ; =>    This Loop Header: Depth=3
                                        ;         Child Loop BB217_22 Depth 4
	s_ashr_i32 s11, s10, 31
	v_lshl_add_u64 v[0:1], s[10:11], 4, v[4:5]
	flat_load_dwordx4 v[0:3], v[0:1]
	s_mov_b32 s11, 0
	s_mov_b32 s13, s12
	;; [unrolled: 1-line block ×3, first 2 shown]
.LBB217_22:                             ;   Parent Loop BB217_15 Depth=1
                                        ;     Parent Loop BB217_18 Depth=2
                                        ;       Parent Loop BB217_21 Depth=3
                                        ; =>      This Inner Loop Header: Depth=4
	scratch_load_dwordx4 v[10:13], off, s11
	v_mov_b32_e32 v14, s13
	ds_read_b128 v[14:17], v14
	s_add_i32 s14, s14, -1
	s_addk_i32 s13, 0xff00
	s_waitcnt vmcnt(0) lgkmcnt(0)
	v_mul_f64 v[18:19], v[2:3], v[16:17]
	v_mul_f64 v[16:17], v[0:1], v[16:17]
	v_fma_f64 v[18:19], v[0:1], v[14:15], -v[18:19]
	v_fmac_f64_e32 v[16:17], v[2:3], v[14:15]
	v_add_f64 v[10:11], v[10:11], -v[18:19]
	v_add_f64 v[12:13], v[12:13], -v[16:17]
	scratch_store_dwordx4 off, v[10:13], s11
	s_add_i32 s11, s11, 16
	s_cmp_eq_u32 s14, 0
	s_cbranch_scc0 .LBB217_22
; %bb.23:                               ;   in Loop: Header=BB217_21 Depth=3
	s_add_i32 s10, s10, -1
	s_add_i32 s12, s12, -16
	s_cmp_le_i32 s10, s8
	s_cbranch_scc0 .LBB217_21
.LBB217_24:                             ;   in Loop: Header=BB217_18 Depth=2
	s_mov_b32 s28, 0
	s_mov_b32 s29, s26
	s_branch .LBB217_26
.LBB217_25:                             ;   in Loop: Header=BB217_26 Depth=3
	s_mulk_i32 s12, 0x110
	v_mov_b32_e32 v10, s12
	ds_read_b128 v[10:13], v10
	s_lshl_b32 s12, s28, 4
	s_add_i32 s28, s28, 1
	s_addk_i32 s29, 0xff00
	s_cmp_eq_u32 s28, s22
	s_waitcnt vmcnt(0) lgkmcnt(0)
	v_mul_f64 v[14:15], v[12:13], v[2:3]
	v_mul_f64 v[16:17], v[10:11], v[2:3]
	v_fma_f64 v[14:15], v[10:11], v[0:1], -v[14:15]
	v_fmac_f64_e32 v[16:17], v[12:13], v[0:1]
	v_lshl_add_u64 v[0:1], s[10:11], 4, v[4:5]
	scratch_store_dwordx4 off, v[14:17], s12
	flat_store_dwordx4 v[0:1], v[14:17]
	s_cbranch_scc1 .LBB217_17
.LBB217_26:                             ;   Parent Loop BB217_15 Depth=1
                                        ;     Parent Loop BB217_18 Depth=2
                                        ; =>    This Loop Header: Depth=3
                                        ;         Child Loop BB217_28 Depth 4
	s_cmp_lg_u32 s28, 0
	s_cbranch_scc0 .LBB217_30
; %bb.27:                               ;   in Loop: Header=BB217_26 Depth=3
	s_lshl_b32 s10, s28, 4
	scratch_load_dwordx4 v[0:3], off, s10
	s_mov_b32 s11, 0
	s_mov_b32 s12, s29
	;; [unrolled: 1-line block ×3, first 2 shown]
.LBB217_28:                             ;   Parent Loop BB217_15 Depth=1
                                        ;     Parent Loop BB217_18 Depth=2
                                        ;       Parent Loop BB217_26 Depth=3
                                        ; =>      This Inner Loop Header: Depth=4
	scratch_load_dwordx4 v[10:13], off, s11
	v_mov_b32_e32 v14, s12
	ds_read_b128 v[14:17], v14
	s_add_i32 s13, s13, -1
	s_add_i32 s12, s12, -16
	s_add_i32 s11, s11, 16
	s_cmp_eq_u32 s13, 0
	s_waitcnt vmcnt(0) lgkmcnt(0)
	v_mul_f64 v[18:19], v[16:17], v[12:13]
	v_mul_f64 v[12:13], v[14:15], v[12:13]
	v_fma_f64 v[14:15], v[14:15], v[10:11], -v[18:19]
	v_fmac_f64_e32 v[12:13], v[16:17], v[10:11]
	v_add_f64 v[0:1], v[0:1], -v[14:15]
	v_add_f64 v[2:3], v[2:3], -v[12:13]
	scratch_store_dwordx4 off, v[0:3], s10
	s_cbranch_scc0 .LBB217_28
; %bb.29:                               ;   in Loop: Header=BB217_26 Depth=3
	s_sub_i32 s12, s8, s28
	s_ashr_i32 s13, s12, 31
	s_mov_b64 s[10:11], s[12:13]
	s_branch .LBB217_25
.LBB217_30:                             ;   in Loop: Header=BB217_26 Depth=3
                                        ; implicit-def: $vgpr0_vgpr1
                                        ; implicit-def: $sgpr12
                                        ; implicit-def: $sgpr10_sgpr11
	s_cbranch_execz .LBB217_25
; %bb.31:                               ;   in Loop: Header=BB217_26 Depth=3
	scratch_load_dwordx4 v[0:3], off, off
	s_mov_b64 s[10:11], s[8:9]
	s_mov_b32 s12, s8
	s_branch .LBB217_25
.LBB217_32:
	s_mov_b64 s[2:3], 0
.LBB217_33:
	s_and_b64 vcc, exec, s[2:3]
	s_cbranch_vccz .LBB217_54
; %bb.34:
	s_add_u32 s0, s16, s0
	s_addc_u32 s1, s17, s1
	v_lshl_add_u64 v[6:7], v[6:7], 4, s[0:1]
	s_mov_b32 s1, 0
	s_mov_b32 s2, s1
	;; [unrolled: 1-line block ×3, first 2 shown]
	s_branch .LBB217_36
.LBB217_35:                             ;   in Loop: Header=BB217_36 Depth=1
	s_cmp_ge_i32 s2, s24
	s_cselect_b64 s[10:11], -1, 0
	s_add_i32 s8, s8, 1
	s_cmp_eq_u32 s8, 3
	s_cselect_b64 s[12:13], -1, 0
	s_or_b64 s[10:11], s[10:11], s[12:13]
	s_and_b64 vcc, exec, s[10:11]
	s_cbranch_vccnz .LBB217_54
.LBB217_36:                             ; =>This Loop Header: Depth=1
                                        ;     Child Loop BB217_39 Depth 2
                                        ;       Child Loop BB217_40 Depth 3
                                        ;       Child Loop BB217_43 Depth 3
                                        ;         Child Loop BB217_44 Depth 4
                                        ;       Child Loop BB217_48 Depth 3
                                        ;         Child Loop BB217_50 Depth 4
	s_mov_b32 s9, s1
	s_lshl_b64 s[10:11], s[8:9], 2
	s_getpc_b64 s[12:13]
	s_add_u32 s12, s12, __const._ZL30rocblas_trsm_small_left_deviceILi16ELi16ELb1E19rocblas_complex_numIdES1_PKPKS1_PKPS1_Ev13rocblas_fill_18rocblas_operation_17rocblas_diagonal_iiT3_T4_lilT5_lili.step_sizes@rel32@lo+4
	s_addc_u32 s13, s13, __const._ZL30rocblas_trsm_small_left_deviceILi16ELi16ELb1E19rocblas_complex_numIdES1_PKPKS1_PKPS1_Ev13rocblas_fill_18rocblas_operation_17rocblas_diagonal_iiT3_T4_lilT5_lili.step_sizes@rel32@hi+12
	s_add_u32 s10, s12, s10
	s_addc_u32 s11, s13, s11
	s_load_dword s10, s[10:11], 0x0
	s_waitcnt lgkmcnt(0)
	s_add_i32 s9, s10, -1
	s_add_i32 s0, s9, s2
	s_cmp_ge_i32 s0, s24
	s_cbranch_scc1 .LBB217_35
; %bb.37:                               ;   in Loop: Header=BB217_36 Depth=1
	s_ashr_i32 s3, s2, 31
	s_ashr_i32 s11, s10, 31
	s_max_i32 s16, s10, 1
	v_lshl_add_u64 v[8:9], s[2:3], 4, v[6:7]
	s_lshl_b64 s[12:13], s[10:11], 4
	s_lshl_b32 s3, s2, 4
	s_lshl_b32 s11, s10, 4
	s_mul_i32 s17, s2, 0x110
	s_mul_i32 s18, s10, 0x110
	s_branch .LBB217_39
.LBB217_38:                             ;   in Loop: Header=BB217_39 Depth=2
	s_add_i32 s2, s2, s10
	s_add_i32 s0, s9, s2
	;; [unrolled: 1-line block ×4, first 2 shown]
	s_cmp_ge_i32 s0, s24
	v_lshl_add_u64 v[8:9], v[8:9], 0, s[12:13]
	s_cbranch_scc1 .LBB217_35
.LBB217_39:                             ;   Parent Loop BB217_36 Depth=1
                                        ; =>  This Loop Header: Depth=2
                                        ;       Child Loop BB217_40 Depth 3
                                        ;       Child Loop BB217_43 Depth 3
                                        ;         Child Loop BB217_44 Depth 4
                                        ;       Child Loop BB217_48 Depth 3
                                        ;         Child Loop BB217_50 Depth 4
	s_mov_b32 s0, 0
	v_mov_b64_e32 v[0:1], v[8:9]
	s_mov_b32 s14, s16
.LBB217_40:                             ;   Parent Loop BB217_36 Depth=1
                                        ;     Parent Loop BB217_39 Depth=2
                                        ; =>    This Inner Loop Header: Depth=3
	flat_load_dwordx4 v[10:13], v[0:1]
	s_add_i32 s14, s14, -1
	v_lshl_add_u64 v[0:1], v[0:1], 0, 16
	s_waitcnt vmcnt(0) lgkmcnt(0)
	v_mul_f64 v[2:3], s[6:7], v[12:13]
	v_mul_f64 v[14:15], s[4:5], v[12:13]
	v_fma_f64 v[12:13], s[4:5], v[10:11], -v[2:3]
	v_fmac_f64_e32 v[14:15], s[6:7], v[10:11]
	scratch_store_dwordx4 off, v[12:15], s0
	s_add_i32 s0, s0, 16
	s_cmp_eq_u32 s14, 0
	s_cbranch_scc0 .LBB217_40
; %bb.41:                               ;   in Loop: Header=BB217_39 Depth=2
	s_cmp_lt_i32 s2, 1
	s_cbranch_scc1 .LBB217_46
; %bb.42:                               ;   in Loop: Header=BB217_39 Depth=2
	s_mov_b32 s0, 0
	s_mov_b32 s14, s3
.LBB217_43:                             ;   Parent Loop BB217_36 Depth=1
                                        ;     Parent Loop BB217_39 Depth=2
                                        ; =>    This Loop Header: Depth=3
                                        ;         Child Loop BB217_44 Depth 4
	v_lshl_add_u64 v[0:1], s[0:1], 4, v[4:5]
	flat_load_dwordx4 v[0:3], v[0:1]
	s_mov_b32 s15, 0
	s_mov_b32 s19, s14
	;; [unrolled: 1-line block ×3, first 2 shown]
.LBB217_44:                             ;   Parent Loop BB217_36 Depth=1
                                        ;     Parent Loop BB217_39 Depth=2
                                        ;       Parent Loop BB217_43 Depth=3
                                        ; =>      This Inner Loop Header: Depth=4
	scratch_load_dwordx4 v[10:13], off, s15
	v_mov_b32_e32 v14, s19
	ds_read_b128 v[14:17], v14
	s_add_i32 s20, s20, -1
	s_add_i32 s19, s19, 16
	s_waitcnt vmcnt(0) lgkmcnt(0)
	v_mul_f64 v[18:19], v[2:3], v[16:17]
	v_mul_f64 v[16:17], v[0:1], v[16:17]
	v_fma_f64 v[18:19], v[0:1], v[14:15], -v[18:19]
	v_fmac_f64_e32 v[16:17], v[2:3], v[14:15]
	v_add_f64 v[10:11], v[10:11], -v[18:19]
	v_add_f64 v[12:13], v[12:13], -v[16:17]
	scratch_store_dwordx4 off, v[10:13], s15
	s_add_i32 s15, s15, 16
	s_cmp_eq_u32 s20, 0
	s_cbranch_scc0 .LBB217_44
; %bb.45:                               ;   in Loop: Header=BB217_43 Depth=3
	s_add_i32 s0, s0, 1
	s_addk_i32 s14, 0x100
	s_cmp_eq_u32 s0, s2
	s_cbranch_scc0 .LBB217_43
.LBB217_46:                             ;   in Loop: Header=BB217_39 Depth=2
	s_mov_b32 s0, 0
	s_mov_b32 s19, s17
	s_branch .LBB217_48
.LBB217_47:                             ;   in Loop: Header=BB217_48 Depth=3
	s_add_i32 s14, s0, s2
	s_mul_i32 s15, s14, 0x110
	v_mov_b32_e32 v10, s15
	ds_read_b128 v[10:13], v10
	s_lshl_b32 s15, s0, 4
	s_add_i32 s0, s0, 1
	s_add_i32 s19, s19, 16
	s_waitcnt vmcnt(0) lgkmcnt(0)
	v_mul_f64 v[14:15], v[12:13], v[2:3]
	v_mul_f64 v[16:17], v[10:11], v[2:3]
	v_fma_f64 v[14:15], v[10:11], v[0:1], -v[14:15]
	v_fmac_f64_e32 v[16:17], v[12:13], v[0:1]
	scratch_store_dwordx4 off, v[14:17], s15
	s_ashr_i32 s15, s14, 31
	v_lshl_add_u64 v[0:1], s[14:15], 4, v[4:5]
	s_cmp_eq_u32 s0, s16
	flat_store_dwordx4 v[0:1], v[14:17]
	s_cbranch_scc1 .LBB217_38
.LBB217_48:                             ;   Parent Loop BB217_36 Depth=1
                                        ;     Parent Loop BB217_39 Depth=2
                                        ; =>    This Loop Header: Depth=3
                                        ;         Child Loop BB217_50 Depth 4
	s_cmp_lg_u32 s0, 0
	s_cbranch_scc0 .LBB217_52
; %bb.49:                               ;   in Loop: Header=BB217_48 Depth=3
	s_lshl_b32 s14, s0, 4
	scratch_load_dwordx4 v[0:3], off, s14
	s_mov_b32 s15, 0
	s_mov_b32 s20, s19
	;; [unrolled: 1-line block ×3, first 2 shown]
.LBB217_50:                             ;   Parent Loop BB217_36 Depth=1
                                        ;     Parent Loop BB217_39 Depth=2
                                        ;       Parent Loop BB217_48 Depth=3
                                        ; =>      This Inner Loop Header: Depth=4
	scratch_load_dwordx4 v[10:13], off, s15
	v_mov_b32_e32 v14, s20
	ds_read_b128 v[14:17], v14
	s_add_i32 s21, s21, -1
	s_addk_i32 s20, 0x100
	s_add_i32 s15, s15, 16
	s_cmp_eq_u32 s21, 0
	s_waitcnt vmcnt(0) lgkmcnt(0)
	v_mul_f64 v[18:19], v[16:17], v[12:13]
	v_mul_f64 v[12:13], v[14:15], v[12:13]
	v_fma_f64 v[14:15], v[14:15], v[10:11], -v[18:19]
	v_fmac_f64_e32 v[12:13], v[16:17], v[10:11]
	v_add_f64 v[0:1], v[0:1], -v[14:15]
	v_add_f64 v[2:3], v[2:3], -v[12:13]
	scratch_store_dwordx4 off, v[0:3], s14
	s_cbranch_scc0 .LBB217_50
; %bb.51:                               ;   in Loop: Header=BB217_48 Depth=3
	s_branch .LBB217_47
.LBB217_52:                             ;   in Loop: Header=BB217_48 Depth=3
                                        ; implicit-def: $vgpr0_vgpr1
	s_cbranch_execz .LBB217_47
; %bb.53:                               ;   in Loop: Header=BB217_48 Depth=3
	scratch_load_dwordx4 v[0:3], off, off
	s_branch .LBB217_47
.LBB217_54:
	s_endpgm
	.section	.rodata,"a",@progbits
	.p2align	6, 0x0
	.amdhsa_kernel _ZL30rocblas_trsm_small_left_deviceILi16ELi16ELb1E19rocblas_complex_numIdES1_PKPKS1_PKPS1_Ev13rocblas_fill_18rocblas_operation_17rocblas_diagonal_iiT3_T4_lilT5_lili
		.amdhsa_group_segment_fixed_size 4096
		.amdhsa_private_segment_fixed_size 272
		.amdhsa_kernarg_size 368
		.amdhsa_user_sgpr_count 2
		.amdhsa_user_sgpr_dispatch_ptr 0
		.amdhsa_user_sgpr_queue_ptr 0
		.amdhsa_user_sgpr_kernarg_segment_ptr 1
		.amdhsa_user_sgpr_dispatch_id 0
		.amdhsa_user_sgpr_kernarg_preload_length 0
		.amdhsa_user_sgpr_kernarg_preload_offset 0
		.amdhsa_user_sgpr_private_segment_size 0
		.amdhsa_uses_dynamic_stack 0
		.amdhsa_enable_private_segment 1
		.amdhsa_system_sgpr_workgroup_id_x 1
		.amdhsa_system_sgpr_workgroup_id_y 0
		.amdhsa_system_sgpr_workgroup_id_z 1
		.amdhsa_system_sgpr_workgroup_info 0
		.amdhsa_system_vgpr_workitem_id 0
		.amdhsa_next_free_vgpr 20
		.amdhsa_next_free_sgpr 30
		.amdhsa_accum_offset 20
		.amdhsa_reserve_vcc 1
		.amdhsa_float_round_mode_32 0
		.amdhsa_float_round_mode_16_64 0
		.amdhsa_float_denorm_mode_32 3
		.amdhsa_float_denorm_mode_16_64 3
		.amdhsa_dx10_clamp 1
		.amdhsa_ieee_mode 1
		.amdhsa_fp16_overflow 0
		.amdhsa_tg_split 0
		.amdhsa_exception_fp_ieee_invalid_op 0
		.amdhsa_exception_fp_denorm_src 0
		.amdhsa_exception_fp_ieee_div_zero 0
		.amdhsa_exception_fp_ieee_overflow 0
		.amdhsa_exception_fp_ieee_underflow 0
		.amdhsa_exception_fp_ieee_inexact 0
		.amdhsa_exception_int_div_zero 0
	.end_amdhsa_kernel
	.section	.text._ZL30rocblas_trsm_small_left_deviceILi16ELi16ELb1E19rocblas_complex_numIdES1_PKPKS1_PKPS1_Ev13rocblas_fill_18rocblas_operation_17rocblas_diagonal_iiT3_T4_lilT5_lili,"axG",@progbits,_ZL30rocblas_trsm_small_left_deviceILi16ELi16ELb1E19rocblas_complex_numIdES1_PKPKS1_PKPS1_Ev13rocblas_fill_18rocblas_operation_17rocblas_diagonal_iiT3_T4_lilT5_lili,comdat
.Lfunc_end217:
	.size	_ZL30rocblas_trsm_small_left_deviceILi16ELi16ELb1E19rocblas_complex_numIdES1_PKPKS1_PKPS1_Ev13rocblas_fill_18rocblas_operation_17rocblas_diagonal_iiT3_T4_lilT5_lili, .Lfunc_end217-_ZL30rocblas_trsm_small_left_deviceILi16ELi16ELb1E19rocblas_complex_numIdES1_PKPKS1_PKPS1_Ev13rocblas_fill_18rocblas_operation_17rocblas_diagonal_iiT3_T4_lilT5_lili
                                        ; -- End function
	.set _ZL30rocblas_trsm_small_left_deviceILi16ELi16ELb1E19rocblas_complex_numIdES1_PKPKS1_PKPS1_Ev13rocblas_fill_18rocblas_operation_17rocblas_diagonal_iiT3_T4_lilT5_lili.num_vgpr, 20
	.set _ZL30rocblas_trsm_small_left_deviceILi16ELi16ELb1E19rocblas_complex_numIdES1_PKPKS1_PKPS1_Ev13rocblas_fill_18rocblas_operation_17rocblas_diagonal_iiT3_T4_lilT5_lili.num_agpr, 0
	.set _ZL30rocblas_trsm_small_left_deviceILi16ELi16ELb1E19rocblas_complex_numIdES1_PKPKS1_PKPS1_Ev13rocblas_fill_18rocblas_operation_17rocblas_diagonal_iiT3_T4_lilT5_lili.numbered_sgpr, 30
	.set _ZL30rocblas_trsm_small_left_deviceILi16ELi16ELb1E19rocblas_complex_numIdES1_PKPKS1_PKPS1_Ev13rocblas_fill_18rocblas_operation_17rocblas_diagonal_iiT3_T4_lilT5_lili.num_named_barrier, 0
	.set _ZL30rocblas_trsm_small_left_deviceILi16ELi16ELb1E19rocblas_complex_numIdES1_PKPKS1_PKPS1_Ev13rocblas_fill_18rocblas_operation_17rocblas_diagonal_iiT3_T4_lilT5_lili.private_seg_size, 272
	.set _ZL30rocblas_trsm_small_left_deviceILi16ELi16ELb1E19rocblas_complex_numIdES1_PKPKS1_PKPS1_Ev13rocblas_fill_18rocblas_operation_17rocblas_diagonal_iiT3_T4_lilT5_lili.uses_vcc, 1
	.set _ZL30rocblas_trsm_small_left_deviceILi16ELi16ELb1E19rocblas_complex_numIdES1_PKPKS1_PKPS1_Ev13rocblas_fill_18rocblas_operation_17rocblas_diagonal_iiT3_T4_lilT5_lili.uses_flat_scratch, 0
	.set _ZL30rocblas_trsm_small_left_deviceILi16ELi16ELb1E19rocblas_complex_numIdES1_PKPKS1_PKPS1_Ev13rocblas_fill_18rocblas_operation_17rocblas_diagonal_iiT3_T4_lilT5_lili.has_dyn_sized_stack, 0
	.set _ZL30rocblas_trsm_small_left_deviceILi16ELi16ELb1E19rocblas_complex_numIdES1_PKPKS1_PKPS1_Ev13rocblas_fill_18rocblas_operation_17rocblas_diagonal_iiT3_T4_lilT5_lili.has_recursion, 0
	.set _ZL30rocblas_trsm_small_left_deviceILi16ELi16ELb1E19rocblas_complex_numIdES1_PKPKS1_PKPS1_Ev13rocblas_fill_18rocblas_operation_17rocblas_diagonal_iiT3_T4_lilT5_lili.has_indirect_call, 0
	.section	.AMDGPU.csdata,"",@progbits
; Kernel info:
; codeLenInByte = 2240
; TotalNumSgprs: 36
; NumVgprs: 20
; NumAgprs: 0
; TotalNumVgprs: 20
; ScratchSize: 272
; MemoryBound: 0
; FloatMode: 240
; IeeeMode: 1
; LDSByteSize: 4096 bytes/workgroup (compile time only)
; SGPRBlocks: 4
; VGPRBlocks: 2
; NumSGPRsForWavesPerEU: 36
; NumVGPRsForWavesPerEU: 20
; AccumOffset: 20
; Occupancy: 8
; WaveLimiterHint : 1
; COMPUTE_PGM_RSRC2:SCRATCH_EN: 1
; COMPUTE_PGM_RSRC2:USER_SGPR: 2
; COMPUTE_PGM_RSRC2:TRAP_HANDLER: 0
; COMPUTE_PGM_RSRC2:TGID_X_EN: 1
; COMPUTE_PGM_RSRC2:TGID_Y_EN: 0
; COMPUTE_PGM_RSRC2:TGID_Z_EN: 1
; COMPUTE_PGM_RSRC2:TIDIG_COMP_CNT: 0
; COMPUTE_PGM_RSRC3_GFX90A:ACCUM_OFFSET: 4
; COMPUTE_PGM_RSRC3_GFX90A:TG_SPLIT: 0
	.section	.text._ZL31rocblas_trsm_small_right_deviceI19rocblas_complex_numIdES1_PKPKS1_PKPS1_Li16EEv13rocblas_fill_18rocblas_operation_17rocblas_diagonal_iiT0_T1_lilT2_lili,"axG",@progbits,_ZL31rocblas_trsm_small_right_deviceI19rocblas_complex_numIdES1_PKPKS1_PKPS1_Li16EEv13rocblas_fill_18rocblas_operation_17rocblas_diagonal_iiT0_T1_lilT2_lili,comdat
	.globl	_ZL31rocblas_trsm_small_right_deviceI19rocblas_complex_numIdES1_PKPKS1_PKPS1_Li16EEv13rocblas_fill_18rocblas_operation_17rocblas_diagonal_iiT0_T1_lilT2_lili ; -- Begin function _ZL31rocblas_trsm_small_right_deviceI19rocblas_complex_numIdES1_PKPKS1_PKPS1_Li16EEv13rocblas_fill_18rocblas_operation_17rocblas_diagonal_iiT0_T1_lilT2_lili
	.p2align	8
	.type	_ZL31rocblas_trsm_small_right_deviceI19rocblas_complex_numIdES1_PKPKS1_PKPS1_Li16EEv13rocblas_fill_18rocblas_operation_17rocblas_diagonal_iiT0_T1_lilT2_lili,@function
_ZL31rocblas_trsm_small_right_deviceI19rocblas_complex_numIdES1_PKPKS1_PKPS1_Li16EEv13rocblas_fill_18rocblas_operation_17rocblas_diagonal_iiT0_T1_lilT2_lili: ; @_ZL31rocblas_trsm_small_right_deviceI19rocblas_complex_numIdES1_PKPKS1_PKPS1_Li16EEv13rocblas_fill_18rocblas_operation_17rocblas_diagonal_iiT0_T1_lilT2_lili
; %bb.0:
	s_mov_b32 s20, s3
	s_load_dwordx4 s[16:19], s[0:1], 0x48
	s_load_dwordx4 s[12:15], s[0:1], 0x0
	s_load_dword s24, s[0:1], 0x10
	s_load_dwordx8 s[4:11], s[0:1], 0x18
	s_mov_b32 s21, 0
	s_lshl_b64 s[22:23], s[20:21], 3
	s_waitcnt lgkmcnt(0)
	s_add_u32 s16, s16, s22
	s_addc_u32 s17, s17, s23
	s_load_dwordx2 s[16:17], s[16:17], 0x0
	s_min_i32 s25, s24, 16
	v_cmp_gt_i32_e32 vcc, s25, v0
	s_and_saveexec_b64 s[20:21], vcc
	s_cbranch_execz .LBB218_5
; %bb.1:
	s_load_dword s26, s[0:1], 0x38
	v_lshlrev_b32_e32 v2, 4, v0
	v_mov_b32_e32 v3, 0
	v_mov_b32_e32 v1, v2
	s_mov_b32 s3, s25
	s_waitcnt lgkmcnt(0)
	s_ashr_i32 s27, s26, 31
	s_cmpk_eq_i32 s13, 0x71
	s_cselect_b64 vcc, -1, 0
	s_add_u32 s8, s8, s22
	s_addc_u32 s9, s9, s23
	s_load_dwordx2 s[8:9], s[8:9], 0x0
	s_lshl_b64 s[10:11], s[10:11], 4
	s_waitcnt lgkmcnt(0)
	s_add_u32 s10, s8, s10
	s_addc_u32 s11, s9, s11
	s_lshl_b64 s[8:9], s[26:27], 4
	v_lshl_add_u64 v[4:5], s[10:11], 0, v[2:3]
.LBB218_2:                              ; =>This Inner Loop Header: Depth=1
	flat_load_dwordx4 v[6:9], v[4:5]
	s_add_i32 s3, s3, -1
	v_lshl_add_u64 v[4:5], v[4:5], 0, s[8:9]
	s_cmp_eq_u32 s3, 0
	s_waitcnt vmcnt(0) lgkmcnt(0)
	v_xor_b32_e32 v3, 0x80000000, v9
	v_cndmask_b32_e32 v9, v9, v3, vcc
	ds_write_b128 v1, v[6:9]
	v_add_u32_e32 v1, 0x100, v1
	s_cbranch_scc0 .LBB218_2
; %bb.3:
	s_cmpk_eq_i32 s14, 0x84
	s_cbranch_scc0 .LBB218_5
; %bb.4:
	v_lshl_or_b32 v1, v0, 8, v2
	v_mov_b32_e32 v2, 0
	v_mov_b32_e32 v3, 0x3ff00000
	;; [unrolled: 1-line block ×4, first 2 shown]
	ds_write_b128 v1, v[2:5]
.LBB218_5:
	s_or_b64 exec, exec, s[20:21]
	s_load_dword s3, s[0:1], 0x70
	s_load_dword s8, s[0:1], 0x58
	s_lshl_b64 s[0:1], s[18:19], 4
	s_waitcnt lgkmcnt(0)
	s_add_u32 s9, s16, s0
	s_addc_u32 s10, s17, s1
	s_lshl_b32 s0, s2, 4
	s_add_i32 s3, s3, -1
	s_sub_i32 s0, s15, s0
	s_cmp_ge_u32 s2, s3
	s_cselect_b32 s11, s0, 16
	s_ashr_i32 s3, s2, 31
	s_lshl_b64 s[0:1], s[2:3], 8
	s_add_u32 s2, s9, s0
	s_addc_u32 s3, s10, s1
	v_cmp_gt_i32_e64 s[0:1], s11, v0
	s_and_saveexec_b64 s[10:11], s[0:1]
	s_cbranch_execz .LBB218_9
; %bb.6:
	s_cmp_lt_i32 s24, 1
	s_cbranch_scc1 .LBB218_9
; %bb.7:
	s_ashr_i32 s9, s8, 31
	v_lshlrev_b32_e32 v4, 4, v0
	v_mov_b32_e32 v5, 0
	v_lshl_add_u64 v[2:3], s[2:3], 0, v[4:5]
	s_lshl_b64 s[14:15], s[8:9], 4
	v_or_b32_e32 v1, 0x1000, v4
	s_mov_b32 s9, s24
.LBB218_8:                              ; =>This Inner Loop Header: Depth=1
	flat_load_dwordx4 v[4:7], v[2:3]
	s_add_i32 s9, s9, -1
	v_lshl_add_u64 v[2:3], v[2:3], 0, s[14:15]
	s_cmp_lg_u32 s9, 0
	s_waitcnt vmcnt(0) lgkmcnt(0)
	v_mul_f64 v[10:11], s[6:7], v[6:7]
	v_mul_f64 v[8:9], s[4:5], v[6:7]
	v_fma_f64 v[6:7], s[4:5], v[4:5], -v[10:11]
	v_fmac_f64_e32 v[8:9], s[6:7], v[4:5]
	ds_write_b128 v1, v[6:9]
	v_add_u32_e32 v1, 0x100, v1
	s_cbranch_scc1 .LBB218_8
.LBB218_9:
	s_or_b64 exec, exec, s[10:11]
	s_cmpk_eq_i32 s13, 0x6f
	s_cselect_b64 s[4:5], -1, 0
	s_cmpk_lg_i32 s12, 0x79
	s_cselect_b64 s[6:7], -1, 0
	s_cmpk_eq_i32 s12, 0x79
	s_cselect_b64 s[10:11], -1, 0
	s_and_b64 s[10:11], s[10:11], s[4:5]
	s_andn2_b64 vcc, exec, s[10:11]
	s_mov_b64 s[10:11], -1
	s_waitcnt lgkmcnt(0)
	; wave barrier
	s_cbranch_vccz .LBB218_110
; %bb.10:
	s_cmpk_lg_i32 s12, 0x7a
	s_cselect_b64 s[12:13], -1, 0
	s_xor_b64 s[4:5], s[4:5], -1
	s_add_i32 s9, s25, -1
	s_or_b64 s[12:13], s[12:13], s[4:5]
	v_mov_b32_e32 v1, 0x1000
	s_cmp_gt_i32 s24, 3
	v_lshl_or_b32 v1, v0, 4, v1
	s_cselect_b64 s[4:5], -1, 0
	s_and_b64 vcc, exec, s[12:13]
	s_cbranch_vccz .LBB218_77
; %bb.11:
	s_andn2_b64 vcc, exec, s[6:7]
	s_mov_b64 s[6:7], -1
	s_cbranch_vccnz .LBB218_44
; %bb.12:
	s_andn2_b64 vcc, exec, s[4:5]
	s_mov_b32 s12, 0
	s_cbranch_vccnz .LBB218_34
; %bb.13:
	v_mov_b32_e32 v2, 0x1000
	v_lshl_or_b32 v26, v0, 4, v2
	s_mov_b32 s10, 0
	s_mov_b32 s11, 0
.LBB218_14:                             ; =>This Loop Header: Depth=1
                                        ;     Child Loop BB218_15 Depth 2
	s_lshl_b32 s6, s11, 8
	s_or_b32 s13, s11, 2
	v_add_u32_e32 v30, s6, v1
	s_or_b32 s7, s11, 1
	v_lshl_add_u32 v28, s13, 8, v1
	s_or_b32 s12, s6, 0x300
	v_lshl_add_u32 v29, s7, 8, v1
	ds_read_b128 v[18:21], v30
	ds_read_b128 v[14:17], v29
	v_add_u32_e32 v27, s12, v1
	ds_read_b128 v[6:9], v28
	ds_read_b128 v[2:5], v27
	s_cmp_eq_u32 s11, 0
	v_mov_b32_e32 v10, v26
	s_mov_b32 s12, s10
	s_mov_b32 s14, s11
	s_cbranch_scc1 .LBB218_16
.LBB218_15:                             ;   Parent Loop BB218_14 Depth=1
                                        ; =>  This Inner Loop Header: Depth=2
	v_mov_b32_e32 v11, s12
	ds_read_b128 v[22:25], v10
	ds_read_b128 v[32:35], v11
	ds_read_b128 v[36:39], v11 offset:16
	ds_read_b128 v[40:43], v11 offset:32
	;; [unrolled: 1-line block ×3, first 2 shown]
	s_add_i32 s14, s14, -1
	s_addk_i32 s12, 0x100
	v_add_u32_e32 v10, 0x100, v10
	s_waitcnt lgkmcnt(3)
	v_mul_f64 v[12:13], v[24:25], v[34:35]
	v_mul_f64 v[34:35], v[22:23], v[34:35]
	s_waitcnt lgkmcnt(2)
	v_mul_f64 v[48:49], v[24:25], v[38:39]
	v_mul_f64 v[38:39], v[22:23], v[38:39]
	;; [unrolled: 3-line block ×4, first 2 shown]
	v_fma_f64 v[12:13], v[22:23], v[32:33], -v[12:13]
	v_fmac_f64_e32 v[34:35], v[24:25], v[32:33]
	v_fma_f64 v[32:33], v[22:23], v[36:37], -v[48:49]
	v_fmac_f64_e32 v[38:39], v[24:25], v[36:37]
	;; [unrolled: 2-line block ×4, first 2 shown]
	s_cmp_eq_u32 s14, 0
	v_add_f64 v[18:19], v[18:19], -v[12:13]
	v_add_f64 v[20:21], v[20:21], -v[34:35]
	;; [unrolled: 1-line block ×8, first 2 shown]
	s_cbranch_scc0 .LBB218_15
.LBB218_16:                             ;   in Loop: Header=BB218_14 Depth=1
	s_lshl_b32 s12, s11, 4
	s_add_i32 s14, s12, s6
	v_mov_b32_e32 v10, s14
	ds_read_b128 v[22:25], v10
	s_lshl_b32 s15, s7, 4
	s_lshl_b32 s13, s13, 4
	s_mov_b64 s[6:7], -1
                                        ; implicit-def: $vgpr12_vgpr13
	s_waitcnt lgkmcnt(0)
	v_cmp_ngt_f64_e64 s[16:17], |v[22:23]|, |v[24:25]|
	s_and_b64 vcc, exec, s[16:17]
	s_cbranch_vccz .LBB218_18
; %bb.17:                               ;   in Loop: Header=BB218_14 Depth=1
	v_div_scale_f64 v[10:11], s[6:7], v[24:25], v[24:25], v[22:23]
	v_rcp_f64_e32 v[12:13], v[10:11]
	v_div_scale_f64 v[32:33], vcc, v[22:23], v[24:25], v[22:23]
	v_fma_f64 v[34:35], -v[10:11], v[12:13], 1.0
	v_fmac_f64_e32 v[12:13], v[12:13], v[34:35]
	v_fma_f64 v[34:35], -v[10:11], v[12:13], 1.0
	v_fmac_f64_e32 v[12:13], v[12:13], v[34:35]
	v_mul_f64 v[34:35], v[32:33], v[12:13]
	v_fma_f64 v[10:11], -v[10:11], v[34:35], v[32:33]
	v_div_fmas_f64 v[10:11], v[10:11], v[12:13], v[34:35]
	v_div_fixup_f64 v[12:13], v[10:11], v[24:25], v[22:23]
	v_fma_f64 v[10:11], v[22:23], v[12:13], v[24:25]
	v_div_scale_f64 v[32:33], s[6:7], v[10:11], v[10:11], 1.0
	v_rcp_f64_e32 v[34:35], v[32:33]
	s_mov_b64 s[6:7], 0
	v_fma_f64 v[36:37], -v[32:33], v[34:35], 1.0
	v_fmac_f64_e32 v[34:35], v[34:35], v[36:37]
	v_fma_f64 v[36:37], -v[32:33], v[34:35], 1.0
	v_fmac_f64_e32 v[34:35], v[34:35], v[36:37]
	v_div_scale_f64 v[36:37], vcc, 1.0, v[10:11], 1.0
	v_mul_f64 v[38:39], v[36:37], v[34:35]
	v_fma_f64 v[32:33], -v[32:33], v[38:39], v[36:37]
	s_nop 1
	v_div_fmas_f64 v[32:33], v[32:33], v[34:35], v[38:39]
	v_div_fixup_f64 v[32:33], v[32:33], v[10:11], 1.0
	v_fma_f64 v[10:11], v[18:19], v[12:13], v[20:21]
	v_fma_f64 v[12:13], v[20:21], v[12:13], -v[18:19]
	v_mul_f64 v[10:11], v[10:11], v[32:33]
	v_mul_f64 v[12:13], v[12:13], v[32:33]
.LBB218_18:                             ;   in Loop: Header=BB218_14 Depth=1
	s_andn2_b64 vcc, exec, s[6:7]
	s_cbranch_vccnz .LBB218_20
; %bb.19:                               ;   in Loop: Header=BB218_14 Depth=1
	v_div_scale_f64 v[10:11], s[6:7], v[22:23], v[22:23], v[24:25]
	v_rcp_f64_e32 v[12:13], v[10:11]
	v_div_scale_f64 v[32:33], vcc, v[24:25], v[22:23], v[24:25]
	v_fma_f64 v[34:35], -v[10:11], v[12:13], 1.0
	v_fmac_f64_e32 v[12:13], v[12:13], v[34:35]
	v_fma_f64 v[34:35], -v[10:11], v[12:13], 1.0
	v_fmac_f64_e32 v[12:13], v[12:13], v[34:35]
	v_mul_f64 v[34:35], v[32:33], v[12:13]
	v_fma_f64 v[10:11], -v[10:11], v[34:35], v[32:33]
	v_div_fmas_f64 v[10:11], v[10:11], v[12:13], v[34:35]
	v_div_fixup_f64 v[12:13], v[10:11], v[22:23], v[24:25]
	v_fmac_f64_e32 v[22:23], v[24:25], v[12:13]
	v_div_scale_f64 v[10:11], s[6:7], v[22:23], v[22:23], 1.0
	v_rcp_f64_e32 v[24:25], v[10:11]
	s_nop 0
	v_fma_f64 v[32:33], -v[10:11], v[24:25], 1.0
	v_fmac_f64_e32 v[24:25], v[24:25], v[32:33]
	v_fma_f64 v[32:33], -v[10:11], v[24:25], 1.0
	v_fmac_f64_e32 v[24:25], v[24:25], v[32:33]
	v_div_scale_f64 v[32:33], vcc, 1.0, v[22:23], 1.0
	v_mul_f64 v[34:35], v[32:33], v[24:25]
	v_fma_f64 v[10:11], -v[10:11], v[34:35], v[32:33]
	s_nop 1
	v_div_fmas_f64 v[10:11], v[10:11], v[24:25], v[34:35]
	v_div_fixup_f64 v[22:23], v[10:11], v[22:23], 1.0
	v_fma_f64 v[10:11], v[20:21], v[12:13], v[18:19]
	v_fma_f64 v[12:13], -v[18:19], v[12:13], v[20:21]
	v_mul_f64 v[10:11], v[10:11], v[22:23]
	v_mul_f64 v[12:13], v[12:13], v[22:23]
.LBB218_20:                             ;   in Loop: Header=BB218_14 Depth=1
	s_sub_i32 s14, s14, s12
	s_add_i32 s14, s14, s12
	v_mov_b32_e32 v18, s14
	ds_read_b128 v[22:25], v18 offset:16
	ds_read_b128 v[18:21], v18 offset:272
	ds_write_b128 v30, v[10:13]
	s_mov_b64 s[6:7], -1
	s_waitcnt lgkmcnt(2)
	v_mul_f64 v[30:31], v[12:13], v[24:25]
	v_mul_f64 v[24:25], v[10:11], v[24:25]
	v_fma_f64 v[30:31], v[10:11], v[22:23], -v[30:31]
	v_fmac_f64_e32 v[24:25], v[12:13], v[22:23]
	s_waitcnt lgkmcnt(1)
	v_cmp_ngt_f64_e64 s[16:17], |v[18:19]|, |v[20:21]|
	v_add_f64 v[22:23], v[14:15], -v[30:31]
	v_add_f64 v[24:25], v[16:17], -v[24:25]
	s_and_b64 vcc, exec, s[16:17]
                                        ; implicit-def: $vgpr16_vgpr17
	s_cbranch_vccz .LBB218_22
; %bb.21:                               ;   in Loop: Header=BB218_14 Depth=1
	v_div_scale_f64 v[14:15], s[6:7], v[20:21], v[20:21], v[18:19]
	v_rcp_f64_e32 v[16:17], v[14:15]
	v_div_scale_f64 v[30:31], vcc, v[18:19], v[20:21], v[18:19]
	v_fma_f64 v[32:33], -v[14:15], v[16:17], 1.0
	v_fmac_f64_e32 v[16:17], v[16:17], v[32:33]
	v_fma_f64 v[32:33], -v[14:15], v[16:17], 1.0
	v_fmac_f64_e32 v[16:17], v[16:17], v[32:33]
	v_mul_f64 v[32:33], v[30:31], v[16:17]
	v_fma_f64 v[14:15], -v[14:15], v[32:33], v[30:31]
	v_div_fmas_f64 v[14:15], v[14:15], v[16:17], v[32:33]
	v_div_fixup_f64 v[16:17], v[14:15], v[20:21], v[18:19]
	v_fma_f64 v[14:15], v[18:19], v[16:17], v[20:21]
	v_div_scale_f64 v[30:31], s[6:7], v[14:15], v[14:15], 1.0
	v_rcp_f64_e32 v[32:33], v[30:31]
	s_mov_b64 s[6:7], 0
	v_fma_f64 v[34:35], -v[30:31], v[32:33], 1.0
	v_fmac_f64_e32 v[32:33], v[32:33], v[34:35]
	v_fma_f64 v[34:35], -v[30:31], v[32:33], 1.0
	v_fmac_f64_e32 v[32:33], v[32:33], v[34:35]
	v_div_scale_f64 v[34:35], vcc, 1.0, v[14:15], 1.0
	v_mul_f64 v[36:37], v[34:35], v[32:33]
	v_fma_f64 v[30:31], -v[30:31], v[36:37], v[34:35]
	s_nop 1
	v_div_fmas_f64 v[30:31], v[30:31], v[32:33], v[36:37]
	v_div_fixup_f64 v[30:31], v[30:31], v[14:15], 1.0
	v_fma_f64 v[14:15], v[16:17], v[22:23], v[24:25]
	v_fma_f64 v[16:17], v[16:17], v[24:25], -v[22:23]
	v_mul_f64 v[14:15], v[14:15], v[30:31]
	v_mul_f64 v[16:17], v[16:17], v[30:31]
.LBB218_22:                             ;   in Loop: Header=BB218_14 Depth=1
	s_andn2_b64 vcc, exec, s[6:7]
	s_cbranch_vccnz .LBB218_24
; %bb.23:                               ;   in Loop: Header=BB218_14 Depth=1
	v_div_scale_f64 v[14:15], s[6:7], v[18:19], v[18:19], v[20:21]
	v_rcp_f64_e32 v[16:17], v[14:15]
	v_div_scale_f64 v[30:31], vcc, v[20:21], v[18:19], v[20:21]
	v_fma_f64 v[32:33], -v[14:15], v[16:17], 1.0
	v_fmac_f64_e32 v[16:17], v[16:17], v[32:33]
	v_fma_f64 v[32:33], -v[14:15], v[16:17], 1.0
	v_fmac_f64_e32 v[16:17], v[16:17], v[32:33]
	v_mul_f64 v[32:33], v[30:31], v[16:17]
	v_fma_f64 v[14:15], -v[14:15], v[32:33], v[30:31]
	v_div_fmas_f64 v[14:15], v[14:15], v[16:17], v[32:33]
	v_div_fixup_f64 v[16:17], v[14:15], v[18:19], v[20:21]
	v_fmac_f64_e32 v[18:19], v[20:21], v[16:17]
	v_div_scale_f64 v[14:15], s[6:7], v[18:19], v[18:19], 1.0
	v_rcp_f64_e32 v[20:21], v[14:15]
	s_nop 0
	v_fma_f64 v[30:31], -v[14:15], v[20:21], 1.0
	v_fmac_f64_e32 v[20:21], v[20:21], v[30:31]
	v_fma_f64 v[30:31], -v[14:15], v[20:21], 1.0
	v_fmac_f64_e32 v[20:21], v[20:21], v[30:31]
	v_div_scale_f64 v[30:31], vcc, 1.0, v[18:19], 1.0
	v_mul_f64 v[32:33], v[30:31], v[20:21]
	v_fma_f64 v[14:15], -v[14:15], v[32:33], v[30:31]
	s_nop 1
	v_div_fmas_f64 v[14:15], v[14:15], v[20:21], v[32:33]
	v_div_fixup_f64 v[18:19], v[14:15], v[18:19], 1.0
	v_fma_f64 v[14:15], v[16:17], v[24:25], v[22:23]
	v_fma_f64 v[16:17], -v[16:17], v[22:23], v[24:25]
	v_mul_f64 v[14:15], v[14:15], v[18:19]
	v_mul_f64 v[16:17], v[16:17], v[18:19]
.LBB218_24:                             ;   in Loop: Header=BB218_14 Depth=1
	v_mov_b32_e32 v18, s14
	ds_read_b128 v[22:25], v18 offset:32
	s_add_i32 s16, s14, 0x110
	s_sub_i32 s15, s16, s15
	s_add_i32 s15, s15, s12
	ds_write_b128 v29, v[14:17]
	s_waitcnt lgkmcnt(1)
	v_mul_f64 v[30:31], v[12:13], v[24:25]
	v_mov_b32_e32 v29, s15
	ds_read_b128 v[18:21], v18 offset:544
	v_fma_f64 v[34:35], v[10:11], v[22:23], -v[30:31]
	ds_read_b128 v[30:33], v29 offset:32
	v_mul_f64 v[24:25], v[10:11], v[24:25]
	v_fmac_f64_e32 v[24:25], v[12:13], v[22:23]
	v_add_f64 v[8:9], v[8:9], -v[24:25]
	v_add_f64 v[6:7], v[6:7], -v[34:35]
	s_waitcnt lgkmcnt(0)
	v_mul_f64 v[22:23], v[16:17], v[32:33]
	v_mul_f64 v[24:25], v[14:15], v[32:33]
	v_fma_f64 v[22:23], v[14:15], v[30:31], -v[22:23]
	v_fmac_f64_e32 v[24:25], v[16:17], v[30:31]
	v_cmp_ngt_f64_e64 s[18:19], |v[18:19]|, |v[20:21]|
	v_add_f64 v[6:7], v[6:7], -v[22:23]
	v_add_f64 v[8:9], v[8:9], -v[24:25]
	s_mov_b64 s[6:7], -1
	s_and_b64 vcc, exec, s[18:19]
                                        ; implicit-def: $vgpr24_vgpr25
	s_cbranch_vccz .LBB218_26
; %bb.25:                               ;   in Loop: Header=BB218_14 Depth=1
	v_div_scale_f64 v[22:23], s[6:7], v[20:21], v[20:21], v[18:19]
	v_rcp_f64_e32 v[24:25], v[22:23]
	v_div_scale_f64 v[30:31], vcc, v[18:19], v[20:21], v[18:19]
	v_fma_f64 v[32:33], -v[22:23], v[24:25], 1.0
	v_fmac_f64_e32 v[24:25], v[24:25], v[32:33]
	v_fma_f64 v[32:33], -v[22:23], v[24:25], 1.0
	v_fmac_f64_e32 v[24:25], v[24:25], v[32:33]
	v_mul_f64 v[32:33], v[30:31], v[24:25]
	v_fma_f64 v[22:23], -v[22:23], v[32:33], v[30:31]
	v_div_fmas_f64 v[22:23], v[22:23], v[24:25], v[32:33]
	v_div_fixup_f64 v[24:25], v[22:23], v[20:21], v[18:19]
	v_fma_f64 v[22:23], v[18:19], v[24:25], v[20:21]
	v_div_scale_f64 v[30:31], s[6:7], v[22:23], v[22:23], 1.0
	v_rcp_f64_e32 v[32:33], v[30:31]
	s_mov_b64 s[6:7], 0
	v_fma_f64 v[34:35], -v[30:31], v[32:33], 1.0
	v_fmac_f64_e32 v[32:33], v[32:33], v[34:35]
	v_fma_f64 v[34:35], -v[30:31], v[32:33], 1.0
	v_fmac_f64_e32 v[32:33], v[32:33], v[34:35]
	v_div_scale_f64 v[34:35], vcc, 1.0, v[22:23], 1.0
	v_mul_f64 v[36:37], v[34:35], v[32:33]
	v_fma_f64 v[30:31], -v[30:31], v[36:37], v[34:35]
	s_nop 1
	v_div_fmas_f64 v[30:31], v[30:31], v[32:33], v[36:37]
	v_div_fixup_f64 v[30:31], v[30:31], v[22:23], 1.0
	v_fma_f64 v[22:23], v[24:25], v[6:7], v[8:9]
	v_fma_f64 v[24:25], v[24:25], v[8:9], -v[6:7]
	v_mul_f64 v[22:23], v[22:23], v[30:31]
	v_mul_f64 v[24:25], v[24:25], v[30:31]
.LBB218_26:                             ;   in Loop: Header=BB218_14 Depth=1
	s_andn2_b64 vcc, exec, s[6:7]
	s_cbranch_vccnz .LBB218_28
; %bb.27:                               ;   in Loop: Header=BB218_14 Depth=1
	v_div_scale_f64 v[22:23], s[6:7], v[18:19], v[18:19], v[20:21]
	v_rcp_f64_e32 v[24:25], v[22:23]
	v_div_scale_f64 v[30:31], vcc, v[20:21], v[18:19], v[20:21]
	v_fma_f64 v[32:33], -v[22:23], v[24:25], 1.0
	v_fmac_f64_e32 v[24:25], v[24:25], v[32:33]
	v_fma_f64 v[32:33], -v[22:23], v[24:25], 1.0
	v_fmac_f64_e32 v[24:25], v[24:25], v[32:33]
	v_mul_f64 v[32:33], v[30:31], v[24:25]
	v_fma_f64 v[22:23], -v[22:23], v[32:33], v[30:31]
	v_div_fmas_f64 v[22:23], v[22:23], v[24:25], v[32:33]
	v_div_fixup_f64 v[24:25], v[22:23], v[18:19], v[20:21]
	v_fmac_f64_e32 v[18:19], v[20:21], v[24:25]
	v_div_scale_f64 v[20:21], s[6:7], v[18:19], v[18:19], 1.0
	v_rcp_f64_e32 v[22:23], v[20:21]
	s_nop 0
	v_fma_f64 v[30:31], -v[20:21], v[22:23], 1.0
	v_fmac_f64_e32 v[22:23], v[22:23], v[30:31]
	v_fma_f64 v[30:31], -v[20:21], v[22:23], 1.0
	v_fmac_f64_e32 v[22:23], v[22:23], v[30:31]
	v_div_scale_f64 v[30:31], vcc, 1.0, v[18:19], 1.0
	v_mul_f64 v[32:33], v[30:31], v[22:23]
	v_fma_f64 v[20:21], -v[20:21], v[32:33], v[30:31]
	s_nop 1
	v_div_fmas_f64 v[20:21], v[20:21], v[22:23], v[32:33]
	v_div_fixup_f64 v[18:19], v[20:21], v[18:19], 1.0
	v_fma_f64 v[20:21], v[24:25], v[8:9], v[6:7]
	v_fma_f64 v[6:7], -v[24:25], v[6:7], v[8:9]
	v_mul_f64 v[22:23], v[20:21], v[18:19]
	v_mul_f64 v[24:25], v[6:7], v[18:19]
.LBB218_28:                             ;   in Loop: Header=BB218_14 Depth=1
	v_mov_b32_e32 v6, s14
	ds_read_b128 v[18:21], v6 offset:48
	ds_write_b128 v28, v[22:25]
	s_sub_i32 s6, s16, s13
	s_add_i32 s6, s6, s12
	ds_read_b128 v[6:9], v6 offset:816
	s_waitcnt lgkmcnt(2)
	v_mul_f64 v[28:29], v[12:13], v[20:21]
	v_mul_f64 v[20:21], v[10:11], v[20:21]
	v_fma_f64 v[10:11], v[10:11], v[18:19], -v[28:29]
	v_fmac_f64_e32 v[20:21], v[12:13], v[18:19]
	v_add_f64 v[18:19], v[2:3], -v[10:11]
	v_mov_b32_e32 v2, s15
	ds_read_b128 v[10:13], v2 offset:48
	v_mov_b32_e32 v2, s6
	v_add_f64 v[20:21], v[4:5], -v[20:21]
	ds_read_b128 v[2:5], v2 offset:320
	s_waitcnt lgkmcnt(2)
	v_cmp_ngt_f64_e64 s[12:13], |v[6:7]|, |v[8:9]|
	s_waitcnt lgkmcnt(1)
	v_mul_f64 v[28:29], v[16:17], v[12:13]
	v_mul_f64 v[12:13], v[14:15], v[12:13]
	v_fma_f64 v[28:29], v[14:15], v[10:11], -v[28:29]
	v_fmac_f64_e32 v[12:13], v[16:17], v[10:11]
	s_waitcnt lgkmcnt(0)
	v_mul_f64 v[14:15], v[24:25], v[4:5]
	v_mul_f64 v[4:5], v[22:23], v[4:5]
	v_add_f64 v[10:11], v[18:19], -v[28:29]
	v_add_f64 v[12:13], v[20:21], -v[12:13]
	v_fma_f64 v[14:15], v[22:23], v[2:3], -v[14:15]
	v_fmac_f64_e32 v[4:5], v[24:25], v[2:3]
	v_add_f64 v[10:11], v[10:11], -v[14:15]
	v_add_f64 v[12:13], v[12:13], -v[4:5]
	s_mov_b64 s[6:7], -1
	s_and_b64 vcc, exec, s[12:13]
                                        ; implicit-def: $vgpr4_vgpr5
	s_cbranch_vccz .LBB218_30
; %bb.29:                               ;   in Loop: Header=BB218_14 Depth=1
	v_div_scale_f64 v[2:3], s[6:7], v[8:9], v[8:9], v[6:7]
	v_rcp_f64_e32 v[4:5], v[2:3]
	v_div_scale_f64 v[14:15], vcc, v[6:7], v[8:9], v[6:7]
	v_fma_f64 v[16:17], -v[2:3], v[4:5], 1.0
	v_fmac_f64_e32 v[4:5], v[4:5], v[16:17]
	v_fma_f64 v[16:17], -v[2:3], v[4:5], 1.0
	v_fmac_f64_e32 v[4:5], v[4:5], v[16:17]
	v_mul_f64 v[16:17], v[14:15], v[4:5]
	v_fma_f64 v[2:3], -v[2:3], v[16:17], v[14:15]
	v_div_fmas_f64 v[2:3], v[2:3], v[4:5], v[16:17]
	v_div_fixup_f64 v[4:5], v[2:3], v[8:9], v[6:7]
	v_fma_f64 v[2:3], v[6:7], v[4:5], v[8:9]
	v_div_scale_f64 v[14:15], s[6:7], v[2:3], v[2:3], 1.0
	v_rcp_f64_e32 v[16:17], v[14:15]
	s_mov_b64 s[6:7], 0
	v_fma_f64 v[18:19], -v[14:15], v[16:17], 1.0
	v_fmac_f64_e32 v[16:17], v[16:17], v[18:19]
	v_fma_f64 v[18:19], -v[14:15], v[16:17], 1.0
	v_fmac_f64_e32 v[16:17], v[16:17], v[18:19]
	v_div_scale_f64 v[18:19], vcc, 1.0, v[2:3], 1.0
	v_mul_f64 v[20:21], v[18:19], v[16:17]
	v_fma_f64 v[14:15], -v[14:15], v[20:21], v[18:19]
	s_nop 1
	v_div_fmas_f64 v[14:15], v[14:15], v[16:17], v[20:21]
	v_div_fixup_f64 v[14:15], v[14:15], v[2:3], 1.0
	v_fma_f64 v[2:3], v[4:5], v[10:11], v[12:13]
	v_fma_f64 v[4:5], v[4:5], v[12:13], -v[10:11]
	v_mul_f64 v[2:3], v[2:3], v[14:15]
	v_mul_f64 v[4:5], v[4:5], v[14:15]
.LBB218_30:                             ;   in Loop: Header=BB218_14 Depth=1
	s_andn2_b64 vcc, exec, s[6:7]
	s_cbranch_vccnz .LBB218_32
; %bb.31:                               ;   in Loop: Header=BB218_14 Depth=1
	v_div_scale_f64 v[2:3], s[6:7], v[6:7], v[6:7], v[8:9]
	v_rcp_f64_e32 v[4:5], v[2:3]
	v_div_scale_f64 v[14:15], vcc, v[8:9], v[6:7], v[8:9]
	v_fma_f64 v[16:17], -v[2:3], v[4:5], 1.0
	v_fmac_f64_e32 v[4:5], v[4:5], v[16:17]
	v_fma_f64 v[16:17], -v[2:3], v[4:5], 1.0
	v_fmac_f64_e32 v[4:5], v[4:5], v[16:17]
	v_mul_f64 v[16:17], v[14:15], v[4:5]
	v_fma_f64 v[2:3], -v[2:3], v[16:17], v[14:15]
	v_div_fmas_f64 v[2:3], v[2:3], v[4:5], v[16:17]
	v_div_fixup_f64 v[4:5], v[2:3], v[6:7], v[8:9]
	v_fmac_f64_e32 v[6:7], v[8:9], v[4:5]
	v_div_scale_f64 v[2:3], s[6:7], v[6:7], v[6:7], 1.0
	v_rcp_f64_e32 v[8:9], v[2:3]
	s_nop 0
	v_fma_f64 v[14:15], -v[2:3], v[8:9], 1.0
	v_fmac_f64_e32 v[8:9], v[8:9], v[14:15]
	v_fma_f64 v[14:15], -v[2:3], v[8:9], 1.0
	v_fmac_f64_e32 v[8:9], v[8:9], v[14:15]
	v_div_scale_f64 v[14:15], vcc, 1.0, v[6:7], 1.0
	v_mul_f64 v[16:17], v[14:15], v[8:9]
	v_fma_f64 v[2:3], -v[2:3], v[16:17], v[14:15]
	s_nop 1
	v_div_fmas_f64 v[2:3], v[2:3], v[8:9], v[16:17]
	v_div_fixup_f64 v[6:7], v[2:3], v[6:7], 1.0
	v_fma_f64 v[2:3], v[4:5], v[12:13], v[10:11]
	v_fma_f64 v[4:5], -v[4:5], v[10:11], v[12:13]
	v_mul_f64 v[2:3], v[2:3], v[6:7]
	v_mul_f64 v[4:5], v[4:5], v[6:7]
.LBB218_32:                             ;   in Loop: Header=BB218_14 Depth=1
	s_add_i32 s12, s11, 4
	s_add_i32 s6, s11, 7
	s_add_i32 s10, s10, 64
	s_cmp_ge_i32 s6, s25
	ds_write_b128 v27, v[2:5]
	s_cbranch_scc1 .LBB218_34
; %bb.33:                               ;   in Loop: Header=BB218_14 Depth=1
	s_mov_b32 s11, s12
	s_branch .LBB218_14
.LBB218_34:
	s_cmp_ge_i32 s12, s25
	s_cbranch_scc1 .LBB218_43
; %bb.35:
	v_mov_b32_e32 v2, 0x1000
	s_lshl_b32 s10, s12, 4
	v_lshl_or_b32 v14, v0, 4, v2
	s_branch .LBB218_37
.LBB218_36:                             ;   in Loop: Header=BB218_37 Depth=1
	s_add_i32 s12, s12, 1
	s_add_i32 s10, s10, 16
	s_cmp_ge_i32 s12, s25
	ds_write_b128 v15, v[10:13]
	s_cbranch_scc1 .LBB218_43
.LBB218_37:                             ; =>This Loop Header: Depth=1
                                        ;     Child Loop BB218_38 Depth 2
	s_lshl_b32 s6, s12, 8
	v_add_u32_e32 v15, s6, v1
	ds_read_b128 v[2:5], v15
	s_cmp_eq_u32 s12, 0
	v_mov_b32_e32 v6, v14
	s_mov_b32 s7, s10
	s_mov_b32 s11, s12
	s_cbranch_scc1 .LBB218_39
.LBB218_38:                             ;   Parent Loop BB218_37 Depth=1
                                        ; =>  This Inner Loop Header: Depth=2
	v_mov_b32_e32 v7, s7
	ds_read_b128 v[8:11], v6
	ds_read_b128 v[16:19], v7
	s_add_i32 s11, s11, -1
	s_addk_i32 s7, 0x100
	v_add_u32_e32 v6, 0x100, v6
	s_cmp_eq_u32 s11, 0
	s_waitcnt lgkmcnt(0)
	v_mul_f64 v[12:13], v[18:19], v[10:11]
	v_mul_f64 v[10:11], v[16:17], v[10:11]
	v_fma_f64 v[12:13], v[16:17], v[8:9], -v[12:13]
	v_fmac_f64_e32 v[10:11], v[18:19], v[8:9]
	v_add_f64 v[2:3], v[2:3], -v[12:13]
	v_add_f64 v[4:5], v[4:5], -v[10:11]
	s_cbranch_scc0 .LBB218_38
.LBB218_39:                             ;   in Loop: Header=BB218_37 Depth=1
	s_lshl_b32 s7, s12, 4
	s_add_i32 s6, s7, s6
	v_mov_b32_e32 v6, s6
	ds_read_b128 v[6:9], v6
	s_mov_b64 s[6:7], -1
                                        ; implicit-def: $vgpr10_vgpr11
	s_waitcnt lgkmcnt(0)
	v_cmp_ngt_f64_e64 s[14:15], |v[6:7]|, |v[8:9]|
	s_and_b64 vcc, exec, s[14:15]
	s_cbranch_vccz .LBB218_41
; %bb.40:                               ;   in Loop: Header=BB218_37 Depth=1
	v_div_scale_f64 v[10:11], s[6:7], v[8:9], v[8:9], v[6:7]
	v_rcp_f64_e32 v[12:13], v[10:11]
	v_div_scale_f64 v[16:17], vcc, v[6:7], v[8:9], v[6:7]
	v_fma_f64 v[18:19], -v[10:11], v[12:13], 1.0
	v_fmac_f64_e32 v[12:13], v[12:13], v[18:19]
	v_fma_f64 v[18:19], -v[10:11], v[12:13], 1.0
	v_fmac_f64_e32 v[12:13], v[12:13], v[18:19]
	v_mul_f64 v[18:19], v[16:17], v[12:13]
	v_fma_f64 v[10:11], -v[10:11], v[18:19], v[16:17]
	v_div_fmas_f64 v[10:11], v[10:11], v[12:13], v[18:19]
	v_div_fixup_f64 v[12:13], v[10:11], v[8:9], v[6:7]
	v_fma_f64 v[10:11], v[6:7], v[12:13], v[8:9]
	v_div_scale_f64 v[16:17], s[6:7], v[10:11], v[10:11], 1.0
	v_rcp_f64_e32 v[18:19], v[16:17]
	s_mov_b64 s[6:7], 0
	v_fma_f64 v[20:21], -v[16:17], v[18:19], 1.0
	v_fmac_f64_e32 v[18:19], v[18:19], v[20:21]
	v_fma_f64 v[20:21], -v[16:17], v[18:19], 1.0
	v_fmac_f64_e32 v[18:19], v[18:19], v[20:21]
	v_div_scale_f64 v[20:21], vcc, 1.0, v[10:11], 1.0
	v_mul_f64 v[22:23], v[20:21], v[18:19]
	v_fma_f64 v[16:17], -v[16:17], v[22:23], v[20:21]
	s_nop 1
	v_div_fmas_f64 v[16:17], v[16:17], v[18:19], v[22:23]
	v_div_fixup_f64 v[16:17], v[16:17], v[10:11], 1.0
	v_fma_f64 v[10:11], v[2:3], v[12:13], v[4:5]
	v_fma_f64 v[12:13], v[4:5], v[12:13], -v[2:3]
	v_mul_f64 v[10:11], v[10:11], v[16:17]
	v_mul_f64 v[12:13], v[12:13], v[16:17]
.LBB218_41:                             ;   in Loop: Header=BB218_37 Depth=1
	s_andn2_b64 vcc, exec, s[6:7]
	s_cbranch_vccnz .LBB218_36
; %bb.42:                               ;   in Loop: Header=BB218_37 Depth=1
	v_div_scale_f64 v[10:11], s[6:7], v[6:7], v[6:7], v[8:9]
	v_rcp_f64_e32 v[12:13], v[10:11]
	v_div_scale_f64 v[16:17], vcc, v[8:9], v[6:7], v[8:9]
	v_fma_f64 v[18:19], -v[10:11], v[12:13], 1.0
	v_fmac_f64_e32 v[12:13], v[12:13], v[18:19]
	v_fma_f64 v[18:19], -v[10:11], v[12:13], 1.0
	v_fmac_f64_e32 v[12:13], v[12:13], v[18:19]
	v_mul_f64 v[18:19], v[16:17], v[12:13]
	v_fma_f64 v[10:11], -v[10:11], v[18:19], v[16:17]
	v_div_fmas_f64 v[10:11], v[10:11], v[12:13], v[18:19]
	v_div_fixup_f64 v[12:13], v[10:11], v[6:7], v[8:9]
	v_fmac_f64_e32 v[6:7], v[8:9], v[12:13]
	v_div_scale_f64 v[8:9], s[6:7], v[6:7], v[6:7], 1.0
	v_rcp_f64_e32 v[10:11], v[8:9]
	s_nop 0
	v_fma_f64 v[16:17], -v[8:9], v[10:11], 1.0
	v_fmac_f64_e32 v[10:11], v[10:11], v[16:17]
	v_fma_f64 v[16:17], -v[8:9], v[10:11], 1.0
	v_fmac_f64_e32 v[10:11], v[10:11], v[16:17]
	v_div_scale_f64 v[16:17], vcc, 1.0, v[6:7], 1.0
	v_mul_f64 v[18:19], v[16:17], v[10:11]
	v_fma_f64 v[8:9], -v[8:9], v[18:19], v[16:17]
	s_nop 1
	v_div_fmas_f64 v[8:9], v[8:9], v[10:11], v[18:19]
	v_div_fixup_f64 v[6:7], v[8:9], v[6:7], 1.0
	v_fma_f64 v[8:9], v[4:5], v[12:13], v[2:3]
	v_fma_f64 v[2:3], -v[2:3], v[12:13], v[4:5]
	v_mul_f64 v[10:11], v[8:9], v[6:7]
	v_mul_f64 v[12:13], v[2:3], v[6:7]
	s_branch .LBB218_36
.LBB218_43:
	s_mov_b64 s[6:7], 0
.LBB218_44:
	s_and_b64 vcc, exec, s[6:7]
	s_cbranch_vccz .LBB218_76
; %bb.45:
	s_andn2_b64 vcc, exec, s[4:5]
	s_mov_b32 s12, s9
	s_cbranch_vccnz .LBB218_67
; %bb.46:
	v_lshlrev_b32_e32 v2, 4, v0
	s_mul_i32 s6, s25, 0x110
	v_lshl_or_b32 v2, s25, 8, v2
	s_add_i32 s10, s6, 0xfffffec0
	v_add_u32_e32 v26, 0xf00, v2
	s_mov_b32 s11, s9
.LBB218_47:                             ; =>This Loop Header: Depth=1
                                        ;     Child Loop BB218_48 Depth 2
	s_add_i32 s14, s11, -2
	s_add_i32 s12, s11, -3
	v_lshl_add_u32 v30, s11, 8, v1
	s_add_i32 s16, s11, -1
	v_lshl_add_u32 v28, s14, 8, v1
	s_lshl_b32 s6, s12, 8
	v_lshl_add_u32 v29, s16, 8, v1
	ds_read_b128 v[18:21], v30
	ds_read_b128 v[14:17], v29
	v_add_u32_e32 v27, s6, v1
	ds_read_b128 v[6:9], v28
	ds_read_b128 v[2:5], v27
	s_cmp_le_i32 s9, s11
	v_mov_b32_e32 v10, v26
	s_mov_b32 s6, s10
	s_mov_b32 s7, s9
	s_cbranch_scc1 .LBB218_49
.LBB218_48:                             ;   Parent Loop BB218_47 Depth=1
                                        ; =>  This Inner Loop Header: Depth=2
	v_mov_b32_e32 v11, s6
	ds_read_b128 v[22:25], v10
	ds_read_b128 v[32:35], v11 offset:48
	ds_read_b128 v[36:39], v11 offset:32
	ds_read_b128 v[40:43], v11
	ds_read_b128 v[44:47], v11 offset:16
	s_add_i32 s7, s7, -1
	s_addk_i32 s6, 0xff00
	v_add_u32_e32 v10, 0xffffff00, v10
	s_waitcnt lgkmcnt(3)
	v_mul_f64 v[12:13], v[24:25], v[34:35]
	v_mul_f64 v[34:35], v[22:23], v[34:35]
	s_waitcnt lgkmcnt(2)
	v_mul_f64 v[48:49], v[24:25], v[38:39]
	v_mul_f64 v[38:39], v[22:23], v[38:39]
	;; [unrolled: 3-line block ×3, first 2 shown]
	v_mul_f64 v[52:53], v[24:25], v[42:43]
	v_mul_f64 v[42:43], v[22:23], v[42:43]
	v_fma_f64 v[12:13], v[22:23], v[32:33], -v[12:13]
	v_fmac_f64_e32 v[34:35], v[24:25], v[32:33]
	v_fma_f64 v[32:33], v[22:23], v[36:37], -v[48:49]
	v_fmac_f64_e32 v[38:39], v[24:25], v[36:37]
	;; [unrolled: 2-line block ×4, first 2 shown]
	s_cmp_le_i32 s7, s11
	v_add_f64 v[18:19], v[18:19], -v[12:13]
	v_add_f64 v[20:21], v[20:21], -v[34:35]
	v_add_f64 v[14:15], v[14:15], -v[32:33]
	v_add_f64 v[16:17], v[16:17], -v[38:39]
	v_add_f64 v[6:7], v[6:7], -v[36:37]
	v_add_f64 v[8:9], v[8:9], -v[46:47]
	v_add_f64 v[2:3], v[2:3], -v[22:23]
	v_add_f64 v[4:5], v[4:5], -v[42:43]
	s_cbranch_scc0 .LBB218_48
.LBB218_49:                             ;   in Loop: Header=BB218_47 Depth=1
	s_lshl_b32 s18, s11, 4
	s_lshl_b32 s6, s11, 8
	s_add_i32 s15, s18, s6
	v_mov_b32_e32 v10, s15
	ds_read_b128 v[22:25], v10
	s_lshl_b32 s17, s16, 4
	s_lshl_b32 s13, s14, 4
	s_mov_b64 s[6:7], -1
                                        ; implicit-def: $vgpr12_vgpr13
	s_waitcnt lgkmcnt(0)
	v_cmp_ngt_f64_e64 s[20:21], |v[22:23]|, |v[24:25]|
	s_and_b64 vcc, exec, s[20:21]
	s_cbranch_vccz .LBB218_51
; %bb.50:                               ;   in Loop: Header=BB218_47 Depth=1
	v_div_scale_f64 v[10:11], s[6:7], v[24:25], v[24:25], v[22:23]
	v_rcp_f64_e32 v[12:13], v[10:11]
	v_div_scale_f64 v[32:33], vcc, v[22:23], v[24:25], v[22:23]
	v_fma_f64 v[34:35], -v[10:11], v[12:13], 1.0
	v_fmac_f64_e32 v[12:13], v[12:13], v[34:35]
	v_fma_f64 v[34:35], -v[10:11], v[12:13], 1.0
	v_fmac_f64_e32 v[12:13], v[12:13], v[34:35]
	v_mul_f64 v[34:35], v[32:33], v[12:13]
	v_fma_f64 v[10:11], -v[10:11], v[34:35], v[32:33]
	v_div_fmas_f64 v[10:11], v[10:11], v[12:13], v[34:35]
	v_div_fixup_f64 v[12:13], v[10:11], v[24:25], v[22:23]
	v_fma_f64 v[10:11], v[22:23], v[12:13], v[24:25]
	v_div_scale_f64 v[32:33], s[6:7], v[10:11], v[10:11], 1.0
	v_rcp_f64_e32 v[34:35], v[32:33]
	s_mov_b64 s[6:7], 0
	v_fma_f64 v[36:37], -v[32:33], v[34:35], 1.0
	v_fmac_f64_e32 v[34:35], v[34:35], v[36:37]
	v_fma_f64 v[36:37], -v[32:33], v[34:35], 1.0
	v_fmac_f64_e32 v[34:35], v[34:35], v[36:37]
	v_div_scale_f64 v[36:37], vcc, 1.0, v[10:11], 1.0
	v_mul_f64 v[38:39], v[36:37], v[34:35]
	v_fma_f64 v[32:33], -v[32:33], v[38:39], v[36:37]
	s_nop 1
	v_div_fmas_f64 v[32:33], v[32:33], v[34:35], v[38:39]
	v_div_fixup_f64 v[32:33], v[32:33], v[10:11], 1.0
	v_fma_f64 v[10:11], v[18:19], v[12:13], v[20:21]
	v_fma_f64 v[12:13], v[20:21], v[12:13], -v[18:19]
	v_mul_f64 v[10:11], v[10:11], v[32:33]
	v_mul_f64 v[12:13], v[12:13], v[32:33]
.LBB218_51:                             ;   in Loop: Header=BB218_47 Depth=1
	s_andn2_b64 vcc, exec, s[6:7]
	s_cbranch_vccnz .LBB218_53
; %bb.52:                               ;   in Loop: Header=BB218_47 Depth=1
	v_div_scale_f64 v[10:11], s[6:7], v[22:23], v[22:23], v[24:25]
	v_rcp_f64_e32 v[12:13], v[10:11]
	v_div_scale_f64 v[32:33], vcc, v[24:25], v[22:23], v[24:25]
	v_fma_f64 v[34:35], -v[10:11], v[12:13], 1.0
	v_fmac_f64_e32 v[12:13], v[12:13], v[34:35]
	v_fma_f64 v[34:35], -v[10:11], v[12:13], 1.0
	v_fmac_f64_e32 v[12:13], v[12:13], v[34:35]
	v_mul_f64 v[34:35], v[32:33], v[12:13]
	v_fma_f64 v[10:11], -v[10:11], v[34:35], v[32:33]
	v_div_fmas_f64 v[10:11], v[10:11], v[12:13], v[34:35]
	v_div_fixup_f64 v[12:13], v[10:11], v[22:23], v[24:25]
	v_fmac_f64_e32 v[22:23], v[24:25], v[12:13]
	v_div_scale_f64 v[10:11], s[6:7], v[22:23], v[22:23], 1.0
	v_rcp_f64_e32 v[24:25], v[10:11]
	s_nop 0
	v_fma_f64 v[32:33], -v[10:11], v[24:25], 1.0
	v_fmac_f64_e32 v[24:25], v[24:25], v[32:33]
	v_fma_f64 v[32:33], -v[10:11], v[24:25], 1.0
	v_fmac_f64_e32 v[24:25], v[24:25], v[32:33]
	v_div_scale_f64 v[32:33], vcc, 1.0, v[22:23], 1.0
	v_mul_f64 v[34:35], v[32:33], v[24:25]
	v_fma_f64 v[10:11], -v[10:11], v[34:35], v[32:33]
	s_nop 1
	v_div_fmas_f64 v[10:11], v[10:11], v[24:25], v[34:35]
	v_div_fixup_f64 v[22:23], v[10:11], v[22:23], 1.0
	v_fma_f64 v[10:11], v[20:21], v[12:13], v[18:19]
	v_fma_f64 v[12:13], -v[18:19], v[12:13], v[20:21]
	v_mul_f64 v[10:11], v[10:11], v[22:23]
	v_mul_f64 v[12:13], v[12:13], v[22:23]
.LBB218_53:                             ;   in Loop: Header=BB218_47 Depth=1
	s_lshl_b32 s6, s16, 8
	s_add_i32 s16, s18, s6
	s_add_i32 s6, s15, -16
	v_mov_b32_e32 v18, s6
	s_add_i32 s16, s16, -16
	ds_read_b128 v[22:25], v18
	v_mov_b32_e32 v18, s16
	ds_read_b128 v[18:21], v18
	ds_write_b128 v30, v[10:13]
	s_mov_b64 s[6:7], -1
	s_waitcnt lgkmcnt(2)
	v_mul_f64 v[30:31], v[12:13], v[24:25]
	v_mul_f64 v[24:25], v[10:11], v[24:25]
	v_fma_f64 v[30:31], v[10:11], v[22:23], -v[30:31]
	v_fmac_f64_e32 v[24:25], v[12:13], v[22:23]
	s_waitcnt lgkmcnt(1)
	v_cmp_ngt_f64_e64 s[20:21], |v[18:19]|, |v[20:21]|
	v_add_f64 v[22:23], v[14:15], -v[30:31]
	v_add_f64 v[24:25], v[16:17], -v[24:25]
	s_and_b64 vcc, exec, s[20:21]
                                        ; implicit-def: $vgpr16_vgpr17
	s_cbranch_vccz .LBB218_55
; %bb.54:                               ;   in Loop: Header=BB218_47 Depth=1
	v_div_scale_f64 v[14:15], s[6:7], v[20:21], v[20:21], v[18:19]
	v_rcp_f64_e32 v[16:17], v[14:15]
	v_div_scale_f64 v[30:31], vcc, v[18:19], v[20:21], v[18:19]
	v_fma_f64 v[32:33], -v[14:15], v[16:17], 1.0
	v_fmac_f64_e32 v[16:17], v[16:17], v[32:33]
	v_fma_f64 v[32:33], -v[14:15], v[16:17], 1.0
	v_fmac_f64_e32 v[16:17], v[16:17], v[32:33]
	v_mul_f64 v[32:33], v[30:31], v[16:17]
	v_fma_f64 v[14:15], -v[14:15], v[32:33], v[30:31]
	v_div_fmas_f64 v[14:15], v[14:15], v[16:17], v[32:33]
	v_div_fixup_f64 v[16:17], v[14:15], v[20:21], v[18:19]
	v_fma_f64 v[14:15], v[18:19], v[16:17], v[20:21]
	v_div_scale_f64 v[30:31], s[6:7], v[14:15], v[14:15], 1.0
	v_rcp_f64_e32 v[32:33], v[30:31]
	s_mov_b64 s[6:7], 0
	v_fma_f64 v[34:35], -v[30:31], v[32:33], 1.0
	v_fmac_f64_e32 v[32:33], v[32:33], v[34:35]
	v_fma_f64 v[34:35], -v[30:31], v[32:33], 1.0
	v_fmac_f64_e32 v[32:33], v[32:33], v[34:35]
	v_div_scale_f64 v[34:35], vcc, 1.0, v[14:15], 1.0
	v_mul_f64 v[36:37], v[34:35], v[32:33]
	v_fma_f64 v[30:31], -v[30:31], v[36:37], v[34:35]
	s_nop 1
	v_div_fmas_f64 v[30:31], v[30:31], v[32:33], v[36:37]
	v_div_fixup_f64 v[30:31], v[30:31], v[14:15], 1.0
	v_fma_f64 v[14:15], v[16:17], v[22:23], v[24:25]
	v_fma_f64 v[16:17], v[16:17], v[24:25], -v[22:23]
	v_mul_f64 v[14:15], v[14:15], v[30:31]
	v_mul_f64 v[16:17], v[16:17], v[30:31]
.LBB218_55:                             ;   in Loop: Header=BB218_47 Depth=1
	s_andn2_b64 vcc, exec, s[6:7]
	s_cbranch_vccnz .LBB218_57
; %bb.56:                               ;   in Loop: Header=BB218_47 Depth=1
	v_div_scale_f64 v[14:15], s[6:7], v[18:19], v[18:19], v[20:21]
	v_rcp_f64_e32 v[16:17], v[14:15]
	v_div_scale_f64 v[30:31], vcc, v[20:21], v[18:19], v[20:21]
	v_fma_f64 v[32:33], -v[14:15], v[16:17], 1.0
	v_fmac_f64_e32 v[16:17], v[16:17], v[32:33]
	v_fma_f64 v[32:33], -v[14:15], v[16:17], 1.0
	v_fmac_f64_e32 v[16:17], v[16:17], v[32:33]
	v_mul_f64 v[32:33], v[30:31], v[16:17]
	v_fma_f64 v[14:15], -v[14:15], v[32:33], v[30:31]
	v_div_fmas_f64 v[14:15], v[14:15], v[16:17], v[32:33]
	v_div_fixup_f64 v[16:17], v[14:15], v[18:19], v[20:21]
	v_fmac_f64_e32 v[18:19], v[20:21], v[16:17]
	v_div_scale_f64 v[14:15], s[6:7], v[18:19], v[18:19], 1.0
	v_rcp_f64_e32 v[20:21], v[14:15]
	s_nop 0
	v_fma_f64 v[30:31], -v[14:15], v[20:21], 1.0
	v_fmac_f64_e32 v[20:21], v[20:21], v[30:31]
	v_fma_f64 v[30:31], -v[14:15], v[20:21], 1.0
	v_fmac_f64_e32 v[20:21], v[20:21], v[30:31]
	v_div_scale_f64 v[30:31], vcc, 1.0, v[18:19], 1.0
	v_mul_f64 v[32:33], v[30:31], v[20:21]
	v_fma_f64 v[14:15], -v[14:15], v[32:33], v[30:31]
	s_nop 1
	v_div_fmas_f64 v[14:15], v[14:15], v[20:21], v[32:33]
	v_div_fixup_f64 v[18:19], v[14:15], v[18:19], 1.0
	v_fma_f64 v[14:15], v[16:17], v[24:25], v[22:23]
	v_fma_f64 v[16:17], -v[16:17], v[22:23], v[24:25]
	v_mul_f64 v[14:15], v[14:15], v[18:19]
	v_mul_f64 v[16:17], v[16:17], v[18:19]
.LBB218_57:                             ;   in Loop: Header=BB218_47 Depth=1
	s_lshl_b32 s6, s14, 8
	s_add_i32 s18, s18, s6
	s_sub_i32 s6, s15, 32
	v_mov_b32_e32 v18, s6
	s_sub_i32 s16, s16, s17
	ds_read_b128 v[18:21], v18
	s_add_i32 s6, s16, s13
	v_mov_b32_e32 v22, s6
	ds_read_b128 v[22:25], v22
	s_sub_i32 s14, s18, 32
	s_waitcnt lgkmcnt(1)
	v_mul_f64 v[30:31], v[12:13], v[20:21]
	v_fma_f64 v[30:31], v[10:11], v[18:19], -v[30:31]
	v_mul_f64 v[20:21], v[10:11], v[20:21]
	v_fmac_f64_e32 v[20:21], v[12:13], v[18:19]
	v_add_f64 v[18:19], v[6:7], -v[30:31]
	s_waitcnt lgkmcnt(0)
	v_mul_f64 v[6:7], v[16:17], v[24:25]
	v_fma_f64 v[30:31], v[14:15], v[22:23], -v[6:7]
	v_mov_b32_e32 v6, s14
	v_add_f64 v[20:21], v[8:9], -v[20:21]
	ds_read_b128 v[6:9], v6
	v_mul_f64 v[24:25], v[14:15], v[24:25]
	v_fmac_f64_e32 v[24:25], v[16:17], v[22:23]
	v_add_f64 v[22:23], v[18:19], -v[30:31]
	v_add_f64 v[24:25], v[20:21], -v[24:25]
	s_waitcnt lgkmcnt(0)
	v_cmp_ngt_f64_e64 s[18:19], |v[6:7]|, |v[8:9]|
	s_mov_b64 s[6:7], -1
	s_and_b64 vcc, exec, s[18:19]
	ds_write_b128 v29, v[14:17]
                                        ; implicit-def: $vgpr20_vgpr21
	s_cbranch_vccz .LBB218_59
; %bb.58:                               ;   in Loop: Header=BB218_47 Depth=1
	v_div_scale_f64 v[18:19], s[6:7], v[8:9], v[8:9], v[6:7]
	v_rcp_f64_e32 v[20:21], v[18:19]
	v_div_scale_f64 v[30:31], vcc, v[6:7], v[8:9], v[6:7]
	v_fma_f64 v[32:33], -v[18:19], v[20:21], 1.0
	v_fmac_f64_e32 v[20:21], v[20:21], v[32:33]
	v_fma_f64 v[32:33], -v[18:19], v[20:21], 1.0
	v_fmac_f64_e32 v[20:21], v[20:21], v[32:33]
	v_mul_f64 v[32:33], v[30:31], v[20:21]
	v_fma_f64 v[18:19], -v[18:19], v[32:33], v[30:31]
	v_div_fmas_f64 v[18:19], v[18:19], v[20:21], v[32:33]
	v_div_fixup_f64 v[20:21], v[18:19], v[8:9], v[6:7]
	v_fma_f64 v[18:19], v[6:7], v[20:21], v[8:9]
	v_div_scale_f64 v[30:31], s[6:7], v[18:19], v[18:19], 1.0
	v_rcp_f64_e32 v[32:33], v[30:31]
	s_mov_b64 s[6:7], 0
	v_fma_f64 v[34:35], -v[30:31], v[32:33], 1.0
	v_fmac_f64_e32 v[32:33], v[32:33], v[34:35]
	v_fma_f64 v[34:35], -v[30:31], v[32:33], 1.0
	v_fmac_f64_e32 v[32:33], v[32:33], v[34:35]
	v_div_scale_f64 v[34:35], vcc, 1.0, v[18:19], 1.0
	v_mul_f64 v[36:37], v[34:35], v[32:33]
	v_fma_f64 v[30:31], -v[30:31], v[36:37], v[34:35]
	s_nop 1
	v_div_fmas_f64 v[30:31], v[30:31], v[32:33], v[36:37]
	v_div_fixup_f64 v[30:31], v[30:31], v[18:19], 1.0
	v_fma_f64 v[18:19], v[20:21], v[22:23], v[24:25]
	v_fma_f64 v[20:21], v[20:21], v[24:25], -v[22:23]
	v_mul_f64 v[18:19], v[18:19], v[30:31]
	v_mul_f64 v[20:21], v[20:21], v[30:31]
.LBB218_59:                             ;   in Loop: Header=BB218_47 Depth=1
	s_andn2_b64 vcc, exec, s[6:7]
	s_cbranch_vccnz .LBB218_61
; %bb.60:                               ;   in Loop: Header=BB218_47 Depth=1
	v_div_scale_f64 v[18:19], s[6:7], v[6:7], v[6:7], v[8:9]
	v_rcp_f64_e32 v[20:21], v[18:19]
	v_div_scale_f64 v[30:31], vcc, v[8:9], v[6:7], v[8:9]
	v_fma_f64 v[32:33], -v[18:19], v[20:21], 1.0
	v_fmac_f64_e32 v[20:21], v[20:21], v[32:33]
	v_fma_f64 v[32:33], -v[18:19], v[20:21], 1.0
	v_fmac_f64_e32 v[20:21], v[20:21], v[32:33]
	v_mul_f64 v[32:33], v[30:31], v[20:21]
	v_fma_f64 v[18:19], -v[18:19], v[32:33], v[30:31]
	v_div_fmas_f64 v[18:19], v[18:19], v[20:21], v[32:33]
	v_div_fixup_f64 v[20:21], v[18:19], v[6:7], v[8:9]
	v_fmac_f64_e32 v[6:7], v[8:9], v[20:21]
	v_div_scale_f64 v[8:9], s[6:7], v[6:7], v[6:7], 1.0
	v_rcp_f64_e32 v[18:19], v[8:9]
	s_nop 0
	v_fma_f64 v[30:31], -v[8:9], v[18:19], 1.0
	v_fmac_f64_e32 v[18:19], v[18:19], v[30:31]
	v_fma_f64 v[30:31], -v[8:9], v[18:19], 1.0
	v_fmac_f64_e32 v[18:19], v[18:19], v[30:31]
	v_div_scale_f64 v[30:31], vcc, 1.0, v[6:7], 1.0
	v_mul_f64 v[32:33], v[30:31], v[18:19]
	v_fma_f64 v[8:9], -v[8:9], v[32:33], v[30:31]
	s_nop 1
	v_div_fmas_f64 v[8:9], v[8:9], v[18:19], v[32:33]
	v_div_fixup_f64 v[6:7], v[8:9], v[6:7], 1.0
	v_fma_f64 v[8:9], v[20:21], v[24:25], v[22:23]
	v_mul_f64 v[18:19], v[8:9], v[6:7]
	v_fma_f64 v[8:9], -v[20:21], v[22:23], v[24:25]
	v_mul_f64 v[20:21], v[8:9], v[6:7]
.LBB218_61:                             ;   in Loop: Header=BB218_47 Depth=1
	s_sub_i32 s6, s15, 48
	v_mov_b32_e32 v6, s6
	s_lshl_b32 s6, s12, 4
	s_add_i32 s7, s16, s6
	ds_read_b128 v[6:9], v6
	v_mov_b32_e32 v22, s7
	ds_read_b128 v[22:25], v22
	ds_write_b128 v28, v[18:21]
	s_sub_i32 s7, s14, s13
	s_waitcnt lgkmcnt(2)
	v_mul_f64 v[28:29], v[12:13], v[8:9]
	v_mul_f64 v[8:9], v[10:11], v[8:9]
	v_fma_f64 v[28:29], v[10:11], v[6:7], -v[28:29]
	v_fmac_f64_e32 v[8:9], v[12:13], v[6:7]
	s_waitcnt lgkmcnt(1)
	v_mul_f64 v[6:7], v[16:17], v[24:25]
	v_add_f64 v[2:3], v[2:3], -v[28:29]
	v_fma_f64 v[6:7], v[14:15], v[22:23], -v[6:7]
	s_add_i32 s6, s7, s6
	v_mul_f64 v[10:11], v[14:15], v[24:25]
	v_add_f64 v[12:13], v[2:3], -v[6:7]
	v_mov_b32_e32 v2, s6
	s_add_i32 s6, s14, 0xfffffef0
	v_add_f64 v[4:5], v[4:5], -v[8:9]
	v_fmac_f64_e32 v[10:11], v[16:17], v[22:23]
	ds_read_b128 v[6:9], v2
	v_mov_b32_e32 v2, s6
	v_add_f64 v[14:15], v[4:5], -v[10:11]
	ds_read_b128 v[2:5], v2
	s_mov_b64 s[6:7], -1
	s_waitcnt lgkmcnt(1)
	v_mul_f64 v[10:11], v[20:21], v[8:9]
	v_mul_f64 v[8:9], v[18:19], v[8:9]
	v_fma_f64 v[10:11], v[18:19], v[6:7], -v[10:11]
	v_fmac_f64_e32 v[8:9], v[20:21], v[6:7]
	s_waitcnt lgkmcnt(0)
	v_cmp_ngt_f64_e64 s[12:13], |v[2:3]|, |v[4:5]|
	v_add_f64 v[10:11], v[12:13], -v[10:11]
	v_add_f64 v[12:13], v[14:15], -v[8:9]
	s_and_b64 vcc, exec, s[12:13]
                                        ; implicit-def: $vgpr8_vgpr9
	s_cbranch_vccz .LBB218_63
; %bb.62:                               ;   in Loop: Header=BB218_47 Depth=1
	v_div_scale_f64 v[6:7], s[6:7], v[4:5], v[4:5], v[2:3]
	v_rcp_f64_e32 v[8:9], v[6:7]
	v_div_scale_f64 v[14:15], vcc, v[2:3], v[4:5], v[2:3]
	v_fma_f64 v[16:17], -v[6:7], v[8:9], 1.0
	v_fmac_f64_e32 v[8:9], v[8:9], v[16:17]
	v_fma_f64 v[16:17], -v[6:7], v[8:9], 1.0
	v_fmac_f64_e32 v[8:9], v[8:9], v[16:17]
	v_mul_f64 v[16:17], v[14:15], v[8:9]
	v_fma_f64 v[6:7], -v[6:7], v[16:17], v[14:15]
	v_div_fmas_f64 v[6:7], v[6:7], v[8:9], v[16:17]
	v_div_fixup_f64 v[8:9], v[6:7], v[4:5], v[2:3]
	v_fma_f64 v[6:7], v[2:3], v[8:9], v[4:5]
	v_div_scale_f64 v[14:15], s[6:7], v[6:7], v[6:7], 1.0
	v_rcp_f64_e32 v[16:17], v[14:15]
	s_mov_b64 s[6:7], 0
	v_fma_f64 v[18:19], -v[14:15], v[16:17], 1.0
	v_fmac_f64_e32 v[16:17], v[16:17], v[18:19]
	v_fma_f64 v[18:19], -v[14:15], v[16:17], 1.0
	v_fmac_f64_e32 v[16:17], v[16:17], v[18:19]
	v_div_scale_f64 v[18:19], vcc, 1.0, v[6:7], 1.0
	v_mul_f64 v[20:21], v[18:19], v[16:17]
	v_fma_f64 v[14:15], -v[14:15], v[20:21], v[18:19]
	s_nop 1
	v_div_fmas_f64 v[14:15], v[14:15], v[16:17], v[20:21]
	v_div_fixup_f64 v[14:15], v[14:15], v[6:7], 1.0
	v_fma_f64 v[6:7], v[8:9], v[10:11], v[12:13]
	v_fma_f64 v[8:9], v[8:9], v[12:13], -v[10:11]
	v_mul_f64 v[6:7], v[6:7], v[14:15]
	v_mul_f64 v[8:9], v[8:9], v[14:15]
.LBB218_63:                             ;   in Loop: Header=BB218_47 Depth=1
	s_andn2_b64 vcc, exec, s[6:7]
	s_cbranch_vccnz .LBB218_65
; %bb.64:                               ;   in Loop: Header=BB218_47 Depth=1
	v_div_scale_f64 v[6:7], s[6:7], v[2:3], v[2:3], v[4:5]
	v_rcp_f64_e32 v[8:9], v[6:7]
	v_div_scale_f64 v[14:15], vcc, v[4:5], v[2:3], v[4:5]
	v_fma_f64 v[16:17], -v[6:7], v[8:9], 1.0
	v_fmac_f64_e32 v[8:9], v[8:9], v[16:17]
	v_fma_f64 v[16:17], -v[6:7], v[8:9], 1.0
	v_fmac_f64_e32 v[8:9], v[8:9], v[16:17]
	v_mul_f64 v[16:17], v[14:15], v[8:9]
	v_fma_f64 v[6:7], -v[6:7], v[16:17], v[14:15]
	v_div_fmas_f64 v[6:7], v[6:7], v[8:9], v[16:17]
	v_div_fixup_f64 v[8:9], v[6:7], v[2:3], v[4:5]
	v_fmac_f64_e32 v[2:3], v[4:5], v[8:9]
	v_div_scale_f64 v[4:5], s[6:7], v[2:3], v[2:3], 1.0
	v_rcp_f64_e32 v[6:7], v[4:5]
	s_nop 0
	v_fma_f64 v[14:15], -v[4:5], v[6:7], 1.0
	v_fmac_f64_e32 v[6:7], v[6:7], v[14:15]
	v_fma_f64 v[14:15], -v[4:5], v[6:7], 1.0
	v_fmac_f64_e32 v[6:7], v[6:7], v[14:15]
	v_div_scale_f64 v[14:15], vcc, 1.0, v[2:3], 1.0
	v_mul_f64 v[16:17], v[14:15], v[6:7]
	v_fma_f64 v[4:5], -v[4:5], v[16:17], v[14:15]
	s_nop 1
	v_div_fmas_f64 v[4:5], v[4:5], v[6:7], v[16:17]
	v_div_fixup_f64 v[2:3], v[4:5], v[2:3], 1.0
	v_fma_f64 v[4:5], v[8:9], v[12:13], v[10:11]
	v_mul_f64 v[6:7], v[4:5], v[2:3]
	v_fma_f64 v[4:5], -v[8:9], v[10:11], v[12:13]
	v_mul_f64 v[8:9], v[4:5], v[2:3]
.LBB218_65:                             ;   in Loop: Header=BB218_47 Depth=1
	s_add_i32 s12, s11, -4
	s_sub_i32 s10, s10, 64
	s_cmp_lt_i32 s11, 7
	ds_write_b128 v27, v[6:9]
	s_cbranch_scc1 .LBB218_67
; %bb.66:                               ;   in Loop: Header=BB218_47 Depth=1
	s_mov_b32 s11, s12
	s_branch .LBB218_47
.LBB218_67:
	s_cmp_lt_i32 s12, 0
	s_cbranch_scc1 .LBB218_76
; %bb.68:
	s_lshl_b32 s6, s25, 8
	s_lshl_b32 s7, s12, 4
	s_add_i32 s7, s6, s7
	v_lshl_or_b32 v2, v0, 4, s6
	s_add_i32 s10, s7, 0xffffff00
	v_add_u32_e32 v14, 0xf00, v2
	s_branch .LBB218_70
.LBB218_69:                             ;   in Loop: Header=BB218_70 Depth=1
	v_sub_co_u32_e64 v2, s[6:7], s12, 1
	s_nop 0
	v_readfirstlane_b32 s12, v2
	s_add_i32 s10, s10, -16
	s_and_b64 vcc, exec, s[6:7]
	ds_write_b128 v15, v[10:13]
	s_cbranch_vccnz .LBB218_76
.LBB218_70:                             ; =>This Loop Header: Depth=1
                                        ;     Child Loop BB218_71 Depth 2
	s_lshl_b32 s6, s12, 8
	v_add_u32_e32 v15, s6, v1
	ds_read_b128 v[2:5], v15
	s_cmp_le_i32 s9, s12
	v_mov_b32_e32 v6, v14
	s_mov_b32 s7, s10
	s_mov_b32 s11, s9
	s_cbranch_scc1 .LBB218_72
.LBB218_71:                             ;   Parent Loop BB218_70 Depth=1
                                        ; =>  This Inner Loop Header: Depth=2
	v_mov_b32_e32 v7, s7
	ds_read_b128 v[8:11], v6
	ds_read_b128 v[16:19], v7
	s_add_i32 s11, s11, -1
	s_addk_i32 s7, 0xff00
	v_add_u32_e32 v6, 0xffffff00, v6
	s_cmp_le_u32 s11, s12
	s_waitcnt lgkmcnt(0)
	v_mul_f64 v[12:13], v[18:19], v[10:11]
	v_mul_f64 v[10:11], v[16:17], v[10:11]
	v_fma_f64 v[12:13], v[16:17], v[8:9], -v[12:13]
	v_fmac_f64_e32 v[10:11], v[18:19], v[8:9]
	v_add_f64 v[2:3], v[2:3], -v[12:13]
	v_add_f64 v[4:5], v[4:5], -v[10:11]
	s_cbranch_scc0 .LBB218_71
.LBB218_72:                             ;   in Loop: Header=BB218_70 Depth=1
	s_lshl_b32 s7, s12, 4
	s_add_i32 s6, s7, s6
	v_mov_b32_e32 v6, s6
	ds_read_b128 v[6:9], v6
	s_mov_b64 s[6:7], -1
                                        ; implicit-def: $vgpr10_vgpr11
	s_waitcnt lgkmcnt(0)
	v_cmp_ngt_f64_e64 s[14:15], |v[6:7]|, |v[8:9]|
	s_and_b64 vcc, exec, s[14:15]
	s_cbranch_vccz .LBB218_74
; %bb.73:                               ;   in Loop: Header=BB218_70 Depth=1
	v_div_scale_f64 v[10:11], s[6:7], v[8:9], v[8:9], v[6:7]
	v_rcp_f64_e32 v[12:13], v[10:11]
	v_div_scale_f64 v[16:17], vcc, v[6:7], v[8:9], v[6:7]
	v_fma_f64 v[18:19], -v[10:11], v[12:13], 1.0
	v_fmac_f64_e32 v[12:13], v[12:13], v[18:19]
	v_fma_f64 v[18:19], -v[10:11], v[12:13], 1.0
	v_fmac_f64_e32 v[12:13], v[12:13], v[18:19]
	v_mul_f64 v[18:19], v[16:17], v[12:13]
	v_fma_f64 v[10:11], -v[10:11], v[18:19], v[16:17]
	v_div_fmas_f64 v[10:11], v[10:11], v[12:13], v[18:19]
	v_div_fixup_f64 v[12:13], v[10:11], v[8:9], v[6:7]
	v_fma_f64 v[10:11], v[6:7], v[12:13], v[8:9]
	v_div_scale_f64 v[16:17], s[6:7], v[10:11], v[10:11], 1.0
	v_rcp_f64_e32 v[18:19], v[16:17]
	s_mov_b64 s[6:7], 0
	v_fma_f64 v[20:21], -v[16:17], v[18:19], 1.0
	v_fmac_f64_e32 v[18:19], v[18:19], v[20:21]
	v_fma_f64 v[20:21], -v[16:17], v[18:19], 1.0
	v_fmac_f64_e32 v[18:19], v[18:19], v[20:21]
	v_div_scale_f64 v[20:21], vcc, 1.0, v[10:11], 1.0
	v_mul_f64 v[22:23], v[20:21], v[18:19]
	v_fma_f64 v[16:17], -v[16:17], v[22:23], v[20:21]
	s_nop 1
	v_div_fmas_f64 v[16:17], v[16:17], v[18:19], v[22:23]
	v_div_fixup_f64 v[16:17], v[16:17], v[10:11], 1.0
	v_fma_f64 v[10:11], v[2:3], v[12:13], v[4:5]
	v_fma_f64 v[12:13], v[4:5], v[12:13], -v[2:3]
	v_mul_f64 v[10:11], v[10:11], v[16:17]
	v_mul_f64 v[12:13], v[12:13], v[16:17]
.LBB218_74:                             ;   in Loop: Header=BB218_70 Depth=1
	s_andn2_b64 vcc, exec, s[6:7]
	s_cbranch_vccnz .LBB218_69
; %bb.75:                               ;   in Loop: Header=BB218_70 Depth=1
	v_div_scale_f64 v[10:11], s[6:7], v[6:7], v[6:7], v[8:9]
	v_rcp_f64_e32 v[12:13], v[10:11]
	v_div_scale_f64 v[16:17], vcc, v[8:9], v[6:7], v[8:9]
	v_fma_f64 v[18:19], -v[10:11], v[12:13], 1.0
	v_fmac_f64_e32 v[12:13], v[12:13], v[18:19]
	v_fma_f64 v[18:19], -v[10:11], v[12:13], 1.0
	v_fmac_f64_e32 v[12:13], v[12:13], v[18:19]
	v_mul_f64 v[18:19], v[16:17], v[12:13]
	v_fma_f64 v[10:11], -v[10:11], v[18:19], v[16:17]
	v_div_fmas_f64 v[10:11], v[10:11], v[12:13], v[18:19]
	v_div_fixup_f64 v[12:13], v[10:11], v[6:7], v[8:9]
	v_fmac_f64_e32 v[6:7], v[8:9], v[12:13]
	v_div_scale_f64 v[8:9], s[6:7], v[6:7], v[6:7], 1.0
	v_rcp_f64_e32 v[10:11], v[8:9]
	s_nop 0
	v_fma_f64 v[16:17], -v[8:9], v[10:11], 1.0
	v_fmac_f64_e32 v[10:11], v[10:11], v[16:17]
	v_fma_f64 v[16:17], -v[8:9], v[10:11], 1.0
	v_fmac_f64_e32 v[10:11], v[10:11], v[16:17]
	v_div_scale_f64 v[16:17], vcc, 1.0, v[6:7], 1.0
	v_mul_f64 v[18:19], v[16:17], v[10:11]
	v_fma_f64 v[8:9], -v[8:9], v[18:19], v[16:17]
	s_nop 1
	v_div_fmas_f64 v[8:9], v[8:9], v[10:11], v[18:19]
	v_div_fixup_f64 v[6:7], v[8:9], v[6:7], 1.0
	v_fma_f64 v[8:9], v[4:5], v[12:13], v[2:3]
	v_fma_f64 v[2:3], -v[2:3], v[12:13], v[4:5]
	v_mul_f64 v[10:11], v[8:9], v[6:7]
	v_mul_f64 v[12:13], v[2:3], v[6:7]
	s_branch .LBB218_69
.LBB218_76:
	s_mov_b64 s[10:11], 0
.LBB218_77:
	s_andn2_b64 vcc, exec, s[10:11]
	s_cbranch_vccnz .LBB218_109
; %bb.78:
	s_andn2_b64 vcc, exec, s[4:5]
	s_mov_b32 s10, s9
	s_cbranch_vccnz .LBB218_100
; %bb.79:
	v_lshlrev_b32_e32 v2, 4, v0
	v_lshl_or_b32 v2, s25, 8, v2
	s_mul_i32 s4, s25, 0x110
	v_add_u32_e32 v26, 0xf00, v2
	s_add_i32 s6, s4, 0xfffffbf0
	s_mov_b32 s7, s9
.LBB218_80:                             ; =>This Loop Header: Depth=1
                                        ;     Child Loop BB218_81 Depth 2
	s_add_i32 s5, s7, -2
	v_lshl_add_u32 v30, s7, 8, v1
	s_add_i32 s4, s7, -1
	v_lshl_add_u32 v28, s5, 8, v1
	;; [unrolled: 2-line block ×3, first 2 shown]
	ds_read_b128 v[18:21], v30
	ds_read_b128 v[14:17], v29
	v_lshl_add_u32 v27, s10, 8, v1
	ds_read_b128 v[6:9], v28
	ds_read_b128 v[2:5], v27
	s_cmp_le_i32 s9, s7
	s_mov_b32 s11, s6
	v_mov_b32_e32 v10, v26
	s_mov_b32 s12, s9
	s_cbranch_scc1 .LBB218_82
.LBB218_81:                             ;   Parent Loop BB218_80 Depth=1
                                        ; =>  This Inner Loop Header: Depth=2
	v_mov_b32_e32 v11, s11
	ds_read_b128 v[22:25], v10
	ds_read_b128 v[32:35], v11 offset:768
	ds_read_b128 v[36:39], v11 offset:512
	;; [unrolled: 1-line block ×3, first 2 shown]
	ds_read_b128 v[44:47], v11
	s_add_i32 s12, s12, -1
	s_add_i32 s11, s11, -16
	v_add_u32_e32 v10, 0xffffff00, v10
	s_waitcnt lgkmcnt(3)
	v_mul_f64 v[12:13], v[24:25], v[34:35]
	v_mul_f64 v[34:35], v[22:23], v[34:35]
	s_waitcnt lgkmcnt(2)
	v_mul_f64 v[48:49], v[24:25], v[38:39]
	v_mul_f64 v[38:39], v[22:23], v[38:39]
	s_waitcnt lgkmcnt(1)
	v_mul_f64 v[50:51], v[24:25], v[42:43]
	v_mul_f64 v[42:43], v[22:23], v[42:43]
	s_waitcnt lgkmcnt(0)
	v_mul_f64 v[52:53], v[24:25], v[46:47]
	v_mul_f64 v[46:47], v[22:23], v[46:47]
	v_fma_f64 v[12:13], v[22:23], v[32:33], -v[12:13]
	v_fmac_f64_e32 v[34:35], v[24:25], v[32:33]
	v_fma_f64 v[32:33], v[22:23], v[36:37], -v[48:49]
	v_fmac_f64_e32 v[38:39], v[24:25], v[36:37]
	;; [unrolled: 2-line block ×4, first 2 shown]
	s_cmp_le_i32 s12, s7
	v_add_f64 v[18:19], v[18:19], -v[12:13]
	v_add_f64 v[20:21], v[20:21], -v[34:35]
	;; [unrolled: 1-line block ×8, first 2 shown]
	s_cbranch_scc0 .LBB218_81
.LBB218_82:                             ;   in Loop: Header=BB218_80 Depth=1
	s_lshl_b32 s13, s4, 4
	s_mul_i32 s4, s7, 0x110
	v_mov_b32_e32 v10, s4
	ds_read_b128 v[22:25], v10
	s_lshl_b32 s11, s5, 4
	s_lshl_b32 s10, s10, 4
	s_mov_b64 s[4:5], -1
                                        ; implicit-def: $vgpr12_vgpr13
	s_waitcnt lgkmcnt(0)
	v_cmp_ngt_f64_e64 s[14:15], |v[22:23]|, |v[24:25]|
	s_and_b64 vcc, exec, s[14:15]
	s_cbranch_vccz .LBB218_84
; %bb.83:                               ;   in Loop: Header=BB218_80 Depth=1
	v_div_scale_f64 v[10:11], s[4:5], v[24:25], v[24:25], v[22:23]
	v_rcp_f64_e32 v[12:13], v[10:11]
	v_div_scale_f64 v[32:33], vcc, v[22:23], v[24:25], v[22:23]
	v_fma_f64 v[34:35], -v[10:11], v[12:13], 1.0
	v_fmac_f64_e32 v[12:13], v[12:13], v[34:35]
	v_fma_f64 v[34:35], -v[10:11], v[12:13], 1.0
	v_fmac_f64_e32 v[12:13], v[12:13], v[34:35]
	v_mul_f64 v[34:35], v[32:33], v[12:13]
	v_fma_f64 v[10:11], -v[10:11], v[34:35], v[32:33]
	v_div_fmas_f64 v[10:11], v[10:11], v[12:13], v[34:35]
	v_div_fixup_f64 v[12:13], v[10:11], v[24:25], v[22:23]
	v_fma_f64 v[10:11], v[22:23], v[12:13], v[24:25]
	v_div_scale_f64 v[32:33], s[4:5], v[10:11], v[10:11], 1.0
	v_rcp_f64_e32 v[34:35], v[32:33]
	s_mov_b64 s[4:5], 0
	v_fma_f64 v[36:37], -v[32:33], v[34:35], 1.0
	v_fmac_f64_e32 v[34:35], v[34:35], v[36:37]
	v_fma_f64 v[36:37], -v[32:33], v[34:35], 1.0
	v_fmac_f64_e32 v[34:35], v[34:35], v[36:37]
	v_div_scale_f64 v[36:37], vcc, 1.0, v[10:11], 1.0
	v_mul_f64 v[38:39], v[36:37], v[34:35]
	v_fma_f64 v[32:33], -v[32:33], v[38:39], v[36:37]
	s_nop 1
	v_div_fmas_f64 v[32:33], v[32:33], v[34:35], v[38:39]
	v_div_fixup_f64 v[32:33], v[32:33], v[10:11], 1.0
	v_fma_f64 v[10:11], v[18:19], v[12:13], v[20:21]
	v_fma_f64 v[12:13], v[20:21], v[12:13], -v[18:19]
	v_mul_f64 v[10:11], v[10:11], v[32:33]
	v_mul_f64 v[12:13], v[12:13], v[32:33]
.LBB218_84:                             ;   in Loop: Header=BB218_80 Depth=1
	s_andn2_b64 vcc, exec, s[4:5]
	s_cbranch_vccnz .LBB218_86
; %bb.85:                               ;   in Loop: Header=BB218_80 Depth=1
	v_div_scale_f64 v[10:11], s[4:5], v[22:23], v[22:23], v[24:25]
	v_rcp_f64_e32 v[12:13], v[10:11]
	v_div_scale_f64 v[32:33], vcc, v[24:25], v[22:23], v[24:25]
	v_fma_f64 v[34:35], -v[10:11], v[12:13], 1.0
	v_fmac_f64_e32 v[12:13], v[12:13], v[34:35]
	v_fma_f64 v[34:35], -v[10:11], v[12:13], 1.0
	v_fmac_f64_e32 v[12:13], v[12:13], v[34:35]
	v_mul_f64 v[34:35], v[32:33], v[12:13]
	v_fma_f64 v[10:11], -v[10:11], v[34:35], v[32:33]
	v_div_fmas_f64 v[10:11], v[10:11], v[12:13], v[34:35]
	v_div_fixup_f64 v[12:13], v[10:11], v[22:23], v[24:25]
	v_fmac_f64_e32 v[22:23], v[24:25], v[12:13]
	v_div_scale_f64 v[10:11], s[4:5], v[22:23], v[22:23], 1.0
	v_rcp_f64_e32 v[24:25], v[10:11]
	s_nop 0
	v_fma_f64 v[32:33], -v[10:11], v[24:25], 1.0
	v_fmac_f64_e32 v[24:25], v[24:25], v[32:33]
	v_fma_f64 v[32:33], -v[10:11], v[24:25], 1.0
	v_fmac_f64_e32 v[24:25], v[24:25], v[32:33]
	v_div_scale_f64 v[32:33], vcc, 1.0, v[22:23], 1.0
	v_mul_f64 v[34:35], v[32:33], v[24:25]
	v_fma_f64 v[10:11], -v[10:11], v[34:35], v[32:33]
	s_nop 1
	v_div_fmas_f64 v[10:11], v[10:11], v[24:25], v[34:35]
	v_div_fixup_f64 v[22:23], v[10:11], v[22:23], 1.0
	v_fma_f64 v[10:11], v[20:21], v[12:13], v[18:19]
	v_fma_f64 v[12:13], -v[18:19], v[12:13], v[20:21]
	v_mul_f64 v[10:11], v[10:11], v[22:23]
	v_mul_f64 v[12:13], v[12:13], v[22:23]
.LBB218_86:                             ;   in Loop: Header=BB218_80 Depth=1
	s_lshl_b32 s4, s13, 4
	s_lshl_b32 s12, s7, 4
	s_add_i32 s5, s4, s12
	v_mov_b32_e32 v18, s5
	s_add_i32 s4, s4, s13
	ds_read_b128 v[22:25], v18
	v_mov_b32_e32 v18, s4
	ds_read_b128 v[18:21], v18
	ds_write_b128 v30, v[10:13]
	s_mov_b64 s[4:5], -1
	s_waitcnt lgkmcnt(2)
	v_mul_f64 v[30:31], v[12:13], v[24:25]
	v_mul_f64 v[24:25], v[10:11], v[24:25]
	v_fma_f64 v[30:31], v[10:11], v[22:23], -v[30:31]
	v_fmac_f64_e32 v[24:25], v[12:13], v[22:23]
	s_waitcnt lgkmcnt(1)
	v_cmp_ngt_f64_e64 s[14:15], |v[18:19]|, |v[20:21]|
	v_add_f64 v[22:23], v[14:15], -v[30:31]
	v_add_f64 v[24:25], v[16:17], -v[24:25]
	s_and_b64 vcc, exec, s[14:15]
                                        ; implicit-def: $vgpr16_vgpr17
	s_cbranch_vccz .LBB218_88
; %bb.87:                               ;   in Loop: Header=BB218_80 Depth=1
	v_div_scale_f64 v[14:15], s[4:5], v[20:21], v[20:21], v[18:19]
	v_rcp_f64_e32 v[16:17], v[14:15]
	v_div_scale_f64 v[30:31], vcc, v[18:19], v[20:21], v[18:19]
	v_fma_f64 v[32:33], -v[14:15], v[16:17], 1.0
	v_fmac_f64_e32 v[16:17], v[16:17], v[32:33]
	v_fma_f64 v[32:33], -v[14:15], v[16:17], 1.0
	v_fmac_f64_e32 v[16:17], v[16:17], v[32:33]
	v_mul_f64 v[32:33], v[30:31], v[16:17]
	v_fma_f64 v[14:15], -v[14:15], v[32:33], v[30:31]
	v_div_fmas_f64 v[14:15], v[14:15], v[16:17], v[32:33]
	v_div_fixup_f64 v[16:17], v[14:15], v[20:21], v[18:19]
	v_fma_f64 v[14:15], v[18:19], v[16:17], v[20:21]
	v_div_scale_f64 v[30:31], s[4:5], v[14:15], v[14:15], 1.0
	v_rcp_f64_e32 v[32:33], v[30:31]
	s_mov_b64 s[4:5], 0
	v_fma_f64 v[34:35], -v[30:31], v[32:33], 1.0
	v_fmac_f64_e32 v[32:33], v[32:33], v[34:35]
	v_fma_f64 v[34:35], -v[30:31], v[32:33], 1.0
	v_fmac_f64_e32 v[32:33], v[32:33], v[34:35]
	v_div_scale_f64 v[34:35], vcc, 1.0, v[14:15], 1.0
	v_mul_f64 v[36:37], v[34:35], v[32:33]
	v_fma_f64 v[30:31], -v[30:31], v[36:37], v[34:35]
	s_nop 1
	v_div_fmas_f64 v[30:31], v[30:31], v[32:33], v[36:37]
	v_div_fixup_f64 v[30:31], v[30:31], v[14:15], 1.0
	v_fma_f64 v[14:15], v[16:17], v[22:23], v[24:25]
	v_fma_f64 v[16:17], v[16:17], v[24:25], -v[22:23]
	v_mul_f64 v[14:15], v[14:15], v[30:31]
	v_mul_f64 v[16:17], v[16:17], v[30:31]
.LBB218_88:                             ;   in Loop: Header=BB218_80 Depth=1
	s_andn2_b64 vcc, exec, s[4:5]
	s_cbranch_vccnz .LBB218_90
; %bb.89:                               ;   in Loop: Header=BB218_80 Depth=1
	v_div_scale_f64 v[14:15], s[4:5], v[18:19], v[18:19], v[20:21]
	v_rcp_f64_e32 v[16:17], v[14:15]
	v_div_scale_f64 v[30:31], vcc, v[20:21], v[18:19], v[20:21]
	v_fma_f64 v[32:33], -v[14:15], v[16:17], 1.0
	v_fmac_f64_e32 v[16:17], v[16:17], v[32:33]
	v_fma_f64 v[32:33], -v[14:15], v[16:17], 1.0
	v_fmac_f64_e32 v[16:17], v[16:17], v[32:33]
	v_mul_f64 v[32:33], v[30:31], v[16:17]
	v_fma_f64 v[14:15], -v[14:15], v[32:33], v[30:31]
	v_div_fmas_f64 v[14:15], v[14:15], v[16:17], v[32:33]
	v_div_fixup_f64 v[16:17], v[14:15], v[18:19], v[20:21]
	v_fmac_f64_e32 v[18:19], v[20:21], v[16:17]
	v_div_scale_f64 v[14:15], s[4:5], v[18:19], v[18:19], 1.0
	v_rcp_f64_e32 v[20:21], v[14:15]
	s_nop 0
	v_fma_f64 v[30:31], -v[14:15], v[20:21], 1.0
	v_fmac_f64_e32 v[20:21], v[20:21], v[30:31]
	v_fma_f64 v[30:31], -v[14:15], v[20:21], 1.0
	v_fmac_f64_e32 v[20:21], v[20:21], v[30:31]
	v_div_scale_f64 v[30:31], vcc, 1.0, v[18:19], 1.0
	v_mul_f64 v[32:33], v[30:31], v[20:21]
	v_fma_f64 v[14:15], -v[14:15], v[32:33], v[30:31]
	s_nop 1
	v_div_fmas_f64 v[14:15], v[14:15], v[20:21], v[32:33]
	v_div_fixup_f64 v[18:19], v[14:15], v[18:19], 1.0
	v_fma_f64 v[14:15], v[16:17], v[24:25], v[22:23]
	v_fma_f64 v[16:17], -v[16:17], v[22:23], v[24:25]
	v_mul_f64 v[14:15], v[14:15], v[18:19]
	v_mul_f64 v[16:17], v[16:17], v[18:19]
.LBB218_90:                             ;   in Loop: Header=BB218_80 Depth=1
	s_lshl_b32 s4, s11, 4
	s_add_i32 s5, s4, s12
	v_mov_b32_e32 v18, s5
	ds_read_b128 v[18:21], v18
	s_add_i32 s5, s5, -16
	v_mov_b32_e32 v22, s5
	ds_read_b128 v[22:25], v22
	s_add_i32 s4, s4, s11
	s_waitcnt lgkmcnt(1)
	v_mul_f64 v[30:31], v[12:13], v[20:21]
	v_fma_f64 v[30:31], v[10:11], v[18:19], -v[30:31]
	v_mul_f64 v[20:21], v[10:11], v[20:21]
	v_fmac_f64_e32 v[20:21], v[12:13], v[18:19]
	v_add_f64 v[18:19], v[6:7], -v[30:31]
	s_waitcnt lgkmcnt(0)
	v_mul_f64 v[6:7], v[16:17], v[24:25]
	v_fma_f64 v[30:31], v[14:15], v[22:23], -v[6:7]
	v_mov_b32_e32 v6, s4
	v_add_f64 v[20:21], v[8:9], -v[20:21]
	ds_read_b128 v[6:9], v6
	v_mul_f64 v[24:25], v[14:15], v[24:25]
	v_fmac_f64_e32 v[24:25], v[16:17], v[22:23]
	v_add_f64 v[22:23], v[18:19], -v[30:31]
	v_add_f64 v[24:25], v[20:21], -v[24:25]
	s_waitcnt lgkmcnt(0)
	v_cmp_ngt_f64_e64 s[14:15], |v[6:7]|, |v[8:9]|
	s_mov_b64 s[4:5], -1
	s_and_b64 vcc, exec, s[14:15]
	ds_write_b128 v29, v[14:17]
                                        ; implicit-def: $vgpr20_vgpr21
	s_cbranch_vccz .LBB218_92
; %bb.91:                               ;   in Loop: Header=BB218_80 Depth=1
	v_div_scale_f64 v[18:19], s[4:5], v[8:9], v[8:9], v[6:7]
	v_rcp_f64_e32 v[20:21], v[18:19]
	v_div_scale_f64 v[30:31], vcc, v[6:7], v[8:9], v[6:7]
	v_fma_f64 v[32:33], -v[18:19], v[20:21], 1.0
	v_fmac_f64_e32 v[20:21], v[20:21], v[32:33]
	v_fma_f64 v[32:33], -v[18:19], v[20:21], 1.0
	v_fmac_f64_e32 v[20:21], v[20:21], v[32:33]
	v_mul_f64 v[32:33], v[30:31], v[20:21]
	v_fma_f64 v[18:19], -v[18:19], v[32:33], v[30:31]
	v_div_fmas_f64 v[18:19], v[18:19], v[20:21], v[32:33]
	v_div_fixup_f64 v[20:21], v[18:19], v[8:9], v[6:7]
	v_fma_f64 v[18:19], v[6:7], v[20:21], v[8:9]
	v_div_scale_f64 v[30:31], s[4:5], v[18:19], v[18:19], 1.0
	v_rcp_f64_e32 v[32:33], v[30:31]
	s_mov_b64 s[4:5], 0
	v_fma_f64 v[34:35], -v[30:31], v[32:33], 1.0
	v_fmac_f64_e32 v[32:33], v[32:33], v[34:35]
	v_fma_f64 v[34:35], -v[30:31], v[32:33], 1.0
	v_fmac_f64_e32 v[32:33], v[32:33], v[34:35]
	v_div_scale_f64 v[34:35], vcc, 1.0, v[18:19], 1.0
	v_mul_f64 v[36:37], v[34:35], v[32:33]
	v_fma_f64 v[30:31], -v[30:31], v[36:37], v[34:35]
	s_nop 1
	v_div_fmas_f64 v[30:31], v[30:31], v[32:33], v[36:37]
	v_div_fixup_f64 v[30:31], v[30:31], v[18:19], 1.0
	v_fma_f64 v[18:19], v[20:21], v[22:23], v[24:25]
	v_fma_f64 v[20:21], v[20:21], v[24:25], -v[22:23]
	v_mul_f64 v[18:19], v[18:19], v[30:31]
	v_mul_f64 v[20:21], v[20:21], v[30:31]
.LBB218_92:                             ;   in Loop: Header=BB218_80 Depth=1
	s_andn2_b64 vcc, exec, s[4:5]
	s_cbranch_vccnz .LBB218_94
; %bb.93:                               ;   in Loop: Header=BB218_80 Depth=1
	v_div_scale_f64 v[18:19], s[4:5], v[6:7], v[6:7], v[8:9]
	v_rcp_f64_e32 v[20:21], v[18:19]
	v_div_scale_f64 v[30:31], vcc, v[8:9], v[6:7], v[8:9]
	v_fma_f64 v[32:33], -v[18:19], v[20:21], 1.0
	v_fmac_f64_e32 v[20:21], v[20:21], v[32:33]
	v_fma_f64 v[32:33], -v[18:19], v[20:21], 1.0
	v_fmac_f64_e32 v[20:21], v[20:21], v[32:33]
	v_mul_f64 v[32:33], v[30:31], v[20:21]
	v_fma_f64 v[18:19], -v[18:19], v[32:33], v[30:31]
	v_div_fmas_f64 v[18:19], v[18:19], v[20:21], v[32:33]
	v_div_fixup_f64 v[20:21], v[18:19], v[6:7], v[8:9]
	v_fmac_f64_e32 v[6:7], v[8:9], v[20:21]
	v_div_scale_f64 v[8:9], s[4:5], v[6:7], v[6:7], 1.0
	v_rcp_f64_e32 v[18:19], v[8:9]
	s_nop 0
	v_fma_f64 v[30:31], -v[8:9], v[18:19], 1.0
	v_fmac_f64_e32 v[18:19], v[18:19], v[30:31]
	v_fma_f64 v[30:31], -v[8:9], v[18:19], 1.0
	v_fmac_f64_e32 v[18:19], v[18:19], v[30:31]
	v_div_scale_f64 v[30:31], vcc, 1.0, v[6:7], 1.0
	v_mul_f64 v[32:33], v[30:31], v[18:19]
	v_fma_f64 v[8:9], -v[8:9], v[32:33], v[30:31]
	s_nop 1
	v_div_fmas_f64 v[8:9], v[8:9], v[18:19], v[32:33]
	v_div_fixup_f64 v[6:7], v[8:9], v[6:7], 1.0
	v_fma_f64 v[8:9], v[20:21], v[24:25], v[22:23]
	v_mul_f64 v[18:19], v[8:9], v[6:7]
	v_fma_f64 v[8:9], -v[20:21], v[22:23], v[24:25]
	v_mul_f64 v[20:21], v[8:9], v[6:7]
.LBB218_94:                             ;   in Loop: Header=BB218_80 Depth=1
	s_lshl_b32 s4, s10, 4
	s_add_i32 s5, s4, s12
	v_mov_b32_e32 v6, s5
	s_add_i32 s11, s5, -16
	ds_read_b128 v[6:9], v6
	v_mov_b32_e32 v22, s11
	ds_read_b128 v[22:25], v22
	ds_write_b128 v28, v[18:21]
	s_sub_i32 s5, s5, 32
	s_waitcnt lgkmcnt(2)
	v_mul_f64 v[28:29], v[12:13], v[8:9]
	v_mul_f64 v[8:9], v[10:11], v[8:9]
	v_fma_f64 v[28:29], v[10:11], v[6:7], -v[28:29]
	v_fmac_f64_e32 v[8:9], v[12:13], v[6:7]
	s_waitcnt lgkmcnt(1)
	v_mul_f64 v[6:7], v[16:17], v[24:25]
	v_add_f64 v[2:3], v[2:3], -v[28:29]
	v_fma_f64 v[6:7], v[14:15], v[22:23], -v[6:7]
	v_mul_f64 v[10:11], v[14:15], v[24:25]
	v_add_f64 v[12:13], v[2:3], -v[6:7]
	v_mov_b32_e32 v2, s5
	s_add_i32 s4, s4, s10
	v_add_f64 v[4:5], v[4:5], -v[8:9]
	v_fmac_f64_e32 v[10:11], v[16:17], v[22:23]
	ds_read_b128 v[6:9], v2
	v_mov_b32_e32 v2, s4
	v_add_f64 v[14:15], v[4:5], -v[10:11]
	ds_read_b128 v[2:5], v2
	s_mov_b64 s[4:5], -1
	s_waitcnt lgkmcnt(1)
	v_mul_f64 v[10:11], v[20:21], v[8:9]
	v_mul_f64 v[8:9], v[18:19], v[8:9]
	v_fma_f64 v[10:11], v[18:19], v[6:7], -v[10:11]
	v_fmac_f64_e32 v[8:9], v[20:21], v[6:7]
	s_waitcnt lgkmcnt(0)
	v_cmp_ngt_f64_e64 s[10:11], |v[2:3]|, |v[4:5]|
	v_add_f64 v[10:11], v[12:13], -v[10:11]
	v_add_f64 v[12:13], v[14:15], -v[8:9]
	s_and_b64 vcc, exec, s[10:11]
                                        ; implicit-def: $vgpr8_vgpr9
	s_cbranch_vccz .LBB218_96
; %bb.95:                               ;   in Loop: Header=BB218_80 Depth=1
	v_div_scale_f64 v[6:7], s[4:5], v[4:5], v[4:5], v[2:3]
	v_rcp_f64_e32 v[8:9], v[6:7]
	v_div_scale_f64 v[14:15], vcc, v[2:3], v[4:5], v[2:3]
	v_fma_f64 v[16:17], -v[6:7], v[8:9], 1.0
	v_fmac_f64_e32 v[8:9], v[8:9], v[16:17]
	v_fma_f64 v[16:17], -v[6:7], v[8:9], 1.0
	v_fmac_f64_e32 v[8:9], v[8:9], v[16:17]
	v_mul_f64 v[16:17], v[14:15], v[8:9]
	v_fma_f64 v[6:7], -v[6:7], v[16:17], v[14:15]
	v_div_fmas_f64 v[6:7], v[6:7], v[8:9], v[16:17]
	v_div_fixup_f64 v[8:9], v[6:7], v[4:5], v[2:3]
	v_fma_f64 v[6:7], v[2:3], v[8:9], v[4:5]
	v_div_scale_f64 v[14:15], s[4:5], v[6:7], v[6:7], 1.0
	v_rcp_f64_e32 v[16:17], v[14:15]
	s_mov_b64 s[4:5], 0
	v_fma_f64 v[18:19], -v[14:15], v[16:17], 1.0
	v_fmac_f64_e32 v[16:17], v[16:17], v[18:19]
	v_fma_f64 v[18:19], -v[14:15], v[16:17], 1.0
	v_fmac_f64_e32 v[16:17], v[16:17], v[18:19]
	v_div_scale_f64 v[18:19], vcc, 1.0, v[6:7], 1.0
	v_mul_f64 v[20:21], v[18:19], v[16:17]
	v_fma_f64 v[14:15], -v[14:15], v[20:21], v[18:19]
	s_nop 1
	v_div_fmas_f64 v[14:15], v[14:15], v[16:17], v[20:21]
	v_div_fixup_f64 v[14:15], v[14:15], v[6:7], 1.0
	v_fma_f64 v[6:7], v[8:9], v[10:11], v[12:13]
	v_fma_f64 v[8:9], v[8:9], v[12:13], -v[10:11]
	v_mul_f64 v[6:7], v[6:7], v[14:15]
	v_mul_f64 v[8:9], v[8:9], v[14:15]
.LBB218_96:                             ;   in Loop: Header=BB218_80 Depth=1
	s_andn2_b64 vcc, exec, s[4:5]
	s_cbranch_vccnz .LBB218_98
; %bb.97:                               ;   in Loop: Header=BB218_80 Depth=1
	v_div_scale_f64 v[6:7], s[4:5], v[2:3], v[2:3], v[4:5]
	v_rcp_f64_e32 v[8:9], v[6:7]
	v_div_scale_f64 v[14:15], vcc, v[4:5], v[2:3], v[4:5]
	v_fma_f64 v[16:17], -v[6:7], v[8:9], 1.0
	v_fmac_f64_e32 v[8:9], v[8:9], v[16:17]
	v_fma_f64 v[16:17], -v[6:7], v[8:9], 1.0
	v_fmac_f64_e32 v[8:9], v[8:9], v[16:17]
	v_mul_f64 v[16:17], v[14:15], v[8:9]
	v_fma_f64 v[6:7], -v[6:7], v[16:17], v[14:15]
	v_div_fmas_f64 v[6:7], v[6:7], v[8:9], v[16:17]
	v_div_fixup_f64 v[8:9], v[6:7], v[2:3], v[4:5]
	v_fmac_f64_e32 v[2:3], v[4:5], v[8:9]
	v_div_scale_f64 v[4:5], s[4:5], v[2:3], v[2:3], 1.0
	v_rcp_f64_e32 v[6:7], v[4:5]
	s_nop 0
	v_fma_f64 v[14:15], -v[4:5], v[6:7], 1.0
	v_fmac_f64_e32 v[6:7], v[6:7], v[14:15]
	v_fma_f64 v[14:15], -v[4:5], v[6:7], 1.0
	v_fmac_f64_e32 v[6:7], v[6:7], v[14:15]
	v_div_scale_f64 v[14:15], vcc, 1.0, v[2:3], 1.0
	v_mul_f64 v[16:17], v[14:15], v[6:7]
	v_fma_f64 v[4:5], -v[4:5], v[16:17], v[14:15]
	s_nop 1
	v_div_fmas_f64 v[4:5], v[4:5], v[6:7], v[16:17]
	v_div_fixup_f64 v[2:3], v[4:5], v[2:3], 1.0
	v_fma_f64 v[4:5], v[8:9], v[12:13], v[10:11]
	v_mul_f64 v[6:7], v[4:5], v[2:3]
	v_fma_f64 v[4:5], -v[8:9], v[10:11], v[12:13]
	v_mul_f64 v[8:9], v[4:5], v[2:3]
.LBB218_98:                             ;   in Loop: Header=BB218_80 Depth=1
	s_add_i32 s10, s7, -4
	s_addk_i32 s6, 0xfc00
	s_cmp_lt_i32 s7, 7
	ds_write_b128 v27, v[6:9]
	s_cbranch_scc1 .LBB218_100
; %bb.99:                               ;   in Loop: Header=BB218_80 Depth=1
	s_mov_b32 s7, s10
	s_branch .LBB218_80
.LBB218_100:
	s_cmp_lt_i32 s10, 0
	s_cbranch_scc1 .LBB218_109
; %bb.101:
	v_lshlrev_b32_e32 v2, 4, v0
	s_lshl_b32 s4, s10, 8
	s_lshl_b32 s5, s25, 4
	v_lshl_or_b32 v2, s25, 8, v2
	s_add_i32 s4, s4, s5
	v_add_u32_e32 v14, 0xf00, v2
	s_add_i32 s6, s4, -16
	s_branch .LBB218_103
.LBB218_102:                            ;   in Loop: Header=BB218_103 Depth=1
	v_sub_co_u32_e64 v2, s[4:5], s10, 1
	s_nop 0
	v_readfirstlane_b32 s10, v2
	s_addk_i32 s6, 0xff00
	s_and_b64 vcc, exec, s[4:5]
	ds_write_b128 v15, v[10:13]
	s_cbranch_vccnz .LBB218_109
.LBB218_103:                            ; =>This Loop Header: Depth=1
                                        ;     Child Loop BB218_104 Depth 2
	v_lshl_add_u32 v15, s10, 8, v1
	ds_read_b128 v[2:5], v15
	s_cmp_le_i32 s9, s10
	s_mov_b32 s4, s6
	v_mov_b32_e32 v6, v14
	s_mov_b32 s5, s9
	s_cbranch_scc1 .LBB218_105
.LBB218_104:                            ;   Parent Loop BB218_103 Depth=1
                                        ; =>  This Inner Loop Header: Depth=2
	v_mov_b32_e32 v7, s4
	ds_read_b128 v[8:11], v6
	ds_read_b128 v[16:19], v7
	s_add_i32 s5, s5, -1
	s_add_i32 s4, s4, -16
	v_add_u32_e32 v6, 0xffffff00, v6
	s_cmp_le_u32 s5, s10
	s_waitcnt lgkmcnt(0)
	v_mul_f64 v[12:13], v[18:19], v[10:11]
	v_mul_f64 v[10:11], v[16:17], v[10:11]
	v_fma_f64 v[12:13], v[16:17], v[8:9], -v[12:13]
	v_fmac_f64_e32 v[10:11], v[18:19], v[8:9]
	v_add_f64 v[2:3], v[2:3], -v[12:13]
	v_add_f64 v[4:5], v[4:5], -v[10:11]
	s_cbranch_scc0 .LBB218_104
.LBB218_105:                            ;   in Loop: Header=BB218_103 Depth=1
	s_mul_i32 s4, s10, 0x110
	v_mov_b32_e32 v6, s4
	ds_read_b128 v[6:9], v6
	s_mov_b64 s[4:5], -1
                                        ; implicit-def: $vgpr10_vgpr11
	s_waitcnt lgkmcnt(0)
	v_cmp_ngt_f64_e64 s[12:13], |v[6:7]|, |v[8:9]|
	s_and_b64 vcc, exec, s[12:13]
	s_cbranch_vccz .LBB218_107
; %bb.106:                              ;   in Loop: Header=BB218_103 Depth=1
	v_div_scale_f64 v[10:11], s[4:5], v[8:9], v[8:9], v[6:7]
	v_rcp_f64_e32 v[12:13], v[10:11]
	v_div_scale_f64 v[16:17], vcc, v[6:7], v[8:9], v[6:7]
	v_fma_f64 v[18:19], -v[10:11], v[12:13], 1.0
	v_fmac_f64_e32 v[12:13], v[12:13], v[18:19]
	v_fma_f64 v[18:19], -v[10:11], v[12:13], 1.0
	v_fmac_f64_e32 v[12:13], v[12:13], v[18:19]
	v_mul_f64 v[18:19], v[16:17], v[12:13]
	v_fma_f64 v[10:11], -v[10:11], v[18:19], v[16:17]
	v_div_fmas_f64 v[10:11], v[10:11], v[12:13], v[18:19]
	v_div_fixup_f64 v[12:13], v[10:11], v[8:9], v[6:7]
	v_fma_f64 v[10:11], v[6:7], v[12:13], v[8:9]
	v_div_scale_f64 v[16:17], s[4:5], v[10:11], v[10:11], 1.0
	v_rcp_f64_e32 v[18:19], v[16:17]
	s_mov_b64 s[4:5], 0
	v_fma_f64 v[20:21], -v[16:17], v[18:19], 1.0
	v_fmac_f64_e32 v[18:19], v[18:19], v[20:21]
	v_fma_f64 v[20:21], -v[16:17], v[18:19], 1.0
	v_fmac_f64_e32 v[18:19], v[18:19], v[20:21]
	v_div_scale_f64 v[20:21], vcc, 1.0, v[10:11], 1.0
	v_mul_f64 v[22:23], v[20:21], v[18:19]
	v_fma_f64 v[16:17], -v[16:17], v[22:23], v[20:21]
	s_nop 1
	v_div_fmas_f64 v[16:17], v[16:17], v[18:19], v[22:23]
	v_div_fixup_f64 v[16:17], v[16:17], v[10:11], 1.0
	v_fma_f64 v[10:11], v[2:3], v[12:13], v[4:5]
	v_fma_f64 v[12:13], v[4:5], v[12:13], -v[2:3]
	v_mul_f64 v[10:11], v[10:11], v[16:17]
	v_mul_f64 v[12:13], v[12:13], v[16:17]
.LBB218_107:                            ;   in Loop: Header=BB218_103 Depth=1
	s_andn2_b64 vcc, exec, s[4:5]
	s_cbranch_vccnz .LBB218_102
; %bb.108:                              ;   in Loop: Header=BB218_103 Depth=1
	v_div_scale_f64 v[10:11], s[4:5], v[6:7], v[6:7], v[8:9]
	v_rcp_f64_e32 v[12:13], v[10:11]
	v_div_scale_f64 v[16:17], vcc, v[8:9], v[6:7], v[8:9]
	v_fma_f64 v[18:19], -v[10:11], v[12:13], 1.0
	v_fmac_f64_e32 v[12:13], v[12:13], v[18:19]
	v_fma_f64 v[18:19], -v[10:11], v[12:13], 1.0
	v_fmac_f64_e32 v[12:13], v[12:13], v[18:19]
	v_mul_f64 v[18:19], v[16:17], v[12:13]
	v_fma_f64 v[10:11], -v[10:11], v[18:19], v[16:17]
	v_div_fmas_f64 v[10:11], v[10:11], v[12:13], v[18:19]
	v_div_fixup_f64 v[12:13], v[10:11], v[6:7], v[8:9]
	v_fmac_f64_e32 v[6:7], v[8:9], v[12:13]
	v_div_scale_f64 v[8:9], s[4:5], v[6:7], v[6:7], 1.0
	v_rcp_f64_e32 v[10:11], v[8:9]
	s_nop 0
	v_fma_f64 v[16:17], -v[8:9], v[10:11], 1.0
	v_fmac_f64_e32 v[10:11], v[10:11], v[16:17]
	v_fma_f64 v[16:17], -v[8:9], v[10:11], 1.0
	v_fmac_f64_e32 v[10:11], v[10:11], v[16:17]
	v_div_scale_f64 v[16:17], vcc, 1.0, v[6:7], 1.0
	v_mul_f64 v[18:19], v[16:17], v[10:11]
	v_fma_f64 v[8:9], -v[8:9], v[18:19], v[16:17]
	s_nop 1
	v_div_fmas_f64 v[8:9], v[8:9], v[10:11], v[18:19]
	v_div_fixup_f64 v[6:7], v[8:9], v[6:7], 1.0
	v_fma_f64 v[8:9], v[4:5], v[12:13], v[2:3]
	v_fma_f64 v[2:3], -v[2:3], v[12:13], v[4:5]
	v_mul_f64 v[10:11], v[8:9], v[6:7]
	v_mul_f64 v[12:13], v[2:3], v[6:7]
	s_branch .LBB218_102
.LBB218_109:
	s_mov_b64 s[10:11], 0
.LBB218_110:
	s_andn2_b64 vcc, exec, s[10:11]
	s_cbranch_vccnz .LBB218_142
; %bb.111:
	v_mov_b32_e32 v1, 0x1000
	v_lshl_or_b32 v1, v0, 4, v1
	s_cmp_lt_i32 s24, 4
	s_mov_b32 s9, 0
	s_cbranch_scc1 .LBB218_133
; %bb.112:
	s_mov_b32 s6, 0
	s_mov_b32 s7, 0
.LBB218_113:                            ; =>This Loop Header: Depth=1
                                        ;     Child Loop BB218_114 Depth 2
	s_or_b32 s9, s7, 2
	s_or_b32 s4, s7, 3
	v_lshl_add_u32 v29, s7, 8, v1
	s_or_b32 s5, s7, 1
	v_lshl_add_u32 v27, s9, 8, v1
	v_lshl_add_u32 v28, s5, 8, v1
	ds_read_b128 v[18:21], v29
	ds_read_b128 v[14:17], v28
	v_lshl_add_u32 v26, s4, 8, v1
	ds_read_b128 v[6:9], v27
	ds_read_b128 v[2:5], v26
	s_cmp_eq_u32 s7, 0
	s_mov_b32 s10, s6
	v_mov_b32_e32 v10, v1
	s_mov_b32 s11, s7
	s_cbranch_scc1 .LBB218_115
.LBB218_114:                            ;   Parent Loop BB218_113 Depth=1
                                        ; =>  This Inner Loop Header: Depth=2
	v_mov_b32_e32 v11, s10
	ds_read_b128 v[22:25], v10
	ds_read_b128 v[30:33], v11
	ds_read_b128 v[34:37], v11 offset:256
	ds_read_b128 v[38:41], v11 offset:512
	;; [unrolled: 1-line block ×3, first 2 shown]
	s_add_i32 s11, s11, -1
	s_add_i32 s10, s10, 16
	v_add_u32_e32 v10, 0x100, v10
	s_waitcnt lgkmcnt(3)
	v_mul_f64 v[12:13], v[24:25], v[32:33]
	v_mul_f64 v[32:33], v[22:23], v[32:33]
	s_waitcnt lgkmcnt(2)
	v_mul_f64 v[46:47], v[24:25], v[36:37]
	v_mul_f64 v[36:37], v[22:23], v[36:37]
	;; [unrolled: 3-line block ×4, first 2 shown]
	v_fma_f64 v[12:13], v[22:23], v[30:31], -v[12:13]
	v_fmac_f64_e32 v[32:33], v[24:25], v[30:31]
	v_fma_f64 v[30:31], v[22:23], v[34:35], -v[46:47]
	v_fmac_f64_e32 v[36:37], v[24:25], v[34:35]
	;; [unrolled: 2-line block ×4, first 2 shown]
	s_cmp_eq_u32 s11, 0
	v_add_f64 v[18:19], v[18:19], -v[12:13]
	v_add_f64 v[20:21], v[20:21], -v[32:33]
	;; [unrolled: 1-line block ×8, first 2 shown]
	s_cbranch_scc0 .LBB218_114
.LBB218_115:                            ;   in Loop: Header=BB218_113 Depth=1
	s_lshl_b32 s10, s9, 4
	s_lshl_b32 s9, s4, 4
	s_mul_i32 s4, s7, 0x110
	v_mov_b32_e32 v10, s4
	ds_read_b128 v[22:25], v10
	s_lshl_b32 s12, s5, 4
	s_mov_b64 s[4:5], -1
                                        ; implicit-def: $vgpr12_vgpr13
	s_waitcnt lgkmcnt(0)
	v_cmp_ngt_f64_e64 s[14:15], |v[22:23]|, |v[24:25]|
	s_and_b64 vcc, exec, s[14:15]
	s_cbranch_vccz .LBB218_117
; %bb.116:                              ;   in Loop: Header=BB218_113 Depth=1
	v_div_scale_f64 v[10:11], s[4:5], v[24:25], v[24:25], v[22:23]
	v_rcp_f64_e32 v[12:13], v[10:11]
	v_div_scale_f64 v[30:31], vcc, v[22:23], v[24:25], v[22:23]
	v_fma_f64 v[32:33], -v[10:11], v[12:13], 1.0
	v_fmac_f64_e32 v[12:13], v[12:13], v[32:33]
	v_fma_f64 v[32:33], -v[10:11], v[12:13], 1.0
	v_fmac_f64_e32 v[12:13], v[12:13], v[32:33]
	v_mul_f64 v[32:33], v[30:31], v[12:13]
	v_fma_f64 v[10:11], -v[10:11], v[32:33], v[30:31]
	v_div_fmas_f64 v[10:11], v[10:11], v[12:13], v[32:33]
	v_div_fixup_f64 v[12:13], v[10:11], v[24:25], v[22:23]
	v_fma_f64 v[10:11], v[22:23], v[12:13], v[24:25]
	v_div_scale_f64 v[30:31], s[4:5], v[10:11], v[10:11], 1.0
	v_rcp_f64_e32 v[32:33], v[30:31]
	s_mov_b64 s[4:5], 0
	v_fma_f64 v[34:35], -v[30:31], v[32:33], 1.0
	v_fmac_f64_e32 v[32:33], v[32:33], v[34:35]
	v_fma_f64 v[34:35], -v[30:31], v[32:33], 1.0
	v_fmac_f64_e32 v[32:33], v[32:33], v[34:35]
	v_div_scale_f64 v[34:35], vcc, 1.0, v[10:11], 1.0
	v_mul_f64 v[36:37], v[34:35], v[32:33]
	v_fma_f64 v[30:31], -v[30:31], v[36:37], v[34:35]
	s_nop 1
	v_div_fmas_f64 v[30:31], v[30:31], v[32:33], v[36:37]
	v_div_fixup_f64 v[30:31], v[30:31], v[10:11], 1.0
	v_fma_f64 v[10:11], v[18:19], v[12:13], v[20:21]
	v_fma_f64 v[12:13], v[20:21], v[12:13], -v[18:19]
	v_mul_f64 v[10:11], v[10:11], v[30:31]
	v_mul_f64 v[12:13], v[12:13], v[30:31]
.LBB218_117:                            ;   in Loop: Header=BB218_113 Depth=1
	s_andn2_b64 vcc, exec, s[4:5]
	s_cbranch_vccnz .LBB218_119
; %bb.118:                              ;   in Loop: Header=BB218_113 Depth=1
	v_div_scale_f64 v[10:11], s[4:5], v[22:23], v[22:23], v[24:25]
	v_rcp_f64_e32 v[12:13], v[10:11]
	v_div_scale_f64 v[30:31], vcc, v[24:25], v[22:23], v[24:25]
	v_fma_f64 v[32:33], -v[10:11], v[12:13], 1.0
	v_fmac_f64_e32 v[12:13], v[12:13], v[32:33]
	v_fma_f64 v[32:33], -v[10:11], v[12:13], 1.0
	v_fmac_f64_e32 v[12:13], v[12:13], v[32:33]
	v_mul_f64 v[32:33], v[30:31], v[12:13]
	v_fma_f64 v[10:11], -v[10:11], v[32:33], v[30:31]
	v_div_fmas_f64 v[10:11], v[10:11], v[12:13], v[32:33]
	v_div_fixup_f64 v[12:13], v[10:11], v[22:23], v[24:25]
	v_fmac_f64_e32 v[22:23], v[24:25], v[12:13]
	v_div_scale_f64 v[10:11], s[4:5], v[22:23], v[22:23], 1.0
	v_rcp_f64_e32 v[24:25], v[10:11]
	s_nop 0
	v_fma_f64 v[30:31], -v[10:11], v[24:25], 1.0
	v_fmac_f64_e32 v[24:25], v[24:25], v[30:31]
	v_fma_f64 v[30:31], -v[10:11], v[24:25], 1.0
	v_fmac_f64_e32 v[24:25], v[24:25], v[30:31]
	v_div_scale_f64 v[30:31], vcc, 1.0, v[22:23], 1.0
	v_mul_f64 v[32:33], v[30:31], v[24:25]
	v_fma_f64 v[10:11], -v[10:11], v[32:33], v[30:31]
	s_nop 1
	v_div_fmas_f64 v[10:11], v[10:11], v[24:25], v[32:33]
	v_div_fixup_f64 v[22:23], v[10:11], v[22:23], 1.0
	v_fma_f64 v[10:11], v[20:21], v[12:13], v[18:19]
	v_fma_f64 v[12:13], -v[18:19], v[12:13], v[20:21]
	v_mul_f64 v[10:11], v[10:11], v[22:23]
	v_mul_f64 v[12:13], v[12:13], v[22:23]
.LBB218_119:                            ;   in Loop: Header=BB218_113 Depth=1
	s_lshl_b32 s4, s12, 4
	s_lshl_b32 s11, s7, 4
	s_add_i32 s5, s4, s11
	v_mov_b32_e32 v18, s5
	s_add_i32 s4, s4, s12
	ds_read_b128 v[22:25], v18
	v_mov_b32_e32 v18, s4
	ds_read_b128 v[18:21], v18
	s_mov_b64 s[4:5], -1
	ds_write_b128 v29, v[10:13]
	s_waitcnt lgkmcnt(2)
	v_mul_f64 v[30:31], v[12:13], v[24:25]
	v_mul_f64 v[24:25], v[10:11], v[24:25]
	v_fma_f64 v[30:31], v[10:11], v[22:23], -v[30:31]
	v_fmac_f64_e32 v[24:25], v[12:13], v[22:23]
	s_waitcnt lgkmcnt(1)
	v_cmp_ngt_f64_e64 s[12:13], |v[18:19]|, |v[20:21]|
	v_add_f64 v[22:23], v[14:15], -v[30:31]
	v_add_f64 v[24:25], v[16:17], -v[24:25]
	s_and_b64 vcc, exec, s[12:13]
                                        ; implicit-def: $vgpr16_vgpr17
	s_cbranch_vccz .LBB218_121
; %bb.120:                              ;   in Loop: Header=BB218_113 Depth=1
	v_div_scale_f64 v[14:15], s[4:5], v[20:21], v[20:21], v[18:19]
	v_rcp_f64_e32 v[16:17], v[14:15]
	v_div_scale_f64 v[30:31], vcc, v[18:19], v[20:21], v[18:19]
	v_fma_f64 v[32:33], -v[14:15], v[16:17], 1.0
	v_fmac_f64_e32 v[16:17], v[16:17], v[32:33]
	v_fma_f64 v[32:33], -v[14:15], v[16:17], 1.0
	v_fmac_f64_e32 v[16:17], v[16:17], v[32:33]
	v_mul_f64 v[32:33], v[30:31], v[16:17]
	v_fma_f64 v[14:15], -v[14:15], v[32:33], v[30:31]
	v_div_fmas_f64 v[14:15], v[14:15], v[16:17], v[32:33]
	v_div_fixup_f64 v[16:17], v[14:15], v[20:21], v[18:19]
	v_fma_f64 v[14:15], v[18:19], v[16:17], v[20:21]
	v_div_scale_f64 v[30:31], s[4:5], v[14:15], v[14:15], 1.0
	v_rcp_f64_e32 v[32:33], v[30:31]
	s_mov_b64 s[4:5], 0
	v_fma_f64 v[34:35], -v[30:31], v[32:33], 1.0
	v_fmac_f64_e32 v[32:33], v[32:33], v[34:35]
	v_fma_f64 v[34:35], -v[30:31], v[32:33], 1.0
	v_fmac_f64_e32 v[32:33], v[32:33], v[34:35]
	v_div_scale_f64 v[34:35], vcc, 1.0, v[14:15], 1.0
	v_mul_f64 v[36:37], v[34:35], v[32:33]
	v_fma_f64 v[30:31], -v[30:31], v[36:37], v[34:35]
	s_nop 1
	v_div_fmas_f64 v[30:31], v[30:31], v[32:33], v[36:37]
	v_div_fixup_f64 v[30:31], v[30:31], v[14:15], 1.0
	v_fma_f64 v[14:15], v[16:17], v[22:23], v[24:25]
	v_fma_f64 v[16:17], v[16:17], v[24:25], -v[22:23]
	v_mul_f64 v[14:15], v[14:15], v[30:31]
	v_mul_f64 v[16:17], v[16:17], v[30:31]
.LBB218_121:                            ;   in Loop: Header=BB218_113 Depth=1
	s_andn2_b64 vcc, exec, s[4:5]
	s_cbranch_vccnz .LBB218_123
; %bb.122:                              ;   in Loop: Header=BB218_113 Depth=1
	v_div_scale_f64 v[14:15], s[4:5], v[18:19], v[18:19], v[20:21]
	v_rcp_f64_e32 v[16:17], v[14:15]
	v_div_scale_f64 v[30:31], vcc, v[20:21], v[18:19], v[20:21]
	v_fma_f64 v[32:33], -v[14:15], v[16:17], 1.0
	v_fmac_f64_e32 v[16:17], v[16:17], v[32:33]
	v_fma_f64 v[32:33], -v[14:15], v[16:17], 1.0
	v_fmac_f64_e32 v[16:17], v[16:17], v[32:33]
	v_mul_f64 v[32:33], v[30:31], v[16:17]
	v_fma_f64 v[14:15], -v[14:15], v[32:33], v[30:31]
	v_div_fmas_f64 v[14:15], v[14:15], v[16:17], v[32:33]
	v_div_fixup_f64 v[16:17], v[14:15], v[18:19], v[20:21]
	v_fmac_f64_e32 v[18:19], v[20:21], v[16:17]
	v_div_scale_f64 v[14:15], s[4:5], v[18:19], v[18:19], 1.0
	v_rcp_f64_e32 v[20:21], v[14:15]
	s_nop 0
	v_fma_f64 v[30:31], -v[14:15], v[20:21], 1.0
	v_fmac_f64_e32 v[20:21], v[20:21], v[30:31]
	v_fma_f64 v[30:31], -v[14:15], v[20:21], 1.0
	v_fmac_f64_e32 v[20:21], v[20:21], v[30:31]
	v_div_scale_f64 v[30:31], vcc, 1.0, v[18:19], 1.0
	v_mul_f64 v[32:33], v[30:31], v[20:21]
	v_fma_f64 v[14:15], -v[14:15], v[32:33], v[30:31]
	s_nop 1
	v_div_fmas_f64 v[14:15], v[14:15], v[20:21], v[32:33]
	v_div_fixup_f64 v[18:19], v[14:15], v[18:19], 1.0
	v_fma_f64 v[14:15], v[16:17], v[24:25], v[22:23]
	v_fma_f64 v[16:17], -v[16:17], v[22:23], v[24:25]
	v_mul_f64 v[14:15], v[14:15], v[18:19]
	v_mul_f64 v[16:17], v[16:17], v[18:19]
.LBB218_123:                            ;   in Loop: Header=BB218_113 Depth=1
	s_lshl_b32 s4, s10, 4
	s_add_i32 s5, s4, s11
	v_mov_b32_e32 v22, s5
	ds_read_b128 v[18:21], v22
	ds_read_b128 v[22:25], v22 offset:16
	ds_write_b128 v28, v[14:17]
	s_add_i32 s4, s4, s10
	s_waitcnt lgkmcnt(2)
	v_mul_f64 v[28:29], v[12:13], v[20:21]
	v_mul_f64 v[20:21], v[10:11], v[20:21]
	v_fma_f64 v[28:29], v[10:11], v[18:19], -v[28:29]
	v_fmac_f64_e32 v[20:21], v[12:13], v[18:19]
	v_add_f64 v[18:19], v[6:7], -v[28:29]
	s_waitcnt lgkmcnt(1)
	v_mul_f64 v[6:7], v[16:17], v[24:25]
	v_fma_f64 v[28:29], v[14:15], v[22:23], -v[6:7]
	v_mov_b32_e32 v6, s4
	v_add_f64 v[20:21], v[8:9], -v[20:21]
	ds_read_b128 v[6:9], v6
	v_mul_f64 v[24:25], v[14:15], v[24:25]
	v_fmac_f64_e32 v[24:25], v[16:17], v[22:23]
	v_add_f64 v[22:23], v[18:19], -v[28:29]
	v_add_f64 v[24:25], v[20:21], -v[24:25]
	s_waitcnt lgkmcnt(0)
	v_cmp_ngt_f64_e64 s[12:13], |v[6:7]|, |v[8:9]|
	s_mov_b64 s[4:5], -1
	s_and_b64 vcc, exec, s[12:13]
                                        ; implicit-def: $vgpr20_vgpr21
	s_cbranch_vccz .LBB218_125
; %bb.124:                              ;   in Loop: Header=BB218_113 Depth=1
	v_div_scale_f64 v[18:19], s[4:5], v[8:9], v[8:9], v[6:7]
	v_rcp_f64_e32 v[20:21], v[18:19]
	v_div_scale_f64 v[28:29], vcc, v[6:7], v[8:9], v[6:7]
	v_fma_f64 v[30:31], -v[18:19], v[20:21], 1.0
	v_fmac_f64_e32 v[20:21], v[20:21], v[30:31]
	v_fma_f64 v[30:31], -v[18:19], v[20:21], 1.0
	v_fmac_f64_e32 v[20:21], v[20:21], v[30:31]
	v_mul_f64 v[30:31], v[28:29], v[20:21]
	v_fma_f64 v[18:19], -v[18:19], v[30:31], v[28:29]
	v_div_fmas_f64 v[18:19], v[18:19], v[20:21], v[30:31]
	v_div_fixup_f64 v[20:21], v[18:19], v[8:9], v[6:7]
	v_fma_f64 v[18:19], v[6:7], v[20:21], v[8:9]
	v_div_scale_f64 v[28:29], s[4:5], v[18:19], v[18:19], 1.0
	v_rcp_f64_e32 v[30:31], v[28:29]
	s_mov_b64 s[4:5], 0
	v_fma_f64 v[32:33], -v[28:29], v[30:31], 1.0
	v_fmac_f64_e32 v[30:31], v[30:31], v[32:33]
	v_fma_f64 v[32:33], -v[28:29], v[30:31], 1.0
	v_fmac_f64_e32 v[30:31], v[30:31], v[32:33]
	v_div_scale_f64 v[32:33], vcc, 1.0, v[18:19], 1.0
	v_mul_f64 v[34:35], v[32:33], v[30:31]
	v_fma_f64 v[28:29], -v[28:29], v[34:35], v[32:33]
	s_nop 1
	v_div_fmas_f64 v[28:29], v[28:29], v[30:31], v[34:35]
	v_div_fixup_f64 v[28:29], v[28:29], v[18:19], 1.0
	v_fma_f64 v[18:19], v[20:21], v[22:23], v[24:25]
	v_fma_f64 v[20:21], v[20:21], v[24:25], -v[22:23]
	v_mul_f64 v[18:19], v[18:19], v[28:29]
	v_mul_f64 v[20:21], v[20:21], v[28:29]
.LBB218_125:                            ;   in Loop: Header=BB218_113 Depth=1
	s_andn2_b64 vcc, exec, s[4:5]
	s_cbranch_vccnz .LBB218_127
; %bb.126:                              ;   in Loop: Header=BB218_113 Depth=1
	v_div_scale_f64 v[18:19], s[4:5], v[6:7], v[6:7], v[8:9]
	v_rcp_f64_e32 v[20:21], v[18:19]
	v_div_scale_f64 v[28:29], vcc, v[8:9], v[6:7], v[8:9]
	v_fma_f64 v[30:31], -v[18:19], v[20:21], 1.0
	v_fmac_f64_e32 v[20:21], v[20:21], v[30:31]
	v_fma_f64 v[30:31], -v[18:19], v[20:21], 1.0
	v_fmac_f64_e32 v[20:21], v[20:21], v[30:31]
	v_mul_f64 v[30:31], v[28:29], v[20:21]
	v_fma_f64 v[18:19], -v[18:19], v[30:31], v[28:29]
	v_div_fmas_f64 v[18:19], v[18:19], v[20:21], v[30:31]
	v_div_fixup_f64 v[20:21], v[18:19], v[6:7], v[8:9]
	v_fmac_f64_e32 v[6:7], v[8:9], v[20:21]
	v_div_scale_f64 v[8:9], s[4:5], v[6:7], v[6:7], 1.0
	v_rcp_f64_e32 v[18:19], v[8:9]
	s_nop 0
	v_fma_f64 v[28:29], -v[8:9], v[18:19], 1.0
	v_fmac_f64_e32 v[18:19], v[18:19], v[28:29]
	v_fma_f64 v[28:29], -v[8:9], v[18:19], 1.0
	v_fmac_f64_e32 v[18:19], v[18:19], v[28:29]
	v_div_scale_f64 v[28:29], vcc, 1.0, v[6:7], 1.0
	v_mul_f64 v[30:31], v[28:29], v[18:19]
	v_fma_f64 v[8:9], -v[8:9], v[30:31], v[28:29]
	s_nop 1
	v_div_fmas_f64 v[8:9], v[8:9], v[18:19], v[30:31]
	v_div_fixup_f64 v[6:7], v[8:9], v[6:7], 1.0
	v_fma_f64 v[8:9], v[20:21], v[24:25], v[22:23]
	v_mul_f64 v[18:19], v[8:9], v[6:7]
	v_fma_f64 v[8:9], -v[20:21], v[22:23], v[24:25]
	v_mul_f64 v[20:21], v[8:9], v[6:7]
.LBB218_127:                            ;   in Loop: Header=BB218_113 Depth=1
	s_lshl_b32 s4, s9, 4
	s_add_i32 s5, s4, s11
	v_mov_b32_e32 v28, s5
	ds_read_b128 v[6:9], v28
	ds_write_b128 v27, v[18:21]
	ds_read_b128 v[22:25], v28 offset:16
	ds_read_b128 v[28:31], v28 offset:32
	s_add_i32 s4, s4, s9
	s_waitcnt lgkmcnt(3)
	v_mul_f64 v[32:33], v[12:13], v[8:9]
	v_mul_f64 v[8:9], v[10:11], v[8:9]
	v_fma_f64 v[10:11], v[10:11], v[6:7], -v[32:33]
	v_fmac_f64_e32 v[8:9], v[12:13], v[6:7]
	s_waitcnt lgkmcnt(1)
	v_mul_f64 v[6:7], v[16:17], v[24:25]
	v_add_f64 v[2:3], v[2:3], -v[10:11]
	v_add_f64 v[4:5], v[4:5], -v[8:9]
	v_fma_f64 v[6:7], v[14:15], v[22:23], -v[6:7]
	v_mul_f64 v[8:9], v[14:15], v[24:25]
	v_fmac_f64_e32 v[8:9], v[16:17], v[22:23]
	v_add_f64 v[6:7], v[2:3], -v[6:7]
	v_mov_b32_e32 v2, s4
	v_add_f64 v[8:9], v[4:5], -v[8:9]
	ds_read_b128 v[2:5], v2
	s_waitcnt lgkmcnt(1)
	v_mul_f64 v[10:11], v[20:21], v[30:31]
	v_mul_f64 v[12:13], v[18:19], v[30:31]
	v_fma_f64 v[10:11], v[18:19], v[28:29], -v[10:11]
	v_fmac_f64_e32 v[12:13], v[20:21], v[28:29]
	s_waitcnt lgkmcnt(0)
	v_cmp_ngt_f64_e64 s[10:11], |v[2:3]|, |v[4:5]|
	v_add_f64 v[10:11], v[6:7], -v[10:11]
	v_add_f64 v[12:13], v[8:9], -v[12:13]
	s_mov_b64 s[4:5], -1
	s_and_b64 vcc, exec, s[10:11]
                                        ; implicit-def: $vgpr8_vgpr9
	s_cbranch_vccz .LBB218_129
; %bb.128:                              ;   in Loop: Header=BB218_113 Depth=1
	v_div_scale_f64 v[6:7], s[4:5], v[4:5], v[4:5], v[2:3]
	v_rcp_f64_e32 v[8:9], v[6:7]
	v_div_scale_f64 v[14:15], vcc, v[2:3], v[4:5], v[2:3]
	v_fma_f64 v[16:17], -v[6:7], v[8:9], 1.0
	v_fmac_f64_e32 v[8:9], v[8:9], v[16:17]
	v_fma_f64 v[16:17], -v[6:7], v[8:9], 1.0
	v_fmac_f64_e32 v[8:9], v[8:9], v[16:17]
	v_mul_f64 v[16:17], v[14:15], v[8:9]
	v_fma_f64 v[6:7], -v[6:7], v[16:17], v[14:15]
	v_div_fmas_f64 v[6:7], v[6:7], v[8:9], v[16:17]
	v_div_fixup_f64 v[8:9], v[6:7], v[4:5], v[2:3]
	v_fma_f64 v[6:7], v[2:3], v[8:9], v[4:5]
	v_div_scale_f64 v[14:15], s[4:5], v[6:7], v[6:7], 1.0
	v_rcp_f64_e32 v[16:17], v[14:15]
	s_mov_b64 s[4:5], 0
	v_fma_f64 v[18:19], -v[14:15], v[16:17], 1.0
	v_fmac_f64_e32 v[16:17], v[16:17], v[18:19]
	v_fma_f64 v[18:19], -v[14:15], v[16:17], 1.0
	v_fmac_f64_e32 v[16:17], v[16:17], v[18:19]
	v_div_scale_f64 v[18:19], vcc, 1.0, v[6:7], 1.0
	v_mul_f64 v[20:21], v[18:19], v[16:17]
	v_fma_f64 v[14:15], -v[14:15], v[20:21], v[18:19]
	s_nop 1
	v_div_fmas_f64 v[14:15], v[14:15], v[16:17], v[20:21]
	v_div_fixup_f64 v[14:15], v[14:15], v[6:7], 1.0
	v_fma_f64 v[6:7], v[8:9], v[10:11], v[12:13]
	v_fma_f64 v[8:9], v[8:9], v[12:13], -v[10:11]
	v_mul_f64 v[6:7], v[6:7], v[14:15]
	v_mul_f64 v[8:9], v[8:9], v[14:15]
.LBB218_129:                            ;   in Loop: Header=BB218_113 Depth=1
	s_andn2_b64 vcc, exec, s[4:5]
	s_cbranch_vccnz .LBB218_131
; %bb.130:                              ;   in Loop: Header=BB218_113 Depth=1
	v_div_scale_f64 v[6:7], s[4:5], v[2:3], v[2:3], v[4:5]
	v_rcp_f64_e32 v[8:9], v[6:7]
	v_div_scale_f64 v[14:15], vcc, v[4:5], v[2:3], v[4:5]
	v_fma_f64 v[16:17], -v[6:7], v[8:9], 1.0
	v_fmac_f64_e32 v[8:9], v[8:9], v[16:17]
	v_fma_f64 v[16:17], -v[6:7], v[8:9], 1.0
	v_fmac_f64_e32 v[8:9], v[8:9], v[16:17]
	v_mul_f64 v[16:17], v[14:15], v[8:9]
	v_fma_f64 v[6:7], -v[6:7], v[16:17], v[14:15]
	v_div_fmas_f64 v[6:7], v[6:7], v[8:9], v[16:17]
	v_div_fixup_f64 v[8:9], v[6:7], v[2:3], v[4:5]
	v_fmac_f64_e32 v[2:3], v[4:5], v[8:9]
	v_div_scale_f64 v[4:5], s[4:5], v[2:3], v[2:3], 1.0
	v_rcp_f64_e32 v[6:7], v[4:5]
	s_nop 0
	v_fma_f64 v[14:15], -v[4:5], v[6:7], 1.0
	v_fmac_f64_e32 v[6:7], v[6:7], v[14:15]
	v_fma_f64 v[14:15], -v[4:5], v[6:7], 1.0
	v_fmac_f64_e32 v[6:7], v[6:7], v[14:15]
	v_div_scale_f64 v[14:15], vcc, 1.0, v[2:3], 1.0
	v_mul_f64 v[16:17], v[14:15], v[6:7]
	v_fma_f64 v[4:5], -v[4:5], v[16:17], v[14:15]
	s_nop 1
	v_div_fmas_f64 v[4:5], v[4:5], v[6:7], v[16:17]
	v_div_fixup_f64 v[2:3], v[4:5], v[2:3], 1.0
	v_fma_f64 v[4:5], v[8:9], v[12:13], v[10:11]
	v_mul_f64 v[6:7], v[4:5], v[2:3]
	v_fma_f64 v[4:5], -v[8:9], v[10:11], v[12:13]
	v_mul_f64 v[8:9], v[4:5], v[2:3]
.LBB218_131:                            ;   in Loop: Header=BB218_113 Depth=1
	s_add_i32 s9, s7, 4
	s_add_i32 s4, s7, 7
	s_addk_i32 s6, 0x400
	s_cmp_ge_i32 s4, s25
	ds_write_b128 v26, v[6:9]
	s_cbranch_scc1 .LBB218_133
; %bb.132:                              ;   in Loop: Header=BB218_113 Depth=1
	s_mov_b32 s7, s9
	s_branch .LBB218_113
.LBB218_133:
	s_cmp_ge_i32 s9, s25
	s_cbranch_scc1 .LBB218_142
; %bb.134:
	v_mov_b32_e32 v2, 0x1000
	v_lshl_or_b32 v14, v0, 4, v2
	s_lshl_b32 s6, s9, 8
	s_branch .LBB218_136
.LBB218_135:                            ;   in Loop: Header=BB218_136 Depth=1
	s_add_i32 s9, s9, 1
	s_addk_i32 s6, 0x100
	s_cmp_ge_i32 s9, s25
	ds_write_b128 v15, v[10:13]
	s_cbranch_scc1 .LBB218_142
.LBB218_136:                            ; =>This Loop Header: Depth=1
                                        ;     Child Loop BB218_137 Depth 2
	v_lshl_add_u32 v15, s9, 8, v1
	ds_read_b128 v[2:5], v15
	s_cmp_eq_u32 s9, 0
	s_mov_b32 s4, s6
	v_mov_b32_e32 v6, v14
	s_mov_b32 s5, s9
	s_cbranch_scc1 .LBB218_138
.LBB218_137:                            ;   Parent Loop BB218_136 Depth=1
                                        ; =>  This Inner Loop Header: Depth=2
	v_mov_b32_e32 v7, s4
	ds_read_b128 v[8:11], v6
	ds_read_b128 v[16:19], v7
	s_add_i32 s5, s5, -1
	s_add_i32 s4, s4, 16
	v_add_u32_e32 v6, 0x100, v6
	s_cmp_eq_u32 s5, 0
	s_waitcnt lgkmcnt(0)
	v_mul_f64 v[12:13], v[18:19], v[10:11]
	v_mul_f64 v[10:11], v[16:17], v[10:11]
	v_fma_f64 v[12:13], v[16:17], v[8:9], -v[12:13]
	v_fmac_f64_e32 v[10:11], v[18:19], v[8:9]
	v_add_f64 v[2:3], v[2:3], -v[12:13]
	v_add_f64 v[4:5], v[4:5], -v[10:11]
	s_cbranch_scc0 .LBB218_137
.LBB218_138:                            ;   in Loop: Header=BB218_136 Depth=1
	s_mul_i32 s4, s9, 0x110
	v_mov_b32_e32 v6, s4
	ds_read_b128 v[6:9], v6
	s_mov_b64 s[4:5], -1
                                        ; implicit-def: $vgpr10_vgpr11
	s_waitcnt lgkmcnt(0)
	v_cmp_ngt_f64_e64 s[10:11], |v[6:7]|, |v[8:9]|
	s_and_b64 vcc, exec, s[10:11]
	s_cbranch_vccz .LBB218_140
; %bb.139:                              ;   in Loop: Header=BB218_136 Depth=1
	v_div_scale_f64 v[10:11], s[4:5], v[8:9], v[8:9], v[6:7]
	v_rcp_f64_e32 v[12:13], v[10:11]
	v_div_scale_f64 v[16:17], vcc, v[6:7], v[8:9], v[6:7]
	v_fma_f64 v[18:19], -v[10:11], v[12:13], 1.0
	v_fmac_f64_e32 v[12:13], v[12:13], v[18:19]
	v_fma_f64 v[18:19], -v[10:11], v[12:13], 1.0
	v_fmac_f64_e32 v[12:13], v[12:13], v[18:19]
	v_mul_f64 v[18:19], v[16:17], v[12:13]
	v_fma_f64 v[10:11], -v[10:11], v[18:19], v[16:17]
	v_div_fmas_f64 v[10:11], v[10:11], v[12:13], v[18:19]
	v_div_fixup_f64 v[12:13], v[10:11], v[8:9], v[6:7]
	v_fma_f64 v[10:11], v[6:7], v[12:13], v[8:9]
	v_div_scale_f64 v[16:17], s[4:5], v[10:11], v[10:11], 1.0
	v_rcp_f64_e32 v[18:19], v[16:17]
	s_mov_b64 s[4:5], 0
	v_fma_f64 v[20:21], -v[16:17], v[18:19], 1.0
	v_fmac_f64_e32 v[18:19], v[18:19], v[20:21]
	v_fma_f64 v[20:21], -v[16:17], v[18:19], 1.0
	v_fmac_f64_e32 v[18:19], v[18:19], v[20:21]
	v_div_scale_f64 v[20:21], vcc, 1.0, v[10:11], 1.0
	v_mul_f64 v[22:23], v[20:21], v[18:19]
	v_fma_f64 v[16:17], -v[16:17], v[22:23], v[20:21]
	s_nop 1
	v_div_fmas_f64 v[16:17], v[16:17], v[18:19], v[22:23]
	v_div_fixup_f64 v[16:17], v[16:17], v[10:11], 1.0
	v_fma_f64 v[10:11], v[2:3], v[12:13], v[4:5]
	v_fma_f64 v[12:13], v[4:5], v[12:13], -v[2:3]
	v_mul_f64 v[10:11], v[10:11], v[16:17]
	v_mul_f64 v[12:13], v[12:13], v[16:17]
.LBB218_140:                            ;   in Loop: Header=BB218_136 Depth=1
	s_andn2_b64 vcc, exec, s[4:5]
	s_cbranch_vccnz .LBB218_135
; %bb.141:                              ;   in Loop: Header=BB218_136 Depth=1
	v_div_scale_f64 v[10:11], s[4:5], v[6:7], v[6:7], v[8:9]
	v_rcp_f64_e32 v[12:13], v[10:11]
	v_div_scale_f64 v[16:17], vcc, v[8:9], v[6:7], v[8:9]
	v_fma_f64 v[18:19], -v[10:11], v[12:13], 1.0
	v_fmac_f64_e32 v[12:13], v[12:13], v[18:19]
	v_fma_f64 v[18:19], -v[10:11], v[12:13], 1.0
	v_fmac_f64_e32 v[12:13], v[12:13], v[18:19]
	v_mul_f64 v[18:19], v[16:17], v[12:13]
	v_fma_f64 v[10:11], -v[10:11], v[18:19], v[16:17]
	v_div_fmas_f64 v[10:11], v[10:11], v[12:13], v[18:19]
	v_div_fixup_f64 v[12:13], v[10:11], v[6:7], v[8:9]
	v_fmac_f64_e32 v[6:7], v[8:9], v[12:13]
	v_div_scale_f64 v[8:9], s[4:5], v[6:7], v[6:7], 1.0
	v_rcp_f64_e32 v[10:11], v[8:9]
	s_nop 0
	v_fma_f64 v[16:17], -v[8:9], v[10:11], 1.0
	v_fmac_f64_e32 v[10:11], v[10:11], v[16:17]
	v_fma_f64 v[16:17], -v[8:9], v[10:11], 1.0
	v_fmac_f64_e32 v[10:11], v[10:11], v[16:17]
	v_div_scale_f64 v[16:17], vcc, 1.0, v[6:7], 1.0
	v_mul_f64 v[18:19], v[16:17], v[10:11]
	v_fma_f64 v[8:9], -v[8:9], v[18:19], v[16:17]
	s_nop 1
	v_div_fmas_f64 v[8:9], v[8:9], v[10:11], v[18:19]
	v_div_fixup_f64 v[6:7], v[8:9], v[6:7], 1.0
	v_fma_f64 v[8:9], v[4:5], v[12:13], v[2:3]
	v_fma_f64 v[2:3], -v[2:3], v[12:13], v[4:5]
	v_mul_f64 v[10:11], v[8:9], v[6:7]
	v_mul_f64 v[12:13], v[2:3], v[6:7]
	s_branch .LBB218_135
.LBB218_142:
	s_and_saveexec_b64 s[4:5], s[0:1]
	s_cbranch_execz .LBB218_146
; %bb.143:
	s_cmp_lt_i32 s24, 1
	s_cbranch_scc1 .LBB218_146
; %bb.144:
	s_ashr_i32 s9, s8, 31
	v_lshlrev_b32_e32 v2, 4, v0
	v_mov_b32_e32 v3, 0
	v_lshl_add_u64 v[0:1], s[2:3], 0, v[2:3]
	s_lshl_b64 s[0:1], s[8:9], 4
	v_or_b32_e32 v2, 0x1000, v2
.LBB218_145:                            ; =>This Inner Loop Header: Depth=1
	ds_read2_b64 v[4:7], v2 offset1:1
	s_add_i32 s24, s24, -1
	v_add_u32_e32 v2, 0x100, v2
	s_cmp_lg_u32 s24, 0
	s_waitcnt lgkmcnt(0)
	flat_store_dwordx4 v[0:1], v[4:7]
	v_lshl_add_u64 v[0:1], v[0:1], 0, s[0:1]
	s_cbranch_scc1 .LBB218_145
.LBB218_146:
	s_endpgm
	.section	.rodata,"a",@progbits
	.p2align	6, 0x0
	.amdhsa_kernel _ZL31rocblas_trsm_small_right_deviceI19rocblas_complex_numIdES1_PKPKS1_PKPS1_Li16EEv13rocblas_fill_18rocblas_operation_17rocblas_diagonal_iiT0_T1_lilT2_lili
		.amdhsa_group_segment_fixed_size 8192
		.amdhsa_private_segment_fixed_size 0
		.amdhsa_kernarg_size 368
		.amdhsa_user_sgpr_count 2
		.amdhsa_user_sgpr_dispatch_ptr 0
		.amdhsa_user_sgpr_queue_ptr 0
		.amdhsa_user_sgpr_kernarg_segment_ptr 1
		.amdhsa_user_sgpr_dispatch_id 0
		.amdhsa_user_sgpr_kernarg_preload_length 0
		.amdhsa_user_sgpr_kernarg_preload_offset 0
		.amdhsa_user_sgpr_private_segment_size 0
		.amdhsa_uses_dynamic_stack 0
		.amdhsa_enable_private_segment 0
		.amdhsa_system_sgpr_workgroup_id_x 1
		.amdhsa_system_sgpr_workgroup_id_y 0
		.amdhsa_system_sgpr_workgroup_id_z 1
		.amdhsa_system_sgpr_workgroup_info 0
		.amdhsa_system_vgpr_workitem_id 0
		.amdhsa_next_free_vgpr 81
		.amdhsa_next_free_sgpr 96
		.amdhsa_accum_offset 56
		.amdhsa_reserve_vcc 1
		.amdhsa_float_round_mode_32 0
		.amdhsa_float_round_mode_16_64 0
		.amdhsa_float_denorm_mode_32 3
		.amdhsa_float_denorm_mode_16_64 3
		.amdhsa_dx10_clamp 1
		.amdhsa_ieee_mode 1
		.amdhsa_fp16_overflow 0
		.amdhsa_tg_split 0
		.amdhsa_exception_fp_ieee_invalid_op 0
		.amdhsa_exception_fp_denorm_src 0
		.amdhsa_exception_fp_ieee_div_zero 0
		.amdhsa_exception_fp_ieee_overflow 0
		.amdhsa_exception_fp_ieee_underflow 0
		.amdhsa_exception_fp_ieee_inexact 0
		.amdhsa_exception_int_div_zero 0
	.end_amdhsa_kernel
	.section	.text._ZL31rocblas_trsm_small_right_deviceI19rocblas_complex_numIdES1_PKPKS1_PKPS1_Li16EEv13rocblas_fill_18rocblas_operation_17rocblas_diagonal_iiT0_T1_lilT2_lili,"axG",@progbits,_ZL31rocblas_trsm_small_right_deviceI19rocblas_complex_numIdES1_PKPKS1_PKPS1_Li16EEv13rocblas_fill_18rocblas_operation_17rocblas_diagonal_iiT0_T1_lilT2_lili,comdat
.Lfunc_end218:
	.size	_ZL31rocblas_trsm_small_right_deviceI19rocblas_complex_numIdES1_PKPKS1_PKPS1_Li16EEv13rocblas_fill_18rocblas_operation_17rocblas_diagonal_iiT0_T1_lilT2_lili, .Lfunc_end218-_ZL31rocblas_trsm_small_right_deviceI19rocblas_complex_numIdES1_PKPKS1_PKPS1_Li16EEv13rocblas_fill_18rocblas_operation_17rocblas_diagonal_iiT0_T1_lilT2_lili
                                        ; -- End function
	.set _ZL31rocblas_trsm_small_right_deviceI19rocblas_complex_numIdES1_PKPKS1_PKPS1_Li16EEv13rocblas_fill_18rocblas_operation_17rocblas_diagonal_iiT0_T1_lilT2_lili.num_vgpr, 54
	.set _ZL31rocblas_trsm_small_right_deviceI19rocblas_complex_numIdES1_PKPKS1_PKPS1_Li16EEv13rocblas_fill_18rocblas_operation_17rocblas_diagonal_iiT0_T1_lilT2_lili.num_agpr, 0
	.set _ZL31rocblas_trsm_small_right_deviceI19rocblas_complex_numIdES1_PKPKS1_PKPS1_Li16EEv13rocblas_fill_18rocblas_operation_17rocblas_diagonal_iiT0_T1_lilT2_lili.numbered_sgpr, 28
	.set _ZL31rocblas_trsm_small_right_deviceI19rocblas_complex_numIdES1_PKPKS1_PKPS1_Li16EEv13rocblas_fill_18rocblas_operation_17rocblas_diagonal_iiT0_T1_lilT2_lili.num_named_barrier, 0
	.set _ZL31rocblas_trsm_small_right_deviceI19rocblas_complex_numIdES1_PKPKS1_PKPS1_Li16EEv13rocblas_fill_18rocblas_operation_17rocblas_diagonal_iiT0_T1_lilT2_lili.private_seg_size, 0
	.set _ZL31rocblas_trsm_small_right_deviceI19rocblas_complex_numIdES1_PKPKS1_PKPS1_Li16EEv13rocblas_fill_18rocblas_operation_17rocblas_diagonal_iiT0_T1_lilT2_lili.uses_vcc, 1
	.set _ZL31rocblas_trsm_small_right_deviceI19rocblas_complex_numIdES1_PKPKS1_PKPS1_Li16EEv13rocblas_fill_18rocblas_operation_17rocblas_diagonal_iiT0_T1_lilT2_lili.uses_flat_scratch, 0
	.set _ZL31rocblas_trsm_small_right_deviceI19rocblas_complex_numIdES1_PKPKS1_PKPS1_Li16EEv13rocblas_fill_18rocblas_operation_17rocblas_diagonal_iiT0_T1_lilT2_lili.has_dyn_sized_stack, 0
	.set _ZL31rocblas_trsm_small_right_deviceI19rocblas_complex_numIdES1_PKPKS1_PKPS1_Li16EEv13rocblas_fill_18rocblas_operation_17rocblas_diagonal_iiT0_T1_lilT2_lili.has_recursion, 0
	.set _ZL31rocblas_trsm_small_right_deviceI19rocblas_complex_numIdES1_PKPKS1_PKPS1_Li16EEv13rocblas_fill_18rocblas_operation_17rocblas_diagonal_iiT0_T1_lilT2_lili.has_indirect_call, 0
	.section	.AMDGPU.csdata,"",@progbits
; Kernel info:
; codeLenInByte = 13872
; TotalNumSgprs: 34
; NumVgprs: 54
; NumAgprs: 0
; TotalNumVgprs: 54
; ScratchSize: 0
; MemoryBound: 0
; FloatMode: 240
; IeeeMode: 1
; LDSByteSize: 8192 bytes/workgroup (compile time only)
; SGPRBlocks: 12
; VGPRBlocks: 10
; NumSGPRsForWavesPerEU: 102
; NumVGPRsForWavesPerEU: 81
; AccumOffset: 56
; Occupancy: 5
; WaveLimiterHint : 0
; COMPUTE_PGM_RSRC2:SCRATCH_EN: 0
; COMPUTE_PGM_RSRC2:USER_SGPR: 2
; COMPUTE_PGM_RSRC2:TRAP_HANDLER: 0
; COMPUTE_PGM_RSRC2:TGID_X_EN: 1
; COMPUTE_PGM_RSRC2:TGID_Y_EN: 0
; COMPUTE_PGM_RSRC2:TGID_Z_EN: 1
; COMPUTE_PGM_RSRC2:TIDIG_COMP_CNT: 0
; COMPUTE_PGM_RSRC3_GFX90A:ACCUM_OFFSET: 13
; COMPUTE_PGM_RSRC3_GFX90A:TG_SPLIT: 0
	.section	.text._ZL38rocblas_trsm_small_left_device_sharedBILi20ELi20ELb0E19rocblas_complex_numIdES1_PKPKS1_PKPS1_Ev13rocblas_fill_18rocblas_operation_17rocblas_diagonal_iiT3_T4_lilT5_lili,"axG",@progbits,_ZL38rocblas_trsm_small_left_device_sharedBILi20ELi20ELb0E19rocblas_complex_numIdES1_PKPKS1_PKPS1_Ev13rocblas_fill_18rocblas_operation_17rocblas_diagonal_iiT3_T4_lilT5_lili,comdat
	.globl	_ZL38rocblas_trsm_small_left_device_sharedBILi20ELi20ELb0E19rocblas_complex_numIdES1_PKPKS1_PKPS1_Ev13rocblas_fill_18rocblas_operation_17rocblas_diagonal_iiT3_T4_lilT5_lili ; -- Begin function _ZL38rocblas_trsm_small_left_device_sharedBILi20ELi20ELb0E19rocblas_complex_numIdES1_PKPKS1_PKPS1_Ev13rocblas_fill_18rocblas_operation_17rocblas_diagonal_iiT3_T4_lilT5_lili
	.p2align	8
	.type	_ZL38rocblas_trsm_small_left_device_sharedBILi20ELi20ELb0E19rocblas_complex_numIdES1_PKPKS1_PKPS1_Ev13rocblas_fill_18rocblas_operation_17rocblas_diagonal_iiT3_T4_lilT5_lili,@function
_ZL38rocblas_trsm_small_left_device_sharedBILi20ELi20ELb0E19rocblas_complex_numIdES1_PKPKS1_PKPS1_Ev13rocblas_fill_18rocblas_operation_17rocblas_diagonal_iiT3_T4_lilT5_lili: ; @_ZL38rocblas_trsm_small_left_device_sharedBILi20ELi20ELb0E19rocblas_complex_numIdES1_PKPKS1_PKPS1_Ev13rocblas_fill_18rocblas_operation_17rocblas_diagonal_iiT3_T4_lilT5_lili
; %bb.0:
	s_load_dwordx4 s[12:15], s[0:1], 0x4
	s_load_dwordx4 s[16:19], s[0:1], 0x48
	s_load_dwordx8 s[4:11], s[0:1], 0x18
	s_mov_b32 s20, s3
	s_mov_b32 s21, 0
	s_lshl_b64 s[22:23], s[20:21], 3
	s_waitcnt lgkmcnt(0)
	s_add_u32 s16, s16, s22
	s_addc_u32 s17, s17, s23
	s_load_dword s3, s[0:1], 0x70
	s_min_i32 s24, s14, 20
	s_load_dwordx2 s[16:17], s[16:17], 0x0
	v_cmp_gt_i32_e32 vcc, s24, v0
	s_and_saveexec_b64 s[20:21], vcc
	s_cbranch_execz .LBB219_11
; %bb.1:
	s_load_dword s26, s[0:1], 0x38
	v_lshlrev_b32_e32 v2, 4, v0
	v_mov_b32_e32 v3, 0
	v_mov_b32_e32 v1, v2
	s_waitcnt lgkmcnt(0)
	s_ashr_i32 s27, s26, 31
	s_cmpk_eq_i32 s12, 0x71
	s_cselect_b64 vcc, -1, 0
	s_add_u32 s8, s8, s22
	s_addc_u32 s9, s9, s23
	s_load_dwordx2 s[8:9], s[8:9], 0x0
	s_lshl_b64 s[10:11], s[10:11], 4
	s_waitcnt lgkmcnt(0)
	s_add_u32 s10, s8, s10
	s_addc_u32 s11, s9, s11
	s_lshl_b64 s[8:9], s[26:27], 4
	v_lshl_add_u64 v[4:5], s[10:11], 0, v[2:3]
	s_mov_b32 s10, s24
.LBB219_2:                              ; =>This Inner Loop Header: Depth=1
	flat_load_dwordx4 v[6:9], v[4:5]
	s_add_i32 s10, s10, -1
	v_lshl_add_u64 v[4:5], v[4:5], 0, s[8:9]
	s_cmp_eq_u32 s10, 0
	s_waitcnt vmcnt(0) lgkmcnt(0)
	v_xor_b32_e32 v3, 0x80000000, v9
	v_cndmask_b32_e32 v9, v9, v3, vcc
	ds_write_b128 v1, v[6:9]
	v_add_u32_e32 v1, 0x140, v1
	s_cbranch_scc0 .LBB219_2
; %bb.3:
	v_mul_u32_u24_e32 v1, 0x140, v0
	s_cmpk_lg_i32 s13, 0x84
	v_add_u32_e32 v1, v2, v1
	s_cbranch_scc0 .LBB219_9
; %bb.4:
	ds_read_b128 v[2:5], v1
                                        ; implicit-def: $vgpr8_vgpr9
	s_waitcnt lgkmcnt(0)
	v_cmp_ngt_f64_e64 s[8:9], |v[2:3]|, |v[4:5]|
	s_and_saveexec_b64 s[10:11], s[8:9]
	s_xor_b64 s[8:9], exec, s[10:11]
	s_cbranch_execz .LBB219_6
; %bb.5:
	v_div_scale_f64 v[6:7], s[10:11], v[4:5], v[4:5], v[2:3]
	v_rcp_f64_e32 v[8:9], v[6:7]
	v_div_scale_f64 v[10:11], vcc, v[2:3], v[4:5], v[2:3]
	v_fma_f64 v[12:13], -v[6:7], v[8:9], 1.0
	v_fmac_f64_e32 v[8:9], v[8:9], v[12:13]
	v_fma_f64 v[12:13], -v[6:7], v[8:9], 1.0
	v_fmac_f64_e32 v[8:9], v[8:9], v[12:13]
	v_mul_f64 v[12:13], v[10:11], v[8:9]
	v_fma_f64 v[6:7], -v[6:7], v[12:13], v[10:11]
	v_div_fmas_f64 v[6:7], v[6:7], v[8:9], v[12:13]
	v_div_fixup_f64 v[8:9], v[6:7], v[4:5], v[2:3]
	v_fmac_f64_e32 v[4:5], v[2:3], v[8:9]
	v_div_scale_f64 v[2:3], s[10:11], v[4:5], v[4:5], 1.0
	v_rcp_f64_e32 v[6:7], v[2:3]
	s_nop 0
	v_fma_f64 v[10:11], -v[2:3], v[6:7], 1.0
	v_fmac_f64_e32 v[6:7], v[6:7], v[10:11]
	v_fma_f64 v[10:11], -v[2:3], v[6:7], 1.0
	v_fmac_f64_e32 v[6:7], v[6:7], v[10:11]
	v_div_scale_f64 v[10:11], vcc, 1.0, v[4:5], 1.0
	v_mul_f64 v[12:13], v[10:11], v[6:7]
	v_fma_f64 v[2:3], -v[2:3], v[12:13], v[10:11]
	s_nop 1
	v_div_fmas_f64 v[2:3], v[2:3], v[6:7], v[12:13]
	v_div_fixup_f64 v[2:3], v[2:3], v[4:5], 1.0
	v_add_f64 v[4:5], v[8:9], 0
	v_mul_f64 v[6:7], v[4:5], v[2:3]
	v_fma_f64 v[4:5], v[8:9], 0, -1.0
	v_mul_f64 v[8:9], v[4:5], v[2:3]
                                        ; implicit-def: $vgpr2_vgpr3
.LBB219_6:
	s_andn2_saveexec_b64 s[8:9], s[8:9]
	s_cbranch_execz .LBB219_8
; %bb.7:
	v_div_scale_f64 v[6:7], s[10:11], v[2:3], v[2:3], v[4:5]
	v_rcp_f64_e32 v[8:9], v[6:7]
	v_div_scale_f64 v[10:11], vcc, v[4:5], v[2:3], v[4:5]
	v_fma_f64 v[12:13], -v[6:7], v[8:9], 1.0
	v_fmac_f64_e32 v[8:9], v[8:9], v[12:13]
	v_fma_f64 v[12:13], -v[6:7], v[8:9], 1.0
	v_fmac_f64_e32 v[8:9], v[8:9], v[12:13]
	v_mul_f64 v[12:13], v[10:11], v[8:9]
	v_fma_f64 v[6:7], -v[6:7], v[12:13], v[10:11]
	v_div_fmas_f64 v[6:7], v[6:7], v[8:9], v[12:13]
	v_div_fixup_f64 v[8:9], v[6:7], v[2:3], v[4:5]
	v_fmac_f64_e32 v[2:3], v[4:5], v[8:9]
	v_div_scale_f64 v[4:5], s[10:11], v[2:3], v[2:3], 1.0
	v_rcp_f64_e32 v[6:7], v[4:5]
	s_nop 0
	v_fma_f64 v[10:11], -v[4:5], v[6:7], 1.0
	v_fmac_f64_e32 v[6:7], v[6:7], v[10:11]
	v_fma_f64 v[10:11], -v[4:5], v[6:7], 1.0
	v_fmac_f64_e32 v[6:7], v[6:7], v[10:11]
	v_div_scale_f64 v[10:11], vcc, 1.0, v[2:3], 1.0
	v_mul_f64 v[12:13], v[10:11], v[6:7]
	v_fma_f64 v[4:5], -v[4:5], v[12:13], v[10:11]
	s_nop 1
	v_div_fmas_f64 v[4:5], v[4:5], v[6:7], v[12:13]
	v_div_fixup_f64 v[2:3], v[4:5], v[2:3], 1.0
	v_fma_f64 v[4:5], v[8:9], 0, 1.0
	v_mul_f64 v[6:7], v[4:5], v[2:3]
	v_add_f64 v[4:5], -v[8:9], 0
	v_mul_f64 v[8:9], v[4:5], v[2:3]
.LBB219_8:
	s_or_b64 exec, exec, s[8:9]
	s_branch .LBB219_10
.LBB219_9:
	v_mov_b64_e32 v[8:9], 0
	v_mov_b64_e32 v[6:7], 1.0
.LBB219_10:
	ds_write_b128 v1, v[6:9]
.LBB219_11:
	s_or_b64 exec, exec, s[20:21]
	s_load_dword s13, s[0:1], 0x58
	s_lshl_b64 s[0:1], s[18:19], 4
	s_waitcnt lgkmcnt(0)
	s_add_u32 s8, s16, s0
	s_mul_i32 s0, s2, 0xffffffec
	s_addc_u32 s9, s17, s1
	s_add_i32 s3, s3, -1
	s_add_i32 s0, s15, s0
	s_cmp_ge_u32 s2, s3
	s_mul_i32 s2, s2, 20
	s_cselect_b32 s10, s0, 20
	s_mul_hi_i32 s1, s13, s2
	s_mul_i32 s0, s13, s2
	s_lshl_b64 s[0:1], s[0:1], 4
	s_add_u32 s2, s8, s0
	s_addc_u32 s3, s9, s1
	s_cmp_gt_i32 s14, 0
	v_cmp_gt_i32_e64 s[0:1], s10, v0
	s_cselect_b64 s[8:9], -1, 0
	s_and_b64 s[14:15], s[0:1], s[8:9]
	s_and_saveexec_b64 s[10:11], s[14:15]
	s_cbranch_execz .LBB219_14
; %bb.12:
	v_mad_i64_i32 v[2:3], s[14:15], s13, v0, 0
	v_mov_b32_e32 v1, 0x1900
	v_lshl_add_u64 v[2:3], v[2:3], 4, s[2:3]
	v_lshl_add_u32 v1, v0, 4, v1
	s_mov_b32 s14, s24
.LBB219_13:                             ; =>This Inner Loop Header: Depth=1
	flat_load_dwordx4 v[4:7], v[2:3]
	s_add_i32 s14, s14, -1
	v_lshl_add_u64 v[2:3], v[2:3], 0, 16
	s_cmp_lg_u32 s14, 0
	s_waitcnt vmcnt(0) lgkmcnt(0)
	v_mul_f64 v[10:11], s[6:7], v[6:7]
	v_mul_f64 v[8:9], s[4:5], v[6:7]
	v_fma_f64 v[6:7], s[4:5], v[4:5], -v[10:11]
	v_fmac_f64_e32 v[8:9], s[6:7], v[4:5]
	ds_write_b128 v1, v[6:9]
	v_add_u32_e32 v1, 0x140, v1
	s_cbranch_scc1 .LBB219_13
.LBB219_14:
	s_or_b64 exec, exec, s[10:11]
	v_mov_b32_e32 v1, 0x1900
	s_cmpk_eq_i32 s12, 0x6f
	v_lshl_add_u32 v1, v0, 4, v1
	s_mov_b64 s[4:5], -1
	s_waitcnt lgkmcnt(0)
	; wave barrier
	s_cbranch_scc1 .LBB219_36
; %bb.15:
	s_mov_b32 s5, 0
	s_mov_b32 s4, s5
	;; [unrolled: 1-line block ×3, first 2 shown]
	s_branch .LBB219_17
.LBB219_16:                             ;   in Loop: Header=BB219_17 Depth=1
	s_cmp_ge_i32 s10, s24
	s_cselect_b64 s[6:7], -1, 0
	s_add_i32 s4, s4, 1
	s_cmp_eq_u32 s4, 3
	s_cselect_b64 s[14:15], -1, 0
	s_or_b64 s[6:7], s[6:7], s[14:15]
	s_andn2_b64 vcc, exec, s[6:7]
	s_cbranch_vccz .LBB219_35
.LBB219_17:                             ; =>This Loop Header: Depth=1
                                        ;     Child Loop BB219_20 Depth 2
                                        ;       Child Loop BB219_21 Depth 3
                                        ;       Child Loop BB219_24 Depth 3
                                        ;         Child Loop BB219_25 Depth 4
                                        ;       Child Loop BB219_29 Depth 3
                                        ;         Child Loop BB219_31 Depth 4
	s_lshl_b64 s[6:7], s[4:5], 2
	s_getpc_b64 s[14:15]
	s_add_u32 s14, s14, __const._ZL38rocblas_trsm_small_left_device_sharedBILi20ELi20ELb0E19rocblas_complex_numIdES1_PKPKS1_PKPS1_Ev13rocblas_fill_18rocblas_operation_17rocblas_diagonal_iiT3_T4_lilT5_lili.step_sizes@rel32@lo+4
	s_addc_u32 s15, s15, __const._ZL38rocblas_trsm_small_left_device_sharedBILi20ELi20ELb0E19rocblas_complex_numIdES1_PKPKS1_PKPS1_Ev13rocblas_fill_18rocblas_operation_17rocblas_diagonal_iiT3_T4_lilT5_lili.step_sizes@rel32@hi+12
	s_add_u32 s6, s14, s6
	s_addc_u32 s7, s15, s7
	s_load_dword s11, s[6:7], 0x0
	s_waitcnt lgkmcnt(0)
	s_add_i32 s12, s11, -1
	s_add_i32 s6, s12, s10
	s_cmp_ge_i32 s6, s24
	s_cbranch_scc1 .LBB219_16
; %bb.18:                               ;   in Loop: Header=BB219_17 Depth=1
	s_mul_i32 s15, s10, 0x140
	s_max_i32 s14, s11, 1
	v_add_u32_e32 v6, s15, v1
	s_mul_i32 s16, s11, 0x140
	s_mul_i32 s17, s10, 0x150
	;; [unrolled: 1-line block ×3, first 2 shown]
	s_branch .LBB219_20
.LBB219_19:                             ;   in Loop: Header=BB219_20 Depth=2
	s_add_i32 s10, s10, s11
	s_add_i32 s6, s12, s10
	;; [unrolled: 1-line block ×4, first 2 shown]
	s_cmp_ge_i32 s6, s24
	v_add_u32_e32 v6, s16, v6
	s_cbranch_scc1 .LBB219_16
.LBB219_20:                             ;   Parent Loop BB219_17 Depth=1
                                        ; =>  This Loop Header: Depth=2
                                        ;       Child Loop BB219_21 Depth 3
                                        ;       Child Loop BB219_24 Depth 3
                                        ;         Child Loop BB219_25 Depth 4
                                        ;       Child Loop BB219_29 Depth 3
                                        ;         Child Loop BB219_31 Depth 4
	s_mov_b32 s6, 0
	v_mov_b32_e32 v2, v6
	s_mov_b32 s7, s14
.LBB219_21:                             ;   Parent Loop BB219_17 Depth=1
                                        ;     Parent Loop BB219_20 Depth=2
                                        ; =>    This Inner Loop Header: Depth=3
	ds_read_b128 v[8:11], v2
	s_add_i32 s7, s7, -1
	v_add_u32_e32 v2, 0x140, v2
	s_waitcnt lgkmcnt(0)
	scratch_store_dwordx4 off, v[8:11], s6
	s_add_i32 s6, s6, 16
	s_cmp_eq_u32 s7, 0
	s_cbranch_scc0 .LBB219_21
; %bb.22:                               ;   in Loop: Header=BB219_20 Depth=2
	s_cmp_lt_i32 s10, 1
	s_cbranch_scc1 .LBB219_27
; %bb.23:                               ;   in Loop: Header=BB219_20 Depth=2
	s_mov_b32 s6, 0
	s_mov_b32 s7, s15
.LBB219_24:                             ;   Parent Loop BB219_17 Depth=1
                                        ;     Parent Loop BB219_20 Depth=2
                                        ; =>    This Loop Header: Depth=3
                                        ;         Child Loop BB219_25 Depth 4
	s_mul_i32 s19, s6, 0x140
	v_add_u32_e32 v2, s19, v1
	ds_read_b128 v[2:5], v2
	s_mov_b32 s19, 0
	s_mov_b32 s20, s7
	;; [unrolled: 1-line block ×3, first 2 shown]
.LBB219_25:                             ;   Parent Loop BB219_17 Depth=1
                                        ;     Parent Loop BB219_20 Depth=2
                                        ;       Parent Loop BB219_24 Depth=3
                                        ; =>      This Inner Loop Header: Depth=4
	scratch_load_dwordx4 v[8:11], off, s19
	v_mov_b32_e32 v7, s20
	ds_read_b128 v[12:15], v7
	s_add_i32 s21, s21, -1
	s_addk_i32 s20, 0x140
	s_waitcnt lgkmcnt(0)
	v_mul_f64 v[16:17], v[4:5], v[14:15]
	v_mul_f64 v[14:15], v[2:3], v[14:15]
	v_fma_f64 v[16:17], v[2:3], v[12:13], -v[16:17]
	v_fmac_f64_e32 v[14:15], v[4:5], v[12:13]
	s_waitcnt vmcnt(0)
	v_add_f64 v[8:9], v[8:9], -v[16:17]
	v_add_f64 v[10:11], v[10:11], -v[14:15]
	scratch_store_dwordx4 off, v[8:11], s19
	s_add_i32 s19, s19, 16
	s_cmp_eq_u32 s21, 0
	s_cbranch_scc0 .LBB219_25
; %bb.26:                               ;   in Loop: Header=BB219_24 Depth=3
	s_add_i32 s6, s6, 1
	s_add_i32 s7, s7, 16
	s_cmp_eq_u32 s6, s10
	s_cbranch_scc0 .LBB219_24
.LBB219_27:                             ;   in Loop: Header=BB219_20 Depth=2
	s_mul_i32 s19, s10, 0x140
	s_mov_b32 s20, 0
	s_mov_b32 s21, s17
	s_branch .LBB219_29
.LBB219_28:                             ;   in Loop: Header=BB219_29 Depth=3
	s_mul_i32 s6, s23, 0x150
	v_mov_b32_e32 v7, s6
	ds_read_b128 v[8:11], v7
	s_lshl_b32 s6, s20, 4
	s_add_i32 s20, s20, 1
	s_addk_i32 s21, 0x140
	s_cmp_eq_u32 s20, s14
	s_waitcnt vmcnt(0) lgkmcnt(0)
	v_mul_f64 v[12:13], v[10:11], v[4:5]
	v_mul_f64 v[14:15], v[8:9], v[4:5]
	v_fma_f64 v[12:13], v[8:9], v[2:3], -v[12:13]
	v_fmac_f64_e32 v[14:15], v[10:11], v[2:3]
	v_add_u32_e32 v2, s22, v1
	scratch_store_dwordx4 off, v[12:15], s6
	ds_write_b128 v2, v[12:15]
	s_cbranch_scc1 .LBB219_19
.LBB219_29:                             ;   Parent Loop BB219_17 Depth=1
                                        ;     Parent Loop BB219_20 Depth=2
                                        ; =>    This Loop Header: Depth=3
                                        ;         Child Loop BB219_31 Depth 4
	s_cmp_lg_u32 s20, 0
	s_cbranch_scc0 .LBB219_33
; %bb.30:                               ;   in Loop: Header=BB219_29 Depth=3
	s_lshl_b32 s6, s20, 4
	scratch_load_dwordx4 v[2:5], off, s6
	s_add_i32 s23, s20, s10
	s_mul_i32 s22, s23, 0x140
	s_mov_b32 s7, 0
	s_mov_b32 s25, s21
	;; [unrolled: 1-line block ×3, first 2 shown]
.LBB219_31:                             ;   Parent Loop BB219_17 Depth=1
                                        ;     Parent Loop BB219_20 Depth=2
                                        ;       Parent Loop BB219_29 Depth=3
                                        ; =>      This Inner Loop Header: Depth=4
	scratch_load_dwordx4 v[8:11], off, s7
	v_mov_b32_e32 v7, s25
	ds_read_b128 v[12:15], v7
	s_add_i32 s26, s26, -1
	s_add_i32 s7, s7, 16
	s_add_i32 s25, s25, 16
	s_cmp_eq_u32 s26, 0
	s_waitcnt vmcnt(0) lgkmcnt(0)
	v_mul_f64 v[16:17], v[14:15], v[10:11]
	v_mul_f64 v[10:11], v[12:13], v[10:11]
	v_fma_f64 v[12:13], v[12:13], v[8:9], -v[16:17]
	v_fmac_f64_e32 v[10:11], v[14:15], v[8:9]
	v_add_f64 v[2:3], v[2:3], -v[12:13]
	v_add_f64 v[4:5], v[4:5], -v[10:11]
	scratch_store_dwordx4 off, v[2:5], s6
	s_cbranch_scc0 .LBB219_31
; %bb.32:                               ;   in Loop: Header=BB219_29 Depth=3
	s_branch .LBB219_28
.LBB219_33:                             ;   in Loop: Header=BB219_29 Depth=3
                                        ; implicit-def: $vgpr2_vgpr3
                                        ; implicit-def: $sgpr23
                                        ; implicit-def: $sgpr22
	s_cbranch_execz .LBB219_28
; %bb.34:                               ;   in Loop: Header=BB219_29 Depth=3
	scratch_load_dwordx4 v[2:5], off, off
	s_mov_b32 s22, s19
	s_mov_b32 s23, s10
	s_branch .LBB219_28
.LBB219_35:
	s_mov_b64 s[4:5], 0
.LBB219_36:
	s_and_b64 vcc, exec, s[4:5]
	s_cbranch_vccz .LBB219_56
; %bb.37:
	s_add_i32 s10, s24, -1
	v_mov_b32_e32 v2, 0x1900
	s_mul_i32 s11, s24, 0x140
	s_mov_b32 s5, 0
	v_lshl_add_u32 v6, v0, 4, v2
	s_addk_i32 s11, 0xfec0
	s_mov_b32 s4, s5
	s_mov_b32 s12, s10
	s_branch .LBB219_39
.LBB219_38:                             ;   in Loop: Header=BB219_39 Depth=1
	s_cmp_lt_i32 s12, 0
	s_cselect_b64 s[6:7], -1, 0
	s_add_i32 s4, s4, 1
	s_cmp_eq_u32 s4, 3
	s_cselect_b64 s[14:15], -1, 0
	s_or_b64 s[6:7], s[6:7], s[14:15]
	s_and_b64 vcc, exec, s[6:7]
	s_cbranch_vccnz .LBB219_56
.LBB219_39:                             ; =>This Loop Header: Depth=1
                                        ;     Child Loop BB219_42 Depth 2
                                        ;       Child Loop BB219_43 Depth 3
                                        ;       Child Loop BB219_45 Depth 3
                                        ;         Child Loop BB219_46 Depth 4
                                        ;       Child Loop BB219_50 Depth 3
                                        ;         Child Loop BB219_52 Depth 4
	s_lshl_b64 s[6:7], s[4:5], 2
	s_getpc_b64 s[14:15]
	s_add_u32 s14, s14, __const._ZL38rocblas_trsm_small_left_device_sharedBILi20ELi20ELb0E19rocblas_complex_numIdES1_PKPKS1_PKPS1_Ev13rocblas_fill_18rocblas_operation_17rocblas_diagonal_iiT3_T4_lilT5_lili.step_sizes@rel32@lo+4
	s_addc_u32 s15, s15, __const._ZL38rocblas_trsm_small_left_device_sharedBILi20ELi20ELb0E19rocblas_complex_numIdES1_PKPKS1_PKPS1_Ev13rocblas_fill_18rocblas_operation_17rocblas_diagonal_iiT3_T4_lilT5_lili.step_sizes@rel32@hi+12
	s_add_u32 s6, s14, s6
	s_addc_u32 s7, s15, s7
	s_load_dword s14, s[6:7], 0x0
	s_waitcnt lgkmcnt(0)
	s_add_i32 s15, s14, -1
	s_cmp_lt_i32 s12, s15
	s_cbranch_scc1 .LBB219_38
; %bb.40:                               ;   in Loop: Header=BB219_39 Depth=1
	s_mul_i32 s6, s12, 0x140
	v_add_u32_e32 v7, s6, v6
	s_lshl_b32 s6, s12, 4
	s_add_i32 s18, s11, s6
	s_lshl_b32 s6, s14, 4
	s_max_i32 s16, s14, 1
	s_mul_i32 s17, s14, 0xfffffec0
	s_sub_i32 s19, 0, s6
	s_mul_i32 s20, s12, 0x150
	s_mul_i32 s21, s14, 0xfffffeb0
	s_branch .LBB219_42
.LBB219_41:                             ;   in Loop: Header=BB219_42 Depth=2
	s_sub_i32 s12, s12, s14
	s_add_i32 s18, s18, s19
	s_add_i32 s20, s20, s21
	s_cmp_lt_i32 s12, s15
	v_add_u32_e32 v7, s17, v7
	s_cbranch_scc1 .LBB219_38
.LBB219_42:                             ;   Parent Loop BB219_39 Depth=1
                                        ; =>  This Loop Header: Depth=2
                                        ;       Child Loop BB219_43 Depth 3
                                        ;       Child Loop BB219_45 Depth 3
                                        ;         Child Loop BB219_46 Depth 4
                                        ;       Child Loop BB219_50 Depth 3
                                        ;         Child Loop BB219_52 Depth 4
	s_mov_b32 s6, 0
	v_mov_b32_e32 v2, v7
	s_mov_b32 s7, s16
.LBB219_43:                             ;   Parent Loop BB219_39 Depth=1
                                        ;     Parent Loop BB219_42 Depth=2
                                        ; =>    This Inner Loop Header: Depth=3
	ds_read_b128 v[8:11], v2
	s_add_i32 s7, s7, -1
	v_add_u32_e32 v2, 0xfffffec0, v2
	s_waitcnt lgkmcnt(0)
	scratch_store_dwordx4 off, v[8:11], s6
	s_add_i32 s6, s6, 16
	s_cmp_eq_u32 s7, 0
	s_cbranch_scc0 .LBB219_43
; %bb.44:                               ;   in Loop: Header=BB219_42 Depth=2
	s_cmp_le_i32 s10, s12
	s_mov_b32 s6, s18
	s_mov_b32 s7, s10
	s_cbranch_scc1 .LBB219_48
.LBB219_45:                             ;   Parent Loop BB219_39 Depth=1
                                        ;     Parent Loop BB219_42 Depth=2
                                        ; =>    This Loop Header: Depth=3
                                        ;         Child Loop BB219_46 Depth 4
	s_mul_i32 s22, s7, 0x140
	v_add_u32_e32 v2, s22, v1
	ds_read_b128 v[2:5], v2
	s_mov_b32 s22, 0
	s_mov_b32 s23, s6
	;; [unrolled: 1-line block ×3, first 2 shown]
.LBB219_46:                             ;   Parent Loop BB219_39 Depth=1
                                        ;     Parent Loop BB219_42 Depth=2
                                        ;       Parent Loop BB219_45 Depth=3
                                        ; =>      This Inner Loop Header: Depth=4
	scratch_load_dwordx4 v[8:11], off, s22
	v_mov_b32_e32 v12, s23
	ds_read_b128 v[12:15], v12
	s_add_i32 s25, s25, -1
	s_add_i32 s23, s23, -16
	s_waitcnt lgkmcnt(0)
	v_mul_f64 v[16:17], v[4:5], v[14:15]
	v_mul_f64 v[14:15], v[2:3], v[14:15]
	v_fma_f64 v[16:17], v[2:3], v[12:13], -v[16:17]
	v_fmac_f64_e32 v[14:15], v[4:5], v[12:13]
	s_waitcnt vmcnt(0)
	v_add_f64 v[8:9], v[8:9], -v[16:17]
	v_add_f64 v[10:11], v[10:11], -v[14:15]
	scratch_store_dwordx4 off, v[8:11], s22
	s_add_i32 s22, s22, 16
	s_cmp_eq_u32 s25, 0
	s_cbranch_scc0 .LBB219_46
; %bb.47:                               ;   in Loop: Header=BB219_45 Depth=3
	s_add_i32 s7, s7, -1
	s_addk_i32 s6, 0xfec0
	s_cmp_le_i32 s7, s12
	s_cbranch_scc0 .LBB219_45
.LBB219_48:                             ;   in Loop: Header=BB219_42 Depth=2
	s_mov_b32 s22, 0
	s_mov_b32 s23, s20
	s_branch .LBB219_50
.LBB219_49:                             ;   in Loop: Header=BB219_50 Depth=3
	s_mul_i32 s6, s25, 0x150
	v_mov_b32_e32 v8, s6
	ds_read_b128 v[8:11], v8
	s_lshl_b32 s6, s22, 4
	s_add_i32 s22, s22, 1
	s_add_i32 s23, s23, -16
	s_cmp_eq_u32 s22, s16
	s_waitcnt vmcnt(0) lgkmcnt(0)
	v_mul_f64 v[12:13], v[10:11], v[4:5]
	v_mul_f64 v[14:15], v[8:9], v[4:5]
	v_fma_f64 v[12:13], v[8:9], v[2:3], -v[12:13]
	v_fmac_f64_e32 v[14:15], v[10:11], v[2:3]
	scratch_store_dwordx4 off, v[12:15], s6
	s_mul_i32 s6, s25, 0x140
	v_add_u32_e32 v2, s6, v1
	ds_write_b128 v2, v[12:15]
	s_cbranch_scc1 .LBB219_41
.LBB219_50:                             ;   Parent Loop BB219_39 Depth=1
                                        ;     Parent Loop BB219_42 Depth=2
                                        ; =>    This Loop Header: Depth=3
                                        ;         Child Loop BB219_52 Depth 4
	s_cmp_lg_u32 s22, 0
	s_cbranch_scc0 .LBB219_54
; %bb.51:                               ;   in Loop: Header=BB219_50 Depth=3
	s_lshl_b32 s6, s22, 4
	scratch_load_dwordx4 v[2:5], off, s6
	s_sub_i32 s25, s12, s22
	s_mov_b32 s7, 0
	s_mov_b32 s26, s23
	s_mov_b32 s27, s22
.LBB219_52:                             ;   Parent Loop BB219_39 Depth=1
                                        ;     Parent Loop BB219_42 Depth=2
                                        ;       Parent Loop BB219_50 Depth=3
                                        ; =>      This Inner Loop Header: Depth=4
	scratch_load_dwordx4 v[8:11], off, s7
	v_mov_b32_e32 v12, s26
	ds_read_b128 v[12:15], v12
	s_add_i32 s27, s27, -1
	s_addk_i32 s26, 0xfec0
	s_add_i32 s7, s7, 16
	s_cmp_eq_u32 s27, 0
	s_waitcnt vmcnt(0) lgkmcnt(0)
	v_mul_f64 v[16:17], v[14:15], v[10:11]
	v_mul_f64 v[10:11], v[12:13], v[10:11]
	v_fma_f64 v[12:13], v[12:13], v[8:9], -v[16:17]
	v_fmac_f64_e32 v[10:11], v[14:15], v[8:9]
	v_add_f64 v[2:3], v[2:3], -v[12:13]
	v_add_f64 v[4:5], v[4:5], -v[10:11]
	scratch_store_dwordx4 off, v[2:5], s6
	s_cbranch_scc0 .LBB219_52
; %bb.53:                               ;   in Loop: Header=BB219_50 Depth=3
	s_branch .LBB219_49
.LBB219_54:                             ;   in Loop: Header=BB219_50 Depth=3
                                        ; implicit-def: $vgpr2_vgpr3
                                        ; implicit-def: $sgpr25
	s_cbranch_execz .LBB219_49
; %bb.55:                               ;   in Loop: Header=BB219_50 Depth=3
	scratch_load_dwordx4 v[2:5], off, off
	s_mov_b32 s25, s12
	s_branch .LBB219_49
.LBB219_56:
	s_waitcnt lgkmcnt(0)
	; wave barrier
	s_and_saveexec_b64 s[4:5], s[0:1]
	s_cbranch_execz .LBB219_60
; %bb.57:
	s_andn2_b64 vcc, exec, s[8:9]
	s_cbranch_vccnz .LBB219_60
; %bb.58:
	v_mad_i64_i32 v[2:3], s[0:1], s13, v0, 0
	v_mov_b32_e32 v1, 0x1900
	v_lshl_add_u64 v[2:3], v[2:3], 4, s[2:3]
	v_lshl_add_u32 v0, v0, 4, v1
.LBB219_59:                             ; =>This Inner Loop Header: Depth=1
	ds_read2_b64 v[4:7], v0 offset1:1
	s_add_i32 s24, s24, -1
	v_add_u32_e32 v0, 0x140, v0
	s_cmp_lg_u32 s24, 0
	s_waitcnt lgkmcnt(0)
	flat_store_dwordx4 v[2:3], v[4:7]
	v_lshl_add_u64 v[2:3], v[2:3], 0, 16
	s_cbranch_scc1 .LBB219_59
.LBB219_60:
	s_endpgm
	.section	.rodata,"a",@progbits
	.p2align	6, 0x0
	.amdhsa_kernel _ZL38rocblas_trsm_small_left_device_sharedBILi20ELi20ELb0E19rocblas_complex_numIdES1_PKPKS1_PKPS1_Ev13rocblas_fill_18rocblas_operation_17rocblas_diagonal_iiT3_T4_lilT5_lili
		.amdhsa_group_segment_fixed_size 12800
		.amdhsa_private_segment_fixed_size 336
		.amdhsa_kernarg_size 368
		.amdhsa_user_sgpr_count 2
		.amdhsa_user_sgpr_dispatch_ptr 0
		.amdhsa_user_sgpr_queue_ptr 0
		.amdhsa_user_sgpr_kernarg_segment_ptr 1
		.amdhsa_user_sgpr_dispatch_id 0
		.amdhsa_user_sgpr_kernarg_preload_length 0
		.amdhsa_user_sgpr_kernarg_preload_offset 0
		.amdhsa_user_sgpr_private_segment_size 0
		.amdhsa_uses_dynamic_stack 0
		.amdhsa_enable_private_segment 1
		.amdhsa_system_sgpr_workgroup_id_x 1
		.amdhsa_system_sgpr_workgroup_id_y 0
		.amdhsa_system_sgpr_workgroup_id_z 1
		.amdhsa_system_sgpr_workgroup_info 0
		.amdhsa_system_vgpr_workitem_id 0
		.amdhsa_next_free_vgpr 129
		.amdhsa_next_free_sgpr 96
		.amdhsa_accum_offset 20
		.amdhsa_reserve_vcc 1
		.amdhsa_float_round_mode_32 0
		.amdhsa_float_round_mode_16_64 0
		.amdhsa_float_denorm_mode_32 3
		.amdhsa_float_denorm_mode_16_64 3
		.amdhsa_dx10_clamp 1
		.amdhsa_ieee_mode 1
		.amdhsa_fp16_overflow 0
		.amdhsa_tg_split 0
		.amdhsa_exception_fp_ieee_invalid_op 0
		.amdhsa_exception_fp_denorm_src 0
		.amdhsa_exception_fp_ieee_div_zero 0
		.amdhsa_exception_fp_ieee_overflow 0
		.amdhsa_exception_fp_ieee_underflow 0
		.amdhsa_exception_fp_ieee_inexact 0
		.amdhsa_exception_int_div_zero 0
	.end_amdhsa_kernel
	.section	.text._ZL38rocblas_trsm_small_left_device_sharedBILi20ELi20ELb0E19rocblas_complex_numIdES1_PKPKS1_PKPS1_Ev13rocblas_fill_18rocblas_operation_17rocblas_diagonal_iiT3_T4_lilT5_lili,"axG",@progbits,_ZL38rocblas_trsm_small_left_device_sharedBILi20ELi20ELb0E19rocblas_complex_numIdES1_PKPKS1_PKPS1_Ev13rocblas_fill_18rocblas_operation_17rocblas_diagonal_iiT3_T4_lilT5_lili,comdat
.Lfunc_end219:
	.size	_ZL38rocblas_trsm_small_left_device_sharedBILi20ELi20ELb0E19rocblas_complex_numIdES1_PKPKS1_PKPS1_Ev13rocblas_fill_18rocblas_operation_17rocblas_diagonal_iiT3_T4_lilT5_lili, .Lfunc_end219-_ZL38rocblas_trsm_small_left_device_sharedBILi20ELi20ELb0E19rocblas_complex_numIdES1_PKPKS1_PKPS1_Ev13rocblas_fill_18rocblas_operation_17rocblas_diagonal_iiT3_T4_lilT5_lili
                                        ; -- End function
	.set _ZL38rocblas_trsm_small_left_device_sharedBILi20ELi20ELb0E19rocblas_complex_numIdES1_PKPKS1_PKPS1_Ev13rocblas_fill_18rocblas_operation_17rocblas_diagonal_iiT3_T4_lilT5_lili.num_vgpr, 18
	.set _ZL38rocblas_trsm_small_left_device_sharedBILi20ELi20ELb0E19rocblas_complex_numIdES1_PKPKS1_PKPS1_Ev13rocblas_fill_18rocblas_operation_17rocblas_diagonal_iiT3_T4_lilT5_lili.num_agpr, 0
	.set _ZL38rocblas_trsm_small_left_device_sharedBILi20ELi20ELb0E19rocblas_complex_numIdES1_PKPKS1_PKPS1_Ev13rocblas_fill_18rocblas_operation_17rocblas_diagonal_iiT3_T4_lilT5_lili.numbered_sgpr, 28
	.set _ZL38rocblas_trsm_small_left_device_sharedBILi20ELi20ELb0E19rocblas_complex_numIdES1_PKPKS1_PKPS1_Ev13rocblas_fill_18rocblas_operation_17rocblas_diagonal_iiT3_T4_lilT5_lili.num_named_barrier, 0
	.set _ZL38rocblas_trsm_small_left_device_sharedBILi20ELi20ELb0E19rocblas_complex_numIdES1_PKPKS1_PKPS1_Ev13rocblas_fill_18rocblas_operation_17rocblas_diagonal_iiT3_T4_lilT5_lili.private_seg_size, 336
	.set _ZL38rocblas_trsm_small_left_device_sharedBILi20ELi20ELb0E19rocblas_complex_numIdES1_PKPKS1_PKPS1_Ev13rocblas_fill_18rocblas_operation_17rocblas_diagonal_iiT3_T4_lilT5_lili.uses_vcc, 1
	.set _ZL38rocblas_trsm_small_left_device_sharedBILi20ELi20ELb0E19rocblas_complex_numIdES1_PKPKS1_PKPS1_Ev13rocblas_fill_18rocblas_operation_17rocblas_diagonal_iiT3_T4_lilT5_lili.uses_flat_scratch, 0
	.set _ZL38rocblas_trsm_small_left_device_sharedBILi20ELi20ELb0E19rocblas_complex_numIdES1_PKPKS1_PKPS1_Ev13rocblas_fill_18rocblas_operation_17rocblas_diagonal_iiT3_T4_lilT5_lili.has_dyn_sized_stack, 0
	.set _ZL38rocblas_trsm_small_left_device_sharedBILi20ELi20ELb0E19rocblas_complex_numIdES1_PKPKS1_PKPS1_Ev13rocblas_fill_18rocblas_operation_17rocblas_diagonal_iiT3_T4_lilT5_lili.has_recursion, 0
	.set _ZL38rocblas_trsm_small_left_device_sharedBILi20ELi20ELb0E19rocblas_complex_numIdES1_PKPKS1_PKPS1_Ev13rocblas_fill_18rocblas_operation_17rocblas_diagonal_iiT3_T4_lilT5_lili.has_indirect_call, 0
	.section	.AMDGPU.csdata,"",@progbits
; Kernel info:
; codeLenInByte = 2456
; TotalNumSgprs: 34
; NumVgprs: 18
; NumAgprs: 0
; TotalNumVgprs: 18
; ScratchSize: 336
; MemoryBound: 0
; FloatMode: 240
; IeeeMode: 1
; LDSByteSize: 12800 bytes/workgroup (compile time only)
; SGPRBlocks: 12
; VGPRBlocks: 16
; NumSGPRsForWavesPerEU: 102
; NumVGPRsForWavesPerEU: 129
; AccumOffset: 20
; Occupancy: 3
; WaveLimiterHint : 0
; COMPUTE_PGM_RSRC2:SCRATCH_EN: 1
; COMPUTE_PGM_RSRC2:USER_SGPR: 2
; COMPUTE_PGM_RSRC2:TRAP_HANDLER: 0
; COMPUTE_PGM_RSRC2:TGID_X_EN: 1
; COMPUTE_PGM_RSRC2:TGID_Y_EN: 0
; COMPUTE_PGM_RSRC2:TGID_Z_EN: 1
; COMPUTE_PGM_RSRC2:TIDIG_COMP_CNT: 0
; COMPUTE_PGM_RSRC3_GFX90A:ACCUM_OFFSET: 4
; COMPUTE_PGM_RSRC3_GFX90A:TG_SPLIT: 0
	.section	.text._ZL30rocblas_trsm_small_left_deviceILi20ELi20ELb0E19rocblas_complex_numIdES1_PKPKS1_PKPS1_Ev13rocblas_fill_18rocblas_operation_17rocblas_diagonal_iiT3_T4_lilT5_lili,"axG",@progbits,_ZL30rocblas_trsm_small_left_deviceILi20ELi20ELb0E19rocblas_complex_numIdES1_PKPKS1_PKPS1_Ev13rocblas_fill_18rocblas_operation_17rocblas_diagonal_iiT3_T4_lilT5_lili,comdat
	.globl	_ZL30rocblas_trsm_small_left_deviceILi20ELi20ELb0E19rocblas_complex_numIdES1_PKPKS1_PKPS1_Ev13rocblas_fill_18rocblas_operation_17rocblas_diagonal_iiT3_T4_lilT5_lili ; -- Begin function _ZL30rocblas_trsm_small_left_deviceILi20ELi20ELb0E19rocblas_complex_numIdES1_PKPKS1_PKPS1_Ev13rocblas_fill_18rocblas_operation_17rocblas_diagonal_iiT3_T4_lilT5_lili
	.p2align	8
	.type	_ZL30rocblas_trsm_small_left_deviceILi20ELi20ELb0E19rocblas_complex_numIdES1_PKPKS1_PKPS1_Ev13rocblas_fill_18rocblas_operation_17rocblas_diagonal_iiT3_T4_lilT5_lili,@function
_ZL30rocblas_trsm_small_left_deviceILi20ELi20ELb0E19rocblas_complex_numIdES1_PKPKS1_PKPS1_Ev13rocblas_fill_18rocblas_operation_17rocblas_diagonal_iiT3_T4_lilT5_lili: ; @_ZL30rocblas_trsm_small_left_deviceILi20ELi20ELb0E19rocblas_complex_numIdES1_PKPKS1_PKPS1_Ev13rocblas_fill_18rocblas_operation_17rocblas_diagonal_iiT3_T4_lilT5_lili
; %bb.0:
	s_load_dwordx4 s[12:15], s[0:1], 0x4
	s_load_dwordx4 s[16:19], s[0:1], 0x48
	s_load_dwordx8 s[4:11], s[0:1], 0x18
	s_mov_b32 s20, s3
	s_mov_b32 s21, 0
	s_lshl_b64 s[22:23], s[20:21], 3
	s_waitcnt lgkmcnt(0)
	s_add_u32 s16, s16, s22
	s_addc_u32 s17, s17, s23
	s_load_dword s3, s[0:1], 0x70
	s_min_i32 s24, s14, 20
	s_load_dwordx2 s[16:17], s[16:17], 0x0
	v_cmp_gt_i32_e32 vcc, s24, v0
	s_and_saveexec_b64 s[20:21], vcc
	s_cbranch_execz .LBB220_11
; %bb.1:
	s_load_dword s26, s[0:1], 0x38
	v_lshlrev_b32_e32 v2, 4, v0
	v_mov_b32_e32 v3, 0
	v_mov_b32_e32 v1, v2
	s_waitcnt lgkmcnt(0)
	s_ashr_i32 s27, s26, 31
	s_cmpk_eq_i32 s12, 0x71
	s_cselect_b64 vcc, -1, 0
	s_add_u32 s8, s8, s22
	s_addc_u32 s9, s9, s23
	s_load_dwordx2 s[8:9], s[8:9], 0x0
	s_lshl_b64 s[10:11], s[10:11], 4
	s_waitcnt lgkmcnt(0)
	s_add_u32 s10, s8, s10
	s_addc_u32 s11, s9, s11
	s_lshl_b64 s[8:9], s[26:27], 4
	v_lshl_add_u64 v[4:5], s[10:11], 0, v[2:3]
	s_mov_b32 s10, s24
.LBB220_2:                              ; =>This Inner Loop Header: Depth=1
	flat_load_dwordx4 v[6:9], v[4:5]
	s_add_i32 s10, s10, -1
	v_lshl_add_u64 v[4:5], v[4:5], 0, s[8:9]
	s_cmp_eq_u32 s10, 0
	s_waitcnt vmcnt(0) lgkmcnt(0)
	v_xor_b32_e32 v3, 0x80000000, v9
	v_cndmask_b32_e32 v9, v9, v3, vcc
	ds_write_b128 v1, v[6:9]
	v_add_u32_e32 v1, 0x140, v1
	s_cbranch_scc0 .LBB220_2
; %bb.3:
	v_mul_u32_u24_e32 v1, 0x140, v0
	s_cmpk_lg_i32 s13, 0x84
	v_add_u32_e32 v1, v2, v1
	s_cbranch_scc0 .LBB220_9
; %bb.4:
	ds_read_b128 v[2:5], v1
                                        ; implicit-def: $vgpr8_vgpr9
	s_waitcnt lgkmcnt(0)
	v_cmp_ngt_f64_e64 s[8:9], |v[2:3]|, |v[4:5]|
	s_and_saveexec_b64 s[10:11], s[8:9]
	s_xor_b64 s[8:9], exec, s[10:11]
	s_cbranch_execz .LBB220_6
; %bb.5:
	v_div_scale_f64 v[6:7], s[10:11], v[4:5], v[4:5], v[2:3]
	v_rcp_f64_e32 v[8:9], v[6:7]
	v_div_scale_f64 v[10:11], vcc, v[2:3], v[4:5], v[2:3]
	v_fma_f64 v[12:13], -v[6:7], v[8:9], 1.0
	v_fmac_f64_e32 v[8:9], v[8:9], v[12:13]
	v_fma_f64 v[12:13], -v[6:7], v[8:9], 1.0
	v_fmac_f64_e32 v[8:9], v[8:9], v[12:13]
	v_mul_f64 v[12:13], v[10:11], v[8:9]
	v_fma_f64 v[6:7], -v[6:7], v[12:13], v[10:11]
	v_div_fmas_f64 v[6:7], v[6:7], v[8:9], v[12:13]
	v_div_fixup_f64 v[8:9], v[6:7], v[4:5], v[2:3]
	v_fmac_f64_e32 v[4:5], v[2:3], v[8:9]
	v_div_scale_f64 v[2:3], s[10:11], v[4:5], v[4:5], 1.0
	v_rcp_f64_e32 v[6:7], v[2:3]
	s_nop 0
	v_fma_f64 v[10:11], -v[2:3], v[6:7], 1.0
	v_fmac_f64_e32 v[6:7], v[6:7], v[10:11]
	v_fma_f64 v[10:11], -v[2:3], v[6:7], 1.0
	v_fmac_f64_e32 v[6:7], v[6:7], v[10:11]
	v_div_scale_f64 v[10:11], vcc, 1.0, v[4:5], 1.0
	v_mul_f64 v[12:13], v[10:11], v[6:7]
	v_fma_f64 v[2:3], -v[2:3], v[12:13], v[10:11]
	s_nop 1
	v_div_fmas_f64 v[2:3], v[2:3], v[6:7], v[12:13]
	v_div_fixup_f64 v[2:3], v[2:3], v[4:5], 1.0
	v_add_f64 v[4:5], v[8:9], 0
	v_mul_f64 v[6:7], v[4:5], v[2:3]
	v_fma_f64 v[4:5], v[8:9], 0, -1.0
	v_mul_f64 v[8:9], v[4:5], v[2:3]
                                        ; implicit-def: $vgpr2_vgpr3
.LBB220_6:
	s_andn2_saveexec_b64 s[8:9], s[8:9]
	s_cbranch_execz .LBB220_8
; %bb.7:
	v_div_scale_f64 v[6:7], s[10:11], v[2:3], v[2:3], v[4:5]
	v_rcp_f64_e32 v[8:9], v[6:7]
	v_div_scale_f64 v[10:11], vcc, v[4:5], v[2:3], v[4:5]
	v_fma_f64 v[12:13], -v[6:7], v[8:9], 1.0
	v_fmac_f64_e32 v[8:9], v[8:9], v[12:13]
	v_fma_f64 v[12:13], -v[6:7], v[8:9], 1.0
	v_fmac_f64_e32 v[8:9], v[8:9], v[12:13]
	v_mul_f64 v[12:13], v[10:11], v[8:9]
	v_fma_f64 v[6:7], -v[6:7], v[12:13], v[10:11]
	v_div_fmas_f64 v[6:7], v[6:7], v[8:9], v[12:13]
	v_div_fixup_f64 v[8:9], v[6:7], v[2:3], v[4:5]
	v_fmac_f64_e32 v[2:3], v[4:5], v[8:9]
	v_div_scale_f64 v[4:5], s[10:11], v[2:3], v[2:3], 1.0
	v_rcp_f64_e32 v[6:7], v[4:5]
	s_nop 0
	v_fma_f64 v[10:11], -v[4:5], v[6:7], 1.0
	v_fmac_f64_e32 v[6:7], v[6:7], v[10:11]
	v_fma_f64 v[10:11], -v[4:5], v[6:7], 1.0
	v_fmac_f64_e32 v[6:7], v[6:7], v[10:11]
	v_div_scale_f64 v[10:11], vcc, 1.0, v[2:3], 1.0
	v_mul_f64 v[12:13], v[10:11], v[6:7]
	v_fma_f64 v[4:5], -v[4:5], v[12:13], v[10:11]
	s_nop 1
	v_div_fmas_f64 v[4:5], v[4:5], v[6:7], v[12:13]
	v_div_fixup_f64 v[2:3], v[4:5], v[2:3], 1.0
	v_fma_f64 v[4:5], v[8:9], 0, 1.0
	v_mul_f64 v[6:7], v[4:5], v[2:3]
	v_add_f64 v[4:5], -v[8:9], 0
	v_mul_f64 v[8:9], v[4:5], v[2:3]
.LBB220_8:
	s_or_b64 exec, exec, s[8:9]
	s_branch .LBB220_10
.LBB220_9:
	v_mov_b64_e32 v[8:9], 0
	v_mov_b64_e32 v[6:7], 1.0
.LBB220_10:
	ds_write_b128 v1, v[6:9]
.LBB220_11:
	s_or_b64 exec, exec, s[20:21]
	s_mul_i32 s8, s2, 0xffffffec
	s_waitcnt lgkmcnt(0)
	s_add_i32 s3, s3, -1
	s_add_i32 s8, s15, s8
	s_cmp_ge_u32 s2, s3
	s_cselect_b32 s3, s8, 20
	v_cmp_gt_i32_e32 vcc, s3, v0
	; wave barrier
	s_and_saveexec_b64 s[8:9], vcc
	s_cbranch_execz .LBB220_54
; %bb.12:
	s_load_dword s10, s[0:1], 0x58
	s_lshl_b64 s[0:1], s[18:19], 4
	s_add_u32 s8, s16, s0
	v_mad_u64_u32 v[0:1], s[2:3], s2, 20, v[0:1]
	s_addc_u32 s9, s17, s1
	s_waitcnt lgkmcnt(0)
	v_mad_i64_i32 v[6:7], s[2:3], s10, v0, 0
	v_lshl_add_u64 v[4:5], v[6:7], 4, s[8:9]
	s_cmpk_eq_i32 s12, 0x6f
	s_mov_b64 s[2:3], -1
	s_cbranch_scc1 .LBB220_34
; %bb.13:
	s_add_u32 s2, s16, s0
	s_addc_u32 s3, s17, s1
	v_lshl_add_u64 v[8:9], v[6:7], 4, s[2:3]
	s_mov_b32 s3, 0
	s_mov_b32 s8, s3
	;; [unrolled: 1-line block ×3, first 2 shown]
	s_branch .LBB220_15
.LBB220_14:                             ;   in Loop: Header=BB220_15 Depth=1
	s_cmp_ge_i32 s10, s24
	s_cselect_b64 s[12:13], -1, 0
	s_add_i32 s8, s8, 1
	s_cmp_eq_u32 s8, 3
	s_cselect_b64 s[14:15], -1, 0
	s_or_b64 s[12:13], s[12:13], s[14:15]
	s_andn2_b64 vcc, exec, s[12:13]
	s_cbranch_vccz .LBB220_33
.LBB220_15:                             ; =>This Loop Header: Depth=1
                                        ;     Child Loop BB220_18 Depth 2
                                        ;       Child Loop BB220_19 Depth 3
                                        ;       Child Loop BB220_22 Depth 3
                                        ;         Child Loop BB220_23 Depth 4
                                        ;       Child Loop BB220_27 Depth 3
                                        ;         Child Loop BB220_29 Depth 4
	s_mov_b32 s9, s3
	s_lshl_b64 s[12:13], s[8:9], 2
	s_getpc_b64 s[14:15]
	s_add_u32 s14, s14, __const._ZL30rocblas_trsm_small_left_deviceILi20ELi20ELb0E19rocblas_complex_numIdES1_PKPKS1_PKPS1_Ev13rocblas_fill_18rocblas_operation_17rocblas_diagonal_iiT3_T4_lilT5_lili.step_sizes@rel32@lo+4
	s_addc_u32 s15, s15, __const._ZL30rocblas_trsm_small_left_deviceILi20ELi20ELb0E19rocblas_complex_numIdES1_PKPKS1_PKPS1_Ev13rocblas_fill_18rocblas_operation_17rocblas_diagonal_iiT3_T4_lilT5_lili.step_sizes@rel32@hi+12
	s_add_u32 s12, s14, s12
	s_addc_u32 s13, s15, s13
	s_load_dword s12, s[12:13], 0x0
	s_waitcnt lgkmcnt(0)
	s_add_i32 s9, s12, -1
	s_add_i32 s2, s9, s10
	s_cmp_ge_i32 s2, s24
	s_cbranch_scc1 .LBB220_14
; %bb.16:                               ;   in Loop: Header=BB220_15 Depth=1
	s_ashr_i32 s11, s10, 31
	s_ashr_i32 s13, s12, 31
	s_max_i32 s22, s12, 1
	v_lshl_add_u64 v[10:11], s[10:11], 4, v[8:9]
	s_lshl_b64 s[14:15], s[12:13], 4
	s_mul_i32 s11, s10, 0x140
	s_mul_i32 s13, s12, 0x140
	;; [unrolled: 1-line block ×4, first 2 shown]
	s_branch .LBB220_18
.LBB220_17:                             ;   in Loop: Header=BB220_18 Depth=2
	s_add_i32 s10, s10, s12
	s_add_i32 s2, s9, s10
	;; [unrolled: 1-line block ×4, first 2 shown]
	s_cmp_ge_i32 s2, s24
	v_lshl_add_u64 v[10:11], v[10:11], 0, s[14:15]
	s_cbranch_scc1 .LBB220_14
.LBB220_18:                             ;   Parent Loop BB220_15 Depth=1
                                        ; =>  This Loop Header: Depth=2
                                        ;       Child Loop BB220_19 Depth 3
                                        ;       Child Loop BB220_22 Depth 3
                                        ;         Child Loop BB220_23 Depth 4
                                        ;       Child Loop BB220_27 Depth 3
                                        ;         Child Loop BB220_29 Depth 4
	s_mov_b32 s2, 0
	v_mov_b64_e32 v[0:1], v[10:11]
	s_mov_b32 s18, s22
.LBB220_19:                             ;   Parent Loop BB220_15 Depth=1
                                        ;     Parent Loop BB220_18 Depth=2
                                        ; =>    This Inner Loop Header: Depth=3
	flat_load_dwordx4 v[12:15], v[0:1]
	s_add_i32 s18, s18, -1
	v_lshl_add_u64 v[0:1], v[0:1], 0, 16
	s_waitcnt vmcnt(0) lgkmcnt(0)
	v_mul_f64 v[2:3], s[6:7], v[14:15]
	v_mul_f64 v[16:17], s[4:5], v[14:15]
	v_fma_f64 v[14:15], s[4:5], v[12:13], -v[2:3]
	v_fmac_f64_e32 v[16:17], s[6:7], v[12:13]
	scratch_store_dwordx4 off, v[14:17], s2
	s_add_i32 s2, s2, 16
	s_cmp_eq_u32 s18, 0
	s_cbranch_scc0 .LBB220_19
; %bb.20:                               ;   in Loop: Header=BB220_18 Depth=2
	s_cmp_lt_i32 s10, 1
	s_cbranch_scc1 .LBB220_25
; %bb.21:                               ;   in Loop: Header=BB220_18 Depth=2
	s_mov_b32 s2, 0
	s_mov_b32 s18, s11
.LBB220_22:                             ;   Parent Loop BB220_15 Depth=1
                                        ;     Parent Loop BB220_18 Depth=2
                                        ; =>    This Loop Header: Depth=3
                                        ;         Child Loop BB220_23 Depth 4
	v_lshl_add_u64 v[0:1], s[2:3], 4, v[4:5]
	flat_load_dwordx4 v[0:3], v[0:1]
	s_mov_b32 s19, 0
	s_mov_b32 s20, s18
	;; [unrolled: 1-line block ×3, first 2 shown]
.LBB220_23:                             ;   Parent Loop BB220_15 Depth=1
                                        ;     Parent Loop BB220_18 Depth=2
                                        ;       Parent Loop BB220_22 Depth=3
                                        ; =>      This Inner Loop Header: Depth=4
	scratch_load_dwordx4 v[12:15], off, s19
	v_mov_b32_e32 v16, s20
	ds_read_b128 v[16:19], v16
	s_add_i32 s21, s21, -1
	s_addk_i32 s20, 0x140
	s_waitcnt vmcnt(0) lgkmcnt(0)
	v_mul_f64 v[20:21], v[2:3], v[18:19]
	v_mul_f64 v[18:19], v[0:1], v[18:19]
	v_fma_f64 v[20:21], v[0:1], v[16:17], -v[20:21]
	v_fmac_f64_e32 v[18:19], v[2:3], v[16:17]
	v_add_f64 v[12:13], v[12:13], -v[20:21]
	v_add_f64 v[14:15], v[14:15], -v[18:19]
	scratch_store_dwordx4 off, v[12:15], s19
	s_add_i32 s19, s19, 16
	s_cmp_eq_u32 s21, 0
	s_cbranch_scc0 .LBB220_23
; %bb.24:                               ;   in Loop: Header=BB220_22 Depth=3
	s_add_i32 s2, s2, 1
	s_add_i32 s18, s18, 16
	s_cmp_eq_u32 s2, s10
	s_cbranch_scc0 .LBB220_22
.LBB220_25:                             ;   in Loop: Header=BB220_18 Depth=2
	s_mov_b32 s2, 0
	s_mov_b32 s26, s23
	s_branch .LBB220_27
.LBB220_26:                             ;   in Loop: Header=BB220_27 Depth=3
	s_mul_i32 s19, s18, 0x150
	v_mov_b32_e32 v12, s19
	ds_read_b128 v[12:15], v12
	s_lshl_b32 s19, s2, 4
	s_add_i32 s2, s2, 1
	s_addk_i32 s26, 0x140
	s_waitcnt vmcnt(0) lgkmcnt(0)
	v_mul_f64 v[16:17], v[14:15], v[2:3]
	v_mul_f64 v[18:19], v[12:13], v[2:3]
	v_fma_f64 v[16:17], v[12:13], v[0:1], -v[16:17]
	v_fmac_f64_e32 v[18:19], v[14:15], v[0:1]
	scratch_store_dwordx4 off, v[16:19], s19
	s_ashr_i32 s19, s18, 31
	v_lshl_add_u64 v[0:1], s[18:19], 4, v[4:5]
	s_cmp_eq_u32 s2, s22
	flat_store_dwordx4 v[0:1], v[16:19]
	s_cbranch_scc1 .LBB220_17
.LBB220_27:                             ;   Parent Loop BB220_15 Depth=1
                                        ;     Parent Loop BB220_18 Depth=2
                                        ; =>    This Loop Header: Depth=3
                                        ;         Child Loop BB220_29 Depth 4
	s_cmp_lg_u32 s2, 0
	s_cbranch_scc0 .LBB220_31
; %bb.28:                               ;   in Loop: Header=BB220_27 Depth=3
	s_lshl_b32 s19, s2, 4
	scratch_load_dwordx4 v[0:3], off, s19
	s_add_i32 s18, s2, s10
	s_mov_b32 s20, 0
	s_mov_b32 s21, s26
	;; [unrolled: 1-line block ×3, first 2 shown]
.LBB220_29:                             ;   Parent Loop BB220_15 Depth=1
                                        ;     Parent Loop BB220_18 Depth=2
                                        ;       Parent Loop BB220_27 Depth=3
                                        ; =>      This Inner Loop Header: Depth=4
	scratch_load_dwordx4 v[12:15], off, s20
	v_mov_b32_e32 v16, s21
	ds_read_b128 v[16:19], v16
	s_add_i32 s27, s27, -1
	s_add_i32 s20, s20, 16
	s_add_i32 s21, s21, 16
	s_cmp_eq_u32 s27, 0
	s_waitcnt vmcnt(0) lgkmcnt(0)
	v_mul_f64 v[20:21], v[18:19], v[14:15]
	v_mul_f64 v[14:15], v[16:17], v[14:15]
	v_fma_f64 v[16:17], v[16:17], v[12:13], -v[20:21]
	v_fmac_f64_e32 v[14:15], v[18:19], v[12:13]
	v_add_f64 v[0:1], v[0:1], -v[16:17]
	v_add_f64 v[2:3], v[2:3], -v[14:15]
	scratch_store_dwordx4 off, v[0:3], s19
	s_cbranch_scc0 .LBB220_29
; %bb.30:                               ;   in Loop: Header=BB220_27 Depth=3
	s_branch .LBB220_26
.LBB220_31:                             ;   in Loop: Header=BB220_27 Depth=3
                                        ; implicit-def: $vgpr0_vgpr1
                                        ; implicit-def: $sgpr18
	s_cbranch_execz .LBB220_26
; %bb.32:                               ;   in Loop: Header=BB220_27 Depth=3
	scratch_load_dwordx4 v[0:3], off, off
	s_mov_b32 s18, s10
	s_branch .LBB220_26
.LBB220_33:
	s_mov_b64 s[2:3], 0
.LBB220_34:
	s_and_b64 vcc, exec, s[2:3]
	s_cbranch_vccz .LBB220_54
; %bb.35:
	s_add_i32 s14, s24, -1
	s_add_u32 s0, s16, s0
	s_addc_u32 s1, s17, s1
	v_lshl_add_u64 v[6:7], v[6:7], 4, s[0:1]
	s_mul_i32 s15, s24, 0x140
	s_mov_b32 s1, 0
	s_addk_i32 s15, 0xfec0
	s_mov_b32 s2, s14
	s_mov_b32 s0, s1
	s_branch .LBB220_37
.LBB220_36:                             ;   in Loop: Header=BB220_37 Depth=1
	s_cmp_lt_i32 s2, 0
	s_cselect_b64 s[8:9], -1, 0
	s_add_i32 s0, s0, 1
	s_cmp_eq_u32 s0, 3
	s_cselect_b64 s[10:11], -1, 0
	s_or_b64 s[8:9], s[8:9], s[10:11]
	s_and_b64 vcc, exec, s[8:9]
	s_cbranch_vccnz .LBB220_54
.LBB220_37:                             ; =>This Loop Header: Depth=1
                                        ;     Child Loop BB220_40 Depth 2
                                        ;       Child Loop BB220_41 Depth 3
                                        ;       Child Loop BB220_43 Depth 3
                                        ;         Child Loop BB220_44 Depth 4
                                        ;       Child Loop BB220_48 Depth 3
                                        ;         Child Loop BB220_50 Depth 4
	s_lshl_b64 s[8:9], s[0:1], 2
	s_getpc_b64 s[10:11]
	s_add_u32 s10, s10, __const._ZL30rocblas_trsm_small_left_deviceILi20ELi20ELb0E19rocblas_complex_numIdES1_PKPKS1_PKPS1_Ev13rocblas_fill_18rocblas_operation_17rocblas_diagonal_iiT3_T4_lilT5_lili.step_sizes@rel32@lo+4
	s_addc_u32 s11, s11, __const._ZL30rocblas_trsm_small_left_deviceILi20ELi20ELb0E19rocblas_complex_numIdES1_PKPKS1_PKPS1_Ev13rocblas_fill_18rocblas_operation_17rocblas_diagonal_iiT3_T4_lilT5_lili.step_sizes@rel32@hi+12
	s_add_u32 s8, s10, s8
	s_addc_u32 s9, s11, s9
	s_load_dword s16, s[8:9], 0x0
	s_waitcnt lgkmcnt(0)
	s_add_i32 s17, s16, -1
	s_cmp_lt_i32 s2, s17
	s_cbranch_scc1 .LBB220_36
; %bb.38:                               ;   in Loop: Header=BB220_37 Depth=1
	s_lshl_b32 s3, s2, 4
	s_add_i32 s19, s15, s3
	s_lshl_b32 s3, s16, 4
	s_max_i32 s18, s16, 1
	s_sub_i32 s20, 0, s3
	s_mul_i32 s21, s2, 0x150
	s_mul_i32 s22, s16, 0xfffffeb0
	s_branch .LBB220_40
.LBB220_39:                             ;   in Loop: Header=BB220_40 Depth=2
	s_sub_i32 s2, s2, s16
	s_add_i32 s19, s19, s20
	s_add_i32 s21, s21, s22
	s_cmp_lt_i32 s2, s17
	s_cbranch_scc1 .LBB220_36
.LBB220_40:                             ;   Parent Loop BB220_37 Depth=1
                                        ; =>  This Loop Header: Depth=2
                                        ;       Child Loop BB220_41 Depth 3
                                        ;       Child Loop BB220_43 Depth 3
                                        ;         Child Loop BB220_44 Depth 4
                                        ;       Child Loop BB220_48 Depth 3
                                        ;         Child Loop BB220_50 Depth 4
	s_ashr_i32 s3, s2, 31
	v_lshl_add_u64 v[0:1], s[2:3], 4, v[6:7]
	s_mov_b32 s8, 0
	s_mov_b32 s9, s18
.LBB220_41:                             ;   Parent Loop BB220_37 Depth=1
                                        ;     Parent Loop BB220_40 Depth=2
                                        ; =>    This Inner Loop Header: Depth=3
	flat_load_dwordx4 v[8:11], v[0:1]
	s_add_i32 s9, s9, -1
	v_lshl_add_u64 v[0:1], v[0:1], 0, -16
	s_waitcnt vmcnt(0) lgkmcnt(0)
	v_mul_f64 v[2:3], s[6:7], v[10:11]
	v_mul_f64 v[12:13], s[4:5], v[10:11]
	v_fma_f64 v[10:11], s[4:5], v[8:9], -v[2:3]
	v_fmac_f64_e32 v[12:13], s[6:7], v[8:9]
	scratch_store_dwordx4 off, v[10:13], s8
	s_add_i32 s8, s8, 16
	s_cmp_eq_u32 s9, 0
	s_cbranch_scc0 .LBB220_41
; %bb.42:                               ;   in Loop: Header=BB220_40 Depth=2
	s_cmp_le_i32 s14, s2
	s_mov_b32 s10, s19
	s_mov_b32 s8, s14
	s_cbranch_scc1 .LBB220_46
.LBB220_43:                             ;   Parent Loop BB220_37 Depth=1
                                        ;     Parent Loop BB220_40 Depth=2
                                        ; =>    This Loop Header: Depth=3
                                        ;         Child Loop BB220_44 Depth 4
	s_ashr_i32 s9, s8, 31
	v_lshl_add_u64 v[0:1], s[8:9], 4, v[4:5]
	flat_load_dwordx4 v[0:3], v[0:1]
	s_mov_b32 s9, 0
	s_mov_b32 s11, s10
	;; [unrolled: 1-line block ×3, first 2 shown]
.LBB220_44:                             ;   Parent Loop BB220_37 Depth=1
                                        ;     Parent Loop BB220_40 Depth=2
                                        ;       Parent Loop BB220_43 Depth=3
                                        ; =>      This Inner Loop Header: Depth=4
	scratch_load_dwordx4 v[8:11], off, s9
	v_mov_b32_e32 v12, s11
	ds_read_b128 v[12:15], v12
	s_add_i32 s12, s12, -1
	s_add_i32 s11, s11, -16
	s_waitcnt vmcnt(0) lgkmcnt(0)
	v_mul_f64 v[16:17], v[2:3], v[14:15]
	v_mul_f64 v[14:15], v[0:1], v[14:15]
	v_fma_f64 v[16:17], v[0:1], v[12:13], -v[16:17]
	v_fmac_f64_e32 v[14:15], v[2:3], v[12:13]
	v_add_f64 v[8:9], v[8:9], -v[16:17]
	v_add_f64 v[10:11], v[10:11], -v[14:15]
	scratch_store_dwordx4 off, v[8:11], s9
	s_add_i32 s9, s9, 16
	s_cmp_eq_u32 s12, 0
	s_cbranch_scc0 .LBB220_44
; %bb.45:                               ;   in Loop: Header=BB220_43 Depth=3
	s_add_i32 s8, s8, -1
	s_addk_i32 s10, 0xfec0
	s_cmp_le_i32 s8, s2
	s_cbranch_scc0 .LBB220_43
.LBB220_46:                             ;   in Loop: Header=BB220_40 Depth=2
	s_mov_b32 s23, 0
	s_mov_b32 s24, s21
	s_branch .LBB220_48
.LBB220_47:                             ;   in Loop: Header=BB220_48 Depth=3
	s_mulk_i32 s10, 0x150
	v_mov_b32_e32 v8, s10
	ds_read_b128 v[8:11], v8
	s_lshl_b32 s10, s23, 4
	s_add_i32 s23, s23, 1
	s_add_i32 s24, s24, -16
	s_cmp_eq_u32 s23, s18
	s_waitcnt vmcnt(0) lgkmcnt(0)
	v_mul_f64 v[12:13], v[10:11], v[2:3]
	v_mul_f64 v[14:15], v[8:9], v[2:3]
	v_fma_f64 v[12:13], v[8:9], v[0:1], -v[12:13]
	v_fmac_f64_e32 v[14:15], v[10:11], v[0:1]
	v_lshl_add_u64 v[0:1], s[8:9], 4, v[4:5]
	scratch_store_dwordx4 off, v[12:15], s10
	flat_store_dwordx4 v[0:1], v[12:15]
	s_cbranch_scc1 .LBB220_39
.LBB220_48:                             ;   Parent Loop BB220_37 Depth=1
                                        ;     Parent Loop BB220_40 Depth=2
                                        ; =>    This Loop Header: Depth=3
                                        ;         Child Loop BB220_50 Depth 4
	s_cmp_lg_u32 s23, 0
	s_cbranch_scc0 .LBB220_52
; %bb.49:                               ;   in Loop: Header=BB220_48 Depth=3
	s_lshl_b32 s8, s23, 4
	scratch_load_dwordx4 v[0:3], off, s8
	s_mov_b32 s9, 0
	s_mov_b32 s10, s24
	;; [unrolled: 1-line block ×3, first 2 shown]
.LBB220_50:                             ;   Parent Loop BB220_37 Depth=1
                                        ;     Parent Loop BB220_40 Depth=2
                                        ;       Parent Loop BB220_48 Depth=3
                                        ; =>      This Inner Loop Header: Depth=4
	scratch_load_dwordx4 v[8:11], off, s9
	v_mov_b32_e32 v12, s10
	ds_read_b128 v[12:15], v12
	s_add_i32 s11, s11, -1
	s_addk_i32 s10, 0xfec0
	s_add_i32 s9, s9, 16
	s_cmp_eq_u32 s11, 0
	s_waitcnt vmcnt(0) lgkmcnt(0)
	v_mul_f64 v[16:17], v[14:15], v[10:11]
	v_mul_f64 v[10:11], v[12:13], v[10:11]
	v_fma_f64 v[12:13], v[12:13], v[8:9], -v[16:17]
	v_fmac_f64_e32 v[10:11], v[14:15], v[8:9]
	v_add_f64 v[0:1], v[0:1], -v[12:13]
	v_add_f64 v[2:3], v[2:3], -v[10:11]
	scratch_store_dwordx4 off, v[0:3], s8
	s_cbranch_scc0 .LBB220_50
; %bb.51:                               ;   in Loop: Header=BB220_48 Depth=3
	s_sub_i32 s10, s2, s23
	s_ashr_i32 s11, s10, 31
	s_mov_b64 s[8:9], s[10:11]
	s_branch .LBB220_47
.LBB220_52:                             ;   in Loop: Header=BB220_48 Depth=3
                                        ; implicit-def: $vgpr0_vgpr1
                                        ; implicit-def: $sgpr10
                                        ; implicit-def: $sgpr8_sgpr9
	s_cbranch_execz .LBB220_47
; %bb.53:                               ;   in Loop: Header=BB220_48 Depth=3
	scratch_load_dwordx4 v[0:3], off, off
	s_mov_b64 s[8:9], s[2:3]
	s_mov_b32 s10, s2
	s_branch .LBB220_47
.LBB220_54:
	s_endpgm
	.section	.rodata,"a",@progbits
	.p2align	6, 0x0
	.amdhsa_kernel _ZL30rocblas_trsm_small_left_deviceILi20ELi20ELb0E19rocblas_complex_numIdES1_PKPKS1_PKPS1_Ev13rocblas_fill_18rocblas_operation_17rocblas_diagonal_iiT3_T4_lilT5_lili
		.amdhsa_group_segment_fixed_size 6400
		.amdhsa_private_segment_fixed_size 336
		.amdhsa_kernarg_size 368
		.amdhsa_user_sgpr_count 2
		.amdhsa_user_sgpr_dispatch_ptr 0
		.amdhsa_user_sgpr_queue_ptr 0
		.amdhsa_user_sgpr_kernarg_segment_ptr 1
		.amdhsa_user_sgpr_dispatch_id 0
		.amdhsa_user_sgpr_kernarg_preload_length 0
		.amdhsa_user_sgpr_kernarg_preload_offset 0
		.amdhsa_user_sgpr_private_segment_size 0
		.amdhsa_uses_dynamic_stack 0
		.amdhsa_enable_private_segment 1
		.amdhsa_system_sgpr_workgroup_id_x 1
		.amdhsa_system_sgpr_workgroup_id_y 0
		.amdhsa_system_sgpr_workgroup_id_z 1
		.amdhsa_system_sgpr_workgroup_info 0
		.amdhsa_system_vgpr_workitem_id 0
		.amdhsa_next_free_vgpr 65
		.amdhsa_next_free_sgpr 75
		.amdhsa_accum_offset 24
		.amdhsa_reserve_vcc 1
		.amdhsa_float_round_mode_32 0
		.amdhsa_float_round_mode_16_64 0
		.amdhsa_float_denorm_mode_32 3
		.amdhsa_float_denorm_mode_16_64 3
		.amdhsa_dx10_clamp 1
		.amdhsa_ieee_mode 1
		.amdhsa_fp16_overflow 0
		.amdhsa_tg_split 0
		.amdhsa_exception_fp_ieee_invalid_op 0
		.amdhsa_exception_fp_denorm_src 0
		.amdhsa_exception_fp_ieee_div_zero 0
		.amdhsa_exception_fp_ieee_overflow 0
		.amdhsa_exception_fp_ieee_underflow 0
		.amdhsa_exception_fp_ieee_inexact 0
		.amdhsa_exception_int_div_zero 0
	.end_amdhsa_kernel
	.section	.text._ZL30rocblas_trsm_small_left_deviceILi20ELi20ELb0E19rocblas_complex_numIdES1_PKPKS1_PKPS1_Ev13rocblas_fill_18rocblas_operation_17rocblas_diagonal_iiT3_T4_lilT5_lili,"axG",@progbits,_ZL30rocblas_trsm_small_left_deviceILi20ELi20ELb0E19rocblas_complex_numIdES1_PKPKS1_PKPS1_Ev13rocblas_fill_18rocblas_operation_17rocblas_diagonal_iiT3_T4_lilT5_lili,comdat
.Lfunc_end220:
	.size	_ZL30rocblas_trsm_small_left_deviceILi20ELi20ELb0E19rocblas_complex_numIdES1_PKPKS1_PKPS1_Ev13rocblas_fill_18rocblas_operation_17rocblas_diagonal_iiT3_T4_lilT5_lili, .Lfunc_end220-_ZL30rocblas_trsm_small_left_deviceILi20ELi20ELb0E19rocblas_complex_numIdES1_PKPKS1_PKPS1_Ev13rocblas_fill_18rocblas_operation_17rocblas_diagonal_iiT3_T4_lilT5_lili
                                        ; -- End function
	.set _ZL30rocblas_trsm_small_left_deviceILi20ELi20ELb0E19rocblas_complex_numIdES1_PKPKS1_PKPS1_Ev13rocblas_fill_18rocblas_operation_17rocblas_diagonal_iiT3_T4_lilT5_lili.num_vgpr, 22
	.set _ZL30rocblas_trsm_small_left_deviceILi20ELi20ELb0E19rocblas_complex_numIdES1_PKPKS1_PKPS1_Ev13rocblas_fill_18rocblas_operation_17rocblas_diagonal_iiT3_T4_lilT5_lili.num_agpr, 0
	.set _ZL30rocblas_trsm_small_left_deviceILi20ELi20ELb0E19rocblas_complex_numIdES1_PKPKS1_PKPS1_Ev13rocblas_fill_18rocblas_operation_17rocblas_diagonal_iiT3_T4_lilT5_lili.numbered_sgpr, 28
	.set _ZL30rocblas_trsm_small_left_deviceILi20ELi20ELb0E19rocblas_complex_numIdES1_PKPKS1_PKPS1_Ev13rocblas_fill_18rocblas_operation_17rocblas_diagonal_iiT3_T4_lilT5_lili.num_named_barrier, 0
	.set _ZL30rocblas_trsm_small_left_deviceILi20ELi20ELb0E19rocblas_complex_numIdES1_PKPKS1_PKPS1_Ev13rocblas_fill_18rocblas_operation_17rocblas_diagonal_iiT3_T4_lilT5_lili.private_seg_size, 336
	.set _ZL30rocblas_trsm_small_left_deviceILi20ELi20ELb0E19rocblas_complex_numIdES1_PKPKS1_PKPS1_Ev13rocblas_fill_18rocblas_operation_17rocblas_diagonal_iiT3_T4_lilT5_lili.uses_vcc, 1
	.set _ZL30rocblas_trsm_small_left_deviceILi20ELi20ELb0E19rocblas_complex_numIdES1_PKPKS1_PKPS1_Ev13rocblas_fill_18rocblas_operation_17rocblas_diagonal_iiT3_T4_lilT5_lili.uses_flat_scratch, 0
	.set _ZL30rocblas_trsm_small_left_deviceILi20ELi20ELb0E19rocblas_complex_numIdES1_PKPKS1_PKPS1_Ev13rocblas_fill_18rocblas_operation_17rocblas_diagonal_iiT3_T4_lilT5_lili.has_dyn_sized_stack, 0
	.set _ZL30rocblas_trsm_small_left_deviceILi20ELi20ELb0E19rocblas_complex_numIdES1_PKPKS1_PKPS1_Ev13rocblas_fill_18rocblas_operation_17rocblas_diagonal_iiT3_T4_lilT5_lili.has_recursion, 0
	.set _ZL30rocblas_trsm_small_left_deviceILi20ELi20ELb0E19rocblas_complex_numIdES1_PKPKS1_PKPS1_Ev13rocblas_fill_18rocblas_operation_17rocblas_diagonal_iiT3_T4_lilT5_lili.has_indirect_call, 0
	.section	.AMDGPU.csdata,"",@progbits
; Kernel info:
; codeLenInByte = 2268
; TotalNumSgprs: 34
; NumVgprs: 22
; NumAgprs: 0
; TotalNumVgprs: 22
; ScratchSize: 336
; MemoryBound: 0
; FloatMode: 240
; IeeeMode: 1
; LDSByteSize: 6400 bytes/workgroup (compile time only)
; SGPRBlocks: 10
; VGPRBlocks: 8
; NumSGPRsForWavesPerEU: 81
; NumVGPRsForWavesPerEU: 65
; AccumOffset: 24
; Occupancy: 7
; WaveLimiterHint : 1
; COMPUTE_PGM_RSRC2:SCRATCH_EN: 1
; COMPUTE_PGM_RSRC2:USER_SGPR: 2
; COMPUTE_PGM_RSRC2:TRAP_HANDLER: 0
; COMPUTE_PGM_RSRC2:TGID_X_EN: 1
; COMPUTE_PGM_RSRC2:TGID_Y_EN: 0
; COMPUTE_PGM_RSRC2:TGID_Z_EN: 1
; COMPUTE_PGM_RSRC2:TIDIG_COMP_CNT: 0
; COMPUTE_PGM_RSRC3_GFX90A:ACCUM_OFFSET: 5
; COMPUTE_PGM_RSRC3_GFX90A:TG_SPLIT: 0
	.section	.text._ZL38rocblas_trsm_small_left_device_sharedBILi20ELi20ELb1E19rocblas_complex_numIdES1_PKPKS1_PKPS1_Ev13rocblas_fill_18rocblas_operation_17rocblas_diagonal_iiT3_T4_lilT5_lili,"axG",@progbits,_ZL38rocblas_trsm_small_left_device_sharedBILi20ELi20ELb1E19rocblas_complex_numIdES1_PKPKS1_PKPS1_Ev13rocblas_fill_18rocblas_operation_17rocblas_diagonal_iiT3_T4_lilT5_lili,comdat
	.globl	_ZL38rocblas_trsm_small_left_device_sharedBILi20ELi20ELb1E19rocblas_complex_numIdES1_PKPKS1_PKPS1_Ev13rocblas_fill_18rocblas_operation_17rocblas_diagonal_iiT3_T4_lilT5_lili ; -- Begin function _ZL38rocblas_trsm_small_left_device_sharedBILi20ELi20ELb1E19rocblas_complex_numIdES1_PKPKS1_PKPS1_Ev13rocblas_fill_18rocblas_operation_17rocblas_diagonal_iiT3_T4_lilT5_lili
	.p2align	8
	.type	_ZL38rocblas_trsm_small_left_device_sharedBILi20ELi20ELb1E19rocblas_complex_numIdES1_PKPKS1_PKPS1_Ev13rocblas_fill_18rocblas_operation_17rocblas_diagonal_iiT3_T4_lilT5_lili,@function
_ZL38rocblas_trsm_small_left_device_sharedBILi20ELi20ELb1E19rocblas_complex_numIdES1_PKPKS1_PKPS1_Ev13rocblas_fill_18rocblas_operation_17rocblas_diagonal_iiT3_T4_lilT5_lili: ; @_ZL38rocblas_trsm_small_left_device_sharedBILi20ELi20ELb1E19rocblas_complex_numIdES1_PKPKS1_PKPS1_Ev13rocblas_fill_18rocblas_operation_17rocblas_diagonal_iiT3_T4_lilT5_lili
; %bb.0:
	s_load_dwordx4 s[12:15], s[0:1], 0x4
	s_load_dwordx4 s[16:19], s[0:1], 0x48
	s_load_dwordx8 s[4:11], s[0:1], 0x18
	s_mov_b32 s20, s3
	s_mov_b32 s21, 0
	s_lshl_b64 s[22:23], s[20:21], 3
	s_waitcnt lgkmcnt(0)
	s_add_u32 s16, s16, s22
	s_addc_u32 s17, s17, s23
	s_load_dword s3, s[0:1], 0x70
	s_min_i32 s24, s14, 20
	s_load_dwordx2 s[16:17], s[16:17], 0x0
	v_cmp_gt_i32_e32 vcc, s24, v0
	s_and_saveexec_b64 s[20:21], vcc
	s_cbranch_execz .LBB221_11
; %bb.1:
	s_load_dword s26, s[0:1], 0x38
	v_lshlrev_b32_e32 v2, 4, v0
	v_mov_b32_e32 v3, 0
	v_mov_b32_e32 v1, v2
	s_waitcnt lgkmcnt(0)
	s_ashr_i32 s27, s26, 31
	s_cmpk_eq_i32 s12, 0x71
	s_cselect_b64 vcc, -1, 0
	s_add_u32 s8, s8, s22
	s_addc_u32 s9, s9, s23
	s_load_dwordx2 s[8:9], s[8:9], 0x0
	s_lshl_b64 s[10:11], s[10:11], 4
	s_waitcnt lgkmcnt(0)
	s_add_u32 s10, s8, s10
	s_addc_u32 s11, s9, s11
	s_lshl_b64 s[8:9], s[26:27], 4
	v_lshl_add_u64 v[4:5], s[10:11], 0, v[2:3]
	s_mov_b32 s10, s24
.LBB221_2:                              ; =>This Inner Loop Header: Depth=1
	flat_load_dwordx4 v[6:9], v[4:5]
	s_add_i32 s10, s10, -1
	v_lshl_add_u64 v[4:5], v[4:5], 0, s[8:9]
	s_cmp_eq_u32 s10, 0
	s_waitcnt vmcnt(0) lgkmcnt(0)
	v_xor_b32_e32 v3, 0x80000000, v9
	v_cndmask_b32_e32 v9, v9, v3, vcc
	ds_write_b128 v1, v[6:9]
	v_add_u32_e32 v1, 0x140, v1
	s_cbranch_scc0 .LBB221_2
; %bb.3:
	v_mul_u32_u24_e32 v1, 0x140, v0
	s_cmpk_lg_i32 s13, 0x84
	v_add_u32_e32 v1, v2, v1
	s_cbranch_scc0 .LBB221_9
; %bb.4:
	ds_read_b128 v[2:5], v1
                                        ; implicit-def: $vgpr8_vgpr9
	s_waitcnt lgkmcnt(0)
	v_cmp_ngt_f64_e64 s[8:9], |v[2:3]|, |v[4:5]|
	s_and_saveexec_b64 s[10:11], s[8:9]
	s_xor_b64 s[8:9], exec, s[10:11]
	s_cbranch_execz .LBB221_6
; %bb.5:
	v_div_scale_f64 v[6:7], s[10:11], v[4:5], v[4:5], v[2:3]
	v_rcp_f64_e32 v[8:9], v[6:7]
	v_div_scale_f64 v[10:11], vcc, v[2:3], v[4:5], v[2:3]
	v_fma_f64 v[12:13], -v[6:7], v[8:9], 1.0
	v_fmac_f64_e32 v[8:9], v[8:9], v[12:13]
	v_fma_f64 v[12:13], -v[6:7], v[8:9], 1.0
	v_fmac_f64_e32 v[8:9], v[8:9], v[12:13]
	v_mul_f64 v[12:13], v[10:11], v[8:9]
	v_fma_f64 v[6:7], -v[6:7], v[12:13], v[10:11]
	v_div_fmas_f64 v[6:7], v[6:7], v[8:9], v[12:13]
	v_div_fixup_f64 v[8:9], v[6:7], v[4:5], v[2:3]
	v_fmac_f64_e32 v[4:5], v[2:3], v[8:9]
	v_div_scale_f64 v[2:3], s[10:11], v[4:5], v[4:5], 1.0
	v_rcp_f64_e32 v[6:7], v[2:3]
	s_nop 0
	v_fma_f64 v[10:11], -v[2:3], v[6:7], 1.0
	v_fmac_f64_e32 v[6:7], v[6:7], v[10:11]
	v_fma_f64 v[10:11], -v[2:3], v[6:7], 1.0
	v_fmac_f64_e32 v[6:7], v[6:7], v[10:11]
	v_div_scale_f64 v[10:11], vcc, 1.0, v[4:5], 1.0
	v_mul_f64 v[12:13], v[10:11], v[6:7]
	v_fma_f64 v[2:3], -v[2:3], v[12:13], v[10:11]
	s_nop 1
	v_div_fmas_f64 v[2:3], v[2:3], v[6:7], v[12:13]
	v_div_fixup_f64 v[2:3], v[2:3], v[4:5], 1.0
	v_add_f64 v[4:5], v[8:9], 0
	v_mul_f64 v[6:7], v[4:5], v[2:3]
	v_fma_f64 v[4:5], v[8:9], 0, -1.0
	v_mul_f64 v[8:9], v[4:5], v[2:3]
                                        ; implicit-def: $vgpr2_vgpr3
.LBB221_6:
	s_andn2_saveexec_b64 s[8:9], s[8:9]
	s_cbranch_execz .LBB221_8
; %bb.7:
	v_div_scale_f64 v[6:7], s[10:11], v[2:3], v[2:3], v[4:5]
	v_rcp_f64_e32 v[8:9], v[6:7]
	v_div_scale_f64 v[10:11], vcc, v[4:5], v[2:3], v[4:5]
	v_fma_f64 v[12:13], -v[6:7], v[8:9], 1.0
	v_fmac_f64_e32 v[8:9], v[8:9], v[12:13]
	v_fma_f64 v[12:13], -v[6:7], v[8:9], 1.0
	v_fmac_f64_e32 v[8:9], v[8:9], v[12:13]
	v_mul_f64 v[12:13], v[10:11], v[8:9]
	v_fma_f64 v[6:7], -v[6:7], v[12:13], v[10:11]
	v_div_fmas_f64 v[6:7], v[6:7], v[8:9], v[12:13]
	v_div_fixup_f64 v[8:9], v[6:7], v[2:3], v[4:5]
	v_fmac_f64_e32 v[2:3], v[4:5], v[8:9]
	v_div_scale_f64 v[4:5], s[10:11], v[2:3], v[2:3], 1.0
	v_rcp_f64_e32 v[6:7], v[4:5]
	s_nop 0
	v_fma_f64 v[10:11], -v[4:5], v[6:7], 1.0
	v_fmac_f64_e32 v[6:7], v[6:7], v[10:11]
	v_fma_f64 v[10:11], -v[4:5], v[6:7], 1.0
	v_fmac_f64_e32 v[6:7], v[6:7], v[10:11]
	v_div_scale_f64 v[10:11], vcc, 1.0, v[2:3], 1.0
	v_mul_f64 v[12:13], v[10:11], v[6:7]
	v_fma_f64 v[4:5], -v[4:5], v[12:13], v[10:11]
	s_nop 1
	v_div_fmas_f64 v[4:5], v[4:5], v[6:7], v[12:13]
	v_div_fixup_f64 v[2:3], v[4:5], v[2:3], 1.0
	v_fma_f64 v[4:5], v[8:9], 0, 1.0
	v_mul_f64 v[6:7], v[4:5], v[2:3]
	v_add_f64 v[4:5], -v[8:9], 0
	v_mul_f64 v[8:9], v[4:5], v[2:3]
.LBB221_8:
	s_or_b64 exec, exec, s[8:9]
	s_branch .LBB221_10
.LBB221_9:
	v_mov_b64_e32 v[8:9], 0
	v_mov_b64_e32 v[6:7], 1.0
.LBB221_10:
	ds_write_b128 v1, v[6:9]
.LBB221_11:
	s_or_b64 exec, exec, s[20:21]
	s_load_dword s13, s[0:1], 0x58
	s_lshl_b64 s[0:1], s[18:19], 4
	s_waitcnt lgkmcnt(0)
	s_add_u32 s8, s16, s0
	s_mul_i32 s0, s2, 0xffffffec
	s_addc_u32 s9, s17, s1
	s_add_i32 s3, s3, -1
	s_add_i32 s0, s15, s0
	s_cmp_ge_u32 s2, s3
	s_mul_i32 s2, s2, 20
	s_cselect_b32 s10, s0, 20
	s_mul_hi_i32 s1, s13, s2
	s_mul_i32 s0, s13, s2
	s_lshl_b64 s[0:1], s[0:1], 4
	s_add_u32 s2, s8, s0
	s_addc_u32 s3, s9, s1
	s_cmp_gt_i32 s14, 0
	v_cmp_gt_i32_e64 s[0:1], s10, v0
	s_cselect_b64 s[8:9], -1, 0
	s_and_b64 s[14:15], s[0:1], s[8:9]
	s_and_saveexec_b64 s[10:11], s[14:15]
	s_cbranch_execz .LBB221_14
; %bb.12:
	v_mad_i64_i32 v[2:3], s[14:15], s13, v0, 0
	v_mov_b32_e32 v1, 0x1900
	v_lshl_add_u64 v[2:3], v[2:3], 4, s[2:3]
	v_lshl_add_u32 v1, v0, 4, v1
	s_mov_b32 s14, s24
.LBB221_13:                             ; =>This Inner Loop Header: Depth=1
	flat_load_dwordx4 v[4:7], v[2:3]
	s_add_i32 s14, s14, -1
	v_lshl_add_u64 v[2:3], v[2:3], 0, 16
	s_cmp_lg_u32 s14, 0
	s_waitcnt vmcnt(0) lgkmcnt(0)
	v_mul_f64 v[10:11], s[6:7], v[6:7]
	v_mul_f64 v[8:9], s[4:5], v[6:7]
	v_fma_f64 v[6:7], s[4:5], v[4:5], -v[10:11]
	v_fmac_f64_e32 v[8:9], s[6:7], v[4:5]
	ds_write_b128 v1, v[6:9]
	v_add_u32_e32 v1, 0x140, v1
	s_cbranch_scc1 .LBB221_13
.LBB221_14:
	s_or_b64 exec, exec, s[10:11]
	v_mov_b32_e32 v1, 0x1900
	s_cmpk_eq_i32 s12, 0x6f
	v_lshl_add_u32 v1, v0, 4, v1
	s_mov_b64 s[4:5], -1
	s_waitcnt lgkmcnt(0)
	; wave barrier
	s_cbranch_scc1 .LBB221_35
; %bb.15:
	s_add_i32 s10, s24, -1
	s_lshl_b32 s11, s24, 4
	s_mov_b32 s5, 0
	s_add_i32 s11, s11, -16
	s_mov_b32 s4, s5
	s_mov_b32 s12, s10
	s_branch .LBB221_17
.LBB221_16:                             ;   in Loop: Header=BB221_17 Depth=1
	s_cmp_lt_i32 s12, 0
	s_cselect_b64 s[6:7], -1, 0
	s_add_i32 s4, s4, 1
	s_cmp_eq_u32 s4, 3
	s_cselect_b64 s[14:15], -1, 0
	s_or_b64 s[6:7], s[6:7], s[14:15]
	s_andn2_b64 vcc, exec, s[6:7]
	s_cbranch_vccz .LBB221_34
.LBB221_17:                             ; =>This Loop Header: Depth=1
                                        ;     Child Loop BB221_20 Depth 2
                                        ;       Child Loop BB221_21 Depth 3
                                        ;       Child Loop BB221_23 Depth 3
                                        ;         Child Loop BB221_24 Depth 4
                                        ;       Child Loop BB221_28 Depth 3
                                        ;         Child Loop BB221_30 Depth 4
	s_lshl_b64 s[6:7], s[4:5], 2
	s_getpc_b64 s[14:15]
	s_add_u32 s14, s14, __const._ZL38rocblas_trsm_small_left_device_sharedBILi20ELi20ELb1E19rocblas_complex_numIdES1_PKPKS1_PKPS1_Ev13rocblas_fill_18rocblas_operation_17rocblas_diagonal_iiT3_T4_lilT5_lili.step_sizes@rel32@lo+4
	s_addc_u32 s15, s15, __const._ZL38rocblas_trsm_small_left_device_sharedBILi20ELi20ELb1E19rocblas_complex_numIdES1_PKPKS1_PKPS1_Ev13rocblas_fill_18rocblas_operation_17rocblas_diagonal_iiT3_T4_lilT5_lili.step_sizes@rel32@hi+12
	s_add_u32 s6, s14, s6
	s_addc_u32 s7, s15, s7
	s_load_dword s14, s[6:7], 0x0
	s_waitcnt lgkmcnt(0)
	s_add_i32 s15, s14, -1
	s_cmp_lt_i32 s12, s15
	s_cbranch_scc1 .LBB221_16
; %bb.18:                               ;   in Loop: Header=BB221_17 Depth=1
	s_mul_i32 s6, s12, 0x140
	s_max_i32 s16, s14, 1
	v_add_u32_e32 v6, s6, v1
	s_mul_i32 s17, s14, 0xfffffec0
	s_add_i32 s18, s11, s6
	s_mul_i32 s19, s12, 0x150
	s_mul_i32 s20, s14, 0xfffffeb0
	s_branch .LBB221_20
.LBB221_19:                             ;   in Loop: Header=BB221_20 Depth=2
	s_sub_i32 s12, s12, s14
	s_add_i32 s18, s18, s17
	s_add_i32 s19, s19, s20
	s_cmp_lt_i32 s12, s15
	v_add_u32_e32 v6, s17, v6
	s_cbranch_scc1 .LBB221_16
.LBB221_20:                             ;   Parent Loop BB221_17 Depth=1
                                        ; =>  This Loop Header: Depth=2
                                        ;       Child Loop BB221_21 Depth 3
                                        ;       Child Loop BB221_23 Depth 3
                                        ;         Child Loop BB221_24 Depth 4
                                        ;       Child Loop BB221_28 Depth 3
                                        ;         Child Loop BB221_30 Depth 4
	s_mov_b32 s6, 0
	v_mov_b32_e32 v2, v6
	s_mov_b32 s7, s16
.LBB221_21:                             ;   Parent Loop BB221_17 Depth=1
                                        ;     Parent Loop BB221_20 Depth=2
                                        ; =>    This Inner Loop Header: Depth=3
	ds_read_b128 v[8:11], v2
	s_add_i32 s7, s7, -1
	v_add_u32_e32 v2, 0xfffffec0, v2
	s_waitcnt lgkmcnt(0)
	scratch_store_dwordx4 off, v[8:11], s6
	s_add_i32 s6, s6, 16
	s_cmp_eq_u32 s7, 0
	s_cbranch_scc0 .LBB221_21
; %bb.22:                               ;   in Loop: Header=BB221_20 Depth=2
	s_cmp_le_i32 s10, s12
	s_mov_b32 s6, s18
	s_mov_b32 s7, s10
	s_cbranch_scc1 .LBB221_26
.LBB221_23:                             ;   Parent Loop BB221_17 Depth=1
                                        ;     Parent Loop BB221_20 Depth=2
                                        ; =>    This Loop Header: Depth=3
                                        ;         Child Loop BB221_24 Depth 4
	s_mul_i32 s21, s7, 0x140
	v_add_u32_e32 v2, s21, v1
	ds_read_b128 v[2:5], v2
	s_mov_b32 s21, 0
	s_mov_b32 s22, s6
	;; [unrolled: 1-line block ×3, first 2 shown]
.LBB221_24:                             ;   Parent Loop BB221_17 Depth=1
                                        ;     Parent Loop BB221_20 Depth=2
                                        ;       Parent Loop BB221_23 Depth=3
                                        ; =>      This Inner Loop Header: Depth=4
	scratch_load_dwordx4 v[8:11], off, s21
	v_mov_b32_e32 v7, s22
	ds_read_b128 v[12:15], v7
	s_add_i32 s23, s23, -1
	s_addk_i32 s22, 0xfec0
	s_waitcnt lgkmcnt(0)
	v_mul_f64 v[16:17], v[4:5], v[14:15]
	v_mul_f64 v[14:15], v[2:3], v[14:15]
	v_fma_f64 v[16:17], v[2:3], v[12:13], -v[16:17]
	v_fmac_f64_e32 v[14:15], v[4:5], v[12:13]
	s_waitcnt vmcnt(0)
	v_add_f64 v[8:9], v[8:9], -v[16:17]
	v_add_f64 v[10:11], v[10:11], -v[14:15]
	scratch_store_dwordx4 off, v[8:11], s21
	s_add_i32 s21, s21, 16
	s_cmp_eq_u32 s23, 0
	s_cbranch_scc0 .LBB221_24
; %bb.25:                               ;   in Loop: Header=BB221_23 Depth=3
	s_add_i32 s7, s7, -1
	s_add_i32 s6, s6, -16
	s_cmp_le_i32 s7, s12
	s_cbranch_scc0 .LBB221_23
.LBB221_26:                             ;   in Loop: Header=BB221_20 Depth=2
	s_mul_i32 s21, s12, 0x140
	s_mov_b32 s22, 0
	s_mov_b32 s23, s19
	s_branch .LBB221_28
.LBB221_27:                             ;   in Loop: Header=BB221_28 Depth=3
	s_mul_i32 s6, s26, 0x150
	v_mov_b32_e32 v7, s6
	ds_read_b128 v[8:11], v7
	s_lshl_b32 s6, s22, 4
	s_add_i32 s22, s22, 1
	s_addk_i32 s23, 0xfec0
	s_cmp_eq_u32 s22, s16
	s_waitcnt vmcnt(0) lgkmcnt(0)
	v_mul_f64 v[12:13], v[10:11], v[4:5]
	v_mul_f64 v[14:15], v[8:9], v[4:5]
	v_fma_f64 v[12:13], v[8:9], v[2:3], -v[12:13]
	v_fmac_f64_e32 v[14:15], v[10:11], v[2:3]
	v_add_u32_e32 v2, s25, v1
	scratch_store_dwordx4 off, v[12:15], s6
	ds_write_b128 v2, v[12:15]
	s_cbranch_scc1 .LBB221_19
.LBB221_28:                             ;   Parent Loop BB221_17 Depth=1
                                        ;     Parent Loop BB221_20 Depth=2
                                        ; =>    This Loop Header: Depth=3
                                        ;         Child Loop BB221_30 Depth 4
	s_cmp_lg_u32 s22, 0
	s_cbranch_scc0 .LBB221_32
; %bb.29:                               ;   in Loop: Header=BB221_28 Depth=3
	s_lshl_b32 s6, s22, 4
	scratch_load_dwordx4 v[2:5], off, s6
	s_sub_i32 s26, s12, s22
	s_mul_i32 s25, s26, 0x140
	s_mov_b32 s7, 0
	s_mov_b32 s27, s23
	;; [unrolled: 1-line block ×3, first 2 shown]
.LBB221_30:                             ;   Parent Loop BB221_17 Depth=1
                                        ;     Parent Loop BB221_20 Depth=2
                                        ;       Parent Loop BB221_28 Depth=3
                                        ; =>      This Inner Loop Header: Depth=4
	scratch_load_dwordx4 v[8:11], off, s7
	v_mov_b32_e32 v7, s27
	ds_read_b128 v[12:15], v7
	s_add_i32 s28, s28, -1
	s_add_i32 s27, s27, -16
	s_add_i32 s7, s7, 16
	s_cmp_eq_u32 s28, 0
	s_waitcnt vmcnt(0) lgkmcnt(0)
	v_mul_f64 v[16:17], v[14:15], v[10:11]
	v_mul_f64 v[10:11], v[12:13], v[10:11]
	v_fma_f64 v[12:13], v[12:13], v[8:9], -v[16:17]
	v_fmac_f64_e32 v[10:11], v[14:15], v[8:9]
	v_add_f64 v[2:3], v[2:3], -v[12:13]
	v_add_f64 v[4:5], v[4:5], -v[10:11]
	scratch_store_dwordx4 off, v[2:5], s6
	s_cbranch_scc0 .LBB221_30
; %bb.31:                               ;   in Loop: Header=BB221_28 Depth=3
	s_branch .LBB221_27
.LBB221_32:                             ;   in Loop: Header=BB221_28 Depth=3
                                        ; implicit-def: $vgpr2_vgpr3
                                        ; implicit-def: $sgpr26
                                        ; implicit-def: $sgpr25
	s_cbranch_execz .LBB221_27
; %bb.33:                               ;   in Loop: Header=BB221_28 Depth=3
	scratch_load_dwordx4 v[2:5], off, off
	s_mov_b32 s25, s21
	s_mov_b32 s26, s12
	s_branch .LBB221_27
.LBB221_34:
	s_mov_b64 s[4:5], 0
.LBB221_35:
	s_and_b64 vcc, exec, s[4:5]
	s_cbranch_vccz .LBB221_56
; %bb.36:
	v_mov_b32_e32 v2, 0x1900
	s_mov_b32 s5, 0
	v_lshl_add_u32 v6, v0, 4, v2
	s_mov_b32 s4, s5
	s_mov_b32 s10, s5
	s_branch .LBB221_38
.LBB221_37:                             ;   in Loop: Header=BB221_38 Depth=1
	s_cmp_ge_i32 s10, s24
	s_cselect_b64 s[6:7], -1, 0
	s_add_i32 s4, s4, 1
	s_cmp_eq_u32 s4, 3
	s_cselect_b64 s[14:15], -1, 0
	s_or_b64 s[6:7], s[6:7], s[14:15]
	s_and_b64 vcc, exec, s[6:7]
	s_cbranch_vccnz .LBB221_56
.LBB221_38:                             ; =>This Loop Header: Depth=1
                                        ;     Child Loop BB221_41 Depth 2
                                        ;       Child Loop BB221_42 Depth 3
                                        ;       Child Loop BB221_45 Depth 3
                                        ;         Child Loop BB221_46 Depth 4
                                        ;       Child Loop BB221_50 Depth 3
                                        ;         Child Loop BB221_52 Depth 4
	s_lshl_b64 s[6:7], s[4:5], 2
	s_getpc_b64 s[14:15]
	s_add_u32 s14, s14, __const._ZL38rocblas_trsm_small_left_device_sharedBILi20ELi20ELb1E19rocblas_complex_numIdES1_PKPKS1_PKPS1_Ev13rocblas_fill_18rocblas_operation_17rocblas_diagonal_iiT3_T4_lilT5_lili.step_sizes@rel32@lo+4
	s_addc_u32 s15, s15, __const._ZL38rocblas_trsm_small_left_device_sharedBILi20ELi20ELb1E19rocblas_complex_numIdES1_PKPKS1_PKPS1_Ev13rocblas_fill_18rocblas_operation_17rocblas_diagonal_iiT3_T4_lilT5_lili.step_sizes@rel32@hi+12
	s_add_u32 s6, s14, s6
	s_addc_u32 s7, s15, s7
	s_load_dword s11, s[6:7], 0x0
	s_waitcnt lgkmcnt(0)
	s_add_i32 s12, s11, -1
	s_add_i32 s6, s12, s10
	s_cmp_ge_i32 s6, s24
	s_cbranch_scc1 .LBB221_37
; %bb.39:                               ;   in Loop: Header=BB221_38 Depth=1
	s_mul_i32 s6, s10, 0x140
	s_max_i32 s14, s11, 1
	v_add_u32_e32 v7, s6, v6
	s_mul_i32 s15, s11, 0x140
	s_lshl_b32 s16, s10, 4
	s_lshl_b32 s17, s11, 4
	s_mul_i32 s18, s10, 0x150
	s_mul_i32 s19, s11, 0x150
	s_branch .LBB221_41
.LBB221_40:                             ;   in Loop: Header=BB221_41 Depth=2
	s_add_i32 s10, s10, s11
	s_add_i32 s6, s12, s10
	;; [unrolled: 1-line block ×4, first 2 shown]
	s_cmp_ge_i32 s6, s24
	v_add_u32_e32 v7, s15, v7
	s_cbranch_scc1 .LBB221_37
.LBB221_41:                             ;   Parent Loop BB221_38 Depth=1
                                        ; =>  This Loop Header: Depth=2
                                        ;       Child Loop BB221_42 Depth 3
                                        ;       Child Loop BB221_45 Depth 3
                                        ;         Child Loop BB221_46 Depth 4
                                        ;       Child Loop BB221_50 Depth 3
                                        ;         Child Loop BB221_52 Depth 4
	s_mov_b32 s6, 0
	v_mov_b32_e32 v2, v7
	s_mov_b32 s7, s14
.LBB221_42:                             ;   Parent Loop BB221_38 Depth=1
                                        ;     Parent Loop BB221_41 Depth=2
                                        ; =>    This Inner Loop Header: Depth=3
	ds_read_b128 v[8:11], v2
	s_add_i32 s7, s7, -1
	v_add_u32_e32 v2, 0x140, v2
	s_waitcnt lgkmcnt(0)
	scratch_store_dwordx4 off, v[8:11], s6
	s_add_i32 s6, s6, 16
	s_cmp_eq_u32 s7, 0
	s_cbranch_scc0 .LBB221_42
; %bb.43:                               ;   in Loop: Header=BB221_41 Depth=2
	s_cmp_lt_i32 s10, 1
	s_cbranch_scc1 .LBB221_48
; %bb.44:                               ;   in Loop: Header=BB221_41 Depth=2
	s_mov_b32 s6, 0
	s_mov_b32 s7, s16
.LBB221_45:                             ;   Parent Loop BB221_38 Depth=1
                                        ;     Parent Loop BB221_41 Depth=2
                                        ; =>    This Loop Header: Depth=3
                                        ;         Child Loop BB221_46 Depth 4
	s_mul_i32 s20, s6, 0x140
	v_add_u32_e32 v2, s20, v1
	ds_read_b128 v[2:5], v2
	s_mov_b32 s20, 0
	s_mov_b32 s21, s7
	;; [unrolled: 1-line block ×3, first 2 shown]
.LBB221_46:                             ;   Parent Loop BB221_38 Depth=1
                                        ;     Parent Loop BB221_41 Depth=2
                                        ;       Parent Loop BB221_45 Depth=3
                                        ; =>      This Inner Loop Header: Depth=4
	scratch_load_dwordx4 v[8:11], off, s20
	v_mov_b32_e32 v12, s21
	ds_read_b128 v[12:15], v12
	s_add_i32 s22, s22, -1
	s_add_i32 s21, s21, 16
	s_waitcnt lgkmcnt(0)
	v_mul_f64 v[16:17], v[4:5], v[14:15]
	v_mul_f64 v[14:15], v[2:3], v[14:15]
	v_fma_f64 v[16:17], v[2:3], v[12:13], -v[16:17]
	v_fmac_f64_e32 v[14:15], v[4:5], v[12:13]
	s_waitcnt vmcnt(0)
	v_add_f64 v[8:9], v[8:9], -v[16:17]
	v_add_f64 v[10:11], v[10:11], -v[14:15]
	scratch_store_dwordx4 off, v[8:11], s20
	s_add_i32 s20, s20, 16
	s_cmp_eq_u32 s22, 0
	s_cbranch_scc0 .LBB221_46
; %bb.47:                               ;   in Loop: Header=BB221_45 Depth=3
	s_add_i32 s6, s6, 1
	s_addk_i32 s7, 0x140
	s_cmp_eq_u32 s6, s10
	s_cbranch_scc0 .LBB221_45
.LBB221_48:                             ;   in Loop: Header=BB221_41 Depth=2
	s_mov_b32 s20, 0
	s_mov_b32 s21, s18
	s_branch .LBB221_50
.LBB221_49:                             ;   in Loop: Header=BB221_50 Depth=3
	s_add_i32 s6, s20, s10
	s_mul_i32 s7, s6, 0x150
	v_mov_b32_e32 v8, s7
	ds_read_b128 v[8:11], v8
	s_lshl_b32 s7, s20, 4
	s_mulk_i32 s6, 0x140
	s_add_i32 s20, s20, 1
	s_add_i32 s21, s21, 16
	s_waitcnt vmcnt(0) lgkmcnt(0)
	v_mul_f64 v[12:13], v[10:11], v[4:5]
	v_mul_f64 v[14:15], v[8:9], v[4:5]
	v_fma_f64 v[12:13], v[8:9], v[2:3], -v[12:13]
	v_fmac_f64_e32 v[14:15], v[10:11], v[2:3]
	v_add_u32_e32 v2, s6, v1
	s_cmp_eq_u32 s20, s14
	scratch_store_dwordx4 off, v[12:15], s7
	ds_write_b128 v2, v[12:15]
	s_cbranch_scc1 .LBB221_40
.LBB221_50:                             ;   Parent Loop BB221_38 Depth=1
                                        ;     Parent Loop BB221_41 Depth=2
                                        ; =>    This Loop Header: Depth=3
                                        ;         Child Loop BB221_52 Depth 4
	s_cmp_lg_u32 s20, 0
	s_cbranch_scc0 .LBB221_54
; %bb.51:                               ;   in Loop: Header=BB221_50 Depth=3
	s_lshl_b32 s6, s20, 4
	scratch_load_dwordx4 v[2:5], off, s6
	s_mov_b32 s7, 0
	s_mov_b32 s22, s21
	;; [unrolled: 1-line block ×3, first 2 shown]
.LBB221_52:                             ;   Parent Loop BB221_38 Depth=1
                                        ;     Parent Loop BB221_41 Depth=2
                                        ;       Parent Loop BB221_50 Depth=3
                                        ; =>      This Inner Loop Header: Depth=4
	scratch_load_dwordx4 v[8:11], off, s7
	v_mov_b32_e32 v12, s22
	ds_read_b128 v[12:15], v12
	s_add_i32 s23, s23, -1
	s_addk_i32 s22, 0x140
	s_add_i32 s7, s7, 16
	s_cmp_eq_u32 s23, 0
	s_waitcnt vmcnt(0) lgkmcnt(0)
	v_mul_f64 v[16:17], v[14:15], v[10:11]
	v_mul_f64 v[10:11], v[12:13], v[10:11]
	v_fma_f64 v[12:13], v[12:13], v[8:9], -v[16:17]
	v_fmac_f64_e32 v[10:11], v[14:15], v[8:9]
	v_add_f64 v[2:3], v[2:3], -v[12:13]
	v_add_f64 v[4:5], v[4:5], -v[10:11]
	scratch_store_dwordx4 off, v[2:5], s6
	s_cbranch_scc0 .LBB221_52
; %bb.53:                               ;   in Loop: Header=BB221_50 Depth=3
	s_branch .LBB221_49
.LBB221_54:                             ;   in Loop: Header=BB221_50 Depth=3
                                        ; implicit-def: $vgpr2_vgpr3
	s_cbranch_execz .LBB221_49
; %bb.55:                               ;   in Loop: Header=BB221_50 Depth=3
	scratch_load_dwordx4 v[2:5], off, off
	s_branch .LBB221_49
.LBB221_56:
	s_waitcnt lgkmcnt(0)
	; wave barrier
	s_and_saveexec_b64 s[4:5], s[0:1]
	s_cbranch_execz .LBB221_60
; %bb.57:
	s_andn2_b64 vcc, exec, s[8:9]
	s_cbranch_vccnz .LBB221_60
; %bb.58:
	v_mad_i64_i32 v[2:3], s[0:1], s13, v0, 0
	v_mov_b32_e32 v1, 0x1900
	v_lshl_add_u64 v[2:3], v[2:3], 4, s[2:3]
	v_lshl_add_u32 v0, v0, 4, v1
.LBB221_59:                             ; =>This Inner Loop Header: Depth=1
	ds_read2_b64 v[4:7], v0 offset1:1
	s_add_i32 s24, s24, -1
	v_add_u32_e32 v0, 0x140, v0
	s_cmp_lg_u32 s24, 0
	s_waitcnt lgkmcnt(0)
	flat_store_dwordx4 v[2:3], v[4:7]
	v_lshl_add_u64 v[2:3], v[2:3], 0, 16
	s_cbranch_scc1 .LBB221_59
.LBB221_60:
	s_endpgm
	.section	.rodata,"a",@progbits
	.p2align	6, 0x0
	.amdhsa_kernel _ZL38rocblas_trsm_small_left_device_sharedBILi20ELi20ELb1E19rocblas_complex_numIdES1_PKPKS1_PKPS1_Ev13rocblas_fill_18rocblas_operation_17rocblas_diagonal_iiT3_T4_lilT5_lili
		.amdhsa_group_segment_fixed_size 12800
		.amdhsa_private_segment_fixed_size 336
		.amdhsa_kernarg_size 368
		.amdhsa_user_sgpr_count 2
		.amdhsa_user_sgpr_dispatch_ptr 0
		.amdhsa_user_sgpr_queue_ptr 0
		.amdhsa_user_sgpr_kernarg_segment_ptr 1
		.amdhsa_user_sgpr_dispatch_id 0
		.amdhsa_user_sgpr_kernarg_preload_length 0
		.amdhsa_user_sgpr_kernarg_preload_offset 0
		.amdhsa_user_sgpr_private_segment_size 0
		.amdhsa_uses_dynamic_stack 0
		.amdhsa_enable_private_segment 1
		.amdhsa_system_sgpr_workgroup_id_x 1
		.amdhsa_system_sgpr_workgroup_id_y 0
		.amdhsa_system_sgpr_workgroup_id_z 1
		.amdhsa_system_sgpr_workgroup_info 0
		.amdhsa_system_vgpr_workitem_id 0
		.amdhsa_next_free_vgpr 129
		.amdhsa_next_free_sgpr 96
		.amdhsa_accum_offset 20
		.amdhsa_reserve_vcc 1
		.amdhsa_float_round_mode_32 0
		.amdhsa_float_round_mode_16_64 0
		.amdhsa_float_denorm_mode_32 3
		.amdhsa_float_denorm_mode_16_64 3
		.amdhsa_dx10_clamp 1
		.amdhsa_ieee_mode 1
		.amdhsa_fp16_overflow 0
		.amdhsa_tg_split 0
		.amdhsa_exception_fp_ieee_invalid_op 0
		.amdhsa_exception_fp_denorm_src 0
		.amdhsa_exception_fp_ieee_div_zero 0
		.amdhsa_exception_fp_ieee_overflow 0
		.amdhsa_exception_fp_ieee_underflow 0
		.amdhsa_exception_fp_ieee_inexact 0
		.amdhsa_exception_int_div_zero 0
	.end_amdhsa_kernel
	.section	.text._ZL38rocblas_trsm_small_left_device_sharedBILi20ELi20ELb1E19rocblas_complex_numIdES1_PKPKS1_PKPS1_Ev13rocblas_fill_18rocblas_operation_17rocblas_diagonal_iiT3_T4_lilT5_lili,"axG",@progbits,_ZL38rocblas_trsm_small_left_device_sharedBILi20ELi20ELb1E19rocblas_complex_numIdES1_PKPKS1_PKPS1_Ev13rocblas_fill_18rocblas_operation_17rocblas_diagonal_iiT3_T4_lilT5_lili,comdat
.Lfunc_end221:
	.size	_ZL38rocblas_trsm_small_left_device_sharedBILi20ELi20ELb1E19rocblas_complex_numIdES1_PKPKS1_PKPS1_Ev13rocblas_fill_18rocblas_operation_17rocblas_diagonal_iiT3_T4_lilT5_lili, .Lfunc_end221-_ZL38rocblas_trsm_small_left_device_sharedBILi20ELi20ELb1E19rocblas_complex_numIdES1_PKPKS1_PKPS1_Ev13rocblas_fill_18rocblas_operation_17rocblas_diagonal_iiT3_T4_lilT5_lili
                                        ; -- End function
	.set _ZL38rocblas_trsm_small_left_device_sharedBILi20ELi20ELb1E19rocblas_complex_numIdES1_PKPKS1_PKPS1_Ev13rocblas_fill_18rocblas_operation_17rocblas_diagonal_iiT3_T4_lilT5_lili.num_vgpr, 18
	.set _ZL38rocblas_trsm_small_left_device_sharedBILi20ELi20ELb1E19rocblas_complex_numIdES1_PKPKS1_PKPS1_Ev13rocblas_fill_18rocblas_operation_17rocblas_diagonal_iiT3_T4_lilT5_lili.num_agpr, 0
	.set _ZL38rocblas_trsm_small_left_device_sharedBILi20ELi20ELb1E19rocblas_complex_numIdES1_PKPKS1_PKPS1_Ev13rocblas_fill_18rocblas_operation_17rocblas_diagonal_iiT3_T4_lilT5_lili.numbered_sgpr, 29
	.set _ZL38rocblas_trsm_small_left_device_sharedBILi20ELi20ELb1E19rocblas_complex_numIdES1_PKPKS1_PKPS1_Ev13rocblas_fill_18rocblas_operation_17rocblas_diagonal_iiT3_T4_lilT5_lili.num_named_barrier, 0
	.set _ZL38rocblas_trsm_small_left_device_sharedBILi20ELi20ELb1E19rocblas_complex_numIdES1_PKPKS1_PKPS1_Ev13rocblas_fill_18rocblas_operation_17rocblas_diagonal_iiT3_T4_lilT5_lili.private_seg_size, 336
	.set _ZL38rocblas_trsm_small_left_device_sharedBILi20ELi20ELb1E19rocblas_complex_numIdES1_PKPKS1_PKPS1_Ev13rocblas_fill_18rocblas_operation_17rocblas_diagonal_iiT3_T4_lilT5_lili.uses_vcc, 1
	.set _ZL38rocblas_trsm_small_left_device_sharedBILi20ELi20ELb1E19rocblas_complex_numIdES1_PKPKS1_PKPS1_Ev13rocblas_fill_18rocblas_operation_17rocblas_diagonal_iiT3_T4_lilT5_lili.uses_flat_scratch, 0
	.set _ZL38rocblas_trsm_small_left_device_sharedBILi20ELi20ELb1E19rocblas_complex_numIdES1_PKPKS1_PKPS1_Ev13rocblas_fill_18rocblas_operation_17rocblas_diagonal_iiT3_T4_lilT5_lili.has_dyn_sized_stack, 0
	.set _ZL38rocblas_trsm_small_left_device_sharedBILi20ELi20ELb1E19rocblas_complex_numIdES1_PKPKS1_PKPS1_Ev13rocblas_fill_18rocblas_operation_17rocblas_diagonal_iiT3_T4_lilT5_lili.has_recursion, 0
	.set _ZL38rocblas_trsm_small_left_device_sharedBILi20ELi20ELb1E19rocblas_complex_numIdES1_PKPKS1_PKPS1_Ev13rocblas_fill_18rocblas_operation_17rocblas_diagonal_iiT3_T4_lilT5_lili.has_indirect_call, 0
	.section	.AMDGPU.csdata,"",@progbits
; Kernel info:
; codeLenInByte = 2440
; TotalNumSgprs: 35
; NumVgprs: 18
; NumAgprs: 0
; TotalNumVgprs: 18
; ScratchSize: 336
; MemoryBound: 0
; FloatMode: 240
; IeeeMode: 1
; LDSByteSize: 12800 bytes/workgroup (compile time only)
; SGPRBlocks: 12
; VGPRBlocks: 16
; NumSGPRsForWavesPerEU: 102
; NumVGPRsForWavesPerEU: 129
; AccumOffset: 20
; Occupancy: 3
; WaveLimiterHint : 0
; COMPUTE_PGM_RSRC2:SCRATCH_EN: 1
; COMPUTE_PGM_RSRC2:USER_SGPR: 2
; COMPUTE_PGM_RSRC2:TRAP_HANDLER: 0
; COMPUTE_PGM_RSRC2:TGID_X_EN: 1
; COMPUTE_PGM_RSRC2:TGID_Y_EN: 0
; COMPUTE_PGM_RSRC2:TGID_Z_EN: 1
; COMPUTE_PGM_RSRC2:TIDIG_COMP_CNT: 0
; COMPUTE_PGM_RSRC3_GFX90A:ACCUM_OFFSET: 4
; COMPUTE_PGM_RSRC3_GFX90A:TG_SPLIT: 0
	.section	.text._ZL30rocblas_trsm_small_left_deviceILi20ELi20ELb1E19rocblas_complex_numIdES1_PKPKS1_PKPS1_Ev13rocblas_fill_18rocblas_operation_17rocblas_diagonal_iiT3_T4_lilT5_lili,"axG",@progbits,_ZL30rocblas_trsm_small_left_deviceILi20ELi20ELb1E19rocblas_complex_numIdES1_PKPKS1_PKPS1_Ev13rocblas_fill_18rocblas_operation_17rocblas_diagonal_iiT3_T4_lilT5_lili,comdat
	.globl	_ZL30rocblas_trsm_small_left_deviceILi20ELi20ELb1E19rocblas_complex_numIdES1_PKPKS1_PKPS1_Ev13rocblas_fill_18rocblas_operation_17rocblas_diagonal_iiT3_T4_lilT5_lili ; -- Begin function _ZL30rocblas_trsm_small_left_deviceILi20ELi20ELb1E19rocblas_complex_numIdES1_PKPKS1_PKPS1_Ev13rocblas_fill_18rocblas_operation_17rocblas_diagonal_iiT3_T4_lilT5_lili
	.p2align	8
	.type	_ZL30rocblas_trsm_small_left_deviceILi20ELi20ELb1E19rocblas_complex_numIdES1_PKPKS1_PKPS1_Ev13rocblas_fill_18rocblas_operation_17rocblas_diagonal_iiT3_T4_lilT5_lili,@function
_ZL30rocblas_trsm_small_left_deviceILi20ELi20ELb1E19rocblas_complex_numIdES1_PKPKS1_PKPS1_Ev13rocblas_fill_18rocblas_operation_17rocblas_diagonal_iiT3_T4_lilT5_lili: ; @_ZL30rocblas_trsm_small_left_deviceILi20ELi20ELb1E19rocblas_complex_numIdES1_PKPKS1_PKPS1_Ev13rocblas_fill_18rocblas_operation_17rocblas_diagonal_iiT3_T4_lilT5_lili
; %bb.0:
	s_load_dwordx4 s[12:15], s[0:1], 0x4
	s_load_dwordx4 s[16:19], s[0:1], 0x48
	s_load_dwordx8 s[4:11], s[0:1], 0x18
	s_mov_b32 s20, s3
	s_mov_b32 s21, 0
	s_lshl_b64 s[22:23], s[20:21], 3
	s_waitcnt lgkmcnt(0)
	s_add_u32 s16, s16, s22
	s_addc_u32 s17, s17, s23
	s_load_dword s3, s[0:1], 0x70
	s_min_i32 s24, s14, 20
	s_load_dwordx2 s[16:17], s[16:17], 0x0
	v_cmp_gt_i32_e32 vcc, s24, v0
	s_and_saveexec_b64 s[20:21], vcc
	s_cbranch_execz .LBB222_11
; %bb.1:
	s_load_dword s26, s[0:1], 0x38
	v_lshlrev_b32_e32 v2, 4, v0
	v_mov_b32_e32 v3, 0
	v_mov_b32_e32 v1, v2
	s_waitcnt lgkmcnt(0)
	s_ashr_i32 s27, s26, 31
	s_cmpk_eq_i32 s12, 0x71
	s_cselect_b64 vcc, -1, 0
	s_add_u32 s8, s8, s22
	s_addc_u32 s9, s9, s23
	s_load_dwordx2 s[8:9], s[8:9], 0x0
	s_lshl_b64 s[10:11], s[10:11], 4
	s_waitcnt lgkmcnt(0)
	s_add_u32 s10, s8, s10
	s_addc_u32 s11, s9, s11
	s_lshl_b64 s[8:9], s[26:27], 4
	v_lshl_add_u64 v[4:5], s[10:11], 0, v[2:3]
	s_mov_b32 s10, s24
.LBB222_2:                              ; =>This Inner Loop Header: Depth=1
	flat_load_dwordx4 v[6:9], v[4:5]
	s_add_i32 s10, s10, -1
	v_lshl_add_u64 v[4:5], v[4:5], 0, s[8:9]
	s_cmp_eq_u32 s10, 0
	s_waitcnt vmcnt(0) lgkmcnt(0)
	v_xor_b32_e32 v3, 0x80000000, v9
	v_cndmask_b32_e32 v9, v9, v3, vcc
	ds_write_b128 v1, v[6:9]
	v_add_u32_e32 v1, 0x140, v1
	s_cbranch_scc0 .LBB222_2
; %bb.3:
	v_mul_u32_u24_e32 v1, 0x140, v0
	s_cmpk_lg_i32 s13, 0x84
	v_add_u32_e32 v1, v2, v1
	s_cbranch_scc0 .LBB222_9
; %bb.4:
	ds_read_b128 v[2:5], v1
                                        ; implicit-def: $vgpr8_vgpr9
	s_waitcnt lgkmcnt(0)
	v_cmp_ngt_f64_e64 s[8:9], |v[2:3]|, |v[4:5]|
	s_and_saveexec_b64 s[10:11], s[8:9]
	s_xor_b64 s[8:9], exec, s[10:11]
	s_cbranch_execz .LBB222_6
; %bb.5:
	v_div_scale_f64 v[6:7], s[10:11], v[4:5], v[4:5], v[2:3]
	v_rcp_f64_e32 v[8:9], v[6:7]
	v_div_scale_f64 v[10:11], vcc, v[2:3], v[4:5], v[2:3]
	v_fma_f64 v[12:13], -v[6:7], v[8:9], 1.0
	v_fmac_f64_e32 v[8:9], v[8:9], v[12:13]
	v_fma_f64 v[12:13], -v[6:7], v[8:9], 1.0
	v_fmac_f64_e32 v[8:9], v[8:9], v[12:13]
	v_mul_f64 v[12:13], v[10:11], v[8:9]
	v_fma_f64 v[6:7], -v[6:7], v[12:13], v[10:11]
	v_div_fmas_f64 v[6:7], v[6:7], v[8:9], v[12:13]
	v_div_fixup_f64 v[8:9], v[6:7], v[4:5], v[2:3]
	v_fmac_f64_e32 v[4:5], v[2:3], v[8:9]
	v_div_scale_f64 v[2:3], s[10:11], v[4:5], v[4:5], 1.0
	v_rcp_f64_e32 v[6:7], v[2:3]
	s_nop 0
	v_fma_f64 v[10:11], -v[2:3], v[6:7], 1.0
	v_fmac_f64_e32 v[6:7], v[6:7], v[10:11]
	v_fma_f64 v[10:11], -v[2:3], v[6:7], 1.0
	v_fmac_f64_e32 v[6:7], v[6:7], v[10:11]
	v_div_scale_f64 v[10:11], vcc, 1.0, v[4:5], 1.0
	v_mul_f64 v[12:13], v[10:11], v[6:7]
	v_fma_f64 v[2:3], -v[2:3], v[12:13], v[10:11]
	s_nop 1
	v_div_fmas_f64 v[2:3], v[2:3], v[6:7], v[12:13]
	v_div_fixup_f64 v[2:3], v[2:3], v[4:5], 1.0
	v_add_f64 v[4:5], v[8:9], 0
	v_mul_f64 v[6:7], v[4:5], v[2:3]
	v_fma_f64 v[4:5], v[8:9], 0, -1.0
	v_mul_f64 v[8:9], v[4:5], v[2:3]
                                        ; implicit-def: $vgpr2_vgpr3
.LBB222_6:
	s_andn2_saveexec_b64 s[8:9], s[8:9]
	s_cbranch_execz .LBB222_8
; %bb.7:
	v_div_scale_f64 v[6:7], s[10:11], v[2:3], v[2:3], v[4:5]
	v_rcp_f64_e32 v[8:9], v[6:7]
	v_div_scale_f64 v[10:11], vcc, v[4:5], v[2:3], v[4:5]
	v_fma_f64 v[12:13], -v[6:7], v[8:9], 1.0
	v_fmac_f64_e32 v[8:9], v[8:9], v[12:13]
	v_fma_f64 v[12:13], -v[6:7], v[8:9], 1.0
	v_fmac_f64_e32 v[8:9], v[8:9], v[12:13]
	v_mul_f64 v[12:13], v[10:11], v[8:9]
	v_fma_f64 v[6:7], -v[6:7], v[12:13], v[10:11]
	v_div_fmas_f64 v[6:7], v[6:7], v[8:9], v[12:13]
	v_div_fixup_f64 v[8:9], v[6:7], v[2:3], v[4:5]
	v_fmac_f64_e32 v[2:3], v[4:5], v[8:9]
	v_div_scale_f64 v[4:5], s[10:11], v[2:3], v[2:3], 1.0
	v_rcp_f64_e32 v[6:7], v[4:5]
	s_nop 0
	v_fma_f64 v[10:11], -v[4:5], v[6:7], 1.0
	v_fmac_f64_e32 v[6:7], v[6:7], v[10:11]
	v_fma_f64 v[10:11], -v[4:5], v[6:7], 1.0
	v_fmac_f64_e32 v[6:7], v[6:7], v[10:11]
	v_div_scale_f64 v[10:11], vcc, 1.0, v[2:3], 1.0
	v_mul_f64 v[12:13], v[10:11], v[6:7]
	v_fma_f64 v[4:5], -v[4:5], v[12:13], v[10:11]
	s_nop 1
	v_div_fmas_f64 v[4:5], v[4:5], v[6:7], v[12:13]
	v_div_fixup_f64 v[2:3], v[4:5], v[2:3], 1.0
	v_fma_f64 v[4:5], v[8:9], 0, 1.0
	v_mul_f64 v[6:7], v[4:5], v[2:3]
	v_add_f64 v[4:5], -v[8:9], 0
	v_mul_f64 v[8:9], v[4:5], v[2:3]
.LBB222_8:
	s_or_b64 exec, exec, s[8:9]
	s_branch .LBB222_10
.LBB222_9:
	v_mov_b64_e32 v[8:9], 0
	v_mov_b64_e32 v[6:7], 1.0
.LBB222_10:
	ds_write_b128 v1, v[6:9]
.LBB222_11:
	s_or_b64 exec, exec, s[20:21]
	s_mul_i32 s8, s2, 0xffffffec
	s_waitcnt lgkmcnt(0)
	s_add_i32 s3, s3, -1
	s_add_i32 s8, s15, s8
	s_cmp_ge_u32 s2, s3
	s_cselect_b32 s3, s8, 20
	v_cmp_gt_i32_e32 vcc, s3, v0
	; wave barrier
	s_and_saveexec_b64 s[8:9], vcc
	s_cbranch_execz .LBB222_54
; %bb.12:
	s_load_dword s10, s[0:1], 0x58
	s_lshl_b64 s[0:1], s[18:19], 4
	s_add_u32 s8, s16, s0
	v_mad_u64_u32 v[0:1], s[2:3], s2, 20, v[0:1]
	s_addc_u32 s9, s17, s1
	s_waitcnt lgkmcnt(0)
	v_mad_i64_i32 v[6:7], s[2:3], s10, v0, 0
	v_lshl_add_u64 v[4:5], v[6:7], 4, s[8:9]
	s_cmpk_eq_i32 s12, 0x6f
	s_mov_b64 s[2:3], -1
	s_cbranch_scc1 .LBB222_33
; %bb.13:
	s_add_i32 s18, s24, -1
	s_add_u32 s2, s16, s0
	s_addc_u32 s3, s17, s1
	v_lshl_add_u64 v[8:9], v[6:7], 4, s[2:3]
	s_lshl_b32 s19, s24, 4
	s_mov_b32 s3, 0
	s_add_i32 s19, s19, -16
	s_mov_b32 s2, s3
	s_mov_b32 s8, s18
	s_branch .LBB222_15
.LBB222_14:                             ;   in Loop: Header=BB222_15 Depth=1
	s_cmp_lt_i32 s8, 0
	s_cselect_b64 s[10:11], -1, 0
	s_add_i32 s2, s2, 1
	s_cmp_eq_u32 s2, 3
	s_cselect_b64 s[12:13], -1, 0
	s_or_b64 s[10:11], s[10:11], s[12:13]
	s_andn2_b64 vcc, exec, s[10:11]
	s_cbranch_vccz .LBB222_32
.LBB222_15:                             ; =>This Loop Header: Depth=1
                                        ;     Child Loop BB222_18 Depth 2
                                        ;       Child Loop BB222_19 Depth 3
                                        ;       Child Loop BB222_21 Depth 3
                                        ;         Child Loop BB222_22 Depth 4
                                        ;       Child Loop BB222_26 Depth 3
                                        ;         Child Loop BB222_28 Depth 4
	s_lshl_b64 s[10:11], s[2:3], 2
	s_getpc_b64 s[12:13]
	s_add_u32 s12, s12, __const._ZL30rocblas_trsm_small_left_deviceILi20ELi20ELb1E19rocblas_complex_numIdES1_PKPKS1_PKPS1_Ev13rocblas_fill_18rocblas_operation_17rocblas_diagonal_iiT3_T4_lilT5_lili.step_sizes@rel32@lo+4
	s_addc_u32 s13, s13, __const._ZL30rocblas_trsm_small_left_deviceILi20ELi20ELb1E19rocblas_complex_numIdES1_PKPKS1_PKPS1_Ev13rocblas_fill_18rocblas_operation_17rocblas_diagonal_iiT3_T4_lilT5_lili.step_sizes@rel32@hi+12
	s_add_u32 s10, s12, s10
	s_addc_u32 s11, s13, s11
	s_load_dword s20, s[10:11], 0x0
	s_waitcnt lgkmcnt(0)
	s_add_i32 s21, s20, -1
	s_cmp_lt_i32 s8, s21
	s_cbranch_scc1 .LBB222_14
; %bb.16:                               ;   in Loop: Header=BB222_15 Depth=1
	s_mul_i32 s9, s8, 0x140
	s_max_i32 s22, s20, 1
	s_add_i32 s23, s19, s9
	s_mul_i32 s25, s20, 0xfffffec0
	s_mul_i32 s26, s8, 0x150
	s_mul_i32 s27, s20, 0xfffffeb0
	s_branch .LBB222_18
.LBB222_17:                             ;   in Loop: Header=BB222_18 Depth=2
	s_sub_i32 s8, s8, s20
	s_add_i32 s23, s23, s25
	s_add_i32 s26, s26, s27
	s_cmp_lt_i32 s8, s21
	s_cbranch_scc1 .LBB222_14
.LBB222_18:                             ;   Parent Loop BB222_15 Depth=1
                                        ; =>  This Loop Header: Depth=2
                                        ;       Child Loop BB222_19 Depth 3
                                        ;       Child Loop BB222_21 Depth 3
                                        ;         Child Loop BB222_22 Depth 4
                                        ;       Child Loop BB222_26 Depth 3
                                        ;         Child Loop BB222_28 Depth 4
	s_ashr_i32 s9, s8, 31
	v_lshl_add_u64 v[0:1], s[8:9], 4, v[8:9]
	s_mov_b32 s10, 0
	s_mov_b32 s11, s22
.LBB222_19:                             ;   Parent Loop BB222_15 Depth=1
                                        ;     Parent Loop BB222_18 Depth=2
                                        ; =>    This Inner Loop Header: Depth=3
	flat_load_dwordx4 v[10:13], v[0:1]
	s_add_i32 s11, s11, -1
	v_lshl_add_u64 v[0:1], v[0:1], 0, -16
	s_waitcnt vmcnt(0) lgkmcnt(0)
	v_mul_f64 v[2:3], s[6:7], v[12:13]
	v_mul_f64 v[14:15], s[4:5], v[12:13]
	v_fma_f64 v[12:13], s[4:5], v[10:11], -v[2:3]
	v_fmac_f64_e32 v[14:15], s[6:7], v[10:11]
	scratch_store_dwordx4 off, v[12:15], s10
	s_add_i32 s10, s10, 16
	s_cmp_eq_u32 s11, 0
	s_cbranch_scc0 .LBB222_19
; %bb.20:                               ;   in Loop: Header=BB222_18 Depth=2
	s_cmp_le_i32 s18, s8
	s_mov_b32 s12, s23
	s_mov_b32 s10, s18
	s_cbranch_scc1 .LBB222_24
.LBB222_21:                             ;   Parent Loop BB222_15 Depth=1
                                        ;     Parent Loop BB222_18 Depth=2
                                        ; =>    This Loop Header: Depth=3
                                        ;         Child Loop BB222_22 Depth 4
	s_ashr_i32 s11, s10, 31
	v_lshl_add_u64 v[0:1], s[10:11], 4, v[4:5]
	flat_load_dwordx4 v[0:3], v[0:1]
	s_mov_b32 s11, 0
	s_mov_b32 s13, s12
	;; [unrolled: 1-line block ×3, first 2 shown]
.LBB222_22:                             ;   Parent Loop BB222_15 Depth=1
                                        ;     Parent Loop BB222_18 Depth=2
                                        ;       Parent Loop BB222_21 Depth=3
                                        ; =>      This Inner Loop Header: Depth=4
	scratch_load_dwordx4 v[10:13], off, s11
	v_mov_b32_e32 v14, s13
	ds_read_b128 v[14:17], v14
	s_add_i32 s14, s14, -1
	s_addk_i32 s13, 0xfec0
	s_waitcnt vmcnt(0) lgkmcnt(0)
	v_mul_f64 v[18:19], v[2:3], v[16:17]
	v_mul_f64 v[16:17], v[0:1], v[16:17]
	v_fma_f64 v[18:19], v[0:1], v[14:15], -v[18:19]
	v_fmac_f64_e32 v[16:17], v[2:3], v[14:15]
	v_add_f64 v[10:11], v[10:11], -v[18:19]
	v_add_f64 v[12:13], v[12:13], -v[16:17]
	scratch_store_dwordx4 off, v[10:13], s11
	s_add_i32 s11, s11, 16
	s_cmp_eq_u32 s14, 0
	s_cbranch_scc0 .LBB222_22
; %bb.23:                               ;   in Loop: Header=BB222_21 Depth=3
	s_add_i32 s10, s10, -1
	s_add_i32 s12, s12, -16
	s_cmp_le_i32 s10, s8
	s_cbranch_scc0 .LBB222_21
.LBB222_24:                             ;   in Loop: Header=BB222_18 Depth=2
	s_mov_b32 s28, 0
	s_mov_b32 s29, s26
	s_branch .LBB222_26
.LBB222_25:                             ;   in Loop: Header=BB222_26 Depth=3
	s_mulk_i32 s12, 0x150
	v_mov_b32_e32 v10, s12
	ds_read_b128 v[10:13], v10
	s_lshl_b32 s12, s28, 4
	s_add_i32 s28, s28, 1
	s_addk_i32 s29, 0xfec0
	s_cmp_eq_u32 s28, s22
	s_waitcnt vmcnt(0) lgkmcnt(0)
	v_mul_f64 v[14:15], v[12:13], v[2:3]
	v_mul_f64 v[16:17], v[10:11], v[2:3]
	v_fma_f64 v[14:15], v[10:11], v[0:1], -v[14:15]
	v_fmac_f64_e32 v[16:17], v[12:13], v[0:1]
	v_lshl_add_u64 v[0:1], s[10:11], 4, v[4:5]
	scratch_store_dwordx4 off, v[14:17], s12
	flat_store_dwordx4 v[0:1], v[14:17]
	s_cbranch_scc1 .LBB222_17
.LBB222_26:                             ;   Parent Loop BB222_15 Depth=1
                                        ;     Parent Loop BB222_18 Depth=2
                                        ; =>    This Loop Header: Depth=3
                                        ;         Child Loop BB222_28 Depth 4
	s_cmp_lg_u32 s28, 0
	s_cbranch_scc0 .LBB222_30
; %bb.27:                               ;   in Loop: Header=BB222_26 Depth=3
	s_lshl_b32 s10, s28, 4
	scratch_load_dwordx4 v[0:3], off, s10
	s_mov_b32 s11, 0
	s_mov_b32 s12, s29
	;; [unrolled: 1-line block ×3, first 2 shown]
.LBB222_28:                             ;   Parent Loop BB222_15 Depth=1
                                        ;     Parent Loop BB222_18 Depth=2
                                        ;       Parent Loop BB222_26 Depth=3
                                        ; =>      This Inner Loop Header: Depth=4
	scratch_load_dwordx4 v[10:13], off, s11
	v_mov_b32_e32 v14, s12
	ds_read_b128 v[14:17], v14
	s_add_i32 s13, s13, -1
	s_add_i32 s12, s12, -16
	s_add_i32 s11, s11, 16
	s_cmp_eq_u32 s13, 0
	s_waitcnt vmcnt(0) lgkmcnt(0)
	v_mul_f64 v[18:19], v[16:17], v[12:13]
	v_mul_f64 v[12:13], v[14:15], v[12:13]
	v_fma_f64 v[14:15], v[14:15], v[10:11], -v[18:19]
	v_fmac_f64_e32 v[12:13], v[16:17], v[10:11]
	v_add_f64 v[0:1], v[0:1], -v[14:15]
	v_add_f64 v[2:3], v[2:3], -v[12:13]
	scratch_store_dwordx4 off, v[0:3], s10
	s_cbranch_scc0 .LBB222_28
; %bb.29:                               ;   in Loop: Header=BB222_26 Depth=3
	s_sub_i32 s12, s8, s28
	s_ashr_i32 s13, s12, 31
	s_mov_b64 s[10:11], s[12:13]
	s_branch .LBB222_25
.LBB222_30:                             ;   in Loop: Header=BB222_26 Depth=3
                                        ; implicit-def: $vgpr0_vgpr1
                                        ; implicit-def: $sgpr12
                                        ; implicit-def: $sgpr10_sgpr11
	s_cbranch_execz .LBB222_25
; %bb.31:                               ;   in Loop: Header=BB222_26 Depth=3
	scratch_load_dwordx4 v[0:3], off, off
	s_mov_b64 s[10:11], s[8:9]
	s_mov_b32 s12, s8
	s_branch .LBB222_25
.LBB222_32:
	s_mov_b64 s[2:3], 0
.LBB222_33:
	s_and_b64 vcc, exec, s[2:3]
	s_cbranch_vccz .LBB222_54
; %bb.34:
	s_add_u32 s0, s16, s0
	s_addc_u32 s1, s17, s1
	v_lshl_add_u64 v[6:7], v[6:7], 4, s[0:1]
	s_mov_b32 s1, 0
	s_mov_b32 s2, s1
	;; [unrolled: 1-line block ×3, first 2 shown]
	s_branch .LBB222_36
.LBB222_35:                             ;   in Loop: Header=BB222_36 Depth=1
	s_cmp_ge_i32 s2, s24
	s_cselect_b64 s[10:11], -1, 0
	s_add_i32 s8, s8, 1
	s_cmp_eq_u32 s8, 3
	s_cselect_b64 s[12:13], -1, 0
	s_or_b64 s[10:11], s[10:11], s[12:13]
	s_and_b64 vcc, exec, s[10:11]
	s_cbranch_vccnz .LBB222_54
.LBB222_36:                             ; =>This Loop Header: Depth=1
                                        ;     Child Loop BB222_39 Depth 2
                                        ;       Child Loop BB222_40 Depth 3
                                        ;       Child Loop BB222_43 Depth 3
                                        ;         Child Loop BB222_44 Depth 4
                                        ;       Child Loop BB222_48 Depth 3
                                        ;         Child Loop BB222_50 Depth 4
	s_mov_b32 s9, s1
	s_lshl_b64 s[10:11], s[8:9], 2
	s_getpc_b64 s[12:13]
	s_add_u32 s12, s12, __const._ZL30rocblas_trsm_small_left_deviceILi20ELi20ELb1E19rocblas_complex_numIdES1_PKPKS1_PKPS1_Ev13rocblas_fill_18rocblas_operation_17rocblas_diagonal_iiT3_T4_lilT5_lili.step_sizes@rel32@lo+4
	s_addc_u32 s13, s13, __const._ZL30rocblas_trsm_small_left_deviceILi20ELi20ELb1E19rocblas_complex_numIdES1_PKPKS1_PKPS1_Ev13rocblas_fill_18rocblas_operation_17rocblas_diagonal_iiT3_T4_lilT5_lili.step_sizes@rel32@hi+12
	s_add_u32 s10, s12, s10
	s_addc_u32 s11, s13, s11
	s_load_dword s10, s[10:11], 0x0
	s_waitcnt lgkmcnt(0)
	s_add_i32 s9, s10, -1
	s_add_i32 s0, s9, s2
	s_cmp_ge_i32 s0, s24
	s_cbranch_scc1 .LBB222_35
; %bb.37:                               ;   in Loop: Header=BB222_36 Depth=1
	s_ashr_i32 s3, s2, 31
	s_ashr_i32 s11, s10, 31
	s_max_i32 s16, s10, 1
	v_lshl_add_u64 v[8:9], s[2:3], 4, v[6:7]
	s_lshl_b64 s[12:13], s[10:11], 4
	s_lshl_b32 s3, s2, 4
	s_lshl_b32 s11, s10, 4
	s_mul_i32 s17, s2, 0x150
	s_mul_i32 s18, s10, 0x150
	s_branch .LBB222_39
.LBB222_38:                             ;   in Loop: Header=BB222_39 Depth=2
	s_add_i32 s2, s2, s10
	s_add_i32 s0, s9, s2
	;; [unrolled: 1-line block ×4, first 2 shown]
	s_cmp_ge_i32 s0, s24
	v_lshl_add_u64 v[8:9], v[8:9], 0, s[12:13]
	s_cbranch_scc1 .LBB222_35
.LBB222_39:                             ;   Parent Loop BB222_36 Depth=1
                                        ; =>  This Loop Header: Depth=2
                                        ;       Child Loop BB222_40 Depth 3
                                        ;       Child Loop BB222_43 Depth 3
                                        ;         Child Loop BB222_44 Depth 4
                                        ;       Child Loop BB222_48 Depth 3
                                        ;         Child Loop BB222_50 Depth 4
	s_mov_b32 s0, 0
	v_mov_b64_e32 v[0:1], v[8:9]
	s_mov_b32 s14, s16
.LBB222_40:                             ;   Parent Loop BB222_36 Depth=1
                                        ;     Parent Loop BB222_39 Depth=2
                                        ; =>    This Inner Loop Header: Depth=3
	flat_load_dwordx4 v[10:13], v[0:1]
	s_add_i32 s14, s14, -1
	v_lshl_add_u64 v[0:1], v[0:1], 0, 16
	s_waitcnt vmcnt(0) lgkmcnt(0)
	v_mul_f64 v[2:3], s[6:7], v[12:13]
	v_mul_f64 v[14:15], s[4:5], v[12:13]
	v_fma_f64 v[12:13], s[4:5], v[10:11], -v[2:3]
	v_fmac_f64_e32 v[14:15], s[6:7], v[10:11]
	scratch_store_dwordx4 off, v[12:15], s0
	s_add_i32 s0, s0, 16
	s_cmp_eq_u32 s14, 0
	s_cbranch_scc0 .LBB222_40
; %bb.41:                               ;   in Loop: Header=BB222_39 Depth=2
	s_cmp_lt_i32 s2, 1
	s_cbranch_scc1 .LBB222_46
; %bb.42:                               ;   in Loop: Header=BB222_39 Depth=2
	s_mov_b32 s0, 0
	s_mov_b32 s14, s3
.LBB222_43:                             ;   Parent Loop BB222_36 Depth=1
                                        ;     Parent Loop BB222_39 Depth=2
                                        ; =>    This Loop Header: Depth=3
                                        ;         Child Loop BB222_44 Depth 4
	v_lshl_add_u64 v[0:1], s[0:1], 4, v[4:5]
	flat_load_dwordx4 v[0:3], v[0:1]
	s_mov_b32 s15, 0
	s_mov_b32 s19, s14
	;; [unrolled: 1-line block ×3, first 2 shown]
.LBB222_44:                             ;   Parent Loop BB222_36 Depth=1
                                        ;     Parent Loop BB222_39 Depth=2
                                        ;       Parent Loop BB222_43 Depth=3
                                        ; =>      This Inner Loop Header: Depth=4
	scratch_load_dwordx4 v[10:13], off, s15
	v_mov_b32_e32 v14, s19
	ds_read_b128 v[14:17], v14
	s_add_i32 s20, s20, -1
	s_add_i32 s19, s19, 16
	s_waitcnt vmcnt(0) lgkmcnt(0)
	v_mul_f64 v[18:19], v[2:3], v[16:17]
	v_mul_f64 v[16:17], v[0:1], v[16:17]
	v_fma_f64 v[18:19], v[0:1], v[14:15], -v[18:19]
	v_fmac_f64_e32 v[16:17], v[2:3], v[14:15]
	v_add_f64 v[10:11], v[10:11], -v[18:19]
	v_add_f64 v[12:13], v[12:13], -v[16:17]
	scratch_store_dwordx4 off, v[10:13], s15
	s_add_i32 s15, s15, 16
	s_cmp_eq_u32 s20, 0
	s_cbranch_scc0 .LBB222_44
; %bb.45:                               ;   in Loop: Header=BB222_43 Depth=3
	s_add_i32 s0, s0, 1
	s_addk_i32 s14, 0x140
	s_cmp_eq_u32 s0, s2
	s_cbranch_scc0 .LBB222_43
.LBB222_46:                             ;   in Loop: Header=BB222_39 Depth=2
	s_mov_b32 s0, 0
	s_mov_b32 s19, s17
	s_branch .LBB222_48
.LBB222_47:                             ;   in Loop: Header=BB222_48 Depth=3
	s_add_i32 s14, s0, s2
	s_mul_i32 s15, s14, 0x150
	v_mov_b32_e32 v10, s15
	ds_read_b128 v[10:13], v10
	s_lshl_b32 s15, s0, 4
	s_add_i32 s0, s0, 1
	s_add_i32 s19, s19, 16
	s_waitcnt vmcnt(0) lgkmcnt(0)
	v_mul_f64 v[14:15], v[12:13], v[2:3]
	v_mul_f64 v[16:17], v[10:11], v[2:3]
	v_fma_f64 v[14:15], v[10:11], v[0:1], -v[14:15]
	v_fmac_f64_e32 v[16:17], v[12:13], v[0:1]
	scratch_store_dwordx4 off, v[14:17], s15
	s_ashr_i32 s15, s14, 31
	v_lshl_add_u64 v[0:1], s[14:15], 4, v[4:5]
	s_cmp_eq_u32 s0, s16
	flat_store_dwordx4 v[0:1], v[14:17]
	s_cbranch_scc1 .LBB222_38
.LBB222_48:                             ;   Parent Loop BB222_36 Depth=1
                                        ;     Parent Loop BB222_39 Depth=2
                                        ; =>    This Loop Header: Depth=3
                                        ;         Child Loop BB222_50 Depth 4
	s_cmp_lg_u32 s0, 0
	s_cbranch_scc0 .LBB222_52
; %bb.49:                               ;   in Loop: Header=BB222_48 Depth=3
	s_lshl_b32 s14, s0, 4
	scratch_load_dwordx4 v[0:3], off, s14
	s_mov_b32 s15, 0
	s_mov_b32 s20, s19
	;; [unrolled: 1-line block ×3, first 2 shown]
.LBB222_50:                             ;   Parent Loop BB222_36 Depth=1
                                        ;     Parent Loop BB222_39 Depth=2
                                        ;       Parent Loop BB222_48 Depth=3
                                        ; =>      This Inner Loop Header: Depth=4
	scratch_load_dwordx4 v[10:13], off, s15
	v_mov_b32_e32 v14, s20
	ds_read_b128 v[14:17], v14
	s_add_i32 s21, s21, -1
	s_addk_i32 s20, 0x140
	s_add_i32 s15, s15, 16
	s_cmp_eq_u32 s21, 0
	s_waitcnt vmcnt(0) lgkmcnt(0)
	v_mul_f64 v[18:19], v[16:17], v[12:13]
	v_mul_f64 v[12:13], v[14:15], v[12:13]
	v_fma_f64 v[14:15], v[14:15], v[10:11], -v[18:19]
	v_fmac_f64_e32 v[12:13], v[16:17], v[10:11]
	v_add_f64 v[0:1], v[0:1], -v[14:15]
	v_add_f64 v[2:3], v[2:3], -v[12:13]
	scratch_store_dwordx4 off, v[0:3], s14
	s_cbranch_scc0 .LBB222_50
; %bb.51:                               ;   in Loop: Header=BB222_48 Depth=3
	s_branch .LBB222_47
.LBB222_52:                             ;   in Loop: Header=BB222_48 Depth=3
                                        ; implicit-def: $vgpr0_vgpr1
	s_cbranch_execz .LBB222_47
; %bb.53:                               ;   in Loop: Header=BB222_48 Depth=3
	scratch_load_dwordx4 v[0:3], off, off
	s_branch .LBB222_47
.LBB222_54:
	s_endpgm
	.section	.rodata,"a",@progbits
	.p2align	6, 0x0
	.amdhsa_kernel _ZL30rocblas_trsm_small_left_deviceILi20ELi20ELb1E19rocblas_complex_numIdES1_PKPKS1_PKPS1_Ev13rocblas_fill_18rocblas_operation_17rocblas_diagonal_iiT3_T4_lilT5_lili
		.amdhsa_group_segment_fixed_size 6400
		.amdhsa_private_segment_fixed_size 336
		.amdhsa_kernarg_size 368
		.amdhsa_user_sgpr_count 2
		.amdhsa_user_sgpr_dispatch_ptr 0
		.amdhsa_user_sgpr_queue_ptr 0
		.amdhsa_user_sgpr_kernarg_segment_ptr 1
		.amdhsa_user_sgpr_dispatch_id 0
		.amdhsa_user_sgpr_kernarg_preload_length 0
		.amdhsa_user_sgpr_kernarg_preload_offset 0
		.amdhsa_user_sgpr_private_segment_size 0
		.amdhsa_uses_dynamic_stack 0
		.amdhsa_enable_private_segment 1
		.amdhsa_system_sgpr_workgroup_id_x 1
		.amdhsa_system_sgpr_workgroup_id_y 0
		.amdhsa_system_sgpr_workgroup_id_z 1
		.amdhsa_system_sgpr_workgroup_info 0
		.amdhsa_system_vgpr_workitem_id 0
		.amdhsa_next_free_vgpr 65
		.amdhsa_next_free_sgpr 75
		.amdhsa_accum_offset 20
		.amdhsa_reserve_vcc 1
		.amdhsa_float_round_mode_32 0
		.amdhsa_float_round_mode_16_64 0
		.amdhsa_float_denorm_mode_32 3
		.amdhsa_float_denorm_mode_16_64 3
		.amdhsa_dx10_clamp 1
		.amdhsa_ieee_mode 1
		.amdhsa_fp16_overflow 0
		.amdhsa_tg_split 0
		.amdhsa_exception_fp_ieee_invalid_op 0
		.amdhsa_exception_fp_denorm_src 0
		.amdhsa_exception_fp_ieee_div_zero 0
		.amdhsa_exception_fp_ieee_overflow 0
		.amdhsa_exception_fp_ieee_underflow 0
		.amdhsa_exception_fp_ieee_inexact 0
		.amdhsa_exception_int_div_zero 0
	.end_amdhsa_kernel
	.section	.text._ZL30rocblas_trsm_small_left_deviceILi20ELi20ELb1E19rocblas_complex_numIdES1_PKPKS1_PKPS1_Ev13rocblas_fill_18rocblas_operation_17rocblas_diagonal_iiT3_T4_lilT5_lili,"axG",@progbits,_ZL30rocblas_trsm_small_left_deviceILi20ELi20ELb1E19rocblas_complex_numIdES1_PKPKS1_PKPS1_Ev13rocblas_fill_18rocblas_operation_17rocblas_diagonal_iiT3_T4_lilT5_lili,comdat
.Lfunc_end222:
	.size	_ZL30rocblas_trsm_small_left_deviceILi20ELi20ELb1E19rocblas_complex_numIdES1_PKPKS1_PKPS1_Ev13rocblas_fill_18rocblas_operation_17rocblas_diagonal_iiT3_T4_lilT5_lili, .Lfunc_end222-_ZL30rocblas_trsm_small_left_deviceILi20ELi20ELb1E19rocblas_complex_numIdES1_PKPKS1_PKPS1_Ev13rocblas_fill_18rocblas_operation_17rocblas_diagonal_iiT3_T4_lilT5_lili
                                        ; -- End function
	.set _ZL30rocblas_trsm_small_left_deviceILi20ELi20ELb1E19rocblas_complex_numIdES1_PKPKS1_PKPS1_Ev13rocblas_fill_18rocblas_operation_17rocblas_diagonal_iiT3_T4_lilT5_lili.num_vgpr, 20
	.set _ZL30rocblas_trsm_small_left_deviceILi20ELi20ELb1E19rocblas_complex_numIdES1_PKPKS1_PKPS1_Ev13rocblas_fill_18rocblas_operation_17rocblas_diagonal_iiT3_T4_lilT5_lili.num_agpr, 0
	.set _ZL30rocblas_trsm_small_left_deviceILi20ELi20ELb1E19rocblas_complex_numIdES1_PKPKS1_PKPS1_Ev13rocblas_fill_18rocblas_operation_17rocblas_diagonal_iiT3_T4_lilT5_lili.numbered_sgpr, 30
	.set _ZL30rocblas_trsm_small_left_deviceILi20ELi20ELb1E19rocblas_complex_numIdES1_PKPKS1_PKPS1_Ev13rocblas_fill_18rocblas_operation_17rocblas_diagonal_iiT3_T4_lilT5_lili.num_named_barrier, 0
	.set _ZL30rocblas_trsm_small_left_deviceILi20ELi20ELb1E19rocblas_complex_numIdES1_PKPKS1_PKPS1_Ev13rocblas_fill_18rocblas_operation_17rocblas_diagonal_iiT3_T4_lilT5_lili.private_seg_size, 336
	.set _ZL30rocblas_trsm_small_left_deviceILi20ELi20ELb1E19rocblas_complex_numIdES1_PKPKS1_PKPS1_Ev13rocblas_fill_18rocblas_operation_17rocblas_diagonal_iiT3_T4_lilT5_lili.uses_vcc, 1
	.set _ZL30rocblas_trsm_small_left_deviceILi20ELi20ELb1E19rocblas_complex_numIdES1_PKPKS1_PKPS1_Ev13rocblas_fill_18rocblas_operation_17rocblas_diagonal_iiT3_T4_lilT5_lili.uses_flat_scratch, 0
	.set _ZL30rocblas_trsm_small_left_deviceILi20ELi20ELb1E19rocblas_complex_numIdES1_PKPKS1_PKPS1_Ev13rocblas_fill_18rocblas_operation_17rocblas_diagonal_iiT3_T4_lilT5_lili.has_dyn_sized_stack, 0
	.set _ZL30rocblas_trsm_small_left_deviceILi20ELi20ELb1E19rocblas_complex_numIdES1_PKPKS1_PKPS1_Ev13rocblas_fill_18rocblas_operation_17rocblas_diagonal_iiT3_T4_lilT5_lili.has_recursion, 0
	.set _ZL30rocblas_trsm_small_left_deviceILi20ELi20ELb1E19rocblas_complex_numIdES1_PKPKS1_PKPS1_Ev13rocblas_fill_18rocblas_operation_17rocblas_diagonal_iiT3_T4_lilT5_lili.has_indirect_call, 0
	.section	.AMDGPU.csdata,"",@progbits
; Kernel info:
; codeLenInByte = 2256
; TotalNumSgprs: 36
; NumVgprs: 20
; NumAgprs: 0
; TotalNumVgprs: 20
; ScratchSize: 336
; MemoryBound: 0
; FloatMode: 240
; IeeeMode: 1
; LDSByteSize: 6400 bytes/workgroup (compile time only)
; SGPRBlocks: 10
; VGPRBlocks: 8
; NumSGPRsForWavesPerEU: 81
; NumVGPRsForWavesPerEU: 65
; AccumOffset: 20
; Occupancy: 7
; WaveLimiterHint : 1
; COMPUTE_PGM_RSRC2:SCRATCH_EN: 1
; COMPUTE_PGM_RSRC2:USER_SGPR: 2
; COMPUTE_PGM_RSRC2:TRAP_HANDLER: 0
; COMPUTE_PGM_RSRC2:TGID_X_EN: 1
; COMPUTE_PGM_RSRC2:TGID_Y_EN: 0
; COMPUTE_PGM_RSRC2:TGID_Z_EN: 1
; COMPUTE_PGM_RSRC2:TIDIG_COMP_CNT: 0
; COMPUTE_PGM_RSRC3_GFX90A:ACCUM_OFFSET: 4
; COMPUTE_PGM_RSRC3_GFX90A:TG_SPLIT: 0
	.section	.text._ZL31rocblas_trsm_small_right_deviceI19rocblas_complex_numIdES1_PKPKS1_PKPS1_Li20EEv13rocblas_fill_18rocblas_operation_17rocblas_diagonal_iiT0_T1_lilT2_lili,"axG",@progbits,_ZL31rocblas_trsm_small_right_deviceI19rocblas_complex_numIdES1_PKPKS1_PKPS1_Li20EEv13rocblas_fill_18rocblas_operation_17rocblas_diagonal_iiT0_T1_lilT2_lili,comdat
	.globl	_ZL31rocblas_trsm_small_right_deviceI19rocblas_complex_numIdES1_PKPKS1_PKPS1_Li20EEv13rocblas_fill_18rocblas_operation_17rocblas_diagonal_iiT0_T1_lilT2_lili ; -- Begin function _ZL31rocblas_trsm_small_right_deviceI19rocblas_complex_numIdES1_PKPKS1_PKPS1_Li20EEv13rocblas_fill_18rocblas_operation_17rocblas_diagonal_iiT0_T1_lilT2_lili
	.p2align	8
	.type	_ZL31rocblas_trsm_small_right_deviceI19rocblas_complex_numIdES1_PKPKS1_PKPS1_Li20EEv13rocblas_fill_18rocblas_operation_17rocblas_diagonal_iiT0_T1_lilT2_lili,@function
_ZL31rocblas_trsm_small_right_deviceI19rocblas_complex_numIdES1_PKPKS1_PKPS1_Li20EEv13rocblas_fill_18rocblas_operation_17rocblas_diagonal_iiT0_T1_lilT2_lili: ; @_ZL31rocblas_trsm_small_right_deviceI19rocblas_complex_numIdES1_PKPKS1_PKPS1_Li20EEv13rocblas_fill_18rocblas_operation_17rocblas_diagonal_iiT0_T1_lilT2_lili
; %bb.0:
	s_mov_b32 s20, s3
	s_load_dwordx4 s[16:19], s[0:1], 0x48
	s_load_dwordx4 s[12:15], s[0:1], 0x0
	s_load_dword s24, s[0:1], 0x10
	s_load_dwordx8 s[4:11], s[0:1], 0x18
	s_mov_b32 s21, 0
	s_lshl_b64 s[22:23], s[20:21], 3
	s_waitcnt lgkmcnt(0)
	s_add_u32 s16, s16, s22
	s_addc_u32 s17, s17, s23
	s_load_dwordx2 s[16:17], s[16:17], 0x0
	s_min_i32 s25, s24, 20
	v_cmp_gt_i32_e32 vcc, s25, v0
	s_and_saveexec_b64 s[20:21], vcc
	s_cbranch_execz .LBB223_5
; %bb.1:
	s_load_dword s26, s[0:1], 0x38
	v_lshlrev_b32_e32 v2, 4, v0
	v_mov_b32_e32 v3, 0
	v_mov_b32_e32 v1, v2
	s_mov_b32 s3, s25
	s_waitcnt lgkmcnt(0)
	s_ashr_i32 s27, s26, 31
	s_cmpk_eq_i32 s13, 0x71
	s_cselect_b64 vcc, -1, 0
	s_add_u32 s8, s8, s22
	s_addc_u32 s9, s9, s23
	s_load_dwordx2 s[8:9], s[8:9], 0x0
	s_lshl_b64 s[10:11], s[10:11], 4
	s_waitcnt lgkmcnt(0)
	s_add_u32 s10, s8, s10
	s_addc_u32 s11, s9, s11
	s_lshl_b64 s[8:9], s[26:27], 4
	v_lshl_add_u64 v[4:5], s[10:11], 0, v[2:3]
.LBB223_2:                              ; =>This Inner Loop Header: Depth=1
	flat_load_dwordx4 v[6:9], v[4:5]
	s_add_i32 s3, s3, -1
	v_lshl_add_u64 v[4:5], v[4:5], 0, s[8:9]
	s_cmp_eq_u32 s3, 0
	s_waitcnt vmcnt(0) lgkmcnt(0)
	v_xor_b32_e32 v3, 0x80000000, v9
	v_cndmask_b32_e32 v9, v9, v3, vcc
	ds_write_b128 v1, v[6:9]
	v_add_u32_e32 v1, 0x140, v1
	s_cbranch_scc0 .LBB223_2
; %bb.3:
	s_cmpk_eq_i32 s14, 0x84
	s_cbranch_scc0 .LBB223_5
; %bb.4:
	s_movk_i32 s3, 0x140
	v_mad_u32_u24 v1, v0, s3, v2
	v_mov_b32_e32 v2, 0
	v_mov_b32_e32 v3, 0x3ff00000
	;; [unrolled: 1-line block ×4, first 2 shown]
	ds_write_b128 v1, v[2:5]
.LBB223_5:
	s_or_b64 exec, exec, s[20:21]
	s_load_dword s3, s[0:1], 0x70
	s_load_dword s8, s[0:1], 0x58
	s_lshl_b64 s[0:1], s[18:19], 4
	s_waitcnt lgkmcnt(0)
	s_add_u32 s0, s16, s0
	s_mul_i32 s9, s2, 0xffffffec
	s_addc_u32 s1, s17, s1
	s_add_i32 s3, s3, -1
	s_add_i32 s9, s15, s9
	s_cmp_ge_u32 s2, s3
	s_mul_hi_i32 s3, s2, 0x140
	s_mulk_i32 s2, 0x140
	s_cselect_b32 s9, s9, 20
	s_add_u32 s2, s0, s2
	s_addc_u32 s3, s1, s3
	v_cmp_gt_i32_e64 s[0:1], s9, v0
	s_and_saveexec_b64 s[10:11], s[0:1]
	s_cbranch_execz .LBB223_9
; %bb.6:
	s_cmp_lt_i32 s24, 1
	s_cbranch_scc1 .LBB223_9
; %bb.7:
	s_ashr_i32 s9, s8, 31
	v_lshlrev_b32_e32 v4, 4, v0
	v_mov_b32_e32 v5, 0
	v_lshl_add_u64 v[2:3], s[2:3], 0, v[4:5]
	s_lshl_b64 s[14:15], s[8:9], 4
	v_add_u32_e32 v1, 0x1900, v4
	s_mov_b32 s9, s24
.LBB223_8:                              ; =>This Inner Loop Header: Depth=1
	flat_load_dwordx4 v[4:7], v[2:3]
	s_add_i32 s9, s9, -1
	v_lshl_add_u64 v[2:3], v[2:3], 0, s[14:15]
	s_cmp_lg_u32 s9, 0
	s_waitcnt vmcnt(0) lgkmcnt(0)
	v_mul_f64 v[10:11], s[6:7], v[6:7]
	v_mul_f64 v[8:9], s[4:5], v[6:7]
	v_fma_f64 v[6:7], s[4:5], v[4:5], -v[10:11]
	v_fmac_f64_e32 v[8:9], s[6:7], v[4:5]
	ds_write_b128 v1, v[6:9]
	v_add_u32_e32 v1, 0x140, v1
	s_cbranch_scc1 .LBB223_8
.LBB223_9:
	s_or_b64 exec, exec, s[10:11]
	s_cmpk_eq_i32 s13, 0x6f
	s_cselect_b64 s[4:5], -1, 0
	s_cmpk_lg_i32 s12, 0x79
	s_cselect_b64 s[6:7], -1, 0
	s_cmpk_eq_i32 s12, 0x79
	s_cselect_b64 s[10:11], -1, 0
	s_and_b64 s[10:11], s[10:11], s[4:5]
	s_andn2_b64 vcc, exec, s[10:11]
	s_mov_b64 s[10:11], -1
	s_waitcnt lgkmcnt(0)
	; wave barrier
	s_cbranch_vccz .LBB223_110
; %bb.10:
	s_cmpk_lg_i32 s12, 0x7a
	s_cselect_b64 s[12:13], -1, 0
	s_xor_b64 s[4:5], s[4:5], -1
	s_add_i32 s9, s25, -1
	s_or_b64 s[12:13], s[12:13], s[4:5]
	v_mov_b32_e32 v1, 0x1900
	s_cmp_gt_i32 s24, 3
	v_lshl_add_u32 v1, v0, 4, v1
	s_cselect_b64 s[4:5], -1, 0
	s_and_b64 vcc, exec, s[12:13]
	s_cbranch_vccz .LBB223_77
; %bb.11:
	s_andn2_b64 vcc, exec, s[6:7]
	s_mov_b64 s[6:7], -1
	s_cbranch_vccnz .LBB223_44
; %bb.12:
	s_andn2_b64 vcc, exec, s[4:5]
	s_mov_b32 s12, 0
	s_cbranch_vccnz .LBB223_34
; %bb.13:
	v_mov_b32_e32 v2, 0x1900
	v_lshl_add_u32 v26, v0, 4, v2
	s_mov_b32 s10, 0
	s_mov_b32 s11, 0
.LBB223_14:                             ; =>This Loop Header: Depth=1
                                        ;     Child Loop BB223_15 Depth 2
	s_or_b32 s7, s11, 3
	s_mul_i32 s6, s11, 0x140
	v_add_u32_e32 v28, s6, v1
	s_mulk_i32 s7, 0x140
	ds_read_b128 v[18:21], v28
	ds_read_b128 v[14:17], v28 offset:320
	v_add_u32_e32 v27, s7, v1
	ds_read_b128 v[6:9], v28 offset:640
	ds_read_b128 v[2:5], v27
	s_cmp_eq_u32 s11, 0
	v_mov_b32_e32 v10, v26
	s_mov_b32 s7, s10
	s_mov_b32 s12, s11
	s_cbranch_scc1 .LBB223_16
.LBB223_15:                             ;   Parent Loop BB223_14 Depth=1
                                        ; =>  This Inner Loop Header: Depth=2
	v_mov_b32_e32 v11, s7
	ds_read_b128 v[22:25], v10
	ds_read_b128 v[30:33], v11
	ds_read_b128 v[34:37], v11 offset:16
	ds_read_b128 v[38:41], v11 offset:32
	;; [unrolled: 1-line block ×3, first 2 shown]
	s_add_i32 s12, s12, -1
	s_addk_i32 s7, 0x140
	v_add_u32_e32 v10, 0x140, v10
	s_waitcnt lgkmcnt(3)
	v_mul_f64 v[12:13], v[24:25], v[32:33]
	v_mul_f64 v[32:33], v[22:23], v[32:33]
	s_waitcnt lgkmcnt(2)
	v_mul_f64 v[46:47], v[24:25], v[36:37]
	v_mul_f64 v[36:37], v[22:23], v[36:37]
	;; [unrolled: 3-line block ×4, first 2 shown]
	v_fma_f64 v[12:13], v[22:23], v[30:31], -v[12:13]
	v_fmac_f64_e32 v[32:33], v[24:25], v[30:31]
	v_fma_f64 v[30:31], v[22:23], v[34:35], -v[46:47]
	v_fmac_f64_e32 v[36:37], v[24:25], v[34:35]
	v_fma_f64 v[34:35], v[22:23], v[38:39], -v[48:49]
	v_fmac_f64_e32 v[40:41], v[24:25], v[38:39]
	v_fma_f64 v[22:23], v[22:23], v[42:43], -v[50:51]
	v_fmac_f64_e32 v[44:45], v[24:25], v[42:43]
	s_cmp_eq_u32 s12, 0
	v_add_f64 v[18:19], v[18:19], -v[12:13]
	v_add_f64 v[20:21], v[20:21], -v[32:33]
	;; [unrolled: 1-line block ×8, first 2 shown]
	s_cbranch_scc0 .LBB223_15
.LBB223_16:                             ;   in Loop: Header=BB223_14 Depth=1
	s_lshl_b32 s12, s11, 4
	s_add_i32 s13, s12, s6
	v_mov_b32_e32 v10, s13
	ds_read_b128 v[22:25], v10
	s_mov_b64 s[6:7], -1
                                        ; implicit-def: $vgpr12_vgpr13
	s_waitcnt lgkmcnt(0)
	v_cmp_ngt_f64_e64 s[14:15], |v[22:23]|, |v[24:25]|
	s_and_b64 vcc, exec, s[14:15]
	s_cbranch_vccz .LBB223_18
; %bb.17:                               ;   in Loop: Header=BB223_14 Depth=1
	v_div_scale_f64 v[10:11], s[6:7], v[24:25], v[24:25], v[22:23]
	v_rcp_f64_e32 v[12:13], v[10:11]
	v_div_scale_f64 v[30:31], vcc, v[22:23], v[24:25], v[22:23]
	v_fma_f64 v[32:33], -v[10:11], v[12:13], 1.0
	v_fmac_f64_e32 v[12:13], v[12:13], v[32:33]
	v_fma_f64 v[32:33], -v[10:11], v[12:13], 1.0
	v_fmac_f64_e32 v[12:13], v[12:13], v[32:33]
	v_mul_f64 v[32:33], v[30:31], v[12:13]
	v_fma_f64 v[10:11], -v[10:11], v[32:33], v[30:31]
	v_div_fmas_f64 v[10:11], v[10:11], v[12:13], v[32:33]
	v_div_fixup_f64 v[12:13], v[10:11], v[24:25], v[22:23]
	v_fma_f64 v[10:11], v[22:23], v[12:13], v[24:25]
	v_div_scale_f64 v[30:31], s[6:7], v[10:11], v[10:11], 1.0
	v_rcp_f64_e32 v[32:33], v[30:31]
	s_mov_b64 s[6:7], 0
	v_fma_f64 v[34:35], -v[30:31], v[32:33], 1.0
	v_fmac_f64_e32 v[32:33], v[32:33], v[34:35]
	v_fma_f64 v[34:35], -v[30:31], v[32:33], 1.0
	v_fmac_f64_e32 v[32:33], v[32:33], v[34:35]
	v_div_scale_f64 v[34:35], vcc, 1.0, v[10:11], 1.0
	v_mul_f64 v[36:37], v[34:35], v[32:33]
	v_fma_f64 v[30:31], -v[30:31], v[36:37], v[34:35]
	s_nop 1
	v_div_fmas_f64 v[30:31], v[30:31], v[32:33], v[36:37]
	v_div_fixup_f64 v[30:31], v[30:31], v[10:11], 1.0
	v_fma_f64 v[10:11], v[18:19], v[12:13], v[20:21]
	v_fma_f64 v[12:13], v[20:21], v[12:13], -v[18:19]
	v_mul_f64 v[10:11], v[10:11], v[30:31]
	v_mul_f64 v[12:13], v[12:13], v[30:31]
.LBB223_18:                             ;   in Loop: Header=BB223_14 Depth=1
	s_andn2_b64 vcc, exec, s[6:7]
	s_cbranch_vccnz .LBB223_20
; %bb.19:                               ;   in Loop: Header=BB223_14 Depth=1
	v_div_scale_f64 v[10:11], s[6:7], v[22:23], v[22:23], v[24:25]
	v_rcp_f64_e32 v[12:13], v[10:11]
	v_div_scale_f64 v[30:31], vcc, v[24:25], v[22:23], v[24:25]
	v_fma_f64 v[32:33], -v[10:11], v[12:13], 1.0
	v_fmac_f64_e32 v[12:13], v[12:13], v[32:33]
	v_fma_f64 v[32:33], -v[10:11], v[12:13], 1.0
	v_fmac_f64_e32 v[12:13], v[12:13], v[32:33]
	v_mul_f64 v[32:33], v[30:31], v[12:13]
	v_fma_f64 v[10:11], -v[10:11], v[32:33], v[30:31]
	v_div_fmas_f64 v[10:11], v[10:11], v[12:13], v[32:33]
	v_div_fixup_f64 v[12:13], v[10:11], v[22:23], v[24:25]
	v_fmac_f64_e32 v[22:23], v[24:25], v[12:13]
	v_div_scale_f64 v[10:11], s[6:7], v[22:23], v[22:23], 1.0
	v_rcp_f64_e32 v[24:25], v[10:11]
	s_nop 0
	v_fma_f64 v[30:31], -v[10:11], v[24:25], 1.0
	v_fmac_f64_e32 v[24:25], v[24:25], v[30:31]
	v_fma_f64 v[30:31], -v[10:11], v[24:25], 1.0
	v_fmac_f64_e32 v[24:25], v[24:25], v[30:31]
	v_div_scale_f64 v[30:31], vcc, 1.0, v[22:23], 1.0
	v_mul_f64 v[32:33], v[30:31], v[24:25]
	v_fma_f64 v[10:11], -v[10:11], v[32:33], v[30:31]
	s_nop 1
	v_div_fmas_f64 v[10:11], v[10:11], v[24:25], v[32:33]
	v_div_fixup_f64 v[22:23], v[10:11], v[22:23], 1.0
	v_fma_f64 v[10:11], v[20:21], v[12:13], v[18:19]
	v_fma_f64 v[12:13], -v[18:19], v[12:13], v[20:21]
	v_mul_f64 v[10:11], v[10:11], v[22:23]
	v_mul_f64 v[12:13], v[12:13], v[22:23]
.LBB223_20:                             ;   in Loop: Header=BB223_14 Depth=1
	v_mov_b32_e32 v18, s13
	ds_read_b128 v[22:25], v18 offset:16
	ds_read_b128 v[18:21], v18 offset:336
	s_mov_b64 s[6:7], -1
	ds_write_b128 v28, v[10:13]
	s_waitcnt lgkmcnt(2)
	v_mul_f64 v[30:31], v[12:13], v[24:25]
	v_mul_f64 v[24:25], v[10:11], v[24:25]
	v_fma_f64 v[30:31], v[10:11], v[22:23], -v[30:31]
	v_fmac_f64_e32 v[24:25], v[12:13], v[22:23]
	s_waitcnt lgkmcnt(1)
	v_cmp_ngt_f64_e64 s[14:15], |v[18:19]|, |v[20:21]|
	v_add_f64 v[22:23], v[14:15], -v[30:31]
	v_add_f64 v[24:25], v[16:17], -v[24:25]
	s_and_b64 vcc, exec, s[14:15]
                                        ; implicit-def: $vgpr16_vgpr17
	s_cbranch_vccz .LBB223_22
; %bb.21:                               ;   in Loop: Header=BB223_14 Depth=1
	v_div_scale_f64 v[14:15], s[6:7], v[20:21], v[20:21], v[18:19]
	v_rcp_f64_e32 v[16:17], v[14:15]
	v_div_scale_f64 v[30:31], vcc, v[18:19], v[20:21], v[18:19]
	v_fma_f64 v[32:33], -v[14:15], v[16:17], 1.0
	v_fmac_f64_e32 v[16:17], v[16:17], v[32:33]
	v_fma_f64 v[32:33], -v[14:15], v[16:17], 1.0
	v_fmac_f64_e32 v[16:17], v[16:17], v[32:33]
	v_mul_f64 v[32:33], v[30:31], v[16:17]
	v_fma_f64 v[14:15], -v[14:15], v[32:33], v[30:31]
	v_div_fmas_f64 v[14:15], v[14:15], v[16:17], v[32:33]
	v_div_fixup_f64 v[16:17], v[14:15], v[20:21], v[18:19]
	v_fma_f64 v[14:15], v[18:19], v[16:17], v[20:21]
	v_div_scale_f64 v[30:31], s[6:7], v[14:15], v[14:15], 1.0
	v_rcp_f64_e32 v[32:33], v[30:31]
	s_mov_b64 s[6:7], 0
	v_fma_f64 v[34:35], -v[30:31], v[32:33], 1.0
	v_fmac_f64_e32 v[32:33], v[32:33], v[34:35]
	v_fma_f64 v[34:35], -v[30:31], v[32:33], 1.0
	v_fmac_f64_e32 v[32:33], v[32:33], v[34:35]
	v_div_scale_f64 v[34:35], vcc, 1.0, v[14:15], 1.0
	v_mul_f64 v[36:37], v[34:35], v[32:33]
	v_fma_f64 v[30:31], -v[30:31], v[36:37], v[34:35]
	s_nop 1
	v_div_fmas_f64 v[30:31], v[30:31], v[32:33], v[36:37]
	v_div_fixup_f64 v[30:31], v[30:31], v[14:15], 1.0
	v_fma_f64 v[14:15], v[16:17], v[22:23], v[24:25]
	v_fma_f64 v[16:17], v[16:17], v[24:25], -v[22:23]
	v_mul_f64 v[14:15], v[14:15], v[30:31]
	v_mul_f64 v[16:17], v[16:17], v[30:31]
.LBB223_22:                             ;   in Loop: Header=BB223_14 Depth=1
	s_andn2_b64 vcc, exec, s[6:7]
	s_cbranch_vccnz .LBB223_24
; %bb.23:                               ;   in Loop: Header=BB223_14 Depth=1
	v_div_scale_f64 v[14:15], s[6:7], v[18:19], v[18:19], v[20:21]
	v_rcp_f64_e32 v[16:17], v[14:15]
	v_div_scale_f64 v[30:31], vcc, v[20:21], v[18:19], v[20:21]
	v_fma_f64 v[32:33], -v[14:15], v[16:17], 1.0
	v_fmac_f64_e32 v[16:17], v[16:17], v[32:33]
	v_fma_f64 v[32:33], -v[14:15], v[16:17], 1.0
	v_fmac_f64_e32 v[16:17], v[16:17], v[32:33]
	v_mul_f64 v[32:33], v[30:31], v[16:17]
	v_fma_f64 v[14:15], -v[14:15], v[32:33], v[30:31]
	v_div_fmas_f64 v[14:15], v[14:15], v[16:17], v[32:33]
	v_div_fixup_f64 v[16:17], v[14:15], v[18:19], v[20:21]
	v_fmac_f64_e32 v[18:19], v[20:21], v[16:17]
	v_div_scale_f64 v[14:15], s[6:7], v[18:19], v[18:19], 1.0
	v_rcp_f64_e32 v[20:21], v[14:15]
	s_nop 0
	v_fma_f64 v[30:31], -v[14:15], v[20:21], 1.0
	v_fmac_f64_e32 v[20:21], v[20:21], v[30:31]
	v_fma_f64 v[30:31], -v[14:15], v[20:21], 1.0
	v_fmac_f64_e32 v[20:21], v[20:21], v[30:31]
	v_div_scale_f64 v[30:31], vcc, 1.0, v[18:19], 1.0
	v_mul_f64 v[32:33], v[30:31], v[20:21]
	v_fma_f64 v[14:15], -v[14:15], v[32:33], v[30:31]
	s_nop 1
	v_div_fmas_f64 v[14:15], v[14:15], v[20:21], v[32:33]
	v_div_fixup_f64 v[18:19], v[14:15], v[18:19], 1.0
	v_fma_f64 v[14:15], v[16:17], v[24:25], v[22:23]
	v_fma_f64 v[16:17], -v[16:17], v[22:23], v[24:25]
	v_mul_f64 v[14:15], v[14:15], v[18:19]
	v_mul_f64 v[16:17], v[16:17], v[18:19]
.LBB223_24:                             ;   in Loop: Header=BB223_14 Depth=1
	v_mov_b32_e32 v18, s13
	ds_read_b128 v[22:25], v18 offset:32
	s_add_i32 s15, s13, 0x150
	s_or_b32 s6, s12, 16
	s_sub_i32 s14, s15, s6
	s_add_i32 s14, s14, s12
	s_waitcnt lgkmcnt(0)
	v_mul_f64 v[30:31], v[12:13], v[24:25]
	v_mov_b32_e32 v29, s14
	ds_read_b128 v[18:21], v18 offset:672
	v_fma_f64 v[34:35], v[10:11], v[22:23], -v[30:31]
	ds_read_b128 v[30:33], v29 offset:32
	v_mul_f64 v[24:25], v[10:11], v[24:25]
	v_fmac_f64_e32 v[24:25], v[12:13], v[22:23]
	v_add_f64 v[8:9], v[8:9], -v[24:25]
	v_add_f64 v[6:7], v[6:7], -v[34:35]
	s_waitcnt lgkmcnt(0)
	v_mul_f64 v[22:23], v[16:17], v[32:33]
	v_mul_f64 v[24:25], v[14:15], v[32:33]
	v_fma_f64 v[22:23], v[14:15], v[30:31], -v[22:23]
	v_fmac_f64_e32 v[24:25], v[16:17], v[30:31]
	v_cmp_ngt_f64_e64 s[16:17], |v[18:19]|, |v[20:21]|
	v_add_f64 v[6:7], v[6:7], -v[22:23]
	v_add_f64 v[8:9], v[8:9], -v[24:25]
	s_mov_b64 s[6:7], -1
	s_and_b64 vcc, exec, s[16:17]
	ds_write_b128 v28, v[14:17] offset:320
                                        ; implicit-def: $vgpr24_vgpr25
	s_cbranch_vccz .LBB223_26
; %bb.25:                               ;   in Loop: Header=BB223_14 Depth=1
	v_div_scale_f64 v[22:23], s[6:7], v[20:21], v[20:21], v[18:19]
	v_rcp_f64_e32 v[24:25], v[22:23]
	v_div_scale_f64 v[30:31], vcc, v[18:19], v[20:21], v[18:19]
	v_fma_f64 v[32:33], -v[22:23], v[24:25], 1.0
	v_fmac_f64_e32 v[24:25], v[24:25], v[32:33]
	v_fma_f64 v[32:33], -v[22:23], v[24:25], 1.0
	v_fmac_f64_e32 v[24:25], v[24:25], v[32:33]
	v_mul_f64 v[32:33], v[30:31], v[24:25]
	v_fma_f64 v[22:23], -v[22:23], v[32:33], v[30:31]
	v_div_fmas_f64 v[22:23], v[22:23], v[24:25], v[32:33]
	v_div_fixup_f64 v[24:25], v[22:23], v[20:21], v[18:19]
	v_fma_f64 v[22:23], v[18:19], v[24:25], v[20:21]
	v_div_scale_f64 v[30:31], s[6:7], v[22:23], v[22:23], 1.0
	v_rcp_f64_e32 v[32:33], v[30:31]
	s_mov_b64 s[6:7], 0
	v_fma_f64 v[34:35], -v[30:31], v[32:33], 1.0
	v_fmac_f64_e32 v[32:33], v[32:33], v[34:35]
	v_fma_f64 v[34:35], -v[30:31], v[32:33], 1.0
	v_fmac_f64_e32 v[32:33], v[32:33], v[34:35]
	v_div_scale_f64 v[34:35], vcc, 1.0, v[22:23], 1.0
	v_mul_f64 v[36:37], v[34:35], v[32:33]
	v_fma_f64 v[30:31], -v[30:31], v[36:37], v[34:35]
	s_nop 1
	v_div_fmas_f64 v[30:31], v[30:31], v[32:33], v[36:37]
	v_div_fixup_f64 v[30:31], v[30:31], v[22:23], 1.0
	v_fma_f64 v[22:23], v[24:25], v[6:7], v[8:9]
	v_fma_f64 v[24:25], v[24:25], v[8:9], -v[6:7]
	v_mul_f64 v[22:23], v[22:23], v[30:31]
	v_mul_f64 v[24:25], v[24:25], v[30:31]
.LBB223_26:                             ;   in Loop: Header=BB223_14 Depth=1
	s_andn2_b64 vcc, exec, s[6:7]
	s_cbranch_vccnz .LBB223_28
; %bb.27:                               ;   in Loop: Header=BB223_14 Depth=1
	v_div_scale_f64 v[22:23], s[6:7], v[18:19], v[18:19], v[20:21]
	v_rcp_f64_e32 v[24:25], v[22:23]
	v_div_scale_f64 v[30:31], vcc, v[20:21], v[18:19], v[20:21]
	v_fma_f64 v[32:33], -v[22:23], v[24:25], 1.0
	v_fmac_f64_e32 v[24:25], v[24:25], v[32:33]
	v_fma_f64 v[32:33], -v[22:23], v[24:25], 1.0
	v_fmac_f64_e32 v[24:25], v[24:25], v[32:33]
	v_mul_f64 v[32:33], v[30:31], v[24:25]
	v_fma_f64 v[22:23], -v[22:23], v[32:33], v[30:31]
	v_div_fmas_f64 v[22:23], v[22:23], v[24:25], v[32:33]
	v_div_fixup_f64 v[24:25], v[22:23], v[18:19], v[20:21]
	v_fmac_f64_e32 v[18:19], v[20:21], v[24:25]
	v_div_scale_f64 v[20:21], s[6:7], v[18:19], v[18:19], 1.0
	v_rcp_f64_e32 v[22:23], v[20:21]
	s_nop 0
	v_fma_f64 v[30:31], -v[20:21], v[22:23], 1.0
	v_fmac_f64_e32 v[22:23], v[22:23], v[30:31]
	v_fma_f64 v[30:31], -v[20:21], v[22:23], 1.0
	v_fmac_f64_e32 v[22:23], v[22:23], v[30:31]
	v_div_scale_f64 v[30:31], vcc, 1.0, v[18:19], 1.0
	v_mul_f64 v[32:33], v[30:31], v[22:23]
	v_fma_f64 v[20:21], -v[20:21], v[32:33], v[30:31]
	s_nop 1
	v_div_fmas_f64 v[20:21], v[20:21], v[22:23], v[32:33]
	v_div_fixup_f64 v[18:19], v[20:21], v[18:19], 1.0
	v_fma_f64 v[20:21], v[24:25], v[8:9], v[6:7]
	v_fma_f64 v[6:7], -v[24:25], v[6:7], v[8:9]
	v_mul_f64 v[22:23], v[20:21], v[18:19]
	v_mul_f64 v[24:25], v[6:7], v[18:19]
.LBB223_28:                             ;   in Loop: Header=BB223_14 Depth=1
	v_mov_b32_e32 v6, s13
	ds_read_b128 v[18:21], v6 offset:48
	s_or_b32 s6, s12, 32
	ds_write_b128 v28, v[22:25] offset:640
	s_sub_i32 s6, s15, s6
	s_add_i32 s6, s6, s12
	s_waitcnt lgkmcnt(1)
	v_mul_f64 v[28:29], v[12:13], v[20:21]
	v_fma_f64 v[28:29], v[10:11], v[18:19], -v[28:29]
	v_mul_f64 v[20:21], v[10:11], v[20:21]
	v_fmac_f64_e32 v[20:21], v[12:13], v[18:19]
	v_add_f64 v[18:19], v[2:3], -v[28:29]
	v_mov_b32_e32 v2, s14
	ds_read_b128 v[6:9], v6 offset:1008
	ds_read_b128 v[10:13], v2 offset:48
	v_mov_b32_e32 v2, s6
	v_add_f64 v[20:21], v[4:5], -v[20:21]
	ds_read_b128 v[2:5], v2 offset:384
	s_waitcnt lgkmcnt(2)
	v_cmp_ngt_f64_e64 s[12:13], |v[6:7]|, |v[8:9]|
	s_waitcnt lgkmcnt(1)
	v_mul_f64 v[28:29], v[16:17], v[12:13]
	v_mul_f64 v[12:13], v[14:15], v[12:13]
	v_fma_f64 v[28:29], v[14:15], v[10:11], -v[28:29]
	v_fmac_f64_e32 v[12:13], v[16:17], v[10:11]
	s_waitcnt lgkmcnt(0)
	v_mul_f64 v[14:15], v[24:25], v[4:5]
	v_mul_f64 v[4:5], v[22:23], v[4:5]
	v_add_f64 v[10:11], v[18:19], -v[28:29]
	v_add_f64 v[12:13], v[20:21], -v[12:13]
	v_fma_f64 v[14:15], v[22:23], v[2:3], -v[14:15]
	v_fmac_f64_e32 v[4:5], v[24:25], v[2:3]
	v_add_f64 v[10:11], v[10:11], -v[14:15]
	v_add_f64 v[12:13], v[12:13], -v[4:5]
	s_mov_b64 s[6:7], -1
	s_and_b64 vcc, exec, s[12:13]
                                        ; implicit-def: $vgpr4_vgpr5
	s_cbranch_vccz .LBB223_30
; %bb.29:                               ;   in Loop: Header=BB223_14 Depth=1
	v_div_scale_f64 v[2:3], s[6:7], v[8:9], v[8:9], v[6:7]
	v_rcp_f64_e32 v[4:5], v[2:3]
	v_div_scale_f64 v[14:15], vcc, v[6:7], v[8:9], v[6:7]
	v_fma_f64 v[16:17], -v[2:3], v[4:5], 1.0
	v_fmac_f64_e32 v[4:5], v[4:5], v[16:17]
	v_fma_f64 v[16:17], -v[2:3], v[4:5], 1.0
	v_fmac_f64_e32 v[4:5], v[4:5], v[16:17]
	v_mul_f64 v[16:17], v[14:15], v[4:5]
	v_fma_f64 v[2:3], -v[2:3], v[16:17], v[14:15]
	v_div_fmas_f64 v[2:3], v[2:3], v[4:5], v[16:17]
	v_div_fixup_f64 v[4:5], v[2:3], v[8:9], v[6:7]
	v_fma_f64 v[2:3], v[6:7], v[4:5], v[8:9]
	v_div_scale_f64 v[14:15], s[6:7], v[2:3], v[2:3], 1.0
	v_rcp_f64_e32 v[16:17], v[14:15]
	s_mov_b64 s[6:7], 0
	v_fma_f64 v[18:19], -v[14:15], v[16:17], 1.0
	v_fmac_f64_e32 v[16:17], v[16:17], v[18:19]
	v_fma_f64 v[18:19], -v[14:15], v[16:17], 1.0
	v_fmac_f64_e32 v[16:17], v[16:17], v[18:19]
	v_div_scale_f64 v[18:19], vcc, 1.0, v[2:3], 1.0
	v_mul_f64 v[20:21], v[18:19], v[16:17]
	v_fma_f64 v[14:15], -v[14:15], v[20:21], v[18:19]
	s_nop 1
	v_div_fmas_f64 v[14:15], v[14:15], v[16:17], v[20:21]
	v_div_fixup_f64 v[14:15], v[14:15], v[2:3], 1.0
	v_fma_f64 v[2:3], v[4:5], v[10:11], v[12:13]
	v_fma_f64 v[4:5], v[4:5], v[12:13], -v[10:11]
	v_mul_f64 v[2:3], v[2:3], v[14:15]
	v_mul_f64 v[4:5], v[4:5], v[14:15]
.LBB223_30:                             ;   in Loop: Header=BB223_14 Depth=1
	s_andn2_b64 vcc, exec, s[6:7]
	s_cbranch_vccnz .LBB223_32
; %bb.31:                               ;   in Loop: Header=BB223_14 Depth=1
	v_div_scale_f64 v[2:3], s[6:7], v[6:7], v[6:7], v[8:9]
	v_rcp_f64_e32 v[4:5], v[2:3]
	v_div_scale_f64 v[14:15], vcc, v[8:9], v[6:7], v[8:9]
	v_fma_f64 v[16:17], -v[2:3], v[4:5], 1.0
	v_fmac_f64_e32 v[4:5], v[4:5], v[16:17]
	v_fma_f64 v[16:17], -v[2:3], v[4:5], 1.0
	v_fmac_f64_e32 v[4:5], v[4:5], v[16:17]
	v_mul_f64 v[16:17], v[14:15], v[4:5]
	v_fma_f64 v[2:3], -v[2:3], v[16:17], v[14:15]
	v_div_fmas_f64 v[2:3], v[2:3], v[4:5], v[16:17]
	v_div_fixup_f64 v[4:5], v[2:3], v[6:7], v[8:9]
	v_fmac_f64_e32 v[6:7], v[8:9], v[4:5]
	v_div_scale_f64 v[2:3], s[6:7], v[6:7], v[6:7], 1.0
	v_rcp_f64_e32 v[8:9], v[2:3]
	s_nop 0
	v_fma_f64 v[14:15], -v[2:3], v[8:9], 1.0
	v_fmac_f64_e32 v[8:9], v[8:9], v[14:15]
	v_fma_f64 v[14:15], -v[2:3], v[8:9], 1.0
	v_fmac_f64_e32 v[8:9], v[8:9], v[14:15]
	v_div_scale_f64 v[14:15], vcc, 1.0, v[6:7], 1.0
	v_mul_f64 v[16:17], v[14:15], v[8:9]
	v_fma_f64 v[2:3], -v[2:3], v[16:17], v[14:15]
	s_nop 1
	v_div_fmas_f64 v[2:3], v[2:3], v[8:9], v[16:17]
	v_div_fixup_f64 v[6:7], v[2:3], v[6:7], 1.0
	v_fma_f64 v[2:3], v[4:5], v[12:13], v[10:11]
	v_fma_f64 v[4:5], -v[4:5], v[10:11], v[12:13]
	v_mul_f64 v[2:3], v[2:3], v[6:7]
	v_mul_f64 v[4:5], v[4:5], v[6:7]
.LBB223_32:                             ;   in Loop: Header=BB223_14 Depth=1
	s_add_i32 s12, s11, 4
	s_add_i32 s6, s11, 7
	;; [unrolled: 1-line block ×3, first 2 shown]
	s_cmp_ge_i32 s6, s25
	ds_write_b128 v27, v[2:5]
	s_cbranch_scc1 .LBB223_34
; %bb.33:                               ;   in Loop: Header=BB223_14 Depth=1
	s_mov_b32 s11, s12
	s_branch .LBB223_14
.LBB223_34:
	s_cmp_ge_i32 s12, s25
	s_cbranch_scc1 .LBB223_43
; %bb.35:
	v_mov_b32_e32 v2, 0x1900
	s_lshl_b32 s10, s12, 4
	v_lshl_add_u32 v14, v0, 4, v2
	s_branch .LBB223_37
.LBB223_36:                             ;   in Loop: Header=BB223_37 Depth=1
	s_add_i32 s12, s12, 1
	s_add_i32 s10, s10, 16
	s_cmp_ge_i32 s12, s25
	ds_write_b128 v15, v[10:13]
	s_cbranch_scc1 .LBB223_43
.LBB223_37:                             ; =>This Loop Header: Depth=1
                                        ;     Child Loop BB223_38 Depth 2
	s_mul_i32 s6, s12, 0x140
	v_add_u32_e32 v15, s6, v1
	ds_read_b128 v[2:5], v15
	s_cmp_eq_u32 s12, 0
	v_mov_b32_e32 v6, v14
	s_mov_b32 s7, s10
	s_mov_b32 s11, s12
	s_cbranch_scc1 .LBB223_39
.LBB223_38:                             ;   Parent Loop BB223_37 Depth=1
                                        ; =>  This Inner Loop Header: Depth=2
	v_mov_b32_e32 v7, s7
	ds_read_b128 v[8:11], v6
	ds_read_b128 v[16:19], v7
	s_add_i32 s11, s11, -1
	s_addk_i32 s7, 0x140
	v_add_u32_e32 v6, 0x140, v6
	s_cmp_eq_u32 s11, 0
	s_waitcnt lgkmcnt(0)
	v_mul_f64 v[12:13], v[18:19], v[10:11]
	v_mul_f64 v[10:11], v[16:17], v[10:11]
	v_fma_f64 v[12:13], v[16:17], v[8:9], -v[12:13]
	v_fmac_f64_e32 v[10:11], v[18:19], v[8:9]
	v_add_f64 v[2:3], v[2:3], -v[12:13]
	v_add_f64 v[4:5], v[4:5], -v[10:11]
	s_cbranch_scc0 .LBB223_38
.LBB223_39:                             ;   in Loop: Header=BB223_37 Depth=1
	s_lshl_b32 s7, s12, 4
	s_add_i32 s6, s7, s6
	v_mov_b32_e32 v6, s6
	ds_read_b128 v[6:9], v6
	s_mov_b64 s[6:7], -1
                                        ; implicit-def: $vgpr10_vgpr11
	s_waitcnt lgkmcnt(0)
	v_cmp_ngt_f64_e64 s[14:15], |v[6:7]|, |v[8:9]|
	s_and_b64 vcc, exec, s[14:15]
	s_cbranch_vccz .LBB223_41
; %bb.40:                               ;   in Loop: Header=BB223_37 Depth=1
	v_div_scale_f64 v[10:11], s[6:7], v[8:9], v[8:9], v[6:7]
	v_rcp_f64_e32 v[12:13], v[10:11]
	v_div_scale_f64 v[16:17], vcc, v[6:7], v[8:9], v[6:7]
	v_fma_f64 v[18:19], -v[10:11], v[12:13], 1.0
	v_fmac_f64_e32 v[12:13], v[12:13], v[18:19]
	v_fma_f64 v[18:19], -v[10:11], v[12:13], 1.0
	v_fmac_f64_e32 v[12:13], v[12:13], v[18:19]
	v_mul_f64 v[18:19], v[16:17], v[12:13]
	v_fma_f64 v[10:11], -v[10:11], v[18:19], v[16:17]
	v_div_fmas_f64 v[10:11], v[10:11], v[12:13], v[18:19]
	v_div_fixup_f64 v[12:13], v[10:11], v[8:9], v[6:7]
	v_fma_f64 v[10:11], v[6:7], v[12:13], v[8:9]
	v_div_scale_f64 v[16:17], s[6:7], v[10:11], v[10:11], 1.0
	v_rcp_f64_e32 v[18:19], v[16:17]
	s_mov_b64 s[6:7], 0
	v_fma_f64 v[20:21], -v[16:17], v[18:19], 1.0
	v_fmac_f64_e32 v[18:19], v[18:19], v[20:21]
	v_fma_f64 v[20:21], -v[16:17], v[18:19], 1.0
	v_fmac_f64_e32 v[18:19], v[18:19], v[20:21]
	v_div_scale_f64 v[20:21], vcc, 1.0, v[10:11], 1.0
	v_mul_f64 v[22:23], v[20:21], v[18:19]
	v_fma_f64 v[16:17], -v[16:17], v[22:23], v[20:21]
	s_nop 1
	v_div_fmas_f64 v[16:17], v[16:17], v[18:19], v[22:23]
	v_div_fixup_f64 v[16:17], v[16:17], v[10:11], 1.0
	v_fma_f64 v[10:11], v[2:3], v[12:13], v[4:5]
	v_fma_f64 v[12:13], v[4:5], v[12:13], -v[2:3]
	v_mul_f64 v[10:11], v[10:11], v[16:17]
	v_mul_f64 v[12:13], v[12:13], v[16:17]
.LBB223_41:                             ;   in Loop: Header=BB223_37 Depth=1
	s_andn2_b64 vcc, exec, s[6:7]
	s_cbranch_vccnz .LBB223_36
; %bb.42:                               ;   in Loop: Header=BB223_37 Depth=1
	v_div_scale_f64 v[10:11], s[6:7], v[6:7], v[6:7], v[8:9]
	v_rcp_f64_e32 v[12:13], v[10:11]
	v_div_scale_f64 v[16:17], vcc, v[8:9], v[6:7], v[8:9]
	v_fma_f64 v[18:19], -v[10:11], v[12:13], 1.0
	v_fmac_f64_e32 v[12:13], v[12:13], v[18:19]
	v_fma_f64 v[18:19], -v[10:11], v[12:13], 1.0
	v_fmac_f64_e32 v[12:13], v[12:13], v[18:19]
	v_mul_f64 v[18:19], v[16:17], v[12:13]
	v_fma_f64 v[10:11], -v[10:11], v[18:19], v[16:17]
	v_div_fmas_f64 v[10:11], v[10:11], v[12:13], v[18:19]
	v_div_fixup_f64 v[12:13], v[10:11], v[6:7], v[8:9]
	v_fmac_f64_e32 v[6:7], v[8:9], v[12:13]
	v_div_scale_f64 v[8:9], s[6:7], v[6:7], v[6:7], 1.0
	v_rcp_f64_e32 v[10:11], v[8:9]
	s_nop 0
	v_fma_f64 v[16:17], -v[8:9], v[10:11], 1.0
	v_fmac_f64_e32 v[10:11], v[10:11], v[16:17]
	v_fma_f64 v[16:17], -v[8:9], v[10:11], 1.0
	v_fmac_f64_e32 v[10:11], v[10:11], v[16:17]
	v_div_scale_f64 v[16:17], vcc, 1.0, v[6:7], 1.0
	v_mul_f64 v[18:19], v[16:17], v[10:11]
	v_fma_f64 v[8:9], -v[8:9], v[18:19], v[16:17]
	s_nop 1
	v_div_fmas_f64 v[8:9], v[8:9], v[10:11], v[18:19]
	v_div_fixup_f64 v[6:7], v[8:9], v[6:7], 1.0
	v_fma_f64 v[8:9], v[4:5], v[12:13], v[2:3]
	v_fma_f64 v[2:3], -v[2:3], v[12:13], v[4:5]
	v_mul_f64 v[10:11], v[8:9], v[6:7]
	v_mul_f64 v[12:13], v[2:3], v[6:7]
	s_branch .LBB223_36
.LBB223_43:
	s_mov_b64 s[6:7], 0
.LBB223_44:
	s_and_b64 vcc, exec, s[6:7]
	s_cbranch_vccz .LBB223_76
; %bb.45:
	s_andn2_b64 vcc, exec, s[4:5]
	s_mov_b32 s12, s9
	s_cbranch_vccnz .LBB223_67
; %bb.46:
	s_mul_i32 s6, s25, 0x150
	s_add_i32 s10, s6, 0xfffffe80
	s_mul_i32 s6, s25, 0x140
	v_lshl_add_u32 v2, v0, 4, s6
	v_add_u32_e32 v26, 0x17c0, v2
	s_mov_b32 s11, s9
.LBB223_47:                             ; =>This Loop Header: Depth=1
                                        ;     Child Loop BB223_48 Depth 2
	s_mul_i32 s6, s11, 0x140
	v_add_u32_e32 v30, s6, v1
	v_add_u32_e32 v28, 0xfffffd80, v30
	s_add_i32 s7, s6, 0xfffffc40
	v_add_u32_e32 v29, 0xfffffec0, v30
	ds_read_b128 v[18:21], v30
	ds_read_b128 v[14:17], v29
	v_add_u32_e32 v27, s7, v1
	ds_read_b128 v[6:9], v28
	ds_read_b128 v[2:5], v27
	s_cmp_le_i32 s9, s11
	v_mov_b32_e32 v10, v26
	s_mov_b32 s7, s10
	s_mov_b32 s12, s9
	s_cbranch_scc1 .LBB223_49
.LBB223_48:                             ;   Parent Loop BB223_47 Depth=1
                                        ; =>  This Inner Loop Header: Depth=2
	v_mov_b32_e32 v11, s7
	ds_read_b128 v[22:25], v10
	ds_read_b128 v[32:35], v11 offset:48
	ds_read_b128 v[36:39], v11 offset:32
	ds_read_b128 v[40:43], v11
	ds_read_b128 v[44:47], v11 offset:16
	s_add_i32 s12, s12, -1
	s_addk_i32 s7, 0xfec0
	v_add_u32_e32 v10, 0xfffffec0, v10
	s_waitcnt lgkmcnt(3)
	v_mul_f64 v[12:13], v[24:25], v[34:35]
	v_mul_f64 v[34:35], v[22:23], v[34:35]
	s_waitcnt lgkmcnt(2)
	v_mul_f64 v[48:49], v[24:25], v[38:39]
	v_mul_f64 v[38:39], v[22:23], v[38:39]
	s_waitcnt lgkmcnt(0)
	v_mul_f64 v[50:51], v[24:25], v[46:47]
	v_mul_f64 v[46:47], v[22:23], v[46:47]
	v_mul_f64 v[52:53], v[24:25], v[42:43]
	v_mul_f64 v[42:43], v[22:23], v[42:43]
	v_fma_f64 v[12:13], v[22:23], v[32:33], -v[12:13]
	v_fmac_f64_e32 v[34:35], v[24:25], v[32:33]
	v_fma_f64 v[32:33], v[22:23], v[36:37], -v[48:49]
	v_fmac_f64_e32 v[38:39], v[24:25], v[36:37]
	;; [unrolled: 2-line block ×4, first 2 shown]
	s_cmp_le_i32 s12, s11
	v_add_f64 v[18:19], v[18:19], -v[12:13]
	v_add_f64 v[20:21], v[20:21], -v[34:35]
	;; [unrolled: 1-line block ×8, first 2 shown]
	s_cbranch_scc0 .LBB223_48
.LBB223_49:                             ;   in Loop: Header=BB223_47 Depth=1
	s_lshl_b32 s13, s11, 4
	s_add_i32 s13, s13, s6
	v_mov_b32_e32 v10, s13
	ds_read_b128 v[22:25], v10
	s_add_i32 s12, s11, -3
	s_mov_b64 s[6:7], -1
                                        ; implicit-def: $vgpr12_vgpr13
	s_waitcnt lgkmcnt(0)
	v_cmp_ngt_f64_e64 s[14:15], |v[22:23]|, |v[24:25]|
	s_and_b64 vcc, exec, s[14:15]
	s_cbranch_vccz .LBB223_51
; %bb.50:                               ;   in Loop: Header=BB223_47 Depth=1
	v_div_scale_f64 v[10:11], s[6:7], v[24:25], v[24:25], v[22:23]
	v_rcp_f64_e32 v[12:13], v[10:11]
	v_div_scale_f64 v[32:33], vcc, v[22:23], v[24:25], v[22:23]
	v_fma_f64 v[34:35], -v[10:11], v[12:13], 1.0
	v_fmac_f64_e32 v[12:13], v[12:13], v[34:35]
	v_fma_f64 v[34:35], -v[10:11], v[12:13], 1.0
	v_fmac_f64_e32 v[12:13], v[12:13], v[34:35]
	v_mul_f64 v[34:35], v[32:33], v[12:13]
	v_fma_f64 v[10:11], -v[10:11], v[34:35], v[32:33]
	v_div_fmas_f64 v[10:11], v[10:11], v[12:13], v[34:35]
	v_div_fixup_f64 v[12:13], v[10:11], v[24:25], v[22:23]
	v_fma_f64 v[10:11], v[22:23], v[12:13], v[24:25]
	v_div_scale_f64 v[32:33], s[6:7], v[10:11], v[10:11], 1.0
	v_rcp_f64_e32 v[34:35], v[32:33]
	s_mov_b64 s[6:7], 0
	v_fma_f64 v[36:37], -v[32:33], v[34:35], 1.0
	v_fmac_f64_e32 v[34:35], v[34:35], v[36:37]
	v_fma_f64 v[36:37], -v[32:33], v[34:35], 1.0
	v_fmac_f64_e32 v[34:35], v[34:35], v[36:37]
	v_div_scale_f64 v[36:37], vcc, 1.0, v[10:11], 1.0
	v_mul_f64 v[38:39], v[36:37], v[34:35]
	v_fma_f64 v[32:33], -v[32:33], v[38:39], v[36:37]
	s_nop 1
	v_div_fmas_f64 v[32:33], v[32:33], v[34:35], v[38:39]
	v_div_fixup_f64 v[32:33], v[32:33], v[10:11], 1.0
	v_fma_f64 v[10:11], v[18:19], v[12:13], v[20:21]
	v_fma_f64 v[12:13], v[20:21], v[12:13], -v[18:19]
	v_mul_f64 v[10:11], v[10:11], v[32:33]
	v_mul_f64 v[12:13], v[12:13], v[32:33]
.LBB223_51:                             ;   in Loop: Header=BB223_47 Depth=1
	s_andn2_b64 vcc, exec, s[6:7]
	s_cbranch_vccnz .LBB223_53
; %bb.52:                               ;   in Loop: Header=BB223_47 Depth=1
	v_div_scale_f64 v[10:11], s[6:7], v[22:23], v[22:23], v[24:25]
	v_rcp_f64_e32 v[12:13], v[10:11]
	v_div_scale_f64 v[32:33], vcc, v[24:25], v[22:23], v[24:25]
	v_fma_f64 v[34:35], -v[10:11], v[12:13], 1.0
	v_fmac_f64_e32 v[12:13], v[12:13], v[34:35]
	v_fma_f64 v[34:35], -v[10:11], v[12:13], 1.0
	v_fmac_f64_e32 v[12:13], v[12:13], v[34:35]
	v_mul_f64 v[34:35], v[32:33], v[12:13]
	v_fma_f64 v[10:11], -v[10:11], v[34:35], v[32:33]
	v_div_fmas_f64 v[10:11], v[10:11], v[12:13], v[34:35]
	v_div_fixup_f64 v[12:13], v[10:11], v[22:23], v[24:25]
	v_fmac_f64_e32 v[22:23], v[24:25], v[12:13]
	v_div_scale_f64 v[10:11], s[6:7], v[22:23], v[22:23], 1.0
	v_rcp_f64_e32 v[24:25], v[10:11]
	s_nop 0
	v_fma_f64 v[32:33], -v[10:11], v[24:25], 1.0
	v_fmac_f64_e32 v[24:25], v[24:25], v[32:33]
	v_fma_f64 v[32:33], -v[10:11], v[24:25], 1.0
	v_fmac_f64_e32 v[24:25], v[24:25], v[32:33]
	v_div_scale_f64 v[32:33], vcc, 1.0, v[22:23], 1.0
	v_mul_f64 v[34:35], v[32:33], v[24:25]
	v_fma_f64 v[10:11], -v[10:11], v[34:35], v[32:33]
	s_nop 1
	v_div_fmas_f64 v[10:11], v[10:11], v[24:25], v[34:35]
	v_div_fixup_f64 v[22:23], v[10:11], v[22:23], 1.0
	v_fma_f64 v[10:11], v[20:21], v[12:13], v[18:19]
	v_fma_f64 v[12:13], -v[18:19], v[12:13], v[20:21]
	v_mul_f64 v[10:11], v[10:11], v[22:23]
	v_mul_f64 v[12:13], v[12:13], v[22:23]
.LBB223_53:                             ;   in Loop: Header=BB223_47 Depth=1
	s_add_i32 s6, s13, -16
	v_mov_b32_e32 v18, s6
	s_add_i32 s14, s13, 0xfffffeb0
	ds_read_b128 v[22:25], v18
	v_mov_b32_e32 v18, s14
	ds_read_b128 v[18:21], v18
	ds_write_b128 v30, v[10:13]
	s_mov_b64 s[6:7], -1
	s_waitcnt lgkmcnt(2)
	v_mul_f64 v[30:31], v[12:13], v[24:25]
	v_mul_f64 v[24:25], v[10:11], v[24:25]
	v_fma_f64 v[30:31], v[10:11], v[22:23], -v[30:31]
	v_fmac_f64_e32 v[24:25], v[12:13], v[22:23]
	s_waitcnt lgkmcnt(1)
	v_cmp_ngt_f64_e64 s[16:17], |v[18:19]|, |v[20:21]|
	v_add_f64 v[22:23], v[14:15], -v[30:31]
	v_add_f64 v[24:25], v[16:17], -v[24:25]
	s_and_b64 vcc, exec, s[16:17]
                                        ; implicit-def: $vgpr16_vgpr17
	s_cbranch_vccz .LBB223_55
; %bb.54:                               ;   in Loop: Header=BB223_47 Depth=1
	v_div_scale_f64 v[14:15], s[6:7], v[20:21], v[20:21], v[18:19]
	v_rcp_f64_e32 v[16:17], v[14:15]
	v_div_scale_f64 v[30:31], vcc, v[18:19], v[20:21], v[18:19]
	v_fma_f64 v[32:33], -v[14:15], v[16:17], 1.0
	v_fmac_f64_e32 v[16:17], v[16:17], v[32:33]
	v_fma_f64 v[32:33], -v[14:15], v[16:17], 1.0
	v_fmac_f64_e32 v[16:17], v[16:17], v[32:33]
	v_mul_f64 v[32:33], v[30:31], v[16:17]
	v_fma_f64 v[14:15], -v[14:15], v[32:33], v[30:31]
	v_div_fmas_f64 v[14:15], v[14:15], v[16:17], v[32:33]
	v_div_fixup_f64 v[16:17], v[14:15], v[20:21], v[18:19]
	v_fma_f64 v[14:15], v[18:19], v[16:17], v[20:21]
	v_div_scale_f64 v[30:31], s[6:7], v[14:15], v[14:15], 1.0
	v_rcp_f64_e32 v[32:33], v[30:31]
	s_mov_b64 s[6:7], 0
	v_fma_f64 v[34:35], -v[30:31], v[32:33], 1.0
	v_fmac_f64_e32 v[32:33], v[32:33], v[34:35]
	v_fma_f64 v[34:35], -v[30:31], v[32:33], 1.0
	v_fmac_f64_e32 v[32:33], v[32:33], v[34:35]
	v_div_scale_f64 v[34:35], vcc, 1.0, v[14:15], 1.0
	v_mul_f64 v[36:37], v[34:35], v[32:33]
	v_fma_f64 v[30:31], -v[30:31], v[36:37], v[34:35]
	s_nop 1
	v_div_fmas_f64 v[30:31], v[30:31], v[32:33], v[36:37]
	v_div_fixup_f64 v[30:31], v[30:31], v[14:15], 1.0
	v_fma_f64 v[14:15], v[16:17], v[22:23], v[24:25]
	v_fma_f64 v[16:17], v[16:17], v[24:25], -v[22:23]
	v_mul_f64 v[14:15], v[14:15], v[30:31]
	v_mul_f64 v[16:17], v[16:17], v[30:31]
.LBB223_55:                             ;   in Loop: Header=BB223_47 Depth=1
	s_andn2_b64 vcc, exec, s[6:7]
	s_cbranch_vccnz .LBB223_57
; %bb.56:                               ;   in Loop: Header=BB223_47 Depth=1
	v_div_scale_f64 v[14:15], s[6:7], v[18:19], v[18:19], v[20:21]
	v_rcp_f64_e32 v[16:17], v[14:15]
	v_div_scale_f64 v[30:31], vcc, v[20:21], v[18:19], v[20:21]
	v_fma_f64 v[32:33], -v[14:15], v[16:17], 1.0
	v_fmac_f64_e32 v[16:17], v[16:17], v[32:33]
	v_fma_f64 v[32:33], -v[14:15], v[16:17], 1.0
	v_fmac_f64_e32 v[16:17], v[16:17], v[32:33]
	v_mul_f64 v[32:33], v[30:31], v[16:17]
	v_fma_f64 v[14:15], -v[14:15], v[32:33], v[30:31]
	v_div_fmas_f64 v[14:15], v[14:15], v[16:17], v[32:33]
	v_div_fixup_f64 v[16:17], v[14:15], v[18:19], v[20:21]
	v_fmac_f64_e32 v[18:19], v[20:21], v[16:17]
	v_div_scale_f64 v[14:15], s[6:7], v[18:19], v[18:19], 1.0
	v_rcp_f64_e32 v[20:21], v[14:15]
	s_nop 0
	v_fma_f64 v[30:31], -v[14:15], v[20:21], 1.0
	v_fmac_f64_e32 v[20:21], v[20:21], v[30:31]
	v_fma_f64 v[30:31], -v[14:15], v[20:21], 1.0
	v_fmac_f64_e32 v[20:21], v[20:21], v[30:31]
	v_div_scale_f64 v[30:31], vcc, 1.0, v[18:19], 1.0
	v_mul_f64 v[32:33], v[30:31], v[20:21]
	v_fma_f64 v[14:15], -v[14:15], v[32:33], v[30:31]
	s_nop 1
	v_div_fmas_f64 v[14:15], v[14:15], v[20:21], v[32:33]
	v_div_fixup_f64 v[18:19], v[14:15], v[18:19], 1.0
	v_fma_f64 v[14:15], v[16:17], v[24:25], v[22:23]
	v_fma_f64 v[16:17], -v[16:17], v[22:23], v[24:25]
	v_mul_f64 v[14:15], v[14:15], v[18:19]
	v_mul_f64 v[16:17], v[16:17], v[18:19]
.LBB223_57:                             ;   in Loop: Header=BB223_47 Depth=1
	s_add_i32 s6, s11, -1
	s_add_i32 s7, s11, -2
	s_sub_i32 s15, s13, 32
	s_lshl_b32 s6, s6, 4
	v_mov_b32_e32 v18, s15
	s_sub_i32 s16, s14, s6
	s_lshl_b32 s14, s7, 4
	ds_read_b128 v[18:21], v18
	s_add_i32 s6, s16, s14
	v_mov_b32_e32 v22, s6
	ds_read_b128 v[22:25], v22
	s_add_i32 s15, s13, 0xfffffd60
	s_waitcnt lgkmcnt(1)
	v_mul_f64 v[30:31], v[12:13], v[20:21]
	v_fma_f64 v[30:31], v[10:11], v[18:19], -v[30:31]
	v_mul_f64 v[20:21], v[10:11], v[20:21]
	v_fmac_f64_e32 v[20:21], v[12:13], v[18:19]
	v_add_f64 v[18:19], v[6:7], -v[30:31]
	s_waitcnt lgkmcnt(0)
	v_mul_f64 v[6:7], v[16:17], v[24:25]
	v_fma_f64 v[30:31], v[14:15], v[22:23], -v[6:7]
	v_mov_b32_e32 v6, s15
	v_add_f64 v[20:21], v[8:9], -v[20:21]
	ds_read_b128 v[6:9], v6
	v_mul_f64 v[24:25], v[14:15], v[24:25]
	v_fmac_f64_e32 v[24:25], v[16:17], v[22:23]
	v_add_f64 v[22:23], v[18:19], -v[30:31]
	v_add_f64 v[24:25], v[20:21], -v[24:25]
	s_waitcnt lgkmcnt(0)
	v_cmp_ngt_f64_e64 s[18:19], |v[6:7]|, |v[8:9]|
	s_mov_b64 s[6:7], -1
	s_and_b64 vcc, exec, s[18:19]
	ds_write_b128 v29, v[14:17]
                                        ; implicit-def: $vgpr20_vgpr21
	s_cbranch_vccz .LBB223_59
; %bb.58:                               ;   in Loop: Header=BB223_47 Depth=1
	v_div_scale_f64 v[18:19], s[6:7], v[8:9], v[8:9], v[6:7]
	v_rcp_f64_e32 v[20:21], v[18:19]
	v_div_scale_f64 v[30:31], vcc, v[6:7], v[8:9], v[6:7]
	v_fma_f64 v[32:33], -v[18:19], v[20:21], 1.0
	v_fmac_f64_e32 v[20:21], v[20:21], v[32:33]
	v_fma_f64 v[32:33], -v[18:19], v[20:21], 1.0
	v_fmac_f64_e32 v[20:21], v[20:21], v[32:33]
	v_mul_f64 v[32:33], v[30:31], v[20:21]
	v_fma_f64 v[18:19], -v[18:19], v[32:33], v[30:31]
	v_div_fmas_f64 v[18:19], v[18:19], v[20:21], v[32:33]
	v_div_fixup_f64 v[20:21], v[18:19], v[8:9], v[6:7]
	v_fma_f64 v[18:19], v[6:7], v[20:21], v[8:9]
	v_div_scale_f64 v[30:31], s[6:7], v[18:19], v[18:19], 1.0
	v_rcp_f64_e32 v[32:33], v[30:31]
	s_mov_b64 s[6:7], 0
	v_fma_f64 v[34:35], -v[30:31], v[32:33], 1.0
	v_fmac_f64_e32 v[32:33], v[32:33], v[34:35]
	v_fma_f64 v[34:35], -v[30:31], v[32:33], 1.0
	v_fmac_f64_e32 v[32:33], v[32:33], v[34:35]
	v_div_scale_f64 v[34:35], vcc, 1.0, v[18:19], 1.0
	v_mul_f64 v[36:37], v[34:35], v[32:33]
	v_fma_f64 v[30:31], -v[30:31], v[36:37], v[34:35]
	s_nop 1
	v_div_fmas_f64 v[30:31], v[30:31], v[32:33], v[36:37]
	v_div_fixup_f64 v[30:31], v[30:31], v[18:19], 1.0
	v_fma_f64 v[18:19], v[20:21], v[22:23], v[24:25]
	v_fma_f64 v[20:21], v[20:21], v[24:25], -v[22:23]
	v_mul_f64 v[18:19], v[18:19], v[30:31]
	v_mul_f64 v[20:21], v[20:21], v[30:31]
.LBB223_59:                             ;   in Loop: Header=BB223_47 Depth=1
	s_andn2_b64 vcc, exec, s[6:7]
	s_cbranch_vccnz .LBB223_61
; %bb.60:                               ;   in Loop: Header=BB223_47 Depth=1
	v_div_scale_f64 v[18:19], s[6:7], v[6:7], v[6:7], v[8:9]
	v_rcp_f64_e32 v[20:21], v[18:19]
	v_div_scale_f64 v[30:31], vcc, v[8:9], v[6:7], v[8:9]
	v_fma_f64 v[32:33], -v[18:19], v[20:21], 1.0
	v_fmac_f64_e32 v[20:21], v[20:21], v[32:33]
	v_fma_f64 v[32:33], -v[18:19], v[20:21], 1.0
	v_fmac_f64_e32 v[20:21], v[20:21], v[32:33]
	v_mul_f64 v[32:33], v[30:31], v[20:21]
	v_fma_f64 v[18:19], -v[18:19], v[32:33], v[30:31]
	v_div_fmas_f64 v[18:19], v[18:19], v[20:21], v[32:33]
	v_div_fixup_f64 v[20:21], v[18:19], v[6:7], v[8:9]
	v_fmac_f64_e32 v[6:7], v[8:9], v[20:21]
	v_div_scale_f64 v[8:9], s[6:7], v[6:7], v[6:7], 1.0
	v_rcp_f64_e32 v[18:19], v[8:9]
	s_nop 0
	v_fma_f64 v[30:31], -v[8:9], v[18:19], 1.0
	v_fmac_f64_e32 v[18:19], v[18:19], v[30:31]
	v_fma_f64 v[30:31], -v[8:9], v[18:19], 1.0
	v_fmac_f64_e32 v[18:19], v[18:19], v[30:31]
	v_div_scale_f64 v[30:31], vcc, 1.0, v[6:7], 1.0
	v_mul_f64 v[32:33], v[30:31], v[18:19]
	v_fma_f64 v[8:9], -v[8:9], v[32:33], v[30:31]
	s_nop 1
	v_div_fmas_f64 v[8:9], v[8:9], v[18:19], v[32:33]
	v_div_fixup_f64 v[6:7], v[8:9], v[6:7], 1.0
	v_fma_f64 v[8:9], v[20:21], v[24:25], v[22:23]
	v_mul_f64 v[18:19], v[8:9], v[6:7]
	v_fma_f64 v[8:9], -v[20:21], v[22:23], v[24:25]
	v_mul_f64 v[20:21], v[8:9], v[6:7]
.LBB223_61:                             ;   in Loop: Header=BB223_47 Depth=1
	s_sub_i32 s6, s13, 48
	v_mov_b32_e32 v6, s6
	s_lshl_b32 s6, s12, 4
	s_add_i32 s7, s16, s6
	ds_read_b128 v[6:9], v6
	v_mov_b32_e32 v22, s7
	ds_read_b128 v[22:25], v22
	ds_write_b128 v28, v[18:21]
	s_sub_i32 s7, s15, s14
	s_waitcnt lgkmcnt(2)
	v_mul_f64 v[28:29], v[12:13], v[8:9]
	v_mul_f64 v[8:9], v[10:11], v[8:9]
	v_fma_f64 v[28:29], v[10:11], v[6:7], -v[28:29]
	v_fmac_f64_e32 v[8:9], v[12:13], v[6:7]
	s_waitcnt lgkmcnt(1)
	v_mul_f64 v[6:7], v[16:17], v[24:25]
	v_add_f64 v[2:3], v[2:3], -v[28:29]
	v_fma_f64 v[6:7], v[14:15], v[22:23], -v[6:7]
	s_add_i32 s6, s7, s6
	v_mul_f64 v[10:11], v[14:15], v[24:25]
	v_add_f64 v[12:13], v[2:3], -v[6:7]
	v_mov_b32_e32 v2, s6
	s_add_i32 s6, s15, 0xfffffeb0
	v_add_f64 v[4:5], v[4:5], -v[8:9]
	v_fmac_f64_e32 v[10:11], v[16:17], v[22:23]
	ds_read_b128 v[6:9], v2
	v_mov_b32_e32 v2, s6
	v_add_f64 v[14:15], v[4:5], -v[10:11]
	ds_read_b128 v[2:5], v2
	s_mov_b64 s[6:7], -1
	s_waitcnt lgkmcnt(1)
	v_mul_f64 v[10:11], v[20:21], v[8:9]
	v_mul_f64 v[8:9], v[18:19], v[8:9]
	v_fma_f64 v[10:11], v[18:19], v[6:7], -v[10:11]
	v_fmac_f64_e32 v[8:9], v[20:21], v[6:7]
	s_waitcnt lgkmcnt(0)
	v_cmp_ngt_f64_e64 s[12:13], |v[2:3]|, |v[4:5]|
	v_add_f64 v[10:11], v[12:13], -v[10:11]
	v_add_f64 v[12:13], v[14:15], -v[8:9]
	s_and_b64 vcc, exec, s[12:13]
                                        ; implicit-def: $vgpr8_vgpr9
	s_cbranch_vccz .LBB223_63
; %bb.62:                               ;   in Loop: Header=BB223_47 Depth=1
	v_div_scale_f64 v[6:7], s[6:7], v[4:5], v[4:5], v[2:3]
	v_rcp_f64_e32 v[8:9], v[6:7]
	v_div_scale_f64 v[14:15], vcc, v[2:3], v[4:5], v[2:3]
	v_fma_f64 v[16:17], -v[6:7], v[8:9], 1.0
	v_fmac_f64_e32 v[8:9], v[8:9], v[16:17]
	v_fma_f64 v[16:17], -v[6:7], v[8:9], 1.0
	v_fmac_f64_e32 v[8:9], v[8:9], v[16:17]
	v_mul_f64 v[16:17], v[14:15], v[8:9]
	v_fma_f64 v[6:7], -v[6:7], v[16:17], v[14:15]
	v_div_fmas_f64 v[6:7], v[6:7], v[8:9], v[16:17]
	v_div_fixup_f64 v[8:9], v[6:7], v[4:5], v[2:3]
	v_fma_f64 v[6:7], v[2:3], v[8:9], v[4:5]
	v_div_scale_f64 v[14:15], s[6:7], v[6:7], v[6:7], 1.0
	v_rcp_f64_e32 v[16:17], v[14:15]
	s_mov_b64 s[6:7], 0
	v_fma_f64 v[18:19], -v[14:15], v[16:17], 1.0
	v_fmac_f64_e32 v[16:17], v[16:17], v[18:19]
	v_fma_f64 v[18:19], -v[14:15], v[16:17], 1.0
	v_fmac_f64_e32 v[16:17], v[16:17], v[18:19]
	v_div_scale_f64 v[18:19], vcc, 1.0, v[6:7], 1.0
	v_mul_f64 v[20:21], v[18:19], v[16:17]
	v_fma_f64 v[14:15], -v[14:15], v[20:21], v[18:19]
	s_nop 1
	v_div_fmas_f64 v[14:15], v[14:15], v[16:17], v[20:21]
	v_div_fixup_f64 v[14:15], v[14:15], v[6:7], 1.0
	v_fma_f64 v[6:7], v[8:9], v[10:11], v[12:13]
	v_fma_f64 v[8:9], v[8:9], v[12:13], -v[10:11]
	v_mul_f64 v[6:7], v[6:7], v[14:15]
	v_mul_f64 v[8:9], v[8:9], v[14:15]
.LBB223_63:                             ;   in Loop: Header=BB223_47 Depth=1
	s_andn2_b64 vcc, exec, s[6:7]
	s_cbranch_vccnz .LBB223_65
; %bb.64:                               ;   in Loop: Header=BB223_47 Depth=1
	v_div_scale_f64 v[6:7], s[6:7], v[2:3], v[2:3], v[4:5]
	v_rcp_f64_e32 v[8:9], v[6:7]
	v_div_scale_f64 v[14:15], vcc, v[4:5], v[2:3], v[4:5]
	v_fma_f64 v[16:17], -v[6:7], v[8:9], 1.0
	v_fmac_f64_e32 v[8:9], v[8:9], v[16:17]
	v_fma_f64 v[16:17], -v[6:7], v[8:9], 1.0
	v_fmac_f64_e32 v[8:9], v[8:9], v[16:17]
	v_mul_f64 v[16:17], v[14:15], v[8:9]
	v_fma_f64 v[6:7], -v[6:7], v[16:17], v[14:15]
	v_div_fmas_f64 v[6:7], v[6:7], v[8:9], v[16:17]
	v_div_fixup_f64 v[8:9], v[6:7], v[2:3], v[4:5]
	v_fmac_f64_e32 v[2:3], v[4:5], v[8:9]
	v_div_scale_f64 v[4:5], s[6:7], v[2:3], v[2:3], 1.0
	v_rcp_f64_e32 v[6:7], v[4:5]
	s_nop 0
	v_fma_f64 v[14:15], -v[4:5], v[6:7], 1.0
	v_fmac_f64_e32 v[6:7], v[6:7], v[14:15]
	v_fma_f64 v[14:15], -v[4:5], v[6:7], 1.0
	v_fmac_f64_e32 v[6:7], v[6:7], v[14:15]
	v_div_scale_f64 v[14:15], vcc, 1.0, v[2:3], 1.0
	v_mul_f64 v[16:17], v[14:15], v[6:7]
	v_fma_f64 v[4:5], -v[4:5], v[16:17], v[14:15]
	s_nop 1
	v_div_fmas_f64 v[4:5], v[4:5], v[6:7], v[16:17]
	v_div_fixup_f64 v[2:3], v[4:5], v[2:3], 1.0
	v_fma_f64 v[4:5], v[8:9], v[12:13], v[10:11]
	v_mul_f64 v[6:7], v[4:5], v[2:3]
	v_fma_f64 v[4:5], -v[8:9], v[10:11], v[12:13]
	v_mul_f64 v[8:9], v[4:5], v[2:3]
.LBB223_65:                             ;   in Loop: Header=BB223_47 Depth=1
	s_add_i32 s12, s11, -4
	s_sub_i32 s10, s10, 64
	s_cmp_lt_i32 s11, 7
	ds_write_b128 v27, v[6:9]
	s_cbranch_scc1 .LBB223_67
; %bb.66:                               ;   in Loop: Header=BB223_47 Depth=1
	s_mov_b32 s11, s12
	s_branch .LBB223_47
.LBB223_67:
	s_cmp_lt_i32 s12, 0
	s_cbranch_scc1 .LBB223_76
; %bb.68:
	s_mul_i32 s6, s25, 0x140
	s_lshl_b32 s7, s12, 4
	s_add_i32 s7, s6, s7
	v_lshl_add_u32 v2, v0, 4, s6
	s_add_i32 s10, s7, 0xfffffec0
	v_add_u32_e32 v14, 0x17c0, v2
	s_branch .LBB223_70
.LBB223_69:                             ;   in Loop: Header=BB223_70 Depth=1
	v_sub_co_u32_e64 v2, s[6:7], s12, 1
	s_nop 0
	v_readfirstlane_b32 s12, v2
	s_add_i32 s10, s10, -16
	s_and_b64 vcc, exec, s[6:7]
	ds_write_b128 v15, v[10:13]
	s_cbranch_vccnz .LBB223_76
.LBB223_70:                             ; =>This Loop Header: Depth=1
                                        ;     Child Loop BB223_71 Depth 2
	s_mul_i32 s6, s12, 0x140
	v_add_u32_e32 v15, s6, v1
	ds_read_b128 v[2:5], v15
	s_cmp_le_i32 s9, s12
	v_mov_b32_e32 v6, v14
	s_mov_b32 s7, s10
	s_mov_b32 s11, s9
	s_cbranch_scc1 .LBB223_72
.LBB223_71:                             ;   Parent Loop BB223_70 Depth=1
                                        ; =>  This Inner Loop Header: Depth=2
	v_mov_b32_e32 v7, s7
	ds_read_b128 v[8:11], v6
	ds_read_b128 v[16:19], v7
	s_add_i32 s11, s11, -1
	s_addk_i32 s7, 0xfec0
	v_add_u32_e32 v6, 0xfffffec0, v6
	s_cmp_le_u32 s11, s12
	s_waitcnt lgkmcnt(0)
	v_mul_f64 v[12:13], v[18:19], v[10:11]
	v_mul_f64 v[10:11], v[16:17], v[10:11]
	v_fma_f64 v[12:13], v[16:17], v[8:9], -v[12:13]
	v_fmac_f64_e32 v[10:11], v[18:19], v[8:9]
	v_add_f64 v[2:3], v[2:3], -v[12:13]
	v_add_f64 v[4:5], v[4:5], -v[10:11]
	s_cbranch_scc0 .LBB223_71
.LBB223_72:                             ;   in Loop: Header=BB223_70 Depth=1
	s_lshl_b32 s7, s12, 4
	s_add_i32 s6, s7, s6
	v_mov_b32_e32 v6, s6
	ds_read_b128 v[6:9], v6
	s_mov_b64 s[6:7], -1
                                        ; implicit-def: $vgpr10_vgpr11
	s_waitcnt lgkmcnt(0)
	v_cmp_ngt_f64_e64 s[14:15], |v[6:7]|, |v[8:9]|
	s_and_b64 vcc, exec, s[14:15]
	s_cbranch_vccz .LBB223_74
; %bb.73:                               ;   in Loop: Header=BB223_70 Depth=1
	v_div_scale_f64 v[10:11], s[6:7], v[8:9], v[8:9], v[6:7]
	v_rcp_f64_e32 v[12:13], v[10:11]
	v_div_scale_f64 v[16:17], vcc, v[6:7], v[8:9], v[6:7]
	v_fma_f64 v[18:19], -v[10:11], v[12:13], 1.0
	v_fmac_f64_e32 v[12:13], v[12:13], v[18:19]
	v_fma_f64 v[18:19], -v[10:11], v[12:13], 1.0
	v_fmac_f64_e32 v[12:13], v[12:13], v[18:19]
	v_mul_f64 v[18:19], v[16:17], v[12:13]
	v_fma_f64 v[10:11], -v[10:11], v[18:19], v[16:17]
	v_div_fmas_f64 v[10:11], v[10:11], v[12:13], v[18:19]
	v_div_fixup_f64 v[12:13], v[10:11], v[8:9], v[6:7]
	v_fma_f64 v[10:11], v[6:7], v[12:13], v[8:9]
	v_div_scale_f64 v[16:17], s[6:7], v[10:11], v[10:11], 1.0
	v_rcp_f64_e32 v[18:19], v[16:17]
	s_mov_b64 s[6:7], 0
	v_fma_f64 v[20:21], -v[16:17], v[18:19], 1.0
	v_fmac_f64_e32 v[18:19], v[18:19], v[20:21]
	v_fma_f64 v[20:21], -v[16:17], v[18:19], 1.0
	v_fmac_f64_e32 v[18:19], v[18:19], v[20:21]
	v_div_scale_f64 v[20:21], vcc, 1.0, v[10:11], 1.0
	v_mul_f64 v[22:23], v[20:21], v[18:19]
	v_fma_f64 v[16:17], -v[16:17], v[22:23], v[20:21]
	s_nop 1
	v_div_fmas_f64 v[16:17], v[16:17], v[18:19], v[22:23]
	v_div_fixup_f64 v[16:17], v[16:17], v[10:11], 1.0
	v_fma_f64 v[10:11], v[2:3], v[12:13], v[4:5]
	v_fma_f64 v[12:13], v[4:5], v[12:13], -v[2:3]
	v_mul_f64 v[10:11], v[10:11], v[16:17]
	v_mul_f64 v[12:13], v[12:13], v[16:17]
.LBB223_74:                             ;   in Loop: Header=BB223_70 Depth=1
	s_andn2_b64 vcc, exec, s[6:7]
	s_cbranch_vccnz .LBB223_69
; %bb.75:                               ;   in Loop: Header=BB223_70 Depth=1
	v_div_scale_f64 v[10:11], s[6:7], v[6:7], v[6:7], v[8:9]
	v_rcp_f64_e32 v[12:13], v[10:11]
	v_div_scale_f64 v[16:17], vcc, v[8:9], v[6:7], v[8:9]
	v_fma_f64 v[18:19], -v[10:11], v[12:13], 1.0
	v_fmac_f64_e32 v[12:13], v[12:13], v[18:19]
	v_fma_f64 v[18:19], -v[10:11], v[12:13], 1.0
	v_fmac_f64_e32 v[12:13], v[12:13], v[18:19]
	v_mul_f64 v[18:19], v[16:17], v[12:13]
	v_fma_f64 v[10:11], -v[10:11], v[18:19], v[16:17]
	v_div_fmas_f64 v[10:11], v[10:11], v[12:13], v[18:19]
	v_div_fixup_f64 v[12:13], v[10:11], v[6:7], v[8:9]
	v_fmac_f64_e32 v[6:7], v[8:9], v[12:13]
	v_div_scale_f64 v[8:9], s[6:7], v[6:7], v[6:7], 1.0
	v_rcp_f64_e32 v[10:11], v[8:9]
	s_nop 0
	v_fma_f64 v[16:17], -v[8:9], v[10:11], 1.0
	v_fmac_f64_e32 v[10:11], v[10:11], v[16:17]
	v_fma_f64 v[16:17], -v[8:9], v[10:11], 1.0
	v_fmac_f64_e32 v[10:11], v[10:11], v[16:17]
	v_div_scale_f64 v[16:17], vcc, 1.0, v[6:7], 1.0
	v_mul_f64 v[18:19], v[16:17], v[10:11]
	v_fma_f64 v[8:9], -v[8:9], v[18:19], v[16:17]
	s_nop 1
	v_div_fmas_f64 v[8:9], v[8:9], v[10:11], v[18:19]
	v_div_fixup_f64 v[6:7], v[8:9], v[6:7], 1.0
	v_fma_f64 v[8:9], v[4:5], v[12:13], v[2:3]
	v_fma_f64 v[2:3], -v[2:3], v[12:13], v[4:5]
	v_mul_f64 v[10:11], v[8:9], v[6:7]
	v_mul_f64 v[12:13], v[2:3], v[6:7]
	s_branch .LBB223_69
.LBB223_76:
	s_mov_b64 s[10:11], 0
.LBB223_77:
	s_andn2_b64 vcc, exec, s[10:11]
	s_cbranch_vccnz .LBB223_109
; %bb.78:
	s_andn2_b64 vcc, exec, s[4:5]
	s_mul_i32 s6, s25, 0x140
	s_mov_b32 s11, s9
	s_cbranch_vccnz .LBB223_100
; %bb.79:
	v_lshl_add_u32 v2, v0, 4, s6
	s_mul_i32 s4, s25, 0x150
	v_add_u32_e32 v26, 0x17c0, v2
	s_add_i32 s7, s4, 0xfffffaf0
	s_mov_b32 s10, s9
.LBB223_80:                             ; =>This Loop Header: Depth=1
                                        ;     Child Loop BB223_81 Depth 2
	s_mul_i32 s11, s10, 20
	v_lshl_add_u32 v30, s11, 4, v1
	v_add_u32_e32 v28, 0xfffffd80, v30
	v_add_u32_e32 v29, 0xfffffec0, v30
	ds_read_b128 v[18:21], v30
	ds_read_b128 v[14:17], v29
	v_add_u32_e32 v27, 0xfffffc40, v30
	ds_read_b128 v[6:9], v28
	ds_read_b128 v[2:5], v27
	s_cmp_le_i32 s9, s10
	s_mov_b32 s4, s7
	v_mov_b32_e32 v10, v26
	s_mov_b32 s5, s9
	s_cbranch_scc1 .LBB223_82
.LBB223_81:                             ;   Parent Loop BB223_80 Depth=1
                                        ; =>  This Inner Loop Header: Depth=2
	v_mov_b32_e32 v11, s4
	ds_read_b128 v[22:25], v10
	ds_read_b128 v[32:35], v11 offset:960
	ds_read_b128 v[36:39], v11 offset:640
	;; [unrolled: 1-line block ×3, first 2 shown]
	ds_read_b128 v[44:47], v11
	s_add_i32 s5, s5, -1
	s_add_i32 s4, s4, -16
	v_add_u32_e32 v10, 0xfffffec0, v10
	s_waitcnt lgkmcnt(3)
	v_mul_f64 v[12:13], v[24:25], v[34:35]
	v_mul_f64 v[34:35], v[22:23], v[34:35]
	s_waitcnt lgkmcnt(2)
	v_mul_f64 v[48:49], v[24:25], v[38:39]
	v_mul_f64 v[38:39], v[22:23], v[38:39]
	;; [unrolled: 3-line block ×4, first 2 shown]
	v_fma_f64 v[12:13], v[22:23], v[32:33], -v[12:13]
	v_fmac_f64_e32 v[34:35], v[24:25], v[32:33]
	v_fma_f64 v[32:33], v[22:23], v[36:37], -v[48:49]
	v_fmac_f64_e32 v[38:39], v[24:25], v[36:37]
	;; [unrolled: 2-line block ×4, first 2 shown]
	s_cmp_le_i32 s5, s10
	v_add_f64 v[18:19], v[18:19], -v[12:13]
	v_add_f64 v[20:21], v[20:21], -v[34:35]
	;; [unrolled: 1-line block ×8, first 2 shown]
	s_cbranch_scc0 .LBB223_81
.LBB223_82:                             ;   in Loop: Header=BB223_80 Depth=1
	s_mul_i32 s4, s10, 0x150
	v_mov_b32_e32 v10, s4
	ds_read_b128 v[22:25], v10
	s_mov_b64 s[4:5], -1
                                        ; implicit-def: $vgpr12_vgpr13
	s_waitcnt lgkmcnt(0)
	v_cmp_ngt_f64_e64 s[12:13], |v[22:23]|, |v[24:25]|
	s_and_b64 vcc, exec, s[12:13]
	s_cbranch_vccz .LBB223_84
; %bb.83:                               ;   in Loop: Header=BB223_80 Depth=1
	v_div_scale_f64 v[10:11], s[4:5], v[24:25], v[24:25], v[22:23]
	v_rcp_f64_e32 v[12:13], v[10:11]
	v_div_scale_f64 v[32:33], vcc, v[22:23], v[24:25], v[22:23]
	v_fma_f64 v[34:35], -v[10:11], v[12:13], 1.0
	v_fmac_f64_e32 v[12:13], v[12:13], v[34:35]
	v_fma_f64 v[34:35], -v[10:11], v[12:13], 1.0
	v_fmac_f64_e32 v[12:13], v[12:13], v[34:35]
	v_mul_f64 v[34:35], v[32:33], v[12:13]
	v_fma_f64 v[10:11], -v[10:11], v[34:35], v[32:33]
	v_div_fmas_f64 v[10:11], v[10:11], v[12:13], v[34:35]
	v_div_fixup_f64 v[12:13], v[10:11], v[24:25], v[22:23]
	v_fma_f64 v[10:11], v[22:23], v[12:13], v[24:25]
	v_div_scale_f64 v[32:33], s[4:5], v[10:11], v[10:11], 1.0
	v_rcp_f64_e32 v[34:35], v[32:33]
	s_mov_b64 s[4:5], 0
	v_fma_f64 v[36:37], -v[32:33], v[34:35], 1.0
	v_fmac_f64_e32 v[34:35], v[34:35], v[36:37]
	v_fma_f64 v[36:37], -v[32:33], v[34:35], 1.0
	v_fmac_f64_e32 v[34:35], v[34:35], v[36:37]
	v_div_scale_f64 v[36:37], vcc, 1.0, v[10:11], 1.0
	v_mul_f64 v[38:39], v[36:37], v[34:35]
	v_fma_f64 v[32:33], -v[32:33], v[38:39], v[36:37]
	s_nop 1
	v_div_fmas_f64 v[32:33], v[32:33], v[34:35], v[38:39]
	v_div_fixup_f64 v[32:33], v[32:33], v[10:11], 1.0
	v_fma_f64 v[10:11], v[18:19], v[12:13], v[20:21]
	v_fma_f64 v[12:13], v[20:21], v[12:13], -v[18:19]
	v_mul_f64 v[10:11], v[10:11], v[32:33]
	v_mul_f64 v[12:13], v[12:13], v[32:33]
.LBB223_84:                             ;   in Loop: Header=BB223_80 Depth=1
	s_andn2_b64 vcc, exec, s[4:5]
	s_cbranch_vccnz .LBB223_86
; %bb.85:                               ;   in Loop: Header=BB223_80 Depth=1
	v_div_scale_f64 v[10:11], s[4:5], v[22:23], v[22:23], v[24:25]
	v_rcp_f64_e32 v[12:13], v[10:11]
	v_div_scale_f64 v[32:33], vcc, v[24:25], v[22:23], v[24:25]
	v_fma_f64 v[34:35], -v[10:11], v[12:13], 1.0
	v_fmac_f64_e32 v[12:13], v[12:13], v[34:35]
	v_fma_f64 v[34:35], -v[10:11], v[12:13], 1.0
	v_fmac_f64_e32 v[12:13], v[12:13], v[34:35]
	v_mul_f64 v[34:35], v[32:33], v[12:13]
	v_fma_f64 v[10:11], -v[10:11], v[34:35], v[32:33]
	v_div_fmas_f64 v[10:11], v[10:11], v[12:13], v[34:35]
	v_div_fixup_f64 v[12:13], v[10:11], v[22:23], v[24:25]
	v_fmac_f64_e32 v[22:23], v[24:25], v[12:13]
	v_div_scale_f64 v[10:11], s[4:5], v[22:23], v[22:23], 1.0
	v_rcp_f64_e32 v[24:25], v[10:11]
	s_nop 0
	v_fma_f64 v[32:33], -v[10:11], v[24:25], 1.0
	v_fmac_f64_e32 v[24:25], v[24:25], v[32:33]
	v_fma_f64 v[32:33], -v[10:11], v[24:25], 1.0
	v_fmac_f64_e32 v[24:25], v[24:25], v[32:33]
	v_div_scale_f64 v[32:33], vcc, 1.0, v[22:23], 1.0
	v_mul_f64 v[34:35], v[32:33], v[24:25]
	v_fma_f64 v[10:11], -v[10:11], v[34:35], v[32:33]
	s_nop 1
	v_div_fmas_f64 v[10:11], v[10:11], v[24:25], v[34:35]
	v_div_fixup_f64 v[22:23], v[10:11], v[22:23], 1.0
	v_fma_f64 v[10:11], v[20:21], v[12:13], v[18:19]
	v_fma_f64 v[12:13], -v[18:19], v[12:13], v[20:21]
	v_mul_f64 v[10:11], v[10:11], v[22:23]
	v_mul_f64 v[12:13], v[12:13], v[22:23]
.LBB223_86:                             ;   in Loop: Header=BB223_80 Depth=1
	s_lshl_b32 s11, s11, 4
	s_addk_i32 s11, 0xfec0
	s_lshl_b32 s12, s10, 4
	s_add_i32 s4, s11, s12
	v_mov_b32_e32 v18, s4
	s_add_i32 s4, s4, -16
	ds_read_b128 v[22:25], v18
	v_mov_b32_e32 v18, s4
	ds_read_b128 v[18:21], v18
	ds_write_b128 v30, v[10:13]
	s_mov_b64 s[4:5], -1
	s_waitcnt lgkmcnt(2)
	v_mul_f64 v[30:31], v[12:13], v[24:25]
	v_mul_f64 v[24:25], v[10:11], v[24:25]
	v_fma_f64 v[30:31], v[10:11], v[22:23], -v[30:31]
	v_fmac_f64_e32 v[24:25], v[12:13], v[22:23]
	s_waitcnt lgkmcnt(1)
	v_cmp_ngt_f64_e64 s[14:15], |v[18:19]|, |v[20:21]|
	v_add_f64 v[22:23], v[14:15], -v[30:31]
	v_add_f64 v[24:25], v[16:17], -v[24:25]
	s_and_b64 vcc, exec, s[14:15]
                                        ; implicit-def: $vgpr16_vgpr17
	s_cbranch_vccz .LBB223_88
; %bb.87:                               ;   in Loop: Header=BB223_80 Depth=1
	v_div_scale_f64 v[14:15], s[4:5], v[20:21], v[20:21], v[18:19]
	v_rcp_f64_e32 v[16:17], v[14:15]
	v_div_scale_f64 v[30:31], vcc, v[18:19], v[20:21], v[18:19]
	v_fma_f64 v[32:33], -v[14:15], v[16:17], 1.0
	v_fmac_f64_e32 v[16:17], v[16:17], v[32:33]
	v_fma_f64 v[32:33], -v[14:15], v[16:17], 1.0
	v_fmac_f64_e32 v[16:17], v[16:17], v[32:33]
	v_mul_f64 v[32:33], v[30:31], v[16:17]
	v_fma_f64 v[14:15], -v[14:15], v[32:33], v[30:31]
	v_div_fmas_f64 v[14:15], v[14:15], v[16:17], v[32:33]
	v_div_fixup_f64 v[16:17], v[14:15], v[20:21], v[18:19]
	v_fma_f64 v[14:15], v[18:19], v[16:17], v[20:21]
	v_div_scale_f64 v[30:31], s[4:5], v[14:15], v[14:15], 1.0
	v_rcp_f64_e32 v[32:33], v[30:31]
	s_mov_b64 s[4:5], 0
	v_fma_f64 v[34:35], -v[30:31], v[32:33], 1.0
	v_fmac_f64_e32 v[32:33], v[32:33], v[34:35]
	v_fma_f64 v[34:35], -v[30:31], v[32:33], 1.0
	v_fmac_f64_e32 v[32:33], v[32:33], v[34:35]
	v_div_scale_f64 v[34:35], vcc, 1.0, v[14:15], 1.0
	v_mul_f64 v[36:37], v[34:35], v[32:33]
	v_fma_f64 v[30:31], -v[30:31], v[36:37], v[34:35]
	s_nop 1
	v_div_fmas_f64 v[30:31], v[30:31], v[32:33], v[36:37]
	v_div_fixup_f64 v[30:31], v[30:31], v[14:15], 1.0
	v_fma_f64 v[14:15], v[16:17], v[22:23], v[24:25]
	v_fma_f64 v[16:17], v[16:17], v[24:25], -v[22:23]
	v_mul_f64 v[14:15], v[14:15], v[30:31]
	v_mul_f64 v[16:17], v[16:17], v[30:31]
.LBB223_88:                             ;   in Loop: Header=BB223_80 Depth=1
	s_andn2_b64 vcc, exec, s[4:5]
	s_cbranch_vccnz .LBB223_90
; %bb.89:                               ;   in Loop: Header=BB223_80 Depth=1
	v_div_scale_f64 v[14:15], s[4:5], v[18:19], v[18:19], v[20:21]
	v_rcp_f64_e32 v[16:17], v[14:15]
	v_div_scale_f64 v[30:31], vcc, v[20:21], v[18:19], v[20:21]
	v_fma_f64 v[32:33], -v[14:15], v[16:17], 1.0
	v_fmac_f64_e32 v[16:17], v[16:17], v[32:33]
	v_fma_f64 v[32:33], -v[14:15], v[16:17], 1.0
	v_fmac_f64_e32 v[16:17], v[16:17], v[32:33]
	v_mul_f64 v[32:33], v[30:31], v[16:17]
	v_fma_f64 v[14:15], -v[14:15], v[32:33], v[30:31]
	v_div_fmas_f64 v[14:15], v[14:15], v[16:17], v[32:33]
	v_div_fixup_f64 v[16:17], v[14:15], v[18:19], v[20:21]
	v_fmac_f64_e32 v[18:19], v[20:21], v[16:17]
	v_div_scale_f64 v[14:15], s[4:5], v[18:19], v[18:19], 1.0
	v_rcp_f64_e32 v[20:21], v[14:15]
	s_nop 0
	v_fma_f64 v[30:31], -v[14:15], v[20:21], 1.0
	v_fmac_f64_e32 v[20:21], v[20:21], v[30:31]
	v_fma_f64 v[30:31], -v[14:15], v[20:21], 1.0
	v_fmac_f64_e32 v[20:21], v[20:21], v[30:31]
	v_div_scale_f64 v[30:31], vcc, 1.0, v[18:19], 1.0
	v_mul_f64 v[32:33], v[30:31], v[20:21]
	v_fma_f64 v[14:15], -v[14:15], v[32:33], v[30:31]
	s_nop 1
	v_div_fmas_f64 v[14:15], v[14:15], v[20:21], v[32:33]
	v_div_fixup_f64 v[18:19], v[14:15], v[18:19], 1.0
	v_fma_f64 v[14:15], v[16:17], v[24:25], v[22:23]
	v_fma_f64 v[16:17], -v[16:17], v[22:23], v[24:25]
	v_mul_f64 v[14:15], v[14:15], v[18:19]
	v_mul_f64 v[16:17], v[16:17], v[18:19]
.LBB223_90:                             ;   in Loop: Header=BB223_80 Depth=1
	s_addk_i32 s11, 0xfec0
	s_add_i32 s11, s11, s12
	v_mov_b32_e32 v18, s11
	ds_read_b128 v[18:21], v18
	s_add_i32 s4, s11, -16
	v_mov_b32_e32 v22, s4
	ds_read_b128 v[22:25], v22
	s_sub_i32 s4, s11, 32
	s_waitcnt lgkmcnt(1)
	v_mul_f64 v[30:31], v[12:13], v[20:21]
	v_fma_f64 v[30:31], v[10:11], v[18:19], -v[30:31]
	v_mul_f64 v[20:21], v[10:11], v[20:21]
	v_fmac_f64_e32 v[20:21], v[12:13], v[18:19]
	v_add_f64 v[18:19], v[6:7], -v[30:31]
	s_waitcnt lgkmcnt(0)
	v_mul_f64 v[6:7], v[16:17], v[24:25]
	v_fma_f64 v[30:31], v[14:15], v[22:23], -v[6:7]
	v_mov_b32_e32 v6, s4
	v_add_f64 v[20:21], v[8:9], -v[20:21]
	ds_read_b128 v[6:9], v6
	v_mul_f64 v[24:25], v[14:15], v[24:25]
	v_fmac_f64_e32 v[24:25], v[16:17], v[22:23]
	v_add_f64 v[22:23], v[18:19], -v[30:31]
	v_add_f64 v[24:25], v[20:21], -v[24:25]
	s_waitcnt lgkmcnt(0)
	v_cmp_ngt_f64_e64 s[12:13], |v[6:7]|, |v[8:9]|
	s_mov_b64 s[4:5], -1
	s_and_b64 vcc, exec, s[12:13]
	ds_write_b128 v29, v[14:17]
                                        ; implicit-def: $vgpr20_vgpr21
	s_cbranch_vccz .LBB223_92
; %bb.91:                               ;   in Loop: Header=BB223_80 Depth=1
	v_div_scale_f64 v[18:19], s[4:5], v[8:9], v[8:9], v[6:7]
	v_rcp_f64_e32 v[20:21], v[18:19]
	v_div_scale_f64 v[30:31], vcc, v[6:7], v[8:9], v[6:7]
	v_fma_f64 v[32:33], -v[18:19], v[20:21], 1.0
	v_fmac_f64_e32 v[20:21], v[20:21], v[32:33]
	v_fma_f64 v[32:33], -v[18:19], v[20:21], 1.0
	v_fmac_f64_e32 v[20:21], v[20:21], v[32:33]
	v_mul_f64 v[32:33], v[30:31], v[20:21]
	v_fma_f64 v[18:19], -v[18:19], v[32:33], v[30:31]
	v_div_fmas_f64 v[18:19], v[18:19], v[20:21], v[32:33]
	v_div_fixup_f64 v[20:21], v[18:19], v[8:9], v[6:7]
	v_fma_f64 v[18:19], v[6:7], v[20:21], v[8:9]
	v_div_scale_f64 v[30:31], s[4:5], v[18:19], v[18:19], 1.0
	v_rcp_f64_e32 v[32:33], v[30:31]
	s_mov_b64 s[4:5], 0
	v_fma_f64 v[34:35], -v[30:31], v[32:33], 1.0
	v_fmac_f64_e32 v[32:33], v[32:33], v[34:35]
	v_fma_f64 v[34:35], -v[30:31], v[32:33], 1.0
	v_fmac_f64_e32 v[32:33], v[32:33], v[34:35]
	v_div_scale_f64 v[34:35], vcc, 1.0, v[18:19], 1.0
	v_mul_f64 v[36:37], v[34:35], v[32:33]
	v_fma_f64 v[30:31], -v[30:31], v[36:37], v[34:35]
	s_nop 1
	v_div_fmas_f64 v[30:31], v[30:31], v[32:33], v[36:37]
	v_div_fixup_f64 v[30:31], v[30:31], v[18:19], 1.0
	v_fma_f64 v[18:19], v[20:21], v[22:23], v[24:25]
	v_fma_f64 v[20:21], v[20:21], v[24:25], -v[22:23]
	v_mul_f64 v[18:19], v[18:19], v[30:31]
	v_mul_f64 v[20:21], v[20:21], v[30:31]
.LBB223_92:                             ;   in Loop: Header=BB223_80 Depth=1
	s_andn2_b64 vcc, exec, s[4:5]
	s_cbranch_vccnz .LBB223_94
; %bb.93:                               ;   in Loop: Header=BB223_80 Depth=1
	v_div_scale_f64 v[18:19], s[4:5], v[6:7], v[6:7], v[8:9]
	v_rcp_f64_e32 v[20:21], v[18:19]
	v_div_scale_f64 v[30:31], vcc, v[8:9], v[6:7], v[8:9]
	v_fma_f64 v[32:33], -v[18:19], v[20:21], 1.0
	v_fmac_f64_e32 v[20:21], v[20:21], v[32:33]
	v_fma_f64 v[32:33], -v[18:19], v[20:21], 1.0
	v_fmac_f64_e32 v[20:21], v[20:21], v[32:33]
	v_mul_f64 v[32:33], v[30:31], v[20:21]
	v_fma_f64 v[18:19], -v[18:19], v[32:33], v[30:31]
	v_div_fmas_f64 v[18:19], v[18:19], v[20:21], v[32:33]
	v_div_fixup_f64 v[20:21], v[18:19], v[6:7], v[8:9]
	v_fmac_f64_e32 v[6:7], v[8:9], v[20:21]
	v_div_scale_f64 v[8:9], s[4:5], v[6:7], v[6:7], 1.0
	v_rcp_f64_e32 v[18:19], v[8:9]
	s_nop 0
	v_fma_f64 v[30:31], -v[8:9], v[18:19], 1.0
	v_fmac_f64_e32 v[18:19], v[18:19], v[30:31]
	v_fma_f64 v[30:31], -v[8:9], v[18:19], 1.0
	v_fmac_f64_e32 v[18:19], v[18:19], v[30:31]
	v_div_scale_f64 v[30:31], vcc, 1.0, v[6:7], 1.0
	v_mul_f64 v[32:33], v[30:31], v[18:19]
	v_fma_f64 v[8:9], -v[8:9], v[32:33], v[30:31]
	s_nop 1
	v_div_fmas_f64 v[8:9], v[8:9], v[18:19], v[32:33]
	v_div_fixup_f64 v[6:7], v[8:9], v[6:7], 1.0
	v_fma_f64 v[8:9], v[20:21], v[24:25], v[22:23]
	v_mul_f64 v[18:19], v[8:9], v[6:7]
	v_fma_f64 v[8:9], -v[20:21], v[22:23], v[24:25]
	v_mul_f64 v[20:21], v[8:9], v[6:7]
.LBB223_94:                             ;   in Loop: Header=BB223_80 Depth=1
	s_add_i32 s4, s11, 0xfffffec0
	v_mov_b32_e32 v6, s4
	s_add_i32 s4, s11, 0xfffffeb0
	ds_read_b128 v[6:9], v6
	v_mov_b32_e32 v22, s4
	ds_read_b128 v[22:25], v22
	ds_write_b128 v28, v[18:21]
	s_add_i32 s4, s11, 0xfffffea0
	s_waitcnt lgkmcnt(2)
	v_mul_f64 v[28:29], v[12:13], v[8:9]
	v_mul_f64 v[8:9], v[10:11], v[8:9]
	v_fma_f64 v[28:29], v[10:11], v[6:7], -v[28:29]
	v_fmac_f64_e32 v[8:9], v[12:13], v[6:7]
	s_waitcnt lgkmcnt(1)
	v_mul_f64 v[6:7], v[16:17], v[24:25]
	v_add_f64 v[2:3], v[2:3], -v[28:29]
	v_fma_f64 v[6:7], v[14:15], v[22:23], -v[6:7]
	v_mul_f64 v[10:11], v[14:15], v[24:25]
	v_add_f64 v[12:13], v[2:3], -v[6:7]
	v_mov_b32_e32 v2, s4
	s_add_i32 s4, s11, 0xfffffe90
	v_add_f64 v[4:5], v[4:5], -v[8:9]
	v_fmac_f64_e32 v[10:11], v[16:17], v[22:23]
	ds_read_b128 v[6:9], v2
	v_mov_b32_e32 v2, s4
	v_add_f64 v[14:15], v[4:5], -v[10:11]
	ds_read_b128 v[2:5], v2
	s_mov_b64 s[4:5], -1
	s_waitcnt lgkmcnt(1)
	v_mul_f64 v[10:11], v[20:21], v[8:9]
	v_mul_f64 v[8:9], v[18:19], v[8:9]
	v_fma_f64 v[10:11], v[18:19], v[6:7], -v[10:11]
	v_fmac_f64_e32 v[8:9], v[20:21], v[6:7]
	s_waitcnt lgkmcnt(0)
	v_cmp_ngt_f64_e64 s[12:13], |v[2:3]|, |v[4:5]|
	v_add_f64 v[10:11], v[12:13], -v[10:11]
	v_add_f64 v[12:13], v[14:15], -v[8:9]
	s_and_b64 vcc, exec, s[12:13]
                                        ; implicit-def: $vgpr8_vgpr9
	s_cbranch_vccz .LBB223_96
; %bb.95:                               ;   in Loop: Header=BB223_80 Depth=1
	v_div_scale_f64 v[6:7], s[4:5], v[4:5], v[4:5], v[2:3]
	v_rcp_f64_e32 v[8:9], v[6:7]
	v_div_scale_f64 v[14:15], vcc, v[2:3], v[4:5], v[2:3]
	v_fma_f64 v[16:17], -v[6:7], v[8:9], 1.0
	v_fmac_f64_e32 v[8:9], v[8:9], v[16:17]
	v_fma_f64 v[16:17], -v[6:7], v[8:9], 1.0
	v_fmac_f64_e32 v[8:9], v[8:9], v[16:17]
	v_mul_f64 v[16:17], v[14:15], v[8:9]
	v_fma_f64 v[6:7], -v[6:7], v[16:17], v[14:15]
	v_div_fmas_f64 v[6:7], v[6:7], v[8:9], v[16:17]
	v_div_fixup_f64 v[8:9], v[6:7], v[4:5], v[2:3]
	v_fma_f64 v[6:7], v[2:3], v[8:9], v[4:5]
	v_div_scale_f64 v[14:15], s[4:5], v[6:7], v[6:7], 1.0
	v_rcp_f64_e32 v[16:17], v[14:15]
	s_mov_b64 s[4:5], 0
	v_fma_f64 v[18:19], -v[14:15], v[16:17], 1.0
	v_fmac_f64_e32 v[16:17], v[16:17], v[18:19]
	v_fma_f64 v[18:19], -v[14:15], v[16:17], 1.0
	v_fmac_f64_e32 v[16:17], v[16:17], v[18:19]
	v_div_scale_f64 v[18:19], vcc, 1.0, v[6:7], 1.0
	v_mul_f64 v[20:21], v[18:19], v[16:17]
	v_fma_f64 v[14:15], -v[14:15], v[20:21], v[18:19]
	s_nop 1
	v_div_fmas_f64 v[14:15], v[14:15], v[16:17], v[20:21]
	v_div_fixup_f64 v[14:15], v[14:15], v[6:7], 1.0
	v_fma_f64 v[6:7], v[8:9], v[10:11], v[12:13]
	v_fma_f64 v[8:9], v[8:9], v[12:13], -v[10:11]
	v_mul_f64 v[6:7], v[6:7], v[14:15]
	v_mul_f64 v[8:9], v[8:9], v[14:15]
.LBB223_96:                             ;   in Loop: Header=BB223_80 Depth=1
	s_andn2_b64 vcc, exec, s[4:5]
	s_cbranch_vccnz .LBB223_98
; %bb.97:                               ;   in Loop: Header=BB223_80 Depth=1
	v_div_scale_f64 v[6:7], s[4:5], v[2:3], v[2:3], v[4:5]
	v_rcp_f64_e32 v[8:9], v[6:7]
	v_div_scale_f64 v[14:15], vcc, v[4:5], v[2:3], v[4:5]
	v_fma_f64 v[16:17], -v[6:7], v[8:9], 1.0
	v_fmac_f64_e32 v[8:9], v[8:9], v[16:17]
	v_fma_f64 v[16:17], -v[6:7], v[8:9], 1.0
	v_fmac_f64_e32 v[8:9], v[8:9], v[16:17]
	v_mul_f64 v[16:17], v[14:15], v[8:9]
	v_fma_f64 v[6:7], -v[6:7], v[16:17], v[14:15]
	v_div_fmas_f64 v[6:7], v[6:7], v[8:9], v[16:17]
	v_div_fixup_f64 v[8:9], v[6:7], v[2:3], v[4:5]
	v_fmac_f64_e32 v[2:3], v[4:5], v[8:9]
	v_div_scale_f64 v[4:5], s[4:5], v[2:3], v[2:3], 1.0
	v_rcp_f64_e32 v[6:7], v[4:5]
	s_nop 0
	v_fma_f64 v[14:15], -v[4:5], v[6:7], 1.0
	v_fmac_f64_e32 v[6:7], v[6:7], v[14:15]
	v_fma_f64 v[14:15], -v[4:5], v[6:7], 1.0
	v_fmac_f64_e32 v[6:7], v[6:7], v[14:15]
	v_div_scale_f64 v[14:15], vcc, 1.0, v[2:3], 1.0
	v_mul_f64 v[16:17], v[14:15], v[6:7]
	v_fma_f64 v[4:5], -v[4:5], v[16:17], v[14:15]
	s_nop 1
	v_div_fmas_f64 v[4:5], v[4:5], v[6:7], v[16:17]
	v_div_fixup_f64 v[2:3], v[4:5], v[2:3], 1.0
	v_fma_f64 v[4:5], v[8:9], v[12:13], v[10:11]
	v_mul_f64 v[6:7], v[4:5], v[2:3]
	v_fma_f64 v[4:5], -v[8:9], v[10:11], v[12:13]
	v_mul_f64 v[8:9], v[4:5], v[2:3]
.LBB223_98:                             ;   in Loop: Header=BB223_80 Depth=1
	s_add_i32 s11, s10, -4
	s_addk_i32 s7, 0xfb00
	s_cmp_lt_i32 s10, 7
	ds_write_b128 v27, v[6:9]
	s_cbranch_scc1 .LBB223_100
; %bb.99:                               ;   in Loop: Header=BB223_80 Depth=1
	s_mov_b32 s10, s11
	s_branch .LBB223_80
.LBB223_100:
	s_cmp_lt_i32 s11, 0
	s_cbranch_scc1 .LBB223_109
; %bb.101:
	s_mul_i32 s4, s11, 0x140
	s_lshl_b32 s5, s25, 4
	v_lshl_add_u32 v2, v0, 4, s6
	s_add_i32 s4, s4, s5
	v_add_u32_e32 v14, 0x17c0, v2
	s_add_i32 s6, s4, -16
	s_branch .LBB223_103
.LBB223_102:                            ;   in Loop: Header=BB223_103 Depth=1
	v_sub_co_u32_e64 v2, s[4:5], s11, 1
	s_nop 0
	v_readfirstlane_b32 s11, v2
	s_addk_i32 s6, 0xfec0
	s_and_b64 vcc, exec, s[4:5]
	ds_write_b128 v15, v[10:13]
	s_cbranch_vccnz .LBB223_109
.LBB223_103:                            ; =>This Loop Header: Depth=1
                                        ;     Child Loop BB223_104 Depth 2
	s_mul_i32 s4, s11, 0x140
	v_add_u32_e32 v15, s4, v1
	ds_read_b128 v[2:5], v15
	s_cmp_le_i32 s9, s11
	s_mov_b32 s4, s6
	v_mov_b32_e32 v6, v14
	s_mov_b32 s5, s9
	s_cbranch_scc1 .LBB223_105
.LBB223_104:                            ;   Parent Loop BB223_103 Depth=1
                                        ; =>  This Inner Loop Header: Depth=2
	v_mov_b32_e32 v7, s4
	ds_read_b128 v[8:11], v6
	ds_read_b128 v[16:19], v7
	s_add_i32 s5, s5, -1
	s_add_i32 s4, s4, -16
	v_add_u32_e32 v6, 0xfffffec0, v6
	s_cmp_le_u32 s5, s11
	s_waitcnt lgkmcnt(0)
	v_mul_f64 v[12:13], v[18:19], v[10:11]
	v_mul_f64 v[10:11], v[16:17], v[10:11]
	v_fma_f64 v[12:13], v[16:17], v[8:9], -v[12:13]
	v_fmac_f64_e32 v[10:11], v[18:19], v[8:9]
	v_add_f64 v[2:3], v[2:3], -v[12:13]
	v_add_f64 v[4:5], v[4:5], -v[10:11]
	s_cbranch_scc0 .LBB223_104
.LBB223_105:                            ;   in Loop: Header=BB223_103 Depth=1
	s_mul_i32 s4, s11, 0x150
	v_mov_b32_e32 v6, s4
	ds_read_b128 v[6:9], v6
	s_mov_b64 s[4:5], -1
                                        ; implicit-def: $vgpr10_vgpr11
	s_waitcnt lgkmcnt(0)
	v_cmp_ngt_f64_e64 s[12:13], |v[6:7]|, |v[8:9]|
	s_and_b64 vcc, exec, s[12:13]
	s_cbranch_vccz .LBB223_107
; %bb.106:                              ;   in Loop: Header=BB223_103 Depth=1
	v_div_scale_f64 v[10:11], s[4:5], v[8:9], v[8:9], v[6:7]
	v_rcp_f64_e32 v[12:13], v[10:11]
	v_div_scale_f64 v[16:17], vcc, v[6:7], v[8:9], v[6:7]
	v_fma_f64 v[18:19], -v[10:11], v[12:13], 1.0
	v_fmac_f64_e32 v[12:13], v[12:13], v[18:19]
	v_fma_f64 v[18:19], -v[10:11], v[12:13], 1.0
	v_fmac_f64_e32 v[12:13], v[12:13], v[18:19]
	v_mul_f64 v[18:19], v[16:17], v[12:13]
	v_fma_f64 v[10:11], -v[10:11], v[18:19], v[16:17]
	v_div_fmas_f64 v[10:11], v[10:11], v[12:13], v[18:19]
	v_div_fixup_f64 v[12:13], v[10:11], v[8:9], v[6:7]
	v_fma_f64 v[10:11], v[6:7], v[12:13], v[8:9]
	v_div_scale_f64 v[16:17], s[4:5], v[10:11], v[10:11], 1.0
	v_rcp_f64_e32 v[18:19], v[16:17]
	s_mov_b64 s[4:5], 0
	v_fma_f64 v[20:21], -v[16:17], v[18:19], 1.0
	v_fmac_f64_e32 v[18:19], v[18:19], v[20:21]
	v_fma_f64 v[20:21], -v[16:17], v[18:19], 1.0
	v_fmac_f64_e32 v[18:19], v[18:19], v[20:21]
	v_div_scale_f64 v[20:21], vcc, 1.0, v[10:11], 1.0
	v_mul_f64 v[22:23], v[20:21], v[18:19]
	v_fma_f64 v[16:17], -v[16:17], v[22:23], v[20:21]
	s_nop 1
	v_div_fmas_f64 v[16:17], v[16:17], v[18:19], v[22:23]
	v_div_fixup_f64 v[16:17], v[16:17], v[10:11], 1.0
	v_fma_f64 v[10:11], v[2:3], v[12:13], v[4:5]
	v_fma_f64 v[12:13], v[4:5], v[12:13], -v[2:3]
	v_mul_f64 v[10:11], v[10:11], v[16:17]
	v_mul_f64 v[12:13], v[12:13], v[16:17]
.LBB223_107:                            ;   in Loop: Header=BB223_103 Depth=1
	s_andn2_b64 vcc, exec, s[4:5]
	s_cbranch_vccnz .LBB223_102
; %bb.108:                              ;   in Loop: Header=BB223_103 Depth=1
	v_div_scale_f64 v[10:11], s[4:5], v[6:7], v[6:7], v[8:9]
	v_rcp_f64_e32 v[12:13], v[10:11]
	v_div_scale_f64 v[16:17], vcc, v[8:9], v[6:7], v[8:9]
	v_fma_f64 v[18:19], -v[10:11], v[12:13], 1.0
	v_fmac_f64_e32 v[12:13], v[12:13], v[18:19]
	v_fma_f64 v[18:19], -v[10:11], v[12:13], 1.0
	v_fmac_f64_e32 v[12:13], v[12:13], v[18:19]
	v_mul_f64 v[18:19], v[16:17], v[12:13]
	v_fma_f64 v[10:11], -v[10:11], v[18:19], v[16:17]
	v_div_fmas_f64 v[10:11], v[10:11], v[12:13], v[18:19]
	v_div_fixup_f64 v[12:13], v[10:11], v[6:7], v[8:9]
	v_fmac_f64_e32 v[6:7], v[8:9], v[12:13]
	v_div_scale_f64 v[8:9], s[4:5], v[6:7], v[6:7], 1.0
	v_rcp_f64_e32 v[10:11], v[8:9]
	s_nop 0
	v_fma_f64 v[16:17], -v[8:9], v[10:11], 1.0
	v_fmac_f64_e32 v[10:11], v[10:11], v[16:17]
	v_fma_f64 v[16:17], -v[8:9], v[10:11], 1.0
	v_fmac_f64_e32 v[10:11], v[10:11], v[16:17]
	v_div_scale_f64 v[16:17], vcc, 1.0, v[6:7], 1.0
	v_mul_f64 v[18:19], v[16:17], v[10:11]
	v_fma_f64 v[8:9], -v[8:9], v[18:19], v[16:17]
	s_nop 1
	v_div_fmas_f64 v[8:9], v[8:9], v[10:11], v[18:19]
	v_div_fixup_f64 v[6:7], v[8:9], v[6:7], 1.0
	v_fma_f64 v[8:9], v[4:5], v[12:13], v[2:3]
	v_fma_f64 v[2:3], -v[2:3], v[12:13], v[4:5]
	v_mul_f64 v[10:11], v[8:9], v[6:7]
	v_mul_f64 v[12:13], v[2:3], v[6:7]
	s_branch .LBB223_102
.LBB223_109:
	s_mov_b64 s[10:11], 0
.LBB223_110:
	s_andn2_b64 vcc, exec, s[10:11]
	s_cbranch_vccnz .LBB223_142
; %bb.111:
	v_mov_b32_e32 v1, 0x1900
	v_lshl_add_u32 v1, v0, 4, v1
	s_cmp_lt_i32 s24, 4
	s_mov_b32 s9, 0
	s_cbranch_scc1 .LBB223_133
; %bb.112:
	s_mov_b32 s6, 0
	s_mov_b32 s7, 0
.LBB223_113:                            ; =>This Loop Header: Depth=1
                                        ;     Child Loop BB223_114 Depth 2
	s_mul_i32 s9, s7, 20
	v_lshl_add_u32 v26, s9, 4, v1
	ds_read_b128 v[18:21], v26
	ds_read_b128 v[14:17], v26 offset:320
	ds_read_b128 v[6:9], v26 offset:640
	;; [unrolled: 1-line block ×3, first 2 shown]
	s_cmp_eq_u32 s7, 0
	s_mov_b32 s4, s6
	v_mov_b32_e32 v10, v1
	s_mov_b32 s5, s7
	s_cbranch_scc1 .LBB223_115
.LBB223_114:                            ;   Parent Loop BB223_113 Depth=1
                                        ; =>  This Inner Loop Header: Depth=2
	v_mov_b32_e32 v11, s4
	ds_read_b128 v[22:25], v10
	ds_read_b128 v[28:31], v11
	ds_read_b128 v[32:35], v11 offset:320
	ds_read_b128 v[36:39], v11 offset:640
	;; [unrolled: 1-line block ×3, first 2 shown]
	s_add_i32 s5, s5, -1
	s_add_i32 s4, s4, 16
	v_add_u32_e32 v10, 0x140, v10
	s_waitcnt lgkmcnt(3)
	v_mul_f64 v[12:13], v[24:25], v[30:31]
	v_mul_f64 v[30:31], v[22:23], v[30:31]
	s_waitcnt lgkmcnt(2)
	v_mul_f64 v[44:45], v[24:25], v[34:35]
	v_mul_f64 v[34:35], v[22:23], v[34:35]
	;; [unrolled: 3-line block ×4, first 2 shown]
	v_fma_f64 v[12:13], v[22:23], v[28:29], -v[12:13]
	v_fmac_f64_e32 v[30:31], v[24:25], v[28:29]
	v_fma_f64 v[28:29], v[22:23], v[32:33], -v[44:45]
	v_fmac_f64_e32 v[34:35], v[24:25], v[32:33]
	;; [unrolled: 2-line block ×4, first 2 shown]
	s_cmp_eq_u32 s5, 0
	v_add_f64 v[18:19], v[18:19], -v[12:13]
	v_add_f64 v[20:21], v[20:21], -v[30:31]
	;; [unrolled: 1-line block ×8, first 2 shown]
	s_cbranch_scc0 .LBB223_114
.LBB223_115:                            ;   in Loop: Header=BB223_113 Depth=1
	s_mul_i32 s4, s7, 0x150
	v_mov_b32_e32 v10, s4
	ds_read_b128 v[22:25], v10
	s_mov_b64 s[4:5], -1
                                        ; implicit-def: $vgpr12_vgpr13
	s_waitcnt lgkmcnt(0)
	v_cmp_ngt_f64_e64 s[10:11], |v[22:23]|, |v[24:25]|
	s_and_b64 vcc, exec, s[10:11]
	s_cbranch_vccz .LBB223_117
; %bb.116:                              ;   in Loop: Header=BB223_113 Depth=1
	v_div_scale_f64 v[10:11], s[4:5], v[24:25], v[24:25], v[22:23]
	v_rcp_f64_e32 v[12:13], v[10:11]
	v_div_scale_f64 v[28:29], vcc, v[22:23], v[24:25], v[22:23]
	v_fma_f64 v[30:31], -v[10:11], v[12:13], 1.0
	v_fmac_f64_e32 v[12:13], v[12:13], v[30:31]
	v_fma_f64 v[30:31], -v[10:11], v[12:13], 1.0
	v_fmac_f64_e32 v[12:13], v[12:13], v[30:31]
	v_mul_f64 v[30:31], v[28:29], v[12:13]
	v_fma_f64 v[10:11], -v[10:11], v[30:31], v[28:29]
	v_div_fmas_f64 v[10:11], v[10:11], v[12:13], v[30:31]
	v_div_fixup_f64 v[12:13], v[10:11], v[24:25], v[22:23]
	v_fma_f64 v[10:11], v[22:23], v[12:13], v[24:25]
	v_div_scale_f64 v[28:29], s[4:5], v[10:11], v[10:11], 1.0
	v_rcp_f64_e32 v[30:31], v[28:29]
	s_mov_b64 s[4:5], 0
	v_fma_f64 v[32:33], -v[28:29], v[30:31], 1.0
	v_fmac_f64_e32 v[30:31], v[30:31], v[32:33]
	v_fma_f64 v[32:33], -v[28:29], v[30:31], 1.0
	v_fmac_f64_e32 v[30:31], v[30:31], v[32:33]
	v_div_scale_f64 v[32:33], vcc, 1.0, v[10:11], 1.0
	v_mul_f64 v[34:35], v[32:33], v[30:31]
	v_fma_f64 v[28:29], -v[28:29], v[34:35], v[32:33]
	s_nop 1
	v_div_fmas_f64 v[28:29], v[28:29], v[30:31], v[34:35]
	v_div_fixup_f64 v[28:29], v[28:29], v[10:11], 1.0
	v_fma_f64 v[10:11], v[18:19], v[12:13], v[20:21]
	v_fma_f64 v[12:13], v[20:21], v[12:13], -v[18:19]
	v_mul_f64 v[10:11], v[10:11], v[28:29]
	v_mul_f64 v[12:13], v[12:13], v[28:29]
.LBB223_117:                            ;   in Loop: Header=BB223_113 Depth=1
	s_andn2_b64 vcc, exec, s[4:5]
	s_cbranch_vccnz .LBB223_119
; %bb.118:                              ;   in Loop: Header=BB223_113 Depth=1
	v_div_scale_f64 v[10:11], s[4:5], v[22:23], v[22:23], v[24:25]
	v_rcp_f64_e32 v[12:13], v[10:11]
	v_div_scale_f64 v[28:29], vcc, v[24:25], v[22:23], v[24:25]
	v_fma_f64 v[30:31], -v[10:11], v[12:13], 1.0
	v_fmac_f64_e32 v[12:13], v[12:13], v[30:31]
	v_fma_f64 v[30:31], -v[10:11], v[12:13], 1.0
	v_fmac_f64_e32 v[12:13], v[12:13], v[30:31]
	v_mul_f64 v[30:31], v[28:29], v[12:13]
	v_fma_f64 v[10:11], -v[10:11], v[30:31], v[28:29]
	v_div_fmas_f64 v[10:11], v[10:11], v[12:13], v[30:31]
	v_div_fixup_f64 v[12:13], v[10:11], v[22:23], v[24:25]
	v_fmac_f64_e32 v[22:23], v[24:25], v[12:13]
	v_div_scale_f64 v[10:11], s[4:5], v[22:23], v[22:23], 1.0
	v_rcp_f64_e32 v[24:25], v[10:11]
	s_nop 0
	v_fma_f64 v[28:29], -v[10:11], v[24:25], 1.0
	v_fmac_f64_e32 v[24:25], v[24:25], v[28:29]
	v_fma_f64 v[28:29], -v[10:11], v[24:25], 1.0
	v_fmac_f64_e32 v[24:25], v[24:25], v[28:29]
	v_div_scale_f64 v[28:29], vcc, 1.0, v[22:23], 1.0
	v_mul_f64 v[30:31], v[28:29], v[24:25]
	v_fma_f64 v[10:11], -v[10:11], v[30:31], v[28:29]
	s_nop 1
	v_div_fmas_f64 v[10:11], v[10:11], v[24:25], v[30:31]
	v_div_fixup_f64 v[22:23], v[10:11], v[22:23], 1.0
	v_fma_f64 v[10:11], v[20:21], v[12:13], v[18:19]
	v_fma_f64 v[12:13], -v[18:19], v[12:13], v[20:21]
	v_mul_f64 v[10:11], v[10:11], v[22:23]
	v_mul_f64 v[12:13], v[12:13], v[22:23]
.LBB223_119:                            ;   in Loop: Header=BB223_113 Depth=1
	s_lshl_b32 s9, s9, 4
	s_addk_i32 s9, 0x140
	s_lshl_b32 s10, s7, 4
	s_add_i32 s4, s9, s10
	v_mov_b32_e32 v18, s4
	ds_read_b128 v[22:25], v18
	ds_read_b128 v[18:21], v18 offset:16
	s_mov_b64 s[4:5], -1
	ds_write_b128 v26, v[10:13]
	s_waitcnt lgkmcnt(2)
	v_mul_f64 v[28:29], v[12:13], v[24:25]
	v_mul_f64 v[24:25], v[10:11], v[24:25]
	v_fma_f64 v[28:29], v[10:11], v[22:23], -v[28:29]
	v_fmac_f64_e32 v[24:25], v[12:13], v[22:23]
	s_waitcnt lgkmcnt(1)
	v_cmp_ngt_f64_e64 s[12:13], |v[18:19]|, |v[20:21]|
	v_add_f64 v[22:23], v[14:15], -v[28:29]
	v_add_f64 v[24:25], v[16:17], -v[24:25]
	s_and_b64 vcc, exec, s[12:13]
                                        ; implicit-def: $vgpr16_vgpr17
	s_cbranch_vccz .LBB223_121
; %bb.120:                              ;   in Loop: Header=BB223_113 Depth=1
	v_div_scale_f64 v[14:15], s[4:5], v[20:21], v[20:21], v[18:19]
	v_rcp_f64_e32 v[16:17], v[14:15]
	v_div_scale_f64 v[28:29], vcc, v[18:19], v[20:21], v[18:19]
	v_fma_f64 v[30:31], -v[14:15], v[16:17], 1.0
	v_fmac_f64_e32 v[16:17], v[16:17], v[30:31]
	v_fma_f64 v[30:31], -v[14:15], v[16:17], 1.0
	v_fmac_f64_e32 v[16:17], v[16:17], v[30:31]
	v_mul_f64 v[30:31], v[28:29], v[16:17]
	v_fma_f64 v[14:15], -v[14:15], v[30:31], v[28:29]
	v_div_fmas_f64 v[14:15], v[14:15], v[16:17], v[30:31]
	v_div_fixup_f64 v[16:17], v[14:15], v[20:21], v[18:19]
	v_fma_f64 v[14:15], v[18:19], v[16:17], v[20:21]
	v_div_scale_f64 v[28:29], s[4:5], v[14:15], v[14:15], 1.0
	v_rcp_f64_e32 v[30:31], v[28:29]
	s_mov_b64 s[4:5], 0
	v_fma_f64 v[32:33], -v[28:29], v[30:31], 1.0
	v_fmac_f64_e32 v[30:31], v[30:31], v[32:33]
	v_fma_f64 v[32:33], -v[28:29], v[30:31], 1.0
	v_fmac_f64_e32 v[30:31], v[30:31], v[32:33]
	v_div_scale_f64 v[32:33], vcc, 1.0, v[14:15], 1.0
	v_mul_f64 v[34:35], v[32:33], v[30:31]
	v_fma_f64 v[28:29], -v[28:29], v[34:35], v[32:33]
	s_nop 1
	v_div_fmas_f64 v[28:29], v[28:29], v[30:31], v[34:35]
	v_div_fixup_f64 v[28:29], v[28:29], v[14:15], 1.0
	v_fma_f64 v[14:15], v[16:17], v[22:23], v[24:25]
	v_fma_f64 v[16:17], v[16:17], v[24:25], -v[22:23]
	v_mul_f64 v[14:15], v[14:15], v[28:29]
	v_mul_f64 v[16:17], v[16:17], v[28:29]
.LBB223_121:                            ;   in Loop: Header=BB223_113 Depth=1
	s_andn2_b64 vcc, exec, s[4:5]
	s_cbranch_vccnz .LBB223_123
; %bb.122:                              ;   in Loop: Header=BB223_113 Depth=1
	v_div_scale_f64 v[14:15], s[4:5], v[18:19], v[18:19], v[20:21]
	v_rcp_f64_e32 v[16:17], v[14:15]
	v_div_scale_f64 v[28:29], vcc, v[20:21], v[18:19], v[20:21]
	v_fma_f64 v[30:31], -v[14:15], v[16:17], 1.0
	v_fmac_f64_e32 v[16:17], v[16:17], v[30:31]
	v_fma_f64 v[30:31], -v[14:15], v[16:17], 1.0
	v_fmac_f64_e32 v[16:17], v[16:17], v[30:31]
	v_mul_f64 v[30:31], v[28:29], v[16:17]
	v_fma_f64 v[14:15], -v[14:15], v[30:31], v[28:29]
	v_div_fmas_f64 v[14:15], v[14:15], v[16:17], v[30:31]
	v_div_fixup_f64 v[16:17], v[14:15], v[18:19], v[20:21]
	v_fmac_f64_e32 v[18:19], v[20:21], v[16:17]
	v_div_scale_f64 v[14:15], s[4:5], v[18:19], v[18:19], 1.0
	v_rcp_f64_e32 v[20:21], v[14:15]
	s_nop 0
	v_fma_f64 v[28:29], -v[14:15], v[20:21], 1.0
	v_fmac_f64_e32 v[20:21], v[20:21], v[28:29]
	v_fma_f64 v[28:29], -v[14:15], v[20:21], 1.0
	v_fmac_f64_e32 v[20:21], v[20:21], v[28:29]
	v_div_scale_f64 v[28:29], vcc, 1.0, v[18:19], 1.0
	v_mul_f64 v[30:31], v[28:29], v[20:21]
	v_fma_f64 v[14:15], -v[14:15], v[30:31], v[28:29]
	s_nop 1
	v_div_fmas_f64 v[14:15], v[14:15], v[20:21], v[30:31]
	v_div_fixup_f64 v[18:19], v[14:15], v[18:19], 1.0
	v_fma_f64 v[14:15], v[16:17], v[24:25], v[22:23]
	v_fma_f64 v[16:17], -v[16:17], v[22:23], v[24:25]
	v_mul_f64 v[14:15], v[14:15], v[18:19]
	v_mul_f64 v[16:17], v[16:17], v[18:19]
.LBB223_123:                            ;   in Loop: Header=BB223_113 Depth=1
	s_addk_i32 s9, 0x140
	s_add_i32 s9, s9, s10
	v_mov_b32_e32 v18, s9
	ds_read_b128 v[22:25], v18
	ds_write_b128 v26, v[14:17] offset:320
	ds_read_b128 v[28:31], v18 offset:16
	ds_read_b128 v[18:21], v18 offset:32
	s_mov_b64 s[4:5], -1
	s_waitcnt lgkmcnt(3)
	v_mul_f64 v[32:33], v[12:13], v[24:25]
	v_mul_f64 v[24:25], v[10:11], v[24:25]
	v_fmac_f64_e32 v[24:25], v[12:13], v[22:23]
	v_fma_f64 v[32:33], v[10:11], v[22:23], -v[32:33]
	v_add_f64 v[8:9], v[8:9], -v[24:25]
	s_waitcnt lgkmcnt(1)
	v_mul_f64 v[22:23], v[16:17], v[30:31]
	v_mul_f64 v[24:25], v[14:15], v[30:31]
	v_add_f64 v[6:7], v[6:7], -v[32:33]
	v_fma_f64 v[22:23], v[14:15], v[28:29], -v[22:23]
	v_fmac_f64_e32 v[24:25], v[16:17], v[28:29]
	s_waitcnt lgkmcnt(0)
	v_cmp_ngt_f64_e64 s[10:11], |v[18:19]|, |v[20:21]|
	v_add_f64 v[6:7], v[6:7], -v[22:23]
	v_add_f64 v[8:9], v[8:9], -v[24:25]
	s_and_b64 vcc, exec, s[10:11]
                                        ; implicit-def: $vgpr24_vgpr25
	s_cbranch_vccz .LBB223_125
; %bb.124:                              ;   in Loop: Header=BB223_113 Depth=1
	v_div_scale_f64 v[22:23], s[4:5], v[20:21], v[20:21], v[18:19]
	v_rcp_f64_e32 v[24:25], v[22:23]
	v_div_scale_f64 v[28:29], vcc, v[18:19], v[20:21], v[18:19]
	v_fma_f64 v[30:31], -v[22:23], v[24:25], 1.0
	v_fmac_f64_e32 v[24:25], v[24:25], v[30:31]
	v_fma_f64 v[30:31], -v[22:23], v[24:25], 1.0
	v_fmac_f64_e32 v[24:25], v[24:25], v[30:31]
	v_mul_f64 v[30:31], v[28:29], v[24:25]
	v_fma_f64 v[22:23], -v[22:23], v[30:31], v[28:29]
	v_div_fmas_f64 v[22:23], v[22:23], v[24:25], v[30:31]
	v_div_fixup_f64 v[24:25], v[22:23], v[20:21], v[18:19]
	v_fma_f64 v[22:23], v[18:19], v[24:25], v[20:21]
	v_div_scale_f64 v[28:29], s[4:5], v[22:23], v[22:23], 1.0
	v_rcp_f64_e32 v[30:31], v[28:29]
	s_mov_b64 s[4:5], 0
	v_fma_f64 v[32:33], -v[28:29], v[30:31], 1.0
	v_fmac_f64_e32 v[30:31], v[30:31], v[32:33]
	v_fma_f64 v[32:33], -v[28:29], v[30:31], 1.0
	v_fmac_f64_e32 v[30:31], v[30:31], v[32:33]
	v_div_scale_f64 v[32:33], vcc, 1.0, v[22:23], 1.0
	v_mul_f64 v[34:35], v[32:33], v[30:31]
	v_fma_f64 v[28:29], -v[28:29], v[34:35], v[32:33]
	s_nop 1
	v_div_fmas_f64 v[28:29], v[28:29], v[30:31], v[34:35]
	v_div_fixup_f64 v[28:29], v[28:29], v[22:23], 1.0
	v_fma_f64 v[22:23], v[24:25], v[6:7], v[8:9]
	v_fma_f64 v[24:25], v[24:25], v[8:9], -v[6:7]
	v_mul_f64 v[22:23], v[22:23], v[28:29]
	v_mul_f64 v[24:25], v[24:25], v[28:29]
.LBB223_125:                            ;   in Loop: Header=BB223_113 Depth=1
	s_andn2_b64 vcc, exec, s[4:5]
	s_cbranch_vccnz .LBB223_127
; %bb.126:                              ;   in Loop: Header=BB223_113 Depth=1
	v_div_scale_f64 v[22:23], s[4:5], v[18:19], v[18:19], v[20:21]
	v_rcp_f64_e32 v[24:25], v[22:23]
	v_div_scale_f64 v[28:29], vcc, v[20:21], v[18:19], v[20:21]
	v_fma_f64 v[30:31], -v[22:23], v[24:25], 1.0
	v_fmac_f64_e32 v[24:25], v[24:25], v[30:31]
	v_fma_f64 v[30:31], -v[22:23], v[24:25], 1.0
	v_fmac_f64_e32 v[24:25], v[24:25], v[30:31]
	v_mul_f64 v[30:31], v[28:29], v[24:25]
	v_fma_f64 v[22:23], -v[22:23], v[30:31], v[28:29]
	v_div_fmas_f64 v[22:23], v[22:23], v[24:25], v[30:31]
	v_div_fixup_f64 v[24:25], v[22:23], v[18:19], v[20:21]
	v_fmac_f64_e32 v[18:19], v[20:21], v[24:25]
	v_div_scale_f64 v[20:21], s[4:5], v[18:19], v[18:19], 1.0
	v_rcp_f64_e32 v[22:23], v[20:21]
	s_nop 0
	v_fma_f64 v[28:29], -v[20:21], v[22:23], 1.0
	v_fmac_f64_e32 v[22:23], v[22:23], v[28:29]
	v_fma_f64 v[28:29], -v[20:21], v[22:23], 1.0
	v_fmac_f64_e32 v[22:23], v[22:23], v[28:29]
	v_div_scale_f64 v[28:29], vcc, 1.0, v[18:19], 1.0
	v_mul_f64 v[30:31], v[28:29], v[22:23]
	v_fma_f64 v[20:21], -v[20:21], v[30:31], v[28:29]
	s_nop 1
	v_div_fmas_f64 v[20:21], v[20:21], v[22:23], v[30:31]
	v_div_fixup_f64 v[18:19], v[20:21], v[18:19], 1.0
	v_fma_f64 v[20:21], v[24:25], v[8:9], v[6:7]
	v_fma_f64 v[6:7], -v[24:25], v[6:7], v[8:9]
	v_mul_f64 v[22:23], v[20:21], v[18:19]
	v_mul_f64 v[24:25], v[6:7], v[18:19]
.LBB223_127:                            ;   in Loop: Header=BB223_113 Depth=1
	v_mov_b32_e32 v6, s9
	ds_read_b128 v[18:21], v6 offset:320
	ds_write_b128 v26, v[22:25] offset:640
	ds_read_b128 v[28:31], v6 offset:336
	ds_read_b128 v[32:35], v6 offset:352
	;; [unrolled: 1-line block ×3, first 2 shown]
	s_mov_b64 s[4:5], -1
	s_waitcnt lgkmcnt(4)
	v_mul_f64 v[36:37], v[12:13], v[20:21]
	v_fma_f64 v[36:37], v[10:11], v[18:19], -v[36:37]
	v_mul_f64 v[10:11], v[10:11], v[20:21]
	v_fmac_f64_e32 v[10:11], v[12:13], v[18:19]
	v_add_f64 v[4:5], v[4:5], -v[10:11]
	s_waitcnt lgkmcnt(2)
	v_mul_f64 v[10:11], v[16:17], v[30:31]
	v_mul_f64 v[12:13], v[14:15], v[30:31]
	v_add_f64 v[2:3], v[2:3], -v[36:37]
	v_fma_f64 v[10:11], v[14:15], v[28:29], -v[10:11]
	v_fmac_f64_e32 v[12:13], v[16:17], v[28:29]
	v_add_f64 v[2:3], v[2:3], -v[10:11]
	v_add_f64 v[4:5], v[4:5], -v[12:13]
	s_waitcnt lgkmcnt(1)
	v_mul_f64 v[10:11], v[24:25], v[34:35]
	v_mul_f64 v[12:13], v[22:23], v[34:35]
	v_fma_f64 v[10:11], v[22:23], v[32:33], -v[10:11]
	v_fmac_f64_e32 v[12:13], v[24:25], v[32:33]
	s_waitcnt lgkmcnt(0)
	v_cmp_ngt_f64_e64 s[10:11], |v[6:7]|, |v[8:9]|
	v_add_f64 v[10:11], v[2:3], -v[10:11]
	v_add_f64 v[12:13], v[4:5], -v[12:13]
	s_and_b64 vcc, exec, s[10:11]
                                        ; implicit-def: $vgpr4_vgpr5
	s_cbranch_vccz .LBB223_129
; %bb.128:                              ;   in Loop: Header=BB223_113 Depth=1
	v_div_scale_f64 v[2:3], s[4:5], v[8:9], v[8:9], v[6:7]
	v_rcp_f64_e32 v[4:5], v[2:3]
	v_div_scale_f64 v[14:15], vcc, v[6:7], v[8:9], v[6:7]
	v_fma_f64 v[16:17], -v[2:3], v[4:5], 1.0
	v_fmac_f64_e32 v[4:5], v[4:5], v[16:17]
	v_fma_f64 v[16:17], -v[2:3], v[4:5], 1.0
	v_fmac_f64_e32 v[4:5], v[4:5], v[16:17]
	v_mul_f64 v[16:17], v[14:15], v[4:5]
	v_fma_f64 v[2:3], -v[2:3], v[16:17], v[14:15]
	v_div_fmas_f64 v[2:3], v[2:3], v[4:5], v[16:17]
	v_div_fixup_f64 v[4:5], v[2:3], v[8:9], v[6:7]
	v_fma_f64 v[2:3], v[6:7], v[4:5], v[8:9]
	v_div_scale_f64 v[14:15], s[4:5], v[2:3], v[2:3], 1.0
	v_rcp_f64_e32 v[16:17], v[14:15]
	s_mov_b64 s[4:5], 0
	v_fma_f64 v[18:19], -v[14:15], v[16:17], 1.0
	v_fmac_f64_e32 v[16:17], v[16:17], v[18:19]
	v_fma_f64 v[18:19], -v[14:15], v[16:17], 1.0
	v_fmac_f64_e32 v[16:17], v[16:17], v[18:19]
	v_div_scale_f64 v[18:19], vcc, 1.0, v[2:3], 1.0
	v_mul_f64 v[20:21], v[18:19], v[16:17]
	v_fma_f64 v[14:15], -v[14:15], v[20:21], v[18:19]
	s_nop 1
	v_div_fmas_f64 v[14:15], v[14:15], v[16:17], v[20:21]
	v_div_fixup_f64 v[14:15], v[14:15], v[2:3], 1.0
	v_fma_f64 v[2:3], v[4:5], v[10:11], v[12:13]
	v_fma_f64 v[4:5], v[4:5], v[12:13], -v[10:11]
	v_mul_f64 v[2:3], v[2:3], v[14:15]
	v_mul_f64 v[4:5], v[4:5], v[14:15]
.LBB223_129:                            ;   in Loop: Header=BB223_113 Depth=1
	s_andn2_b64 vcc, exec, s[4:5]
	s_cbranch_vccnz .LBB223_131
; %bb.130:                              ;   in Loop: Header=BB223_113 Depth=1
	v_div_scale_f64 v[2:3], s[4:5], v[6:7], v[6:7], v[8:9]
	v_rcp_f64_e32 v[4:5], v[2:3]
	v_div_scale_f64 v[14:15], vcc, v[8:9], v[6:7], v[8:9]
	v_fma_f64 v[16:17], -v[2:3], v[4:5], 1.0
	v_fmac_f64_e32 v[4:5], v[4:5], v[16:17]
	v_fma_f64 v[16:17], -v[2:3], v[4:5], 1.0
	v_fmac_f64_e32 v[4:5], v[4:5], v[16:17]
	v_mul_f64 v[16:17], v[14:15], v[4:5]
	v_fma_f64 v[2:3], -v[2:3], v[16:17], v[14:15]
	v_div_fmas_f64 v[2:3], v[2:3], v[4:5], v[16:17]
	v_div_fixup_f64 v[4:5], v[2:3], v[6:7], v[8:9]
	v_fmac_f64_e32 v[6:7], v[8:9], v[4:5]
	v_div_scale_f64 v[2:3], s[4:5], v[6:7], v[6:7], 1.0
	v_rcp_f64_e32 v[8:9], v[2:3]
	s_nop 0
	v_fma_f64 v[14:15], -v[2:3], v[8:9], 1.0
	v_fmac_f64_e32 v[8:9], v[8:9], v[14:15]
	v_fma_f64 v[14:15], -v[2:3], v[8:9], 1.0
	v_fmac_f64_e32 v[8:9], v[8:9], v[14:15]
	v_div_scale_f64 v[14:15], vcc, 1.0, v[6:7], 1.0
	v_mul_f64 v[16:17], v[14:15], v[8:9]
	v_fma_f64 v[2:3], -v[2:3], v[16:17], v[14:15]
	s_nop 1
	v_div_fmas_f64 v[2:3], v[2:3], v[8:9], v[16:17]
	v_div_fixup_f64 v[6:7], v[2:3], v[6:7], 1.0
	v_fma_f64 v[2:3], v[4:5], v[12:13], v[10:11]
	v_fma_f64 v[4:5], -v[4:5], v[10:11], v[12:13]
	v_mul_f64 v[2:3], v[2:3], v[6:7]
	v_mul_f64 v[4:5], v[4:5], v[6:7]
.LBB223_131:                            ;   in Loop: Header=BB223_113 Depth=1
	s_add_i32 s9, s7, 4
	s_add_i32 s4, s7, 7
	s_addk_i32 s6, 0x500
	s_cmp_ge_i32 s4, s25
	ds_write_b128 v26, v[2:5] offset:960
	s_cbranch_scc1 .LBB223_133
; %bb.132:                              ;   in Loop: Header=BB223_113 Depth=1
	s_mov_b32 s7, s9
	s_branch .LBB223_113
.LBB223_133:
	s_cmp_ge_i32 s9, s25
	s_cbranch_scc1 .LBB223_142
; %bb.134:
	v_mov_b32_e32 v2, 0x1900
	v_lshl_add_u32 v14, v0, 4, v2
	s_mul_i32 s6, s9, 0x140
	s_branch .LBB223_136
.LBB223_135:                            ;   in Loop: Header=BB223_136 Depth=1
	s_add_i32 s9, s9, 1
	s_addk_i32 s6, 0x140
	s_cmp_ge_i32 s9, s25
	ds_write_b128 v15, v[10:13]
	s_cbranch_scc1 .LBB223_142
.LBB223_136:                            ; =>This Loop Header: Depth=1
                                        ;     Child Loop BB223_137 Depth 2
	s_mul_i32 s4, s9, 0x140
	v_add_u32_e32 v15, s4, v1
	ds_read_b128 v[2:5], v15
	s_cmp_eq_u32 s9, 0
	s_mov_b32 s4, s6
	v_mov_b32_e32 v6, v14
	s_mov_b32 s5, s9
	s_cbranch_scc1 .LBB223_138
.LBB223_137:                            ;   Parent Loop BB223_136 Depth=1
                                        ; =>  This Inner Loop Header: Depth=2
	v_mov_b32_e32 v7, s4
	ds_read_b128 v[8:11], v6
	ds_read_b128 v[16:19], v7
	s_add_i32 s5, s5, -1
	s_add_i32 s4, s4, 16
	v_add_u32_e32 v6, 0x140, v6
	s_cmp_eq_u32 s5, 0
	s_waitcnt lgkmcnt(0)
	v_mul_f64 v[12:13], v[18:19], v[10:11]
	v_mul_f64 v[10:11], v[16:17], v[10:11]
	v_fma_f64 v[12:13], v[16:17], v[8:9], -v[12:13]
	v_fmac_f64_e32 v[10:11], v[18:19], v[8:9]
	v_add_f64 v[2:3], v[2:3], -v[12:13]
	v_add_f64 v[4:5], v[4:5], -v[10:11]
	s_cbranch_scc0 .LBB223_137
.LBB223_138:                            ;   in Loop: Header=BB223_136 Depth=1
	s_mul_i32 s4, s9, 0x150
	v_mov_b32_e32 v6, s4
	ds_read_b128 v[6:9], v6
	s_mov_b64 s[4:5], -1
                                        ; implicit-def: $vgpr10_vgpr11
	s_waitcnt lgkmcnt(0)
	v_cmp_ngt_f64_e64 s[10:11], |v[6:7]|, |v[8:9]|
	s_and_b64 vcc, exec, s[10:11]
	s_cbranch_vccz .LBB223_140
; %bb.139:                              ;   in Loop: Header=BB223_136 Depth=1
	v_div_scale_f64 v[10:11], s[4:5], v[8:9], v[8:9], v[6:7]
	v_rcp_f64_e32 v[12:13], v[10:11]
	v_div_scale_f64 v[16:17], vcc, v[6:7], v[8:9], v[6:7]
	v_fma_f64 v[18:19], -v[10:11], v[12:13], 1.0
	v_fmac_f64_e32 v[12:13], v[12:13], v[18:19]
	v_fma_f64 v[18:19], -v[10:11], v[12:13], 1.0
	v_fmac_f64_e32 v[12:13], v[12:13], v[18:19]
	v_mul_f64 v[18:19], v[16:17], v[12:13]
	v_fma_f64 v[10:11], -v[10:11], v[18:19], v[16:17]
	v_div_fmas_f64 v[10:11], v[10:11], v[12:13], v[18:19]
	v_div_fixup_f64 v[12:13], v[10:11], v[8:9], v[6:7]
	v_fma_f64 v[10:11], v[6:7], v[12:13], v[8:9]
	v_div_scale_f64 v[16:17], s[4:5], v[10:11], v[10:11], 1.0
	v_rcp_f64_e32 v[18:19], v[16:17]
	s_mov_b64 s[4:5], 0
	v_fma_f64 v[20:21], -v[16:17], v[18:19], 1.0
	v_fmac_f64_e32 v[18:19], v[18:19], v[20:21]
	v_fma_f64 v[20:21], -v[16:17], v[18:19], 1.0
	v_fmac_f64_e32 v[18:19], v[18:19], v[20:21]
	v_div_scale_f64 v[20:21], vcc, 1.0, v[10:11], 1.0
	v_mul_f64 v[22:23], v[20:21], v[18:19]
	v_fma_f64 v[16:17], -v[16:17], v[22:23], v[20:21]
	s_nop 1
	v_div_fmas_f64 v[16:17], v[16:17], v[18:19], v[22:23]
	v_div_fixup_f64 v[16:17], v[16:17], v[10:11], 1.0
	v_fma_f64 v[10:11], v[2:3], v[12:13], v[4:5]
	v_fma_f64 v[12:13], v[4:5], v[12:13], -v[2:3]
	v_mul_f64 v[10:11], v[10:11], v[16:17]
	v_mul_f64 v[12:13], v[12:13], v[16:17]
.LBB223_140:                            ;   in Loop: Header=BB223_136 Depth=1
	s_andn2_b64 vcc, exec, s[4:5]
	s_cbranch_vccnz .LBB223_135
; %bb.141:                              ;   in Loop: Header=BB223_136 Depth=1
	v_div_scale_f64 v[10:11], s[4:5], v[6:7], v[6:7], v[8:9]
	v_rcp_f64_e32 v[12:13], v[10:11]
	v_div_scale_f64 v[16:17], vcc, v[8:9], v[6:7], v[8:9]
	v_fma_f64 v[18:19], -v[10:11], v[12:13], 1.0
	v_fmac_f64_e32 v[12:13], v[12:13], v[18:19]
	v_fma_f64 v[18:19], -v[10:11], v[12:13], 1.0
	v_fmac_f64_e32 v[12:13], v[12:13], v[18:19]
	v_mul_f64 v[18:19], v[16:17], v[12:13]
	v_fma_f64 v[10:11], -v[10:11], v[18:19], v[16:17]
	v_div_fmas_f64 v[10:11], v[10:11], v[12:13], v[18:19]
	v_div_fixup_f64 v[12:13], v[10:11], v[6:7], v[8:9]
	v_fmac_f64_e32 v[6:7], v[8:9], v[12:13]
	v_div_scale_f64 v[8:9], s[4:5], v[6:7], v[6:7], 1.0
	v_rcp_f64_e32 v[10:11], v[8:9]
	s_nop 0
	v_fma_f64 v[16:17], -v[8:9], v[10:11], 1.0
	v_fmac_f64_e32 v[10:11], v[10:11], v[16:17]
	v_fma_f64 v[16:17], -v[8:9], v[10:11], 1.0
	v_fmac_f64_e32 v[10:11], v[10:11], v[16:17]
	v_div_scale_f64 v[16:17], vcc, 1.0, v[6:7], 1.0
	v_mul_f64 v[18:19], v[16:17], v[10:11]
	v_fma_f64 v[8:9], -v[8:9], v[18:19], v[16:17]
	s_nop 1
	v_div_fmas_f64 v[8:9], v[8:9], v[10:11], v[18:19]
	v_div_fixup_f64 v[6:7], v[8:9], v[6:7], 1.0
	v_fma_f64 v[8:9], v[4:5], v[12:13], v[2:3]
	v_fma_f64 v[2:3], -v[2:3], v[12:13], v[4:5]
	v_mul_f64 v[10:11], v[8:9], v[6:7]
	v_mul_f64 v[12:13], v[2:3], v[6:7]
	s_branch .LBB223_135
.LBB223_142:
	s_and_saveexec_b64 s[4:5], s[0:1]
	s_cbranch_execz .LBB223_146
; %bb.143:
	s_cmp_lt_i32 s24, 1
	s_cbranch_scc1 .LBB223_146
; %bb.144:
	s_ashr_i32 s9, s8, 31
	v_lshlrev_b32_e32 v2, 4, v0
	v_mov_b32_e32 v3, 0
	v_lshl_add_u64 v[0:1], s[2:3], 0, v[2:3]
	s_lshl_b64 s[0:1], s[8:9], 4
	v_add_u32_e32 v2, 0x1900, v2
.LBB223_145:                            ; =>This Inner Loop Header: Depth=1
	ds_read2_b64 v[4:7], v2 offset1:1
	s_add_i32 s24, s24, -1
	v_add_u32_e32 v2, 0x140, v2
	s_cmp_lg_u32 s24, 0
	s_waitcnt lgkmcnt(0)
	flat_store_dwordx4 v[0:1], v[4:7]
	v_lshl_add_u64 v[0:1], v[0:1], 0, s[0:1]
	s_cbranch_scc1 .LBB223_145
.LBB223_146:
	s_endpgm
	.section	.rodata,"a",@progbits
	.p2align	6, 0x0
	.amdhsa_kernel _ZL31rocblas_trsm_small_right_deviceI19rocblas_complex_numIdES1_PKPKS1_PKPS1_Li20EEv13rocblas_fill_18rocblas_operation_17rocblas_diagonal_iiT0_T1_lilT2_lili
		.amdhsa_group_segment_fixed_size 12800
		.amdhsa_private_segment_fixed_size 0
		.amdhsa_kernarg_size 368
		.amdhsa_user_sgpr_count 2
		.amdhsa_user_sgpr_dispatch_ptr 0
		.amdhsa_user_sgpr_queue_ptr 0
		.amdhsa_user_sgpr_kernarg_segment_ptr 1
		.amdhsa_user_sgpr_dispatch_id 0
		.amdhsa_user_sgpr_kernarg_preload_length 0
		.amdhsa_user_sgpr_kernarg_preload_offset 0
		.amdhsa_user_sgpr_private_segment_size 0
		.amdhsa_uses_dynamic_stack 0
		.amdhsa_enable_private_segment 0
		.amdhsa_system_sgpr_workgroup_id_x 1
		.amdhsa_system_sgpr_workgroup_id_y 0
		.amdhsa_system_sgpr_workgroup_id_z 1
		.amdhsa_system_sgpr_workgroup_info 0
		.amdhsa_system_vgpr_workitem_id 0
		.amdhsa_next_free_vgpr 129
		.amdhsa_next_free_sgpr 96
		.amdhsa_accum_offset 56
		.amdhsa_reserve_vcc 1
		.amdhsa_float_round_mode_32 0
		.amdhsa_float_round_mode_16_64 0
		.amdhsa_float_denorm_mode_32 3
		.amdhsa_float_denorm_mode_16_64 3
		.amdhsa_dx10_clamp 1
		.amdhsa_ieee_mode 1
		.amdhsa_fp16_overflow 0
		.amdhsa_tg_split 0
		.amdhsa_exception_fp_ieee_invalid_op 0
		.amdhsa_exception_fp_denorm_src 0
		.amdhsa_exception_fp_ieee_div_zero 0
		.amdhsa_exception_fp_ieee_overflow 0
		.amdhsa_exception_fp_ieee_underflow 0
		.amdhsa_exception_fp_ieee_inexact 0
		.amdhsa_exception_int_div_zero 0
	.end_amdhsa_kernel
	.section	.text._ZL31rocblas_trsm_small_right_deviceI19rocblas_complex_numIdES1_PKPKS1_PKPS1_Li20EEv13rocblas_fill_18rocblas_operation_17rocblas_diagonal_iiT0_T1_lilT2_lili,"axG",@progbits,_ZL31rocblas_trsm_small_right_deviceI19rocblas_complex_numIdES1_PKPKS1_PKPS1_Li20EEv13rocblas_fill_18rocblas_operation_17rocblas_diagonal_iiT0_T1_lilT2_lili,comdat
.Lfunc_end223:
	.size	_ZL31rocblas_trsm_small_right_deviceI19rocblas_complex_numIdES1_PKPKS1_PKPS1_Li20EEv13rocblas_fill_18rocblas_operation_17rocblas_diagonal_iiT0_T1_lilT2_lili, .Lfunc_end223-_ZL31rocblas_trsm_small_right_deviceI19rocblas_complex_numIdES1_PKPKS1_PKPS1_Li20EEv13rocblas_fill_18rocblas_operation_17rocblas_diagonal_iiT0_T1_lilT2_lili
                                        ; -- End function
	.set _ZL31rocblas_trsm_small_right_deviceI19rocblas_complex_numIdES1_PKPKS1_PKPS1_Li20EEv13rocblas_fill_18rocblas_operation_17rocblas_diagonal_iiT0_T1_lilT2_lili.num_vgpr, 54
	.set _ZL31rocblas_trsm_small_right_deviceI19rocblas_complex_numIdES1_PKPKS1_PKPS1_Li20EEv13rocblas_fill_18rocblas_operation_17rocblas_diagonal_iiT0_T1_lilT2_lili.num_agpr, 0
	.set _ZL31rocblas_trsm_small_right_deviceI19rocblas_complex_numIdES1_PKPKS1_PKPS1_Li20EEv13rocblas_fill_18rocblas_operation_17rocblas_diagonal_iiT0_T1_lilT2_lili.numbered_sgpr, 28
	.set _ZL31rocblas_trsm_small_right_deviceI19rocblas_complex_numIdES1_PKPKS1_PKPS1_Li20EEv13rocblas_fill_18rocblas_operation_17rocblas_diagonal_iiT0_T1_lilT2_lili.num_named_barrier, 0
	.set _ZL31rocblas_trsm_small_right_deviceI19rocblas_complex_numIdES1_PKPKS1_PKPS1_Li20EEv13rocblas_fill_18rocblas_operation_17rocblas_diagonal_iiT0_T1_lilT2_lili.private_seg_size, 0
	.set _ZL31rocblas_trsm_small_right_deviceI19rocblas_complex_numIdES1_PKPKS1_PKPS1_Li20EEv13rocblas_fill_18rocblas_operation_17rocblas_diagonal_iiT0_T1_lilT2_lili.uses_vcc, 1
	.set _ZL31rocblas_trsm_small_right_deviceI19rocblas_complex_numIdES1_PKPKS1_PKPS1_Li20EEv13rocblas_fill_18rocblas_operation_17rocblas_diagonal_iiT0_T1_lilT2_lili.uses_flat_scratch, 0
	.set _ZL31rocblas_trsm_small_right_deviceI19rocblas_complex_numIdES1_PKPKS1_PKPS1_Li20EEv13rocblas_fill_18rocblas_operation_17rocblas_diagonal_iiT0_T1_lilT2_lili.has_dyn_sized_stack, 0
	.set _ZL31rocblas_trsm_small_right_deviceI19rocblas_complex_numIdES1_PKPKS1_PKPS1_Li20EEv13rocblas_fill_18rocblas_operation_17rocblas_diagonal_iiT0_T1_lilT2_lili.has_recursion, 0
	.set _ZL31rocblas_trsm_small_right_deviceI19rocblas_complex_numIdES1_PKPKS1_PKPS1_Li20EEv13rocblas_fill_18rocblas_operation_17rocblas_diagonal_iiT0_T1_lilT2_lili.has_indirect_call, 0
	.section	.AMDGPU.csdata,"",@progbits
; Kernel info:
; codeLenInByte = 13808
; TotalNumSgprs: 34
; NumVgprs: 54
; NumAgprs: 0
; TotalNumVgprs: 54
; ScratchSize: 0
; MemoryBound: 0
; FloatMode: 240
; IeeeMode: 1
; LDSByteSize: 12800 bytes/workgroup (compile time only)
; SGPRBlocks: 12
; VGPRBlocks: 16
; NumSGPRsForWavesPerEU: 102
; NumVGPRsForWavesPerEU: 129
; AccumOffset: 56
; Occupancy: 3
; WaveLimiterHint : 0
; COMPUTE_PGM_RSRC2:SCRATCH_EN: 0
; COMPUTE_PGM_RSRC2:USER_SGPR: 2
; COMPUTE_PGM_RSRC2:TRAP_HANDLER: 0
; COMPUTE_PGM_RSRC2:TGID_X_EN: 1
; COMPUTE_PGM_RSRC2:TGID_Y_EN: 0
; COMPUTE_PGM_RSRC2:TGID_Z_EN: 1
; COMPUTE_PGM_RSRC2:TIDIG_COMP_CNT: 0
; COMPUTE_PGM_RSRC3_GFX90A:ACCUM_OFFSET: 13
; COMPUTE_PGM_RSRC3_GFX90A:TG_SPLIT: 0
	.section	.text._ZL38rocblas_trsm_small_left_device_sharedBILi24ELi24ELb0E19rocblas_complex_numIdES1_PKPKS1_PKPS1_Ev13rocblas_fill_18rocblas_operation_17rocblas_diagonal_iiT3_T4_lilT5_lili,"axG",@progbits,_ZL38rocblas_trsm_small_left_device_sharedBILi24ELi24ELb0E19rocblas_complex_numIdES1_PKPKS1_PKPS1_Ev13rocblas_fill_18rocblas_operation_17rocblas_diagonal_iiT3_T4_lilT5_lili,comdat
	.globl	_ZL38rocblas_trsm_small_left_device_sharedBILi24ELi24ELb0E19rocblas_complex_numIdES1_PKPKS1_PKPS1_Ev13rocblas_fill_18rocblas_operation_17rocblas_diagonal_iiT3_T4_lilT5_lili ; -- Begin function _ZL38rocblas_trsm_small_left_device_sharedBILi24ELi24ELb0E19rocblas_complex_numIdES1_PKPKS1_PKPS1_Ev13rocblas_fill_18rocblas_operation_17rocblas_diagonal_iiT3_T4_lilT5_lili
	.p2align	8
	.type	_ZL38rocblas_trsm_small_left_device_sharedBILi24ELi24ELb0E19rocblas_complex_numIdES1_PKPKS1_PKPS1_Ev13rocblas_fill_18rocblas_operation_17rocblas_diagonal_iiT3_T4_lilT5_lili,@function
_ZL38rocblas_trsm_small_left_device_sharedBILi24ELi24ELb0E19rocblas_complex_numIdES1_PKPKS1_PKPS1_Ev13rocblas_fill_18rocblas_operation_17rocblas_diagonal_iiT3_T4_lilT5_lili: ; @_ZL38rocblas_trsm_small_left_device_sharedBILi24ELi24ELb0E19rocblas_complex_numIdES1_PKPKS1_PKPS1_Ev13rocblas_fill_18rocblas_operation_17rocblas_diagonal_iiT3_T4_lilT5_lili
; %bb.0:
	s_load_dwordx4 s[12:15], s[0:1], 0x4
	s_load_dwordx4 s[16:19], s[0:1], 0x48
	s_load_dwordx8 s[4:11], s[0:1], 0x18
	s_mov_b32 s20, s3
	s_mov_b32 s21, 0
	s_lshl_b64 s[22:23], s[20:21], 3
	s_waitcnt lgkmcnt(0)
	s_add_u32 s16, s16, s22
	s_addc_u32 s17, s17, s23
	s_load_dword s3, s[0:1], 0x70
	s_min_i32 s24, s14, 24
	s_load_dwordx2 s[16:17], s[16:17], 0x0
	v_cmp_gt_i32_e32 vcc, s24, v0
	s_and_saveexec_b64 s[20:21], vcc
	s_cbranch_execz .LBB224_11
; %bb.1:
	s_load_dword s26, s[0:1], 0x38
	v_lshlrev_b32_e32 v2, 4, v0
	v_mov_b32_e32 v3, 0
	v_mov_b32_e32 v1, v2
	s_waitcnt lgkmcnt(0)
	s_ashr_i32 s27, s26, 31
	s_cmpk_eq_i32 s12, 0x71
	s_cselect_b64 vcc, -1, 0
	s_add_u32 s8, s8, s22
	s_addc_u32 s9, s9, s23
	s_load_dwordx2 s[8:9], s[8:9], 0x0
	s_lshl_b64 s[10:11], s[10:11], 4
	s_waitcnt lgkmcnt(0)
	s_add_u32 s10, s8, s10
	s_addc_u32 s11, s9, s11
	s_lshl_b64 s[8:9], s[26:27], 4
	v_lshl_add_u64 v[4:5], s[10:11], 0, v[2:3]
	s_mov_b32 s10, s24
.LBB224_2:                              ; =>This Inner Loop Header: Depth=1
	flat_load_dwordx4 v[6:9], v[4:5]
	s_add_i32 s10, s10, -1
	v_lshl_add_u64 v[4:5], v[4:5], 0, s[8:9]
	s_cmp_eq_u32 s10, 0
	s_waitcnt vmcnt(0) lgkmcnt(0)
	v_xor_b32_e32 v3, 0x80000000, v9
	v_cndmask_b32_e32 v9, v9, v3, vcc
	ds_write_b128 v1, v[6:9]
	v_add_u32_e32 v1, 0x180, v1
	s_cbranch_scc0 .LBB224_2
; %bb.3:
	v_mul_u32_u24_e32 v1, 0x180, v0
	s_cmpk_lg_i32 s13, 0x84
	v_add_u32_e32 v1, v2, v1
	s_cbranch_scc0 .LBB224_9
; %bb.4:
	ds_read_b128 v[2:5], v1
                                        ; implicit-def: $vgpr8_vgpr9
	s_waitcnt lgkmcnt(0)
	v_cmp_ngt_f64_e64 s[8:9], |v[2:3]|, |v[4:5]|
	s_and_saveexec_b64 s[10:11], s[8:9]
	s_xor_b64 s[8:9], exec, s[10:11]
	s_cbranch_execz .LBB224_6
; %bb.5:
	v_div_scale_f64 v[6:7], s[10:11], v[4:5], v[4:5], v[2:3]
	v_rcp_f64_e32 v[8:9], v[6:7]
	v_div_scale_f64 v[10:11], vcc, v[2:3], v[4:5], v[2:3]
	v_fma_f64 v[12:13], -v[6:7], v[8:9], 1.0
	v_fmac_f64_e32 v[8:9], v[8:9], v[12:13]
	v_fma_f64 v[12:13], -v[6:7], v[8:9], 1.0
	v_fmac_f64_e32 v[8:9], v[8:9], v[12:13]
	v_mul_f64 v[12:13], v[10:11], v[8:9]
	v_fma_f64 v[6:7], -v[6:7], v[12:13], v[10:11]
	v_div_fmas_f64 v[6:7], v[6:7], v[8:9], v[12:13]
	v_div_fixup_f64 v[8:9], v[6:7], v[4:5], v[2:3]
	v_fmac_f64_e32 v[4:5], v[2:3], v[8:9]
	v_div_scale_f64 v[2:3], s[10:11], v[4:5], v[4:5], 1.0
	v_rcp_f64_e32 v[6:7], v[2:3]
	s_nop 0
	v_fma_f64 v[10:11], -v[2:3], v[6:7], 1.0
	v_fmac_f64_e32 v[6:7], v[6:7], v[10:11]
	v_fma_f64 v[10:11], -v[2:3], v[6:7], 1.0
	v_fmac_f64_e32 v[6:7], v[6:7], v[10:11]
	v_div_scale_f64 v[10:11], vcc, 1.0, v[4:5], 1.0
	v_mul_f64 v[12:13], v[10:11], v[6:7]
	v_fma_f64 v[2:3], -v[2:3], v[12:13], v[10:11]
	s_nop 1
	v_div_fmas_f64 v[2:3], v[2:3], v[6:7], v[12:13]
	v_div_fixup_f64 v[2:3], v[2:3], v[4:5], 1.0
	v_add_f64 v[4:5], v[8:9], 0
	v_mul_f64 v[6:7], v[4:5], v[2:3]
	v_fma_f64 v[4:5], v[8:9], 0, -1.0
	v_mul_f64 v[8:9], v[4:5], v[2:3]
                                        ; implicit-def: $vgpr2_vgpr3
.LBB224_6:
	s_andn2_saveexec_b64 s[8:9], s[8:9]
	s_cbranch_execz .LBB224_8
; %bb.7:
	v_div_scale_f64 v[6:7], s[10:11], v[2:3], v[2:3], v[4:5]
	v_rcp_f64_e32 v[8:9], v[6:7]
	v_div_scale_f64 v[10:11], vcc, v[4:5], v[2:3], v[4:5]
	v_fma_f64 v[12:13], -v[6:7], v[8:9], 1.0
	v_fmac_f64_e32 v[8:9], v[8:9], v[12:13]
	v_fma_f64 v[12:13], -v[6:7], v[8:9], 1.0
	v_fmac_f64_e32 v[8:9], v[8:9], v[12:13]
	v_mul_f64 v[12:13], v[10:11], v[8:9]
	v_fma_f64 v[6:7], -v[6:7], v[12:13], v[10:11]
	v_div_fmas_f64 v[6:7], v[6:7], v[8:9], v[12:13]
	v_div_fixup_f64 v[8:9], v[6:7], v[2:3], v[4:5]
	v_fmac_f64_e32 v[2:3], v[4:5], v[8:9]
	v_div_scale_f64 v[4:5], s[10:11], v[2:3], v[2:3], 1.0
	v_rcp_f64_e32 v[6:7], v[4:5]
	s_nop 0
	v_fma_f64 v[10:11], -v[4:5], v[6:7], 1.0
	v_fmac_f64_e32 v[6:7], v[6:7], v[10:11]
	v_fma_f64 v[10:11], -v[4:5], v[6:7], 1.0
	v_fmac_f64_e32 v[6:7], v[6:7], v[10:11]
	v_div_scale_f64 v[10:11], vcc, 1.0, v[2:3], 1.0
	v_mul_f64 v[12:13], v[10:11], v[6:7]
	v_fma_f64 v[4:5], -v[4:5], v[12:13], v[10:11]
	s_nop 1
	v_div_fmas_f64 v[4:5], v[4:5], v[6:7], v[12:13]
	v_div_fixup_f64 v[2:3], v[4:5], v[2:3], 1.0
	v_fma_f64 v[4:5], v[8:9], 0, 1.0
	v_mul_f64 v[6:7], v[4:5], v[2:3]
	v_add_f64 v[4:5], -v[8:9], 0
	v_mul_f64 v[8:9], v[4:5], v[2:3]
.LBB224_8:
	s_or_b64 exec, exec, s[8:9]
	s_branch .LBB224_10
.LBB224_9:
	v_mov_b64_e32 v[8:9], 0
	v_mov_b64_e32 v[6:7], 1.0
.LBB224_10:
	ds_write_b128 v1, v[6:9]
.LBB224_11:
	s_or_b64 exec, exec, s[20:21]
	s_load_dword s13, s[0:1], 0x58
	s_lshl_b64 s[0:1], s[18:19], 4
	s_waitcnt lgkmcnt(0)
	s_add_u32 s8, s16, s0
	s_mul_i32 s0, s2, 0xffffffe8
	s_addc_u32 s9, s17, s1
	s_add_i32 s3, s3, -1
	s_add_i32 s0, s15, s0
	s_cmp_ge_u32 s2, s3
	s_mul_i32 s2, s2, 24
	s_cselect_b32 s10, s0, 24
	s_mul_hi_i32 s1, s13, s2
	s_mul_i32 s0, s13, s2
	s_lshl_b64 s[0:1], s[0:1], 4
	s_add_u32 s2, s8, s0
	s_addc_u32 s3, s9, s1
	s_cmp_gt_i32 s14, 0
	v_cmp_gt_i32_e64 s[0:1], s10, v0
	s_cselect_b64 s[8:9], -1, 0
	s_and_b64 s[14:15], s[0:1], s[8:9]
	s_and_saveexec_b64 s[10:11], s[14:15]
	s_cbranch_execz .LBB224_14
; %bb.12:
	v_mad_i64_i32 v[2:3], s[14:15], s13, v0, 0
	v_mov_b32_e32 v1, 0x2400
	v_lshl_add_u64 v[2:3], v[2:3], 4, s[2:3]
	v_lshl_or_b32 v1, v0, 4, v1
	s_mov_b32 s14, s24
.LBB224_13:                             ; =>This Inner Loop Header: Depth=1
	flat_load_dwordx4 v[4:7], v[2:3]
	s_add_i32 s14, s14, -1
	v_lshl_add_u64 v[2:3], v[2:3], 0, 16
	s_cmp_lg_u32 s14, 0
	s_waitcnt vmcnt(0) lgkmcnt(0)
	v_mul_f64 v[10:11], s[6:7], v[6:7]
	v_mul_f64 v[8:9], s[4:5], v[6:7]
	v_fma_f64 v[6:7], s[4:5], v[4:5], -v[10:11]
	v_fmac_f64_e32 v[8:9], s[6:7], v[4:5]
	ds_write_b128 v1, v[6:9]
	v_add_u32_e32 v1, 0x180, v1
	s_cbranch_scc1 .LBB224_13
.LBB224_14:
	s_or_b64 exec, exec, s[10:11]
	v_mov_b32_e32 v1, 0x2400
	s_cmpk_eq_i32 s12, 0x6f
	v_lshl_or_b32 v1, v0, 4, v1
	s_mov_b64 s[4:5], -1
	s_waitcnt lgkmcnt(0)
	; wave barrier
	s_cbranch_scc1 .LBB224_36
; %bb.15:
	s_mov_b32 s5, 0
	s_mov_b32 s4, s5
	;; [unrolled: 1-line block ×3, first 2 shown]
	s_branch .LBB224_17
.LBB224_16:                             ;   in Loop: Header=BB224_17 Depth=1
	s_cmp_ge_i32 s10, s24
	s_cselect_b64 s[6:7], -1, 0
	s_add_i32 s4, s4, 1
	s_cmp_eq_u32 s4, 3
	s_cselect_b64 s[14:15], -1, 0
	s_or_b64 s[6:7], s[6:7], s[14:15]
	s_andn2_b64 vcc, exec, s[6:7]
	s_cbranch_vccz .LBB224_35
.LBB224_17:                             ; =>This Loop Header: Depth=1
                                        ;     Child Loop BB224_20 Depth 2
                                        ;       Child Loop BB224_21 Depth 3
                                        ;       Child Loop BB224_24 Depth 3
                                        ;         Child Loop BB224_25 Depth 4
                                        ;       Child Loop BB224_29 Depth 3
                                        ;         Child Loop BB224_31 Depth 4
	s_lshl_b64 s[6:7], s[4:5], 2
	s_getpc_b64 s[14:15]
	s_add_u32 s14, s14, __const._ZL38rocblas_trsm_small_left_device_sharedBILi24ELi24ELb0E19rocblas_complex_numIdES1_PKPKS1_PKPS1_Ev13rocblas_fill_18rocblas_operation_17rocblas_diagonal_iiT3_T4_lilT5_lili.step_sizes@rel32@lo+4
	s_addc_u32 s15, s15, __const._ZL38rocblas_trsm_small_left_device_sharedBILi24ELi24ELb0E19rocblas_complex_numIdES1_PKPKS1_PKPS1_Ev13rocblas_fill_18rocblas_operation_17rocblas_diagonal_iiT3_T4_lilT5_lili.step_sizes@rel32@hi+12
	s_add_u32 s6, s14, s6
	s_addc_u32 s7, s15, s7
	s_load_dword s11, s[6:7], 0x0
	s_waitcnt lgkmcnt(0)
	s_add_i32 s12, s11, -1
	s_add_i32 s6, s12, s10
	s_cmp_ge_i32 s6, s24
	s_cbranch_scc1 .LBB224_16
; %bb.18:                               ;   in Loop: Header=BB224_17 Depth=1
	s_mul_i32 s15, s10, 0x180
	s_max_i32 s14, s11, 1
	v_add_u32_e32 v6, s15, v1
	s_mul_i32 s16, s11, 0x180
	s_mul_i32 s17, s10, 0x190
	;; [unrolled: 1-line block ×3, first 2 shown]
	s_branch .LBB224_20
.LBB224_19:                             ;   in Loop: Header=BB224_20 Depth=2
	s_add_i32 s10, s10, s11
	s_add_i32 s6, s12, s10
	;; [unrolled: 1-line block ×4, first 2 shown]
	s_cmp_ge_i32 s6, s24
	v_add_u32_e32 v6, s16, v6
	s_cbranch_scc1 .LBB224_16
.LBB224_20:                             ;   Parent Loop BB224_17 Depth=1
                                        ; =>  This Loop Header: Depth=2
                                        ;       Child Loop BB224_21 Depth 3
                                        ;       Child Loop BB224_24 Depth 3
                                        ;         Child Loop BB224_25 Depth 4
                                        ;       Child Loop BB224_29 Depth 3
                                        ;         Child Loop BB224_31 Depth 4
	s_mov_b32 s6, 0
	v_mov_b32_e32 v2, v6
	s_mov_b32 s7, s14
.LBB224_21:                             ;   Parent Loop BB224_17 Depth=1
                                        ;     Parent Loop BB224_20 Depth=2
                                        ; =>    This Inner Loop Header: Depth=3
	ds_read_b128 v[8:11], v2
	s_add_i32 s7, s7, -1
	v_add_u32_e32 v2, 0x180, v2
	s_waitcnt lgkmcnt(0)
	scratch_store_dwordx4 off, v[8:11], s6
	s_add_i32 s6, s6, 16
	s_cmp_eq_u32 s7, 0
	s_cbranch_scc0 .LBB224_21
; %bb.22:                               ;   in Loop: Header=BB224_20 Depth=2
	s_cmp_lt_i32 s10, 1
	s_cbranch_scc1 .LBB224_27
; %bb.23:                               ;   in Loop: Header=BB224_20 Depth=2
	s_mov_b32 s6, 0
	s_mov_b32 s7, s15
.LBB224_24:                             ;   Parent Loop BB224_17 Depth=1
                                        ;     Parent Loop BB224_20 Depth=2
                                        ; =>    This Loop Header: Depth=3
                                        ;         Child Loop BB224_25 Depth 4
	s_mul_i32 s19, s6, 0x180
	v_add_u32_e32 v2, s19, v1
	ds_read_b128 v[2:5], v2
	s_mov_b32 s19, 0
	s_mov_b32 s20, s7
	;; [unrolled: 1-line block ×3, first 2 shown]
.LBB224_25:                             ;   Parent Loop BB224_17 Depth=1
                                        ;     Parent Loop BB224_20 Depth=2
                                        ;       Parent Loop BB224_24 Depth=3
                                        ; =>      This Inner Loop Header: Depth=4
	scratch_load_dwordx4 v[8:11], off, s19
	v_mov_b32_e32 v7, s20
	ds_read_b128 v[12:15], v7
	s_add_i32 s21, s21, -1
	s_addk_i32 s20, 0x180
	s_waitcnt lgkmcnt(0)
	v_mul_f64 v[16:17], v[4:5], v[14:15]
	v_mul_f64 v[14:15], v[2:3], v[14:15]
	v_fma_f64 v[16:17], v[2:3], v[12:13], -v[16:17]
	v_fmac_f64_e32 v[14:15], v[4:5], v[12:13]
	s_waitcnt vmcnt(0)
	v_add_f64 v[8:9], v[8:9], -v[16:17]
	v_add_f64 v[10:11], v[10:11], -v[14:15]
	scratch_store_dwordx4 off, v[8:11], s19
	s_add_i32 s19, s19, 16
	s_cmp_eq_u32 s21, 0
	s_cbranch_scc0 .LBB224_25
; %bb.26:                               ;   in Loop: Header=BB224_24 Depth=3
	s_add_i32 s6, s6, 1
	s_add_i32 s7, s7, 16
	s_cmp_eq_u32 s6, s10
	s_cbranch_scc0 .LBB224_24
.LBB224_27:                             ;   in Loop: Header=BB224_20 Depth=2
	s_mul_i32 s19, s10, 0x180
	s_mov_b32 s20, 0
	s_mov_b32 s21, s17
	s_branch .LBB224_29
.LBB224_28:                             ;   in Loop: Header=BB224_29 Depth=3
	s_mul_i32 s6, s23, 0x190
	v_mov_b32_e32 v7, s6
	ds_read_b128 v[8:11], v7
	s_lshl_b32 s6, s20, 4
	s_add_i32 s20, s20, 1
	s_addk_i32 s21, 0x180
	s_cmp_eq_u32 s20, s14
	s_waitcnt vmcnt(0) lgkmcnt(0)
	v_mul_f64 v[12:13], v[10:11], v[4:5]
	v_mul_f64 v[14:15], v[8:9], v[4:5]
	v_fma_f64 v[12:13], v[8:9], v[2:3], -v[12:13]
	v_fmac_f64_e32 v[14:15], v[10:11], v[2:3]
	v_add_u32_e32 v2, s22, v1
	scratch_store_dwordx4 off, v[12:15], s6
	ds_write_b128 v2, v[12:15]
	s_cbranch_scc1 .LBB224_19
.LBB224_29:                             ;   Parent Loop BB224_17 Depth=1
                                        ;     Parent Loop BB224_20 Depth=2
                                        ; =>    This Loop Header: Depth=3
                                        ;         Child Loop BB224_31 Depth 4
	s_cmp_lg_u32 s20, 0
	s_cbranch_scc0 .LBB224_33
; %bb.30:                               ;   in Loop: Header=BB224_29 Depth=3
	s_lshl_b32 s6, s20, 4
	scratch_load_dwordx4 v[2:5], off, s6
	s_add_i32 s23, s20, s10
	s_mul_i32 s22, s23, 0x180
	s_mov_b32 s7, 0
	s_mov_b32 s25, s21
	;; [unrolled: 1-line block ×3, first 2 shown]
.LBB224_31:                             ;   Parent Loop BB224_17 Depth=1
                                        ;     Parent Loop BB224_20 Depth=2
                                        ;       Parent Loop BB224_29 Depth=3
                                        ; =>      This Inner Loop Header: Depth=4
	scratch_load_dwordx4 v[8:11], off, s7
	v_mov_b32_e32 v7, s25
	ds_read_b128 v[12:15], v7
	s_add_i32 s26, s26, -1
	s_add_i32 s7, s7, 16
	s_add_i32 s25, s25, 16
	s_cmp_eq_u32 s26, 0
	s_waitcnt vmcnt(0) lgkmcnt(0)
	v_mul_f64 v[16:17], v[14:15], v[10:11]
	v_mul_f64 v[10:11], v[12:13], v[10:11]
	v_fma_f64 v[12:13], v[12:13], v[8:9], -v[16:17]
	v_fmac_f64_e32 v[10:11], v[14:15], v[8:9]
	v_add_f64 v[2:3], v[2:3], -v[12:13]
	v_add_f64 v[4:5], v[4:5], -v[10:11]
	scratch_store_dwordx4 off, v[2:5], s6
	s_cbranch_scc0 .LBB224_31
; %bb.32:                               ;   in Loop: Header=BB224_29 Depth=3
	s_branch .LBB224_28
.LBB224_33:                             ;   in Loop: Header=BB224_29 Depth=3
                                        ; implicit-def: $vgpr2_vgpr3
                                        ; implicit-def: $sgpr23
                                        ; implicit-def: $sgpr22
	s_cbranch_execz .LBB224_28
; %bb.34:                               ;   in Loop: Header=BB224_29 Depth=3
	scratch_load_dwordx4 v[2:5], off, off
	s_mov_b32 s22, s19
	s_mov_b32 s23, s10
	s_branch .LBB224_28
.LBB224_35:
	s_mov_b64 s[4:5], 0
.LBB224_36:
	s_and_b64 vcc, exec, s[4:5]
	s_cbranch_vccz .LBB224_56
; %bb.37:
	s_add_i32 s10, s24, -1
	v_mov_b32_e32 v2, 0x2400
	s_mul_i32 s11, s24, 0x180
	s_mov_b32 s5, 0
	v_lshl_or_b32 v6, v0, 4, v2
	s_addk_i32 s11, 0xfe80
	s_mov_b32 s4, s5
	s_mov_b32 s12, s10
	s_branch .LBB224_39
.LBB224_38:                             ;   in Loop: Header=BB224_39 Depth=1
	s_cmp_lt_i32 s12, 0
	s_cselect_b64 s[6:7], -1, 0
	s_add_i32 s4, s4, 1
	s_cmp_eq_u32 s4, 3
	s_cselect_b64 s[14:15], -1, 0
	s_or_b64 s[6:7], s[6:7], s[14:15]
	s_and_b64 vcc, exec, s[6:7]
	s_cbranch_vccnz .LBB224_56
.LBB224_39:                             ; =>This Loop Header: Depth=1
                                        ;     Child Loop BB224_42 Depth 2
                                        ;       Child Loop BB224_43 Depth 3
                                        ;       Child Loop BB224_45 Depth 3
                                        ;         Child Loop BB224_46 Depth 4
                                        ;       Child Loop BB224_50 Depth 3
                                        ;         Child Loop BB224_52 Depth 4
	s_lshl_b64 s[6:7], s[4:5], 2
	s_getpc_b64 s[14:15]
	s_add_u32 s14, s14, __const._ZL38rocblas_trsm_small_left_device_sharedBILi24ELi24ELb0E19rocblas_complex_numIdES1_PKPKS1_PKPS1_Ev13rocblas_fill_18rocblas_operation_17rocblas_diagonal_iiT3_T4_lilT5_lili.step_sizes@rel32@lo+4
	s_addc_u32 s15, s15, __const._ZL38rocblas_trsm_small_left_device_sharedBILi24ELi24ELb0E19rocblas_complex_numIdES1_PKPKS1_PKPS1_Ev13rocblas_fill_18rocblas_operation_17rocblas_diagonal_iiT3_T4_lilT5_lili.step_sizes@rel32@hi+12
	s_add_u32 s6, s14, s6
	s_addc_u32 s7, s15, s7
	s_load_dword s14, s[6:7], 0x0
	s_waitcnt lgkmcnt(0)
	s_add_i32 s15, s14, -1
	s_cmp_lt_i32 s12, s15
	s_cbranch_scc1 .LBB224_38
; %bb.40:                               ;   in Loop: Header=BB224_39 Depth=1
	s_mul_i32 s6, s12, 0x180
	v_add_u32_e32 v7, s6, v6
	s_lshl_b32 s6, s12, 4
	s_add_i32 s18, s11, s6
	s_lshl_b32 s6, s14, 4
	s_max_i32 s16, s14, 1
	s_mul_i32 s17, s14, 0xfffffe80
	s_sub_i32 s19, 0, s6
	s_mul_i32 s20, s12, 0x190
	s_mul_i32 s21, s14, 0xfffffe70
	s_branch .LBB224_42
.LBB224_41:                             ;   in Loop: Header=BB224_42 Depth=2
	s_sub_i32 s12, s12, s14
	s_add_i32 s18, s18, s19
	s_add_i32 s20, s20, s21
	s_cmp_lt_i32 s12, s15
	v_add_u32_e32 v7, s17, v7
	s_cbranch_scc1 .LBB224_38
.LBB224_42:                             ;   Parent Loop BB224_39 Depth=1
                                        ; =>  This Loop Header: Depth=2
                                        ;       Child Loop BB224_43 Depth 3
                                        ;       Child Loop BB224_45 Depth 3
                                        ;         Child Loop BB224_46 Depth 4
                                        ;       Child Loop BB224_50 Depth 3
                                        ;         Child Loop BB224_52 Depth 4
	s_mov_b32 s6, 0
	v_mov_b32_e32 v2, v7
	s_mov_b32 s7, s16
.LBB224_43:                             ;   Parent Loop BB224_39 Depth=1
                                        ;     Parent Loop BB224_42 Depth=2
                                        ; =>    This Inner Loop Header: Depth=3
	ds_read_b128 v[8:11], v2
	s_add_i32 s7, s7, -1
	v_add_u32_e32 v2, 0xfffffe80, v2
	s_waitcnt lgkmcnt(0)
	scratch_store_dwordx4 off, v[8:11], s6
	s_add_i32 s6, s6, 16
	s_cmp_eq_u32 s7, 0
	s_cbranch_scc0 .LBB224_43
; %bb.44:                               ;   in Loop: Header=BB224_42 Depth=2
	s_cmp_le_i32 s10, s12
	s_mov_b32 s6, s18
	s_mov_b32 s7, s10
	s_cbranch_scc1 .LBB224_48
.LBB224_45:                             ;   Parent Loop BB224_39 Depth=1
                                        ;     Parent Loop BB224_42 Depth=2
                                        ; =>    This Loop Header: Depth=3
                                        ;         Child Loop BB224_46 Depth 4
	s_mul_i32 s22, s7, 0x180
	v_add_u32_e32 v2, s22, v1
	ds_read_b128 v[2:5], v2
	s_mov_b32 s22, 0
	s_mov_b32 s23, s6
	;; [unrolled: 1-line block ×3, first 2 shown]
.LBB224_46:                             ;   Parent Loop BB224_39 Depth=1
                                        ;     Parent Loop BB224_42 Depth=2
                                        ;       Parent Loop BB224_45 Depth=3
                                        ; =>      This Inner Loop Header: Depth=4
	scratch_load_dwordx4 v[8:11], off, s22
	v_mov_b32_e32 v12, s23
	ds_read_b128 v[12:15], v12
	s_add_i32 s25, s25, -1
	s_add_i32 s23, s23, -16
	s_waitcnt lgkmcnt(0)
	v_mul_f64 v[16:17], v[4:5], v[14:15]
	v_mul_f64 v[14:15], v[2:3], v[14:15]
	v_fma_f64 v[16:17], v[2:3], v[12:13], -v[16:17]
	v_fmac_f64_e32 v[14:15], v[4:5], v[12:13]
	s_waitcnt vmcnt(0)
	v_add_f64 v[8:9], v[8:9], -v[16:17]
	v_add_f64 v[10:11], v[10:11], -v[14:15]
	scratch_store_dwordx4 off, v[8:11], s22
	s_add_i32 s22, s22, 16
	s_cmp_eq_u32 s25, 0
	s_cbranch_scc0 .LBB224_46
; %bb.47:                               ;   in Loop: Header=BB224_45 Depth=3
	s_add_i32 s7, s7, -1
	s_addk_i32 s6, 0xfe80
	s_cmp_le_i32 s7, s12
	s_cbranch_scc0 .LBB224_45
.LBB224_48:                             ;   in Loop: Header=BB224_42 Depth=2
	s_mov_b32 s22, 0
	s_mov_b32 s23, s20
	s_branch .LBB224_50
.LBB224_49:                             ;   in Loop: Header=BB224_50 Depth=3
	s_mul_i32 s6, s25, 0x190
	v_mov_b32_e32 v8, s6
	ds_read_b128 v[8:11], v8
	s_lshl_b32 s6, s22, 4
	s_add_i32 s22, s22, 1
	s_add_i32 s23, s23, -16
	s_cmp_eq_u32 s22, s16
	s_waitcnt vmcnt(0) lgkmcnt(0)
	v_mul_f64 v[12:13], v[10:11], v[4:5]
	v_mul_f64 v[14:15], v[8:9], v[4:5]
	v_fma_f64 v[12:13], v[8:9], v[2:3], -v[12:13]
	v_fmac_f64_e32 v[14:15], v[10:11], v[2:3]
	scratch_store_dwordx4 off, v[12:15], s6
	s_mul_i32 s6, s25, 0x180
	v_add_u32_e32 v2, s6, v1
	ds_write_b128 v2, v[12:15]
	s_cbranch_scc1 .LBB224_41
.LBB224_50:                             ;   Parent Loop BB224_39 Depth=1
                                        ;     Parent Loop BB224_42 Depth=2
                                        ; =>    This Loop Header: Depth=3
                                        ;         Child Loop BB224_52 Depth 4
	s_cmp_lg_u32 s22, 0
	s_cbranch_scc0 .LBB224_54
; %bb.51:                               ;   in Loop: Header=BB224_50 Depth=3
	s_lshl_b32 s6, s22, 4
	scratch_load_dwordx4 v[2:5], off, s6
	s_sub_i32 s25, s12, s22
	s_mov_b32 s7, 0
	s_mov_b32 s26, s23
	;; [unrolled: 1-line block ×3, first 2 shown]
.LBB224_52:                             ;   Parent Loop BB224_39 Depth=1
                                        ;     Parent Loop BB224_42 Depth=2
                                        ;       Parent Loop BB224_50 Depth=3
                                        ; =>      This Inner Loop Header: Depth=4
	scratch_load_dwordx4 v[8:11], off, s7
	v_mov_b32_e32 v12, s26
	ds_read_b128 v[12:15], v12
	s_add_i32 s27, s27, -1
	s_addk_i32 s26, 0xfe80
	s_add_i32 s7, s7, 16
	s_cmp_eq_u32 s27, 0
	s_waitcnt vmcnt(0) lgkmcnt(0)
	v_mul_f64 v[16:17], v[14:15], v[10:11]
	v_mul_f64 v[10:11], v[12:13], v[10:11]
	v_fma_f64 v[12:13], v[12:13], v[8:9], -v[16:17]
	v_fmac_f64_e32 v[10:11], v[14:15], v[8:9]
	v_add_f64 v[2:3], v[2:3], -v[12:13]
	v_add_f64 v[4:5], v[4:5], -v[10:11]
	scratch_store_dwordx4 off, v[2:5], s6
	s_cbranch_scc0 .LBB224_52
; %bb.53:                               ;   in Loop: Header=BB224_50 Depth=3
	s_branch .LBB224_49
.LBB224_54:                             ;   in Loop: Header=BB224_50 Depth=3
                                        ; implicit-def: $vgpr2_vgpr3
                                        ; implicit-def: $sgpr25
	s_cbranch_execz .LBB224_49
; %bb.55:                               ;   in Loop: Header=BB224_50 Depth=3
	scratch_load_dwordx4 v[2:5], off, off
	s_mov_b32 s25, s12
	s_branch .LBB224_49
.LBB224_56:
	s_waitcnt lgkmcnt(0)
	; wave barrier
	s_and_saveexec_b64 s[4:5], s[0:1]
	s_cbranch_execz .LBB224_60
; %bb.57:
	s_andn2_b64 vcc, exec, s[8:9]
	s_cbranch_vccnz .LBB224_60
; %bb.58:
	v_mad_i64_i32 v[2:3], s[0:1], s13, v0, 0
	v_mov_b32_e32 v1, 0x2400
	v_lshl_add_u64 v[2:3], v[2:3], 4, s[2:3]
	v_lshl_or_b32 v0, v0, 4, v1
.LBB224_59:                             ; =>This Inner Loop Header: Depth=1
	ds_read2_b64 v[4:7], v0 offset1:1
	s_add_i32 s24, s24, -1
	v_add_u32_e32 v0, 0x180, v0
	s_cmp_lg_u32 s24, 0
	s_waitcnt lgkmcnt(0)
	flat_store_dwordx4 v[2:3], v[4:7]
	v_lshl_add_u64 v[2:3], v[2:3], 0, 16
	s_cbranch_scc1 .LBB224_59
.LBB224_60:
	s_endpgm
	.section	.rodata,"a",@progbits
	.p2align	6, 0x0
	.amdhsa_kernel _ZL38rocblas_trsm_small_left_device_sharedBILi24ELi24ELb0E19rocblas_complex_numIdES1_PKPKS1_PKPS1_Ev13rocblas_fill_18rocblas_operation_17rocblas_diagonal_iiT3_T4_lilT5_lili
		.amdhsa_group_segment_fixed_size 18432
		.amdhsa_private_segment_fixed_size 400
		.amdhsa_kernarg_size 368
		.amdhsa_user_sgpr_count 2
		.amdhsa_user_sgpr_dispatch_ptr 0
		.amdhsa_user_sgpr_queue_ptr 0
		.amdhsa_user_sgpr_kernarg_segment_ptr 1
		.amdhsa_user_sgpr_dispatch_id 0
		.amdhsa_user_sgpr_kernarg_preload_length 0
		.amdhsa_user_sgpr_kernarg_preload_offset 0
		.amdhsa_user_sgpr_private_segment_size 0
		.amdhsa_uses_dynamic_stack 0
		.amdhsa_enable_private_segment 1
		.amdhsa_system_sgpr_workgroup_id_x 1
		.amdhsa_system_sgpr_workgroup_id_y 0
		.amdhsa_system_sgpr_workgroup_id_z 1
		.amdhsa_system_sgpr_workgroup_info 0
		.amdhsa_system_vgpr_workitem_id 0
		.amdhsa_next_free_vgpr 169
		.amdhsa_next_free_sgpr 96
		.amdhsa_accum_offset 20
		.amdhsa_reserve_vcc 1
		.amdhsa_float_round_mode_32 0
		.amdhsa_float_round_mode_16_64 0
		.amdhsa_float_denorm_mode_32 3
		.amdhsa_float_denorm_mode_16_64 3
		.amdhsa_dx10_clamp 1
		.amdhsa_ieee_mode 1
		.amdhsa_fp16_overflow 0
		.amdhsa_tg_split 0
		.amdhsa_exception_fp_ieee_invalid_op 0
		.amdhsa_exception_fp_denorm_src 0
		.amdhsa_exception_fp_ieee_div_zero 0
		.amdhsa_exception_fp_ieee_overflow 0
		.amdhsa_exception_fp_ieee_underflow 0
		.amdhsa_exception_fp_ieee_inexact 0
		.amdhsa_exception_int_div_zero 0
	.end_amdhsa_kernel
	.section	.text._ZL38rocblas_trsm_small_left_device_sharedBILi24ELi24ELb0E19rocblas_complex_numIdES1_PKPKS1_PKPS1_Ev13rocblas_fill_18rocblas_operation_17rocblas_diagonal_iiT3_T4_lilT5_lili,"axG",@progbits,_ZL38rocblas_trsm_small_left_device_sharedBILi24ELi24ELb0E19rocblas_complex_numIdES1_PKPKS1_PKPS1_Ev13rocblas_fill_18rocblas_operation_17rocblas_diagonal_iiT3_T4_lilT5_lili,comdat
.Lfunc_end224:
	.size	_ZL38rocblas_trsm_small_left_device_sharedBILi24ELi24ELb0E19rocblas_complex_numIdES1_PKPKS1_PKPS1_Ev13rocblas_fill_18rocblas_operation_17rocblas_diagonal_iiT3_T4_lilT5_lili, .Lfunc_end224-_ZL38rocblas_trsm_small_left_device_sharedBILi24ELi24ELb0E19rocblas_complex_numIdES1_PKPKS1_PKPS1_Ev13rocblas_fill_18rocblas_operation_17rocblas_diagonal_iiT3_T4_lilT5_lili
                                        ; -- End function
	.set _ZL38rocblas_trsm_small_left_device_sharedBILi24ELi24ELb0E19rocblas_complex_numIdES1_PKPKS1_PKPS1_Ev13rocblas_fill_18rocblas_operation_17rocblas_diagonal_iiT3_T4_lilT5_lili.num_vgpr, 18
	.set _ZL38rocblas_trsm_small_left_device_sharedBILi24ELi24ELb0E19rocblas_complex_numIdES1_PKPKS1_PKPS1_Ev13rocblas_fill_18rocblas_operation_17rocblas_diagonal_iiT3_T4_lilT5_lili.num_agpr, 0
	.set _ZL38rocblas_trsm_small_left_device_sharedBILi24ELi24ELb0E19rocblas_complex_numIdES1_PKPKS1_PKPS1_Ev13rocblas_fill_18rocblas_operation_17rocblas_diagonal_iiT3_T4_lilT5_lili.numbered_sgpr, 28
	.set _ZL38rocblas_trsm_small_left_device_sharedBILi24ELi24ELb0E19rocblas_complex_numIdES1_PKPKS1_PKPS1_Ev13rocblas_fill_18rocblas_operation_17rocblas_diagonal_iiT3_T4_lilT5_lili.num_named_barrier, 0
	.set _ZL38rocblas_trsm_small_left_device_sharedBILi24ELi24ELb0E19rocblas_complex_numIdES1_PKPKS1_PKPS1_Ev13rocblas_fill_18rocblas_operation_17rocblas_diagonal_iiT3_T4_lilT5_lili.private_seg_size, 400
	.set _ZL38rocblas_trsm_small_left_device_sharedBILi24ELi24ELb0E19rocblas_complex_numIdES1_PKPKS1_PKPS1_Ev13rocblas_fill_18rocblas_operation_17rocblas_diagonal_iiT3_T4_lilT5_lili.uses_vcc, 1
	.set _ZL38rocblas_trsm_small_left_device_sharedBILi24ELi24ELb0E19rocblas_complex_numIdES1_PKPKS1_PKPS1_Ev13rocblas_fill_18rocblas_operation_17rocblas_diagonal_iiT3_T4_lilT5_lili.uses_flat_scratch, 0
	.set _ZL38rocblas_trsm_small_left_device_sharedBILi24ELi24ELb0E19rocblas_complex_numIdES1_PKPKS1_PKPS1_Ev13rocblas_fill_18rocblas_operation_17rocblas_diagonal_iiT3_T4_lilT5_lili.has_dyn_sized_stack, 0
	.set _ZL38rocblas_trsm_small_left_device_sharedBILi24ELi24ELb0E19rocblas_complex_numIdES1_PKPKS1_PKPS1_Ev13rocblas_fill_18rocblas_operation_17rocblas_diagonal_iiT3_T4_lilT5_lili.has_recursion, 0
	.set _ZL38rocblas_trsm_small_left_device_sharedBILi24ELi24ELb0E19rocblas_complex_numIdES1_PKPKS1_PKPS1_Ev13rocblas_fill_18rocblas_operation_17rocblas_diagonal_iiT3_T4_lilT5_lili.has_indirect_call, 0
	.section	.AMDGPU.csdata,"",@progbits
; Kernel info:
; codeLenInByte = 2456
; TotalNumSgprs: 34
; NumVgprs: 18
; NumAgprs: 0
; TotalNumVgprs: 18
; ScratchSize: 400
; MemoryBound: 0
; FloatMode: 240
; IeeeMode: 1
; LDSByteSize: 18432 bytes/workgroup (compile time only)
; SGPRBlocks: 12
; VGPRBlocks: 21
; NumSGPRsForWavesPerEU: 102
; NumVGPRsForWavesPerEU: 169
; AccumOffset: 20
; Occupancy: 2
; WaveLimiterHint : 0
; COMPUTE_PGM_RSRC2:SCRATCH_EN: 1
; COMPUTE_PGM_RSRC2:USER_SGPR: 2
; COMPUTE_PGM_RSRC2:TRAP_HANDLER: 0
; COMPUTE_PGM_RSRC2:TGID_X_EN: 1
; COMPUTE_PGM_RSRC2:TGID_Y_EN: 0
; COMPUTE_PGM_RSRC2:TGID_Z_EN: 1
; COMPUTE_PGM_RSRC2:TIDIG_COMP_CNT: 0
; COMPUTE_PGM_RSRC3_GFX90A:ACCUM_OFFSET: 4
; COMPUTE_PGM_RSRC3_GFX90A:TG_SPLIT: 0
	.section	.text._ZL30rocblas_trsm_small_left_deviceILi24ELi24ELb0E19rocblas_complex_numIdES1_PKPKS1_PKPS1_Ev13rocblas_fill_18rocblas_operation_17rocblas_diagonal_iiT3_T4_lilT5_lili,"axG",@progbits,_ZL30rocblas_trsm_small_left_deviceILi24ELi24ELb0E19rocblas_complex_numIdES1_PKPKS1_PKPS1_Ev13rocblas_fill_18rocblas_operation_17rocblas_diagonal_iiT3_T4_lilT5_lili,comdat
	.globl	_ZL30rocblas_trsm_small_left_deviceILi24ELi24ELb0E19rocblas_complex_numIdES1_PKPKS1_PKPS1_Ev13rocblas_fill_18rocblas_operation_17rocblas_diagonal_iiT3_T4_lilT5_lili ; -- Begin function _ZL30rocblas_trsm_small_left_deviceILi24ELi24ELb0E19rocblas_complex_numIdES1_PKPKS1_PKPS1_Ev13rocblas_fill_18rocblas_operation_17rocblas_diagonal_iiT3_T4_lilT5_lili
	.p2align	8
	.type	_ZL30rocblas_trsm_small_left_deviceILi24ELi24ELb0E19rocblas_complex_numIdES1_PKPKS1_PKPS1_Ev13rocblas_fill_18rocblas_operation_17rocblas_diagonal_iiT3_T4_lilT5_lili,@function
_ZL30rocblas_trsm_small_left_deviceILi24ELi24ELb0E19rocblas_complex_numIdES1_PKPKS1_PKPS1_Ev13rocblas_fill_18rocblas_operation_17rocblas_diagonal_iiT3_T4_lilT5_lili: ; @_ZL30rocblas_trsm_small_left_deviceILi24ELi24ELb0E19rocblas_complex_numIdES1_PKPKS1_PKPS1_Ev13rocblas_fill_18rocblas_operation_17rocblas_diagonal_iiT3_T4_lilT5_lili
; %bb.0:
	s_load_dwordx4 s[12:15], s[0:1], 0x4
	s_load_dwordx4 s[16:19], s[0:1], 0x48
	s_load_dwordx8 s[4:11], s[0:1], 0x18
	s_mov_b32 s20, s3
	s_mov_b32 s21, 0
	s_lshl_b64 s[22:23], s[20:21], 3
	s_waitcnt lgkmcnt(0)
	s_add_u32 s16, s16, s22
	s_addc_u32 s17, s17, s23
	s_load_dword s3, s[0:1], 0x70
	s_min_i32 s24, s14, 24
	s_load_dwordx2 s[16:17], s[16:17], 0x0
	v_cmp_gt_i32_e32 vcc, s24, v0
	s_and_saveexec_b64 s[20:21], vcc
	s_cbranch_execz .LBB225_11
; %bb.1:
	s_load_dword s26, s[0:1], 0x38
	v_lshlrev_b32_e32 v2, 4, v0
	v_mov_b32_e32 v3, 0
	v_mov_b32_e32 v1, v2
	s_waitcnt lgkmcnt(0)
	s_ashr_i32 s27, s26, 31
	s_cmpk_eq_i32 s12, 0x71
	s_cselect_b64 vcc, -1, 0
	s_add_u32 s8, s8, s22
	s_addc_u32 s9, s9, s23
	s_load_dwordx2 s[8:9], s[8:9], 0x0
	s_lshl_b64 s[10:11], s[10:11], 4
	s_waitcnt lgkmcnt(0)
	s_add_u32 s10, s8, s10
	s_addc_u32 s11, s9, s11
	s_lshl_b64 s[8:9], s[26:27], 4
	v_lshl_add_u64 v[4:5], s[10:11], 0, v[2:3]
	s_mov_b32 s10, s24
.LBB225_2:                              ; =>This Inner Loop Header: Depth=1
	flat_load_dwordx4 v[6:9], v[4:5]
	s_add_i32 s10, s10, -1
	v_lshl_add_u64 v[4:5], v[4:5], 0, s[8:9]
	s_cmp_eq_u32 s10, 0
	s_waitcnt vmcnt(0) lgkmcnt(0)
	v_xor_b32_e32 v3, 0x80000000, v9
	v_cndmask_b32_e32 v9, v9, v3, vcc
	ds_write_b128 v1, v[6:9]
	v_add_u32_e32 v1, 0x180, v1
	s_cbranch_scc0 .LBB225_2
; %bb.3:
	v_mul_u32_u24_e32 v1, 0x180, v0
	s_cmpk_lg_i32 s13, 0x84
	v_add_u32_e32 v1, v2, v1
	s_cbranch_scc0 .LBB225_9
; %bb.4:
	ds_read_b128 v[2:5], v1
                                        ; implicit-def: $vgpr8_vgpr9
	s_waitcnt lgkmcnt(0)
	v_cmp_ngt_f64_e64 s[8:9], |v[2:3]|, |v[4:5]|
	s_and_saveexec_b64 s[10:11], s[8:9]
	s_xor_b64 s[8:9], exec, s[10:11]
	s_cbranch_execz .LBB225_6
; %bb.5:
	v_div_scale_f64 v[6:7], s[10:11], v[4:5], v[4:5], v[2:3]
	v_rcp_f64_e32 v[8:9], v[6:7]
	v_div_scale_f64 v[10:11], vcc, v[2:3], v[4:5], v[2:3]
	v_fma_f64 v[12:13], -v[6:7], v[8:9], 1.0
	v_fmac_f64_e32 v[8:9], v[8:9], v[12:13]
	v_fma_f64 v[12:13], -v[6:7], v[8:9], 1.0
	v_fmac_f64_e32 v[8:9], v[8:9], v[12:13]
	v_mul_f64 v[12:13], v[10:11], v[8:9]
	v_fma_f64 v[6:7], -v[6:7], v[12:13], v[10:11]
	v_div_fmas_f64 v[6:7], v[6:7], v[8:9], v[12:13]
	v_div_fixup_f64 v[8:9], v[6:7], v[4:5], v[2:3]
	v_fmac_f64_e32 v[4:5], v[2:3], v[8:9]
	v_div_scale_f64 v[2:3], s[10:11], v[4:5], v[4:5], 1.0
	v_rcp_f64_e32 v[6:7], v[2:3]
	s_nop 0
	v_fma_f64 v[10:11], -v[2:3], v[6:7], 1.0
	v_fmac_f64_e32 v[6:7], v[6:7], v[10:11]
	v_fma_f64 v[10:11], -v[2:3], v[6:7], 1.0
	v_fmac_f64_e32 v[6:7], v[6:7], v[10:11]
	v_div_scale_f64 v[10:11], vcc, 1.0, v[4:5], 1.0
	v_mul_f64 v[12:13], v[10:11], v[6:7]
	v_fma_f64 v[2:3], -v[2:3], v[12:13], v[10:11]
	s_nop 1
	v_div_fmas_f64 v[2:3], v[2:3], v[6:7], v[12:13]
	v_div_fixup_f64 v[2:3], v[2:3], v[4:5], 1.0
	v_add_f64 v[4:5], v[8:9], 0
	v_mul_f64 v[6:7], v[4:5], v[2:3]
	v_fma_f64 v[4:5], v[8:9], 0, -1.0
	v_mul_f64 v[8:9], v[4:5], v[2:3]
                                        ; implicit-def: $vgpr2_vgpr3
.LBB225_6:
	s_andn2_saveexec_b64 s[8:9], s[8:9]
	s_cbranch_execz .LBB225_8
; %bb.7:
	v_div_scale_f64 v[6:7], s[10:11], v[2:3], v[2:3], v[4:5]
	v_rcp_f64_e32 v[8:9], v[6:7]
	v_div_scale_f64 v[10:11], vcc, v[4:5], v[2:3], v[4:5]
	v_fma_f64 v[12:13], -v[6:7], v[8:9], 1.0
	v_fmac_f64_e32 v[8:9], v[8:9], v[12:13]
	v_fma_f64 v[12:13], -v[6:7], v[8:9], 1.0
	v_fmac_f64_e32 v[8:9], v[8:9], v[12:13]
	v_mul_f64 v[12:13], v[10:11], v[8:9]
	v_fma_f64 v[6:7], -v[6:7], v[12:13], v[10:11]
	v_div_fmas_f64 v[6:7], v[6:7], v[8:9], v[12:13]
	v_div_fixup_f64 v[8:9], v[6:7], v[2:3], v[4:5]
	v_fmac_f64_e32 v[2:3], v[4:5], v[8:9]
	v_div_scale_f64 v[4:5], s[10:11], v[2:3], v[2:3], 1.0
	v_rcp_f64_e32 v[6:7], v[4:5]
	s_nop 0
	v_fma_f64 v[10:11], -v[4:5], v[6:7], 1.0
	v_fmac_f64_e32 v[6:7], v[6:7], v[10:11]
	v_fma_f64 v[10:11], -v[4:5], v[6:7], 1.0
	v_fmac_f64_e32 v[6:7], v[6:7], v[10:11]
	v_div_scale_f64 v[10:11], vcc, 1.0, v[2:3], 1.0
	v_mul_f64 v[12:13], v[10:11], v[6:7]
	v_fma_f64 v[4:5], -v[4:5], v[12:13], v[10:11]
	s_nop 1
	v_div_fmas_f64 v[4:5], v[4:5], v[6:7], v[12:13]
	v_div_fixup_f64 v[2:3], v[4:5], v[2:3], 1.0
	v_fma_f64 v[4:5], v[8:9], 0, 1.0
	v_mul_f64 v[6:7], v[4:5], v[2:3]
	v_add_f64 v[4:5], -v[8:9], 0
	v_mul_f64 v[8:9], v[4:5], v[2:3]
.LBB225_8:
	s_or_b64 exec, exec, s[8:9]
	s_branch .LBB225_10
.LBB225_9:
	v_mov_b64_e32 v[8:9], 0
	v_mov_b64_e32 v[6:7], 1.0
.LBB225_10:
	ds_write_b128 v1, v[6:9]
.LBB225_11:
	s_or_b64 exec, exec, s[20:21]
	s_mul_i32 s8, s2, 0xffffffe8
	s_waitcnt lgkmcnt(0)
	s_add_i32 s3, s3, -1
	s_add_i32 s8, s15, s8
	s_cmp_ge_u32 s2, s3
	s_cselect_b32 s3, s8, 24
	v_cmp_gt_i32_e32 vcc, s3, v0
	; wave barrier
	s_and_saveexec_b64 s[8:9], vcc
	s_cbranch_execz .LBB225_54
; %bb.12:
	s_load_dword s10, s[0:1], 0x58
	s_lshl_b64 s[0:1], s[18:19], 4
	s_add_u32 s8, s16, s0
	v_mad_u64_u32 v[0:1], s[2:3], s2, 24, v[0:1]
	s_addc_u32 s9, s17, s1
	s_waitcnt lgkmcnt(0)
	v_mad_i64_i32 v[6:7], s[2:3], s10, v0, 0
	v_lshl_add_u64 v[4:5], v[6:7], 4, s[8:9]
	s_cmpk_eq_i32 s12, 0x6f
	s_mov_b64 s[2:3], -1
	s_cbranch_scc1 .LBB225_34
; %bb.13:
	s_add_u32 s2, s16, s0
	s_addc_u32 s3, s17, s1
	v_lshl_add_u64 v[8:9], v[6:7], 4, s[2:3]
	s_mov_b32 s3, 0
	s_mov_b32 s8, s3
	s_mov_b32 s10, s3
	s_branch .LBB225_15
.LBB225_14:                             ;   in Loop: Header=BB225_15 Depth=1
	s_cmp_ge_i32 s10, s24
	s_cselect_b64 s[12:13], -1, 0
	s_add_i32 s8, s8, 1
	s_cmp_eq_u32 s8, 3
	s_cselect_b64 s[14:15], -1, 0
	s_or_b64 s[12:13], s[12:13], s[14:15]
	s_andn2_b64 vcc, exec, s[12:13]
	s_cbranch_vccz .LBB225_33
.LBB225_15:                             ; =>This Loop Header: Depth=1
                                        ;     Child Loop BB225_18 Depth 2
                                        ;       Child Loop BB225_19 Depth 3
                                        ;       Child Loop BB225_22 Depth 3
                                        ;         Child Loop BB225_23 Depth 4
                                        ;       Child Loop BB225_27 Depth 3
                                        ;         Child Loop BB225_29 Depth 4
	s_mov_b32 s9, s3
	s_lshl_b64 s[12:13], s[8:9], 2
	s_getpc_b64 s[14:15]
	s_add_u32 s14, s14, __const._ZL30rocblas_trsm_small_left_deviceILi24ELi24ELb0E19rocblas_complex_numIdES1_PKPKS1_PKPS1_Ev13rocblas_fill_18rocblas_operation_17rocblas_diagonal_iiT3_T4_lilT5_lili.step_sizes@rel32@lo+4
	s_addc_u32 s15, s15, __const._ZL30rocblas_trsm_small_left_deviceILi24ELi24ELb0E19rocblas_complex_numIdES1_PKPKS1_PKPS1_Ev13rocblas_fill_18rocblas_operation_17rocblas_diagonal_iiT3_T4_lilT5_lili.step_sizes@rel32@hi+12
	s_add_u32 s12, s14, s12
	s_addc_u32 s13, s15, s13
	s_load_dword s12, s[12:13], 0x0
	s_waitcnt lgkmcnt(0)
	s_add_i32 s9, s12, -1
	s_add_i32 s2, s9, s10
	s_cmp_ge_i32 s2, s24
	s_cbranch_scc1 .LBB225_14
; %bb.16:                               ;   in Loop: Header=BB225_15 Depth=1
	s_ashr_i32 s11, s10, 31
	s_ashr_i32 s13, s12, 31
	s_max_i32 s22, s12, 1
	v_lshl_add_u64 v[10:11], s[10:11], 4, v[8:9]
	s_lshl_b64 s[14:15], s[12:13], 4
	s_mul_i32 s11, s10, 0x180
	s_mul_i32 s13, s12, 0x180
	s_mul_i32 s23, s10, 0x190
	s_mul_i32 s25, s12, 0x190
	s_branch .LBB225_18
.LBB225_17:                             ;   in Loop: Header=BB225_18 Depth=2
	s_add_i32 s10, s10, s12
	s_add_i32 s2, s9, s10
	;; [unrolled: 1-line block ×4, first 2 shown]
	s_cmp_ge_i32 s2, s24
	v_lshl_add_u64 v[10:11], v[10:11], 0, s[14:15]
	s_cbranch_scc1 .LBB225_14
.LBB225_18:                             ;   Parent Loop BB225_15 Depth=1
                                        ; =>  This Loop Header: Depth=2
                                        ;       Child Loop BB225_19 Depth 3
                                        ;       Child Loop BB225_22 Depth 3
                                        ;         Child Loop BB225_23 Depth 4
                                        ;       Child Loop BB225_27 Depth 3
                                        ;         Child Loop BB225_29 Depth 4
	s_mov_b32 s2, 0
	v_mov_b64_e32 v[0:1], v[10:11]
	s_mov_b32 s18, s22
.LBB225_19:                             ;   Parent Loop BB225_15 Depth=1
                                        ;     Parent Loop BB225_18 Depth=2
                                        ; =>    This Inner Loop Header: Depth=3
	flat_load_dwordx4 v[12:15], v[0:1]
	s_add_i32 s18, s18, -1
	v_lshl_add_u64 v[0:1], v[0:1], 0, 16
	s_waitcnt vmcnt(0) lgkmcnt(0)
	v_mul_f64 v[2:3], s[6:7], v[14:15]
	v_mul_f64 v[16:17], s[4:5], v[14:15]
	v_fma_f64 v[14:15], s[4:5], v[12:13], -v[2:3]
	v_fmac_f64_e32 v[16:17], s[6:7], v[12:13]
	scratch_store_dwordx4 off, v[14:17], s2
	s_add_i32 s2, s2, 16
	s_cmp_eq_u32 s18, 0
	s_cbranch_scc0 .LBB225_19
; %bb.20:                               ;   in Loop: Header=BB225_18 Depth=2
	s_cmp_lt_i32 s10, 1
	s_cbranch_scc1 .LBB225_25
; %bb.21:                               ;   in Loop: Header=BB225_18 Depth=2
	s_mov_b32 s2, 0
	s_mov_b32 s18, s11
.LBB225_22:                             ;   Parent Loop BB225_15 Depth=1
                                        ;     Parent Loop BB225_18 Depth=2
                                        ; =>    This Loop Header: Depth=3
                                        ;         Child Loop BB225_23 Depth 4
	v_lshl_add_u64 v[0:1], s[2:3], 4, v[4:5]
	flat_load_dwordx4 v[0:3], v[0:1]
	s_mov_b32 s19, 0
	s_mov_b32 s20, s18
	;; [unrolled: 1-line block ×3, first 2 shown]
.LBB225_23:                             ;   Parent Loop BB225_15 Depth=1
                                        ;     Parent Loop BB225_18 Depth=2
                                        ;       Parent Loop BB225_22 Depth=3
                                        ; =>      This Inner Loop Header: Depth=4
	scratch_load_dwordx4 v[12:15], off, s19
	v_mov_b32_e32 v16, s20
	ds_read_b128 v[16:19], v16
	s_add_i32 s21, s21, -1
	s_addk_i32 s20, 0x180
	s_waitcnt vmcnt(0) lgkmcnt(0)
	v_mul_f64 v[20:21], v[2:3], v[18:19]
	v_mul_f64 v[18:19], v[0:1], v[18:19]
	v_fma_f64 v[20:21], v[0:1], v[16:17], -v[20:21]
	v_fmac_f64_e32 v[18:19], v[2:3], v[16:17]
	v_add_f64 v[12:13], v[12:13], -v[20:21]
	v_add_f64 v[14:15], v[14:15], -v[18:19]
	scratch_store_dwordx4 off, v[12:15], s19
	s_add_i32 s19, s19, 16
	s_cmp_eq_u32 s21, 0
	s_cbranch_scc0 .LBB225_23
; %bb.24:                               ;   in Loop: Header=BB225_22 Depth=3
	s_add_i32 s2, s2, 1
	s_add_i32 s18, s18, 16
	s_cmp_eq_u32 s2, s10
	s_cbranch_scc0 .LBB225_22
.LBB225_25:                             ;   in Loop: Header=BB225_18 Depth=2
	s_mov_b32 s2, 0
	s_mov_b32 s26, s23
	s_branch .LBB225_27
.LBB225_26:                             ;   in Loop: Header=BB225_27 Depth=3
	s_mul_i32 s19, s18, 0x190
	v_mov_b32_e32 v12, s19
	ds_read_b128 v[12:15], v12
	s_lshl_b32 s19, s2, 4
	s_add_i32 s2, s2, 1
	s_addk_i32 s26, 0x180
	s_waitcnt vmcnt(0) lgkmcnt(0)
	v_mul_f64 v[16:17], v[14:15], v[2:3]
	v_mul_f64 v[18:19], v[12:13], v[2:3]
	v_fma_f64 v[16:17], v[12:13], v[0:1], -v[16:17]
	v_fmac_f64_e32 v[18:19], v[14:15], v[0:1]
	scratch_store_dwordx4 off, v[16:19], s19
	s_ashr_i32 s19, s18, 31
	v_lshl_add_u64 v[0:1], s[18:19], 4, v[4:5]
	s_cmp_eq_u32 s2, s22
	flat_store_dwordx4 v[0:1], v[16:19]
	s_cbranch_scc1 .LBB225_17
.LBB225_27:                             ;   Parent Loop BB225_15 Depth=1
                                        ;     Parent Loop BB225_18 Depth=2
                                        ; =>    This Loop Header: Depth=3
                                        ;         Child Loop BB225_29 Depth 4
	s_cmp_lg_u32 s2, 0
	s_cbranch_scc0 .LBB225_31
; %bb.28:                               ;   in Loop: Header=BB225_27 Depth=3
	s_lshl_b32 s19, s2, 4
	scratch_load_dwordx4 v[0:3], off, s19
	s_add_i32 s18, s2, s10
	s_mov_b32 s20, 0
	s_mov_b32 s21, s26
	;; [unrolled: 1-line block ×3, first 2 shown]
.LBB225_29:                             ;   Parent Loop BB225_15 Depth=1
                                        ;     Parent Loop BB225_18 Depth=2
                                        ;       Parent Loop BB225_27 Depth=3
                                        ; =>      This Inner Loop Header: Depth=4
	scratch_load_dwordx4 v[12:15], off, s20
	v_mov_b32_e32 v16, s21
	ds_read_b128 v[16:19], v16
	s_add_i32 s27, s27, -1
	s_add_i32 s20, s20, 16
	s_add_i32 s21, s21, 16
	s_cmp_eq_u32 s27, 0
	s_waitcnt vmcnt(0) lgkmcnt(0)
	v_mul_f64 v[20:21], v[18:19], v[14:15]
	v_mul_f64 v[14:15], v[16:17], v[14:15]
	v_fma_f64 v[16:17], v[16:17], v[12:13], -v[20:21]
	v_fmac_f64_e32 v[14:15], v[18:19], v[12:13]
	v_add_f64 v[0:1], v[0:1], -v[16:17]
	v_add_f64 v[2:3], v[2:3], -v[14:15]
	scratch_store_dwordx4 off, v[0:3], s19
	s_cbranch_scc0 .LBB225_29
; %bb.30:                               ;   in Loop: Header=BB225_27 Depth=3
	s_branch .LBB225_26
.LBB225_31:                             ;   in Loop: Header=BB225_27 Depth=3
                                        ; implicit-def: $vgpr0_vgpr1
                                        ; implicit-def: $sgpr18
	s_cbranch_execz .LBB225_26
; %bb.32:                               ;   in Loop: Header=BB225_27 Depth=3
	scratch_load_dwordx4 v[0:3], off, off
	s_mov_b32 s18, s10
	s_branch .LBB225_26
.LBB225_33:
	s_mov_b64 s[2:3], 0
.LBB225_34:
	s_and_b64 vcc, exec, s[2:3]
	s_cbranch_vccz .LBB225_54
; %bb.35:
	s_add_i32 s14, s24, -1
	s_add_u32 s0, s16, s0
	s_addc_u32 s1, s17, s1
	v_lshl_add_u64 v[6:7], v[6:7], 4, s[0:1]
	s_mul_i32 s15, s24, 0x180
	s_mov_b32 s1, 0
	s_addk_i32 s15, 0xfe80
	s_mov_b32 s2, s14
	s_mov_b32 s0, s1
	s_branch .LBB225_37
.LBB225_36:                             ;   in Loop: Header=BB225_37 Depth=1
	s_cmp_lt_i32 s2, 0
	s_cselect_b64 s[8:9], -1, 0
	s_add_i32 s0, s0, 1
	s_cmp_eq_u32 s0, 3
	s_cselect_b64 s[10:11], -1, 0
	s_or_b64 s[8:9], s[8:9], s[10:11]
	s_and_b64 vcc, exec, s[8:9]
	s_cbranch_vccnz .LBB225_54
.LBB225_37:                             ; =>This Loop Header: Depth=1
                                        ;     Child Loop BB225_40 Depth 2
                                        ;       Child Loop BB225_41 Depth 3
                                        ;       Child Loop BB225_43 Depth 3
                                        ;         Child Loop BB225_44 Depth 4
                                        ;       Child Loop BB225_48 Depth 3
                                        ;         Child Loop BB225_50 Depth 4
	s_lshl_b64 s[8:9], s[0:1], 2
	s_getpc_b64 s[10:11]
	s_add_u32 s10, s10, __const._ZL30rocblas_trsm_small_left_deviceILi24ELi24ELb0E19rocblas_complex_numIdES1_PKPKS1_PKPS1_Ev13rocblas_fill_18rocblas_operation_17rocblas_diagonal_iiT3_T4_lilT5_lili.step_sizes@rel32@lo+4
	s_addc_u32 s11, s11, __const._ZL30rocblas_trsm_small_left_deviceILi24ELi24ELb0E19rocblas_complex_numIdES1_PKPKS1_PKPS1_Ev13rocblas_fill_18rocblas_operation_17rocblas_diagonal_iiT3_T4_lilT5_lili.step_sizes@rel32@hi+12
	s_add_u32 s8, s10, s8
	s_addc_u32 s9, s11, s9
	s_load_dword s16, s[8:9], 0x0
	s_waitcnt lgkmcnt(0)
	s_add_i32 s17, s16, -1
	s_cmp_lt_i32 s2, s17
	s_cbranch_scc1 .LBB225_36
; %bb.38:                               ;   in Loop: Header=BB225_37 Depth=1
	s_lshl_b32 s3, s2, 4
	s_add_i32 s19, s15, s3
	s_lshl_b32 s3, s16, 4
	s_max_i32 s18, s16, 1
	s_sub_i32 s20, 0, s3
	s_mul_i32 s21, s2, 0x190
	s_mul_i32 s22, s16, 0xfffffe70
	s_branch .LBB225_40
.LBB225_39:                             ;   in Loop: Header=BB225_40 Depth=2
	s_sub_i32 s2, s2, s16
	s_add_i32 s19, s19, s20
	s_add_i32 s21, s21, s22
	s_cmp_lt_i32 s2, s17
	s_cbranch_scc1 .LBB225_36
.LBB225_40:                             ;   Parent Loop BB225_37 Depth=1
                                        ; =>  This Loop Header: Depth=2
                                        ;       Child Loop BB225_41 Depth 3
                                        ;       Child Loop BB225_43 Depth 3
                                        ;         Child Loop BB225_44 Depth 4
                                        ;       Child Loop BB225_48 Depth 3
                                        ;         Child Loop BB225_50 Depth 4
	s_ashr_i32 s3, s2, 31
	v_lshl_add_u64 v[0:1], s[2:3], 4, v[6:7]
	s_mov_b32 s8, 0
	s_mov_b32 s9, s18
.LBB225_41:                             ;   Parent Loop BB225_37 Depth=1
                                        ;     Parent Loop BB225_40 Depth=2
                                        ; =>    This Inner Loop Header: Depth=3
	flat_load_dwordx4 v[8:11], v[0:1]
	s_add_i32 s9, s9, -1
	v_lshl_add_u64 v[0:1], v[0:1], 0, -16
	s_waitcnt vmcnt(0) lgkmcnt(0)
	v_mul_f64 v[2:3], s[6:7], v[10:11]
	v_mul_f64 v[12:13], s[4:5], v[10:11]
	v_fma_f64 v[10:11], s[4:5], v[8:9], -v[2:3]
	v_fmac_f64_e32 v[12:13], s[6:7], v[8:9]
	scratch_store_dwordx4 off, v[10:13], s8
	s_add_i32 s8, s8, 16
	s_cmp_eq_u32 s9, 0
	s_cbranch_scc0 .LBB225_41
; %bb.42:                               ;   in Loop: Header=BB225_40 Depth=2
	s_cmp_le_i32 s14, s2
	s_mov_b32 s10, s19
	s_mov_b32 s8, s14
	s_cbranch_scc1 .LBB225_46
.LBB225_43:                             ;   Parent Loop BB225_37 Depth=1
                                        ;     Parent Loop BB225_40 Depth=2
                                        ; =>    This Loop Header: Depth=3
                                        ;         Child Loop BB225_44 Depth 4
	s_ashr_i32 s9, s8, 31
	v_lshl_add_u64 v[0:1], s[8:9], 4, v[4:5]
	flat_load_dwordx4 v[0:3], v[0:1]
	s_mov_b32 s9, 0
	s_mov_b32 s11, s10
	;; [unrolled: 1-line block ×3, first 2 shown]
.LBB225_44:                             ;   Parent Loop BB225_37 Depth=1
                                        ;     Parent Loop BB225_40 Depth=2
                                        ;       Parent Loop BB225_43 Depth=3
                                        ; =>      This Inner Loop Header: Depth=4
	scratch_load_dwordx4 v[8:11], off, s9
	v_mov_b32_e32 v12, s11
	ds_read_b128 v[12:15], v12
	s_add_i32 s12, s12, -1
	s_add_i32 s11, s11, -16
	s_waitcnt vmcnt(0) lgkmcnt(0)
	v_mul_f64 v[16:17], v[2:3], v[14:15]
	v_mul_f64 v[14:15], v[0:1], v[14:15]
	v_fma_f64 v[16:17], v[0:1], v[12:13], -v[16:17]
	v_fmac_f64_e32 v[14:15], v[2:3], v[12:13]
	v_add_f64 v[8:9], v[8:9], -v[16:17]
	v_add_f64 v[10:11], v[10:11], -v[14:15]
	scratch_store_dwordx4 off, v[8:11], s9
	s_add_i32 s9, s9, 16
	s_cmp_eq_u32 s12, 0
	s_cbranch_scc0 .LBB225_44
; %bb.45:                               ;   in Loop: Header=BB225_43 Depth=3
	s_add_i32 s8, s8, -1
	s_addk_i32 s10, 0xfe80
	s_cmp_le_i32 s8, s2
	s_cbranch_scc0 .LBB225_43
.LBB225_46:                             ;   in Loop: Header=BB225_40 Depth=2
	s_mov_b32 s23, 0
	s_mov_b32 s24, s21
	s_branch .LBB225_48
.LBB225_47:                             ;   in Loop: Header=BB225_48 Depth=3
	s_mulk_i32 s10, 0x190
	v_mov_b32_e32 v8, s10
	ds_read_b128 v[8:11], v8
	s_lshl_b32 s10, s23, 4
	s_add_i32 s23, s23, 1
	s_add_i32 s24, s24, -16
	s_cmp_eq_u32 s23, s18
	s_waitcnt vmcnt(0) lgkmcnt(0)
	v_mul_f64 v[12:13], v[10:11], v[2:3]
	v_mul_f64 v[14:15], v[8:9], v[2:3]
	v_fma_f64 v[12:13], v[8:9], v[0:1], -v[12:13]
	v_fmac_f64_e32 v[14:15], v[10:11], v[0:1]
	v_lshl_add_u64 v[0:1], s[8:9], 4, v[4:5]
	scratch_store_dwordx4 off, v[12:15], s10
	flat_store_dwordx4 v[0:1], v[12:15]
	s_cbranch_scc1 .LBB225_39
.LBB225_48:                             ;   Parent Loop BB225_37 Depth=1
                                        ;     Parent Loop BB225_40 Depth=2
                                        ; =>    This Loop Header: Depth=3
                                        ;         Child Loop BB225_50 Depth 4
	s_cmp_lg_u32 s23, 0
	s_cbranch_scc0 .LBB225_52
; %bb.49:                               ;   in Loop: Header=BB225_48 Depth=3
	s_lshl_b32 s8, s23, 4
	scratch_load_dwordx4 v[0:3], off, s8
	s_mov_b32 s9, 0
	s_mov_b32 s10, s24
	;; [unrolled: 1-line block ×3, first 2 shown]
.LBB225_50:                             ;   Parent Loop BB225_37 Depth=1
                                        ;     Parent Loop BB225_40 Depth=2
                                        ;       Parent Loop BB225_48 Depth=3
                                        ; =>      This Inner Loop Header: Depth=4
	scratch_load_dwordx4 v[8:11], off, s9
	v_mov_b32_e32 v12, s10
	ds_read_b128 v[12:15], v12
	s_add_i32 s11, s11, -1
	s_addk_i32 s10, 0xfe80
	s_add_i32 s9, s9, 16
	s_cmp_eq_u32 s11, 0
	s_waitcnt vmcnt(0) lgkmcnt(0)
	v_mul_f64 v[16:17], v[14:15], v[10:11]
	v_mul_f64 v[10:11], v[12:13], v[10:11]
	v_fma_f64 v[12:13], v[12:13], v[8:9], -v[16:17]
	v_fmac_f64_e32 v[10:11], v[14:15], v[8:9]
	v_add_f64 v[0:1], v[0:1], -v[12:13]
	v_add_f64 v[2:3], v[2:3], -v[10:11]
	scratch_store_dwordx4 off, v[0:3], s8
	s_cbranch_scc0 .LBB225_50
; %bb.51:                               ;   in Loop: Header=BB225_48 Depth=3
	s_sub_i32 s10, s2, s23
	s_ashr_i32 s11, s10, 31
	s_mov_b64 s[8:9], s[10:11]
	s_branch .LBB225_47
.LBB225_52:                             ;   in Loop: Header=BB225_48 Depth=3
                                        ; implicit-def: $vgpr0_vgpr1
                                        ; implicit-def: $sgpr10
                                        ; implicit-def: $sgpr8_sgpr9
	s_cbranch_execz .LBB225_47
; %bb.53:                               ;   in Loop: Header=BB225_48 Depth=3
	scratch_load_dwordx4 v[0:3], off, off
	s_mov_b64 s[8:9], s[2:3]
	s_mov_b32 s10, s2
	s_branch .LBB225_47
.LBB225_54:
	s_endpgm
	.section	.rodata,"a",@progbits
	.p2align	6, 0x0
	.amdhsa_kernel _ZL30rocblas_trsm_small_left_deviceILi24ELi24ELb0E19rocblas_complex_numIdES1_PKPKS1_PKPS1_Ev13rocblas_fill_18rocblas_operation_17rocblas_diagonal_iiT3_T4_lilT5_lili
		.amdhsa_group_segment_fixed_size 9216
		.amdhsa_private_segment_fixed_size 400
		.amdhsa_kernarg_size 368
		.amdhsa_user_sgpr_count 2
		.amdhsa_user_sgpr_dispatch_ptr 0
		.amdhsa_user_sgpr_queue_ptr 0
		.amdhsa_user_sgpr_kernarg_segment_ptr 1
		.amdhsa_user_sgpr_dispatch_id 0
		.amdhsa_user_sgpr_kernarg_preload_length 0
		.amdhsa_user_sgpr_kernarg_preload_offset 0
		.amdhsa_user_sgpr_private_segment_size 0
		.amdhsa_uses_dynamic_stack 0
		.amdhsa_enable_private_segment 1
		.amdhsa_system_sgpr_workgroup_id_x 1
		.amdhsa_system_sgpr_workgroup_id_y 0
		.amdhsa_system_sgpr_workgroup_id_z 1
		.amdhsa_system_sgpr_workgroup_info 0
		.amdhsa_system_vgpr_workitem_id 0
		.amdhsa_next_free_vgpr 81
		.amdhsa_next_free_sgpr 96
		.amdhsa_accum_offset 24
		.amdhsa_reserve_vcc 1
		.amdhsa_float_round_mode_32 0
		.amdhsa_float_round_mode_16_64 0
		.amdhsa_float_denorm_mode_32 3
		.amdhsa_float_denorm_mode_16_64 3
		.amdhsa_dx10_clamp 1
		.amdhsa_ieee_mode 1
		.amdhsa_fp16_overflow 0
		.amdhsa_tg_split 0
		.amdhsa_exception_fp_ieee_invalid_op 0
		.amdhsa_exception_fp_denorm_src 0
		.amdhsa_exception_fp_ieee_div_zero 0
		.amdhsa_exception_fp_ieee_overflow 0
		.amdhsa_exception_fp_ieee_underflow 0
		.amdhsa_exception_fp_ieee_inexact 0
		.amdhsa_exception_int_div_zero 0
	.end_amdhsa_kernel
	.section	.text._ZL30rocblas_trsm_small_left_deviceILi24ELi24ELb0E19rocblas_complex_numIdES1_PKPKS1_PKPS1_Ev13rocblas_fill_18rocblas_operation_17rocblas_diagonal_iiT3_T4_lilT5_lili,"axG",@progbits,_ZL30rocblas_trsm_small_left_deviceILi24ELi24ELb0E19rocblas_complex_numIdES1_PKPKS1_PKPS1_Ev13rocblas_fill_18rocblas_operation_17rocblas_diagonal_iiT3_T4_lilT5_lili,comdat
.Lfunc_end225:
	.size	_ZL30rocblas_trsm_small_left_deviceILi24ELi24ELb0E19rocblas_complex_numIdES1_PKPKS1_PKPS1_Ev13rocblas_fill_18rocblas_operation_17rocblas_diagonal_iiT3_T4_lilT5_lili, .Lfunc_end225-_ZL30rocblas_trsm_small_left_deviceILi24ELi24ELb0E19rocblas_complex_numIdES1_PKPKS1_PKPS1_Ev13rocblas_fill_18rocblas_operation_17rocblas_diagonal_iiT3_T4_lilT5_lili
                                        ; -- End function
	.set _ZL30rocblas_trsm_small_left_deviceILi24ELi24ELb0E19rocblas_complex_numIdES1_PKPKS1_PKPS1_Ev13rocblas_fill_18rocblas_operation_17rocblas_diagonal_iiT3_T4_lilT5_lili.num_vgpr, 22
	.set _ZL30rocblas_trsm_small_left_deviceILi24ELi24ELb0E19rocblas_complex_numIdES1_PKPKS1_PKPS1_Ev13rocblas_fill_18rocblas_operation_17rocblas_diagonal_iiT3_T4_lilT5_lili.num_agpr, 0
	.set _ZL30rocblas_trsm_small_left_deviceILi24ELi24ELb0E19rocblas_complex_numIdES1_PKPKS1_PKPS1_Ev13rocblas_fill_18rocblas_operation_17rocblas_diagonal_iiT3_T4_lilT5_lili.numbered_sgpr, 28
	.set _ZL30rocblas_trsm_small_left_deviceILi24ELi24ELb0E19rocblas_complex_numIdES1_PKPKS1_PKPS1_Ev13rocblas_fill_18rocblas_operation_17rocblas_diagonal_iiT3_T4_lilT5_lili.num_named_barrier, 0
	.set _ZL30rocblas_trsm_small_left_deviceILi24ELi24ELb0E19rocblas_complex_numIdES1_PKPKS1_PKPS1_Ev13rocblas_fill_18rocblas_operation_17rocblas_diagonal_iiT3_T4_lilT5_lili.private_seg_size, 400
	.set _ZL30rocblas_trsm_small_left_deviceILi24ELi24ELb0E19rocblas_complex_numIdES1_PKPKS1_PKPS1_Ev13rocblas_fill_18rocblas_operation_17rocblas_diagonal_iiT3_T4_lilT5_lili.uses_vcc, 1
	.set _ZL30rocblas_trsm_small_left_deviceILi24ELi24ELb0E19rocblas_complex_numIdES1_PKPKS1_PKPS1_Ev13rocblas_fill_18rocblas_operation_17rocblas_diagonal_iiT3_T4_lilT5_lili.uses_flat_scratch, 0
	.set _ZL30rocblas_trsm_small_left_deviceILi24ELi24ELb0E19rocblas_complex_numIdES1_PKPKS1_PKPS1_Ev13rocblas_fill_18rocblas_operation_17rocblas_diagonal_iiT3_T4_lilT5_lili.has_dyn_sized_stack, 0
	.set _ZL30rocblas_trsm_small_left_deviceILi24ELi24ELb0E19rocblas_complex_numIdES1_PKPKS1_PKPS1_Ev13rocblas_fill_18rocblas_operation_17rocblas_diagonal_iiT3_T4_lilT5_lili.has_recursion, 0
	.set _ZL30rocblas_trsm_small_left_deviceILi24ELi24ELb0E19rocblas_complex_numIdES1_PKPKS1_PKPS1_Ev13rocblas_fill_18rocblas_operation_17rocblas_diagonal_iiT3_T4_lilT5_lili.has_indirect_call, 0
	.section	.AMDGPU.csdata,"",@progbits
; Kernel info:
; codeLenInByte = 2268
; TotalNumSgprs: 34
; NumVgprs: 22
; NumAgprs: 0
; TotalNumVgprs: 22
; ScratchSize: 400
; MemoryBound: 0
; FloatMode: 240
; IeeeMode: 1
; LDSByteSize: 9216 bytes/workgroup (compile time only)
; SGPRBlocks: 12
; VGPRBlocks: 10
; NumSGPRsForWavesPerEU: 102
; NumVGPRsForWavesPerEU: 81
; AccumOffset: 24
; Occupancy: 5
; WaveLimiterHint : 1
; COMPUTE_PGM_RSRC2:SCRATCH_EN: 1
; COMPUTE_PGM_RSRC2:USER_SGPR: 2
; COMPUTE_PGM_RSRC2:TRAP_HANDLER: 0
; COMPUTE_PGM_RSRC2:TGID_X_EN: 1
; COMPUTE_PGM_RSRC2:TGID_Y_EN: 0
; COMPUTE_PGM_RSRC2:TGID_Z_EN: 1
; COMPUTE_PGM_RSRC2:TIDIG_COMP_CNT: 0
; COMPUTE_PGM_RSRC3_GFX90A:ACCUM_OFFSET: 5
; COMPUTE_PGM_RSRC3_GFX90A:TG_SPLIT: 0
	.section	.text._ZL38rocblas_trsm_small_left_device_sharedBILi24ELi24ELb1E19rocblas_complex_numIdES1_PKPKS1_PKPS1_Ev13rocblas_fill_18rocblas_operation_17rocblas_diagonal_iiT3_T4_lilT5_lili,"axG",@progbits,_ZL38rocblas_trsm_small_left_device_sharedBILi24ELi24ELb1E19rocblas_complex_numIdES1_PKPKS1_PKPS1_Ev13rocblas_fill_18rocblas_operation_17rocblas_diagonal_iiT3_T4_lilT5_lili,comdat
	.globl	_ZL38rocblas_trsm_small_left_device_sharedBILi24ELi24ELb1E19rocblas_complex_numIdES1_PKPKS1_PKPS1_Ev13rocblas_fill_18rocblas_operation_17rocblas_diagonal_iiT3_T4_lilT5_lili ; -- Begin function _ZL38rocblas_trsm_small_left_device_sharedBILi24ELi24ELb1E19rocblas_complex_numIdES1_PKPKS1_PKPS1_Ev13rocblas_fill_18rocblas_operation_17rocblas_diagonal_iiT3_T4_lilT5_lili
	.p2align	8
	.type	_ZL38rocblas_trsm_small_left_device_sharedBILi24ELi24ELb1E19rocblas_complex_numIdES1_PKPKS1_PKPS1_Ev13rocblas_fill_18rocblas_operation_17rocblas_diagonal_iiT3_T4_lilT5_lili,@function
_ZL38rocblas_trsm_small_left_device_sharedBILi24ELi24ELb1E19rocblas_complex_numIdES1_PKPKS1_PKPS1_Ev13rocblas_fill_18rocblas_operation_17rocblas_diagonal_iiT3_T4_lilT5_lili: ; @_ZL38rocblas_trsm_small_left_device_sharedBILi24ELi24ELb1E19rocblas_complex_numIdES1_PKPKS1_PKPS1_Ev13rocblas_fill_18rocblas_operation_17rocblas_diagonal_iiT3_T4_lilT5_lili
; %bb.0:
	s_load_dwordx4 s[12:15], s[0:1], 0x4
	s_load_dwordx4 s[16:19], s[0:1], 0x48
	s_load_dwordx8 s[4:11], s[0:1], 0x18
	s_mov_b32 s20, s3
	s_mov_b32 s21, 0
	s_lshl_b64 s[22:23], s[20:21], 3
	s_waitcnt lgkmcnt(0)
	s_add_u32 s16, s16, s22
	s_addc_u32 s17, s17, s23
	s_load_dword s3, s[0:1], 0x70
	s_min_i32 s24, s14, 24
	s_load_dwordx2 s[16:17], s[16:17], 0x0
	v_cmp_gt_i32_e32 vcc, s24, v0
	s_and_saveexec_b64 s[20:21], vcc
	s_cbranch_execz .LBB226_11
; %bb.1:
	s_load_dword s26, s[0:1], 0x38
	v_lshlrev_b32_e32 v2, 4, v0
	v_mov_b32_e32 v3, 0
	v_mov_b32_e32 v1, v2
	s_waitcnt lgkmcnt(0)
	s_ashr_i32 s27, s26, 31
	s_cmpk_eq_i32 s12, 0x71
	s_cselect_b64 vcc, -1, 0
	s_add_u32 s8, s8, s22
	s_addc_u32 s9, s9, s23
	s_load_dwordx2 s[8:9], s[8:9], 0x0
	s_lshl_b64 s[10:11], s[10:11], 4
	s_waitcnt lgkmcnt(0)
	s_add_u32 s10, s8, s10
	s_addc_u32 s11, s9, s11
	s_lshl_b64 s[8:9], s[26:27], 4
	v_lshl_add_u64 v[4:5], s[10:11], 0, v[2:3]
	s_mov_b32 s10, s24
.LBB226_2:                              ; =>This Inner Loop Header: Depth=1
	flat_load_dwordx4 v[6:9], v[4:5]
	s_add_i32 s10, s10, -1
	v_lshl_add_u64 v[4:5], v[4:5], 0, s[8:9]
	s_cmp_eq_u32 s10, 0
	s_waitcnt vmcnt(0) lgkmcnt(0)
	v_xor_b32_e32 v3, 0x80000000, v9
	v_cndmask_b32_e32 v9, v9, v3, vcc
	ds_write_b128 v1, v[6:9]
	v_add_u32_e32 v1, 0x180, v1
	s_cbranch_scc0 .LBB226_2
; %bb.3:
	v_mul_u32_u24_e32 v1, 0x180, v0
	s_cmpk_lg_i32 s13, 0x84
	v_add_u32_e32 v1, v2, v1
	s_cbranch_scc0 .LBB226_9
; %bb.4:
	ds_read_b128 v[2:5], v1
                                        ; implicit-def: $vgpr8_vgpr9
	s_waitcnt lgkmcnt(0)
	v_cmp_ngt_f64_e64 s[8:9], |v[2:3]|, |v[4:5]|
	s_and_saveexec_b64 s[10:11], s[8:9]
	s_xor_b64 s[8:9], exec, s[10:11]
	s_cbranch_execz .LBB226_6
; %bb.5:
	v_div_scale_f64 v[6:7], s[10:11], v[4:5], v[4:5], v[2:3]
	v_rcp_f64_e32 v[8:9], v[6:7]
	v_div_scale_f64 v[10:11], vcc, v[2:3], v[4:5], v[2:3]
	v_fma_f64 v[12:13], -v[6:7], v[8:9], 1.0
	v_fmac_f64_e32 v[8:9], v[8:9], v[12:13]
	v_fma_f64 v[12:13], -v[6:7], v[8:9], 1.0
	v_fmac_f64_e32 v[8:9], v[8:9], v[12:13]
	v_mul_f64 v[12:13], v[10:11], v[8:9]
	v_fma_f64 v[6:7], -v[6:7], v[12:13], v[10:11]
	v_div_fmas_f64 v[6:7], v[6:7], v[8:9], v[12:13]
	v_div_fixup_f64 v[8:9], v[6:7], v[4:5], v[2:3]
	v_fmac_f64_e32 v[4:5], v[2:3], v[8:9]
	v_div_scale_f64 v[2:3], s[10:11], v[4:5], v[4:5], 1.0
	v_rcp_f64_e32 v[6:7], v[2:3]
	s_nop 0
	v_fma_f64 v[10:11], -v[2:3], v[6:7], 1.0
	v_fmac_f64_e32 v[6:7], v[6:7], v[10:11]
	v_fma_f64 v[10:11], -v[2:3], v[6:7], 1.0
	v_fmac_f64_e32 v[6:7], v[6:7], v[10:11]
	v_div_scale_f64 v[10:11], vcc, 1.0, v[4:5], 1.0
	v_mul_f64 v[12:13], v[10:11], v[6:7]
	v_fma_f64 v[2:3], -v[2:3], v[12:13], v[10:11]
	s_nop 1
	v_div_fmas_f64 v[2:3], v[2:3], v[6:7], v[12:13]
	v_div_fixup_f64 v[2:3], v[2:3], v[4:5], 1.0
	v_add_f64 v[4:5], v[8:9], 0
	v_mul_f64 v[6:7], v[4:5], v[2:3]
	v_fma_f64 v[4:5], v[8:9], 0, -1.0
	v_mul_f64 v[8:9], v[4:5], v[2:3]
                                        ; implicit-def: $vgpr2_vgpr3
.LBB226_6:
	s_andn2_saveexec_b64 s[8:9], s[8:9]
	s_cbranch_execz .LBB226_8
; %bb.7:
	v_div_scale_f64 v[6:7], s[10:11], v[2:3], v[2:3], v[4:5]
	v_rcp_f64_e32 v[8:9], v[6:7]
	v_div_scale_f64 v[10:11], vcc, v[4:5], v[2:3], v[4:5]
	v_fma_f64 v[12:13], -v[6:7], v[8:9], 1.0
	v_fmac_f64_e32 v[8:9], v[8:9], v[12:13]
	v_fma_f64 v[12:13], -v[6:7], v[8:9], 1.0
	v_fmac_f64_e32 v[8:9], v[8:9], v[12:13]
	v_mul_f64 v[12:13], v[10:11], v[8:9]
	v_fma_f64 v[6:7], -v[6:7], v[12:13], v[10:11]
	v_div_fmas_f64 v[6:7], v[6:7], v[8:9], v[12:13]
	v_div_fixup_f64 v[8:9], v[6:7], v[2:3], v[4:5]
	v_fmac_f64_e32 v[2:3], v[4:5], v[8:9]
	v_div_scale_f64 v[4:5], s[10:11], v[2:3], v[2:3], 1.0
	v_rcp_f64_e32 v[6:7], v[4:5]
	s_nop 0
	v_fma_f64 v[10:11], -v[4:5], v[6:7], 1.0
	v_fmac_f64_e32 v[6:7], v[6:7], v[10:11]
	v_fma_f64 v[10:11], -v[4:5], v[6:7], 1.0
	v_fmac_f64_e32 v[6:7], v[6:7], v[10:11]
	v_div_scale_f64 v[10:11], vcc, 1.0, v[2:3], 1.0
	v_mul_f64 v[12:13], v[10:11], v[6:7]
	v_fma_f64 v[4:5], -v[4:5], v[12:13], v[10:11]
	s_nop 1
	v_div_fmas_f64 v[4:5], v[4:5], v[6:7], v[12:13]
	v_div_fixup_f64 v[2:3], v[4:5], v[2:3], 1.0
	v_fma_f64 v[4:5], v[8:9], 0, 1.0
	v_mul_f64 v[6:7], v[4:5], v[2:3]
	v_add_f64 v[4:5], -v[8:9], 0
	v_mul_f64 v[8:9], v[4:5], v[2:3]
.LBB226_8:
	s_or_b64 exec, exec, s[8:9]
	s_branch .LBB226_10
.LBB226_9:
	v_mov_b64_e32 v[8:9], 0
	v_mov_b64_e32 v[6:7], 1.0
.LBB226_10:
	ds_write_b128 v1, v[6:9]
.LBB226_11:
	s_or_b64 exec, exec, s[20:21]
	s_load_dword s13, s[0:1], 0x58
	s_lshl_b64 s[0:1], s[18:19], 4
	s_waitcnt lgkmcnt(0)
	s_add_u32 s8, s16, s0
	s_mul_i32 s0, s2, 0xffffffe8
	s_addc_u32 s9, s17, s1
	s_add_i32 s3, s3, -1
	s_add_i32 s0, s15, s0
	s_cmp_ge_u32 s2, s3
	s_mul_i32 s2, s2, 24
	s_cselect_b32 s10, s0, 24
	s_mul_hi_i32 s1, s13, s2
	s_mul_i32 s0, s13, s2
	s_lshl_b64 s[0:1], s[0:1], 4
	s_add_u32 s2, s8, s0
	s_addc_u32 s3, s9, s1
	s_cmp_gt_i32 s14, 0
	v_cmp_gt_i32_e64 s[0:1], s10, v0
	s_cselect_b64 s[8:9], -1, 0
	s_and_b64 s[14:15], s[0:1], s[8:9]
	s_and_saveexec_b64 s[10:11], s[14:15]
	s_cbranch_execz .LBB226_14
; %bb.12:
	v_mad_i64_i32 v[2:3], s[14:15], s13, v0, 0
	v_mov_b32_e32 v1, 0x2400
	v_lshl_add_u64 v[2:3], v[2:3], 4, s[2:3]
	v_lshl_or_b32 v1, v0, 4, v1
	s_mov_b32 s14, s24
.LBB226_13:                             ; =>This Inner Loop Header: Depth=1
	flat_load_dwordx4 v[4:7], v[2:3]
	s_add_i32 s14, s14, -1
	v_lshl_add_u64 v[2:3], v[2:3], 0, 16
	s_cmp_lg_u32 s14, 0
	s_waitcnt vmcnt(0) lgkmcnt(0)
	v_mul_f64 v[10:11], s[6:7], v[6:7]
	v_mul_f64 v[8:9], s[4:5], v[6:7]
	v_fma_f64 v[6:7], s[4:5], v[4:5], -v[10:11]
	v_fmac_f64_e32 v[8:9], s[6:7], v[4:5]
	ds_write_b128 v1, v[6:9]
	v_add_u32_e32 v1, 0x180, v1
	s_cbranch_scc1 .LBB226_13
.LBB226_14:
	s_or_b64 exec, exec, s[10:11]
	v_mov_b32_e32 v1, 0x2400
	s_cmpk_eq_i32 s12, 0x6f
	v_lshl_or_b32 v1, v0, 4, v1
	s_mov_b64 s[4:5], -1
	s_waitcnt lgkmcnt(0)
	; wave barrier
	s_cbranch_scc1 .LBB226_35
; %bb.15:
	s_add_i32 s10, s24, -1
	s_lshl_b32 s11, s24, 4
	s_mov_b32 s5, 0
	s_add_i32 s11, s11, -16
	s_mov_b32 s4, s5
	s_mov_b32 s12, s10
	s_branch .LBB226_17
.LBB226_16:                             ;   in Loop: Header=BB226_17 Depth=1
	s_cmp_lt_i32 s12, 0
	s_cselect_b64 s[6:7], -1, 0
	s_add_i32 s4, s4, 1
	s_cmp_eq_u32 s4, 3
	s_cselect_b64 s[14:15], -1, 0
	s_or_b64 s[6:7], s[6:7], s[14:15]
	s_andn2_b64 vcc, exec, s[6:7]
	s_cbranch_vccz .LBB226_34
.LBB226_17:                             ; =>This Loop Header: Depth=1
                                        ;     Child Loop BB226_20 Depth 2
                                        ;       Child Loop BB226_21 Depth 3
                                        ;       Child Loop BB226_23 Depth 3
                                        ;         Child Loop BB226_24 Depth 4
                                        ;       Child Loop BB226_28 Depth 3
                                        ;         Child Loop BB226_30 Depth 4
	s_lshl_b64 s[6:7], s[4:5], 2
	s_getpc_b64 s[14:15]
	s_add_u32 s14, s14, __const._ZL38rocblas_trsm_small_left_device_sharedBILi24ELi24ELb1E19rocblas_complex_numIdES1_PKPKS1_PKPS1_Ev13rocblas_fill_18rocblas_operation_17rocblas_diagonal_iiT3_T4_lilT5_lili.step_sizes@rel32@lo+4
	s_addc_u32 s15, s15, __const._ZL38rocblas_trsm_small_left_device_sharedBILi24ELi24ELb1E19rocblas_complex_numIdES1_PKPKS1_PKPS1_Ev13rocblas_fill_18rocblas_operation_17rocblas_diagonal_iiT3_T4_lilT5_lili.step_sizes@rel32@hi+12
	s_add_u32 s6, s14, s6
	s_addc_u32 s7, s15, s7
	s_load_dword s14, s[6:7], 0x0
	s_waitcnt lgkmcnt(0)
	s_add_i32 s15, s14, -1
	s_cmp_lt_i32 s12, s15
	s_cbranch_scc1 .LBB226_16
; %bb.18:                               ;   in Loop: Header=BB226_17 Depth=1
	s_mul_i32 s6, s12, 0x180
	s_max_i32 s16, s14, 1
	v_add_u32_e32 v6, s6, v1
	s_mul_i32 s17, s14, 0xfffffe80
	s_add_i32 s18, s11, s6
	s_mul_i32 s19, s12, 0x190
	s_mul_i32 s20, s14, 0xfffffe70
	s_branch .LBB226_20
.LBB226_19:                             ;   in Loop: Header=BB226_20 Depth=2
	s_sub_i32 s12, s12, s14
	s_add_i32 s18, s18, s17
	s_add_i32 s19, s19, s20
	s_cmp_lt_i32 s12, s15
	v_add_u32_e32 v6, s17, v6
	s_cbranch_scc1 .LBB226_16
.LBB226_20:                             ;   Parent Loop BB226_17 Depth=1
                                        ; =>  This Loop Header: Depth=2
                                        ;       Child Loop BB226_21 Depth 3
                                        ;       Child Loop BB226_23 Depth 3
                                        ;         Child Loop BB226_24 Depth 4
                                        ;       Child Loop BB226_28 Depth 3
                                        ;         Child Loop BB226_30 Depth 4
	s_mov_b32 s6, 0
	v_mov_b32_e32 v2, v6
	s_mov_b32 s7, s16
.LBB226_21:                             ;   Parent Loop BB226_17 Depth=1
                                        ;     Parent Loop BB226_20 Depth=2
                                        ; =>    This Inner Loop Header: Depth=3
	ds_read_b128 v[8:11], v2
	s_add_i32 s7, s7, -1
	v_add_u32_e32 v2, 0xfffffe80, v2
	s_waitcnt lgkmcnt(0)
	scratch_store_dwordx4 off, v[8:11], s6
	s_add_i32 s6, s6, 16
	s_cmp_eq_u32 s7, 0
	s_cbranch_scc0 .LBB226_21
; %bb.22:                               ;   in Loop: Header=BB226_20 Depth=2
	s_cmp_le_i32 s10, s12
	s_mov_b32 s6, s18
	s_mov_b32 s7, s10
	s_cbranch_scc1 .LBB226_26
.LBB226_23:                             ;   Parent Loop BB226_17 Depth=1
                                        ;     Parent Loop BB226_20 Depth=2
                                        ; =>    This Loop Header: Depth=3
                                        ;         Child Loop BB226_24 Depth 4
	s_mul_i32 s21, s7, 0x180
	v_add_u32_e32 v2, s21, v1
	ds_read_b128 v[2:5], v2
	s_mov_b32 s21, 0
	s_mov_b32 s22, s6
	;; [unrolled: 1-line block ×3, first 2 shown]
.LBB226_24:                             ;   Parent Loop BB226_17 Depth=1
                                        ;     Parent Loop BB226_20 Depth=2
                                        ;       Parent Loop BB226_23 Depth=3
                                        ; =>      This Inner Loop Header: Depth=4
	scratch_load_dwordx4 v[8:11], off, s21
	v_mov_b32_e32 v7, s22
	ds_read_b128 v[12:15], v7
	s_add_i32 s23, s23, -1
	s_addk_i32 s22, 0xfe80
	s_waitcnt lgkmcnt(0)
	v_mul_f64 v[16:17], v[4:5], v[14:15]
	v_mul_f64 v[14:15], v[2:3], v[14:15]
	v_fma_f64 v[16:17], v[2:3], v[12:13], -v[16:17]
	v_fmac_f64_e32 v[14:15], v[4:5], v[12:13]
	s_waitcnt vmcnt(0)
	v_add_f64 v[8:9], v[8:9], -v[16:17]
	v_add_f64 v[10:11], v[10:11], -v[14:15]
	scratch_store_dwordx4 off, v[8:11], s21
	s_add_i32 s21, s21, 16
	s_cmp_eq_u32 s23, 0
	s_cbranch_scc0 .LBB226_24
; %bb.25:                               ;   in Loop: Header=BB226_23 Depth=3
	s_add_i32 s7, s7, -1
	s_add_i32 s6, s6, -16
	s_cmp_le_i32 s7, s12
	s_cbranch_scc0 .LBB226_23
.LBB226_26:                             ;   in Loop: Header=BB226_20 Depth=2
	s_mul_i32 s21, s12, 0x180
	s_mov_b32 s22, 0
	s_mov_b32 s23, s19
	s_branch .LBB226_28
.LBB226_27:                             ;   in Loop: Header=BB226_28 Depth=3
	s_mul_i32 s6, s26, 0x190
	v_mov_b32_e32 v7, s6
	ds_read_b128 v[8:11], v7
	s_lshl_b32 s6, s22, 4
	s_add_i32 s22, s22, 1
	s_addk_i32 s23, 0xfe80
	s_cmp_eq_u32 s22, s16
	s_waitcnt vmcnt(0) lgkmcnt(0)
	v_mul_f64 v[12:13], v[10:11], v[4:5]
	v_mul_f64 v[14:15], v[8:9], v[4:5]
	v_fma_f64 v[12:13], v[8:9], v[2:3], -v[12:13]
	v_fmac_f64_e32 v[14:15], v[10:11], v[2:3]
	v_add_u32_e32 v2, s25, v1
	scratch_store_dwordx4 off, v[12:15], s6
	ds_write_b128 v2, v[12:15]
	s_cbranch_scc1 .LBB226_19
.LBB226_28:                             ;   Parent Loop BB226_17 Depth=1
                                        ;     Parent Loop BB226_20 Depth=2
                                        ; =>    This Loop Header: Depth=3
                                        ;         Child Loop BB226_30 Depth 4
	s_cmp_lg_u32 s22, 0
	s_cbranch_scc0 .LBB226_32
; %bb.29:                               ;   in Loop: Header=BB226_28 Depth=3
	s_lshl_b32 s6, s22, 4
	scratch_load_dwordx4 v[2:5], off, s6
	s_sub_i32 s26, s12, s22
	s_mul_i32 s25, s26, 0x180
	s_mov_b32 s7, 0
	s_mov_b32 s27, s23
	s_mov_b32 s28, s22
.LBB226_30:                             ;   Parent Loop BB226_17 Depth=1
                                        ;     Parent Loop BB226_20 Depth=2
                                        ;       Parent Loop BB226_28 Depth=3
                                        ; =>      This Inner Loop Header: Depth=4
	scratch_load_dwordx4 v[8:11], off, s7
	v_mov_b32_e32 v7, s27
	ds_read_b128 v[12:15], v7
	s_add_i32 s28, s28, -1
	s_add_i32 s27, s27, -16
	s_add_i32 s7, s7, 16
	s_cmp_eq_u32 s28, 0
	s_waitcnt vmcnt(0) lgkmcnt(0)
	v_mul_f64 v[16:17], v[14:15], v[10:11]
	v_mul_f64 v[10:11], v[12:13], v[10:11]
	v_fma_f64 v[12:13], v[12:13], v[8:9], -v[16:17]
	v_fmac_f64_e32 v[10:11], v[14:15], v[8:9]
	v_add_f64 v[2:3], v[2:3], -v[12:13]
	v_add_f64 v[4:5], v[4:5], -v[10:11]
	scratch_store_dwordx4 off, v[2:5], s6
	s_cbranch_scc0 .LBB226_30
; %bb.31:                               ;   in Loop: Header=BB226_28 Depth=3
	s_branch .LBB226_27
.LBB226_32:                             ;   in Loop: Header=BB226_28 Depth=3
                                        ; implicit-def: $vgpr2_vgpr3
                                        ; implicit-def: $sgpr26
                                        ; implicit-def: $sgpr25
	s_cbranch_execz .LBB226_27
; %bb.33:                               ;   in Loop: Header=BB226_28 Depth=3
	scratch_load_dwordx4 v[2:5], off, off
	s_mov_b32 s25, s21
	s_mov_b32 s26, s12
	s_branch .LBB226_27
.LBB226_34:
	s_mov_b64 s[4:5], 0
.LBB226_35:
	s_and_b64 vcc, exec, s[4:5]
	s_cbranch_vccz .LBB226_56
; %bb.36:
	v_mov_b32_e32 v2, 0x2400
	s_mov_b32 s5, 0
	v_lshl_or_b32 v6, v0, 4, v2
	s_mov_b32 s4, s5
	s_mov_b32 s10, s5
	s_branch .LBB226_38
.LBB226_37:                             ;   in Loop: Header=BB226_38 Depth=1
	s_cmp_ge_i32 s10, s24
	s_cselect_b64 s[6:7], -1, 0
	s_add_i32 s4, s4, 1
	s_cmp_eq_u32 s4, 3
	s_cselect_b64 s[14:15], -1, 0
	s_or_b64 s[6:7], s[6:7], s[14:15]
	s_and_b64 vcc, exec, s[6:7]
	s_cbranch_vccnz .LBB226_56
.LBB226_38:                             ; =>This Loop Header: Depth=1
                                        ;     Child Loop BB226_41 Depth 2
                                        ;       Child Loop BB226_42 Depth 3
                                        ;       Child Loop BB226_45 Depth 3
                                        ;         Child Loop BB226_46 Depth 4
                                        ;       Child Loop BB226_50 Depth 3
                                        ;         Child Loop BB226_52 Depth 4
	s_lshl_b64 s[6:7], s[4:5], 2
	s_getpc_b64 s[14:15]
	s_add_u32 s14, s14, __const._ZL38rocblas_trsm_small_left_device_sharedBILi24ELi24ELb1E19rocblas_complex_numIdES1_PKPKS1_PKPS1_Ev13rocblas_fill_18rocblas_operation_17rocblas_diagonal_iiT3_T4_lilT5_lili.step_sizes@rel32@lo+4
	s_addc_u32 s15, s15, __const._ZL38rocblas_trsm_small_left_device_sharedBILi24ELi24ELb1E19rocblas_complex_numIdES1_PKPKS1_PKPS1_Ev13rocblas_fill_18rocblas_operation_17rocblas_diagonal_iiT3_T4_lilT5_lili.step_sizes@rel32@hi+12
	s_add_u32 s6, s14, s6
	s_addc_u32 s7, s15, s7
	s_load_dword s11, s[6:7], 0x0
	s_waitcnt lgkmcnt(0)
	s_add_i32 s12, s11, -1
	s_add_i32 s6, s12, s10
	s_cmp_ge_i32 s6, s24
	s_cbranch_scc1 .LBB226_37
; %bb.39:                               ;   in Loop: Header=BB226_38 Depth=1
	s_mul_i32 s6, s10, 0x180
	s_max_i32 s14, s11, 1
	v_add_u32_e32 v7, s6, v6
	s_mul_i32 s15, s11, 0x180
	s_lshl_b32 s16, s10, 4
	s_lshl_b32 s17, s11, 4
	s_mul_i32 s18, s10, 0x190
	s_mul_i32 s19, s11, 0x190
	s_branch .LBB226_41
.LBB226_40:                             ;   in Loop: Header=BB226_41 Depth=2
	s_add_i32 s10, s10, s11
	s_add_i32 s6, s12, s10
	;; [unrolled: 1-line block ×4, first 2 shown]
	s_cmp_ge_i32 s6, s24
	v_add_u32_e32 v7, s15, v7
	s_cbranch_scc1 .LBB226_37
.LBB226_41:                             ;   Parent Loop BB226_38 Depth=1
                                        ; =>  This Loop Header: Depth=2
                                        ;       Child Loop BB226_42 Depth 3
                                        ;       Child Loop BB226_45 Depth 3
                                        ;         Child Loop BB226_46 Depth 4
                                        ;       Child Loop BB226_50 Depth 3
                                        ;         Child Loop BB226_52 Depth 4
	s_mov_b32 s6, 0
	v_mov_b32_e32 v2, v7
	s_mov_b32 s7, s14
.LBB226_42:                             ;   Parent Loop BB226_38 Depth=1
                                        ;     Parent Loop BB226_41 Depth=2
                                        ; =>    This Inner Loop Header: Depth=3
	ds_read_b128 v[8:11], v2
	s_add_i32 s7, s7, -1
	v_add_u32_e32 v2, 0x180, v2
	s_waitcnt lgkmcnt(0)
	scratch_store_dwordx4 off, v[8:11], s6
	s_add_i32 s6, s6, 16
	s_cmp_eq_u32 s7, 0
	s_cbranch_scc0 .LBB226_42
; %bb.43:                               ;   in Loop: Header=BB226_41 Depth=2
	s_cmp_lt_i32 s10, 1
	s_cbranch_scc1 .LBB226_48
; %bb.44:                               ;   in Loop: Header=BB226_41 Depth=2
	s_mov_b32 s6, 0
	s_mov_b32 s7, s16
.LBB226_45:                             ;   Parent Loop BB226_38 Depth=1
                                        ;     Parent Loop BB226_41 Depth=2
                                        ; =>    This Loop Header: Depth=3
                                        ;         Child Loop BB226_46 Depth 4
	s_mul_i32 s20, s6, 0x180
	v_add_u32_e32 v2, s20, v1
	ds_read_b128 v[2:5], v2
	s_mov_b32 s20, 0
	s_mov_b32 s21, s7
	;; [unrolled: 1-line block ×3, first 2 shown]
.LBB226_46:                             ;   Parent Loop BB226_38 Depth=1
                                        ;     Parent Loop BB226_41 Depth=2
                                        ;       Parent Loop BB226_45 Depth=3
                                        ; =>      This Inner Loop Header: Depth=4
	scratch_load_dwordx4 v[8:11], off, s20
	v_mov_b32_e32 v12, s21
	ds_read_b128 v[12:15], v12
	s_add_i32 s22, s22, -1
	s_add_i32 s21, s21, 16
	s_waitcnt lgkmcnt(0)
	v_mul_f64 v[16:17], v[4:5], v[14:15]
	v_mul_f64 v[14:15], v[2:3], v[14:15]
	v_fma_f64 v[16:17], v[2:3], v[12:13], -v[16:17]
	v_fmac_f64_e32 v[14:15], v[4:5], v[12:13]
	s_waitcnt vmcnt(0)
	v_add_f64 v[8:9], v[8:9], -v[16:17]
	v_add_f64 v[10:11], v[10:11], -v[14:15]
	scratch_store_dwordx4 off, v[8:11], s20
	s_add_i32 s20, s20, 16
	s_cmp_eq_u32 s22, 0
	s_cbranch_scc0 .LBB226_46
; %bb.47:                               ;   in Loop: Header=BB226_45 Depth=3
	s_add_i32 s6, s6, 1
	s_addk_i32 s7, 0x180
	s_cmp_eq_u32 s6, s10
	s_cbranch_scc0 .LBB226_45
.LBB226_48:                             ;   in Loop: Header=BB226_41 Depth=2
	s_mov_b32 s20, 0
	s_mov_b32 s21, s18
	s_branch .LBB226_50
.LBB226_49:                             ;   in Loop: Header=BB226_50 Depth=3
	s_add_i32 s6, s20, s10
	s_mul_i32 s7, s6, 0x190
	v_mov_b32_e32 v8, s7
	ds_read_b128 v[8:11], v8
	s_lshl_b32 s7, s20, 4
	s_mulk_i32 s6, 0x180
	s_add_i32 s20, s20, 1
	s_add_i32 s21, s21, 16
	s_waitcnt vmcnt(0) lgkmcnt(0)
	v_mul_f64 v[12:13], v[10:11], v[4:5]
	v_mul_f64 v[14:15], v[8:9], v[4:5]
	v_fma_f64 v[12:13], v[8:9], v[2:3], -v[12:13]
	v_fmac_f64_e32 v[14:15], v[10:11], v[2:3]
	v_add_u32_e32 v2, s6, v1
	s_cmp_eq_u32 s20, s14
	scratch_store_dwordx4 off, v[12:15], s7
	ds_write_b128 v2, v[12:15]
	s_cbranch_scc1 .LBB226_40
.LBB226_50:                             ;   Parent Loop BB226_38 Depth=1
                                        ;     Parent Loop BB226_41 Depth=2
                                        ; =>    This Loop Header: Depth=3
                                        ;         Child Loop BB226_52 Depth 4
	s_cmp_lg_u32 s20, 0
	s_cbranch_scc0 .LBB226_54
; %bb.51:                               ;   in Loop: Header=BB226_50 Depth=3
	s_lshl_b32 s6, s20, 4
	scratch_load_dwordx4 v[2:5], off, s6
	s_mov_b32 s7, 0
	s_mov_b32 s22, s21
	;; [unrolled: 1-line block ×3, first 2 shown]
.LBB226_52:                             ;   Parent Loop BB226_38 Depth=1
                                        ;     Parent Loop BB226_41 Depth=2
                                        ;       Parent Loop BB226_50 Depth=3
                                        ; =>      This Inner Loop Header: Depth=4
	scratch_load_dwordx4 v[8:11], off, s7
	v_mov_b32_e32 v12, s22
	ds_read_b128 v[12:15], v12
	s_add_i32 s23, s23, -1
	s_addk_i32 s22, 0x180
	s_add_i32 s7, s7, 16
	s_cmp_eq_u32 s23, 0
	s_waitcnt vmcnt(0) lgkmcnt(0)
	v_mul_f64 v[16:17], v[14:15], v[10:11]
	v_mul_f64 v[10:11], v[12:13], v[10:11]
	v_fma_f64 v[12:13], v[12:13], v[8:9], -v[16:17]
	v_fmac_f64_e32 v[10:11], v[14:15], v[8:9]
	v_add_f64 v[2:3], v[2:3], -v[12:13]
	v_add_f64 v[4:5], v[4:5], -v[10:11]
	scratch_store_dwordx4 off, v[2:5], s6
	s_cbranch_scc0 .LBB226_52
; %bb.53:                               ;   in Loop: Header=BB226_50 Depth=3
	s_branch .LBB226_49
.LBB226_54:                             ;   in Loop: Header=BB226_50 Depth=3
                                        ; implicit-def: $vgpr2_vgpr3
	s_cbranch_execz .LBB226_49
; %bb.55:                               ;   in Loop: Header=BB226_50 Depth=3
	scratch_load_dwordx4 v[2:5], off, off
	s_branch .LBB226_49
.LBB226_56:
	s_waitcnt lgkmcnt(0)
	; wave barrier
	s_and_saveexec_b64 s[4:5], s[0:1]
	s_cbranch_execz .LBB226_60
; %bb.57:
	s_andn2_b64 vcc, exec, s[8:9]
	s_cbranch_vccnz .LBB226_60
; %bb.58:
	v_mad_i64_i32 v[2:3], s[0:1], s13, v0, 0
	v_mov_b32_e32 v1, 0x2400
	v_lshl_add_u64 v[2:3], v[2:3], 4, s[2:3]
	v_lshl_or_b32 v0, v0, 4, v1
.LBB226_59:                             ; =>This Inner Loop Header: Depth=1
	ds_read2_b64 v[4:7], v0 offset1:1
	s_add_i32 s24, s24, -1
	v_add_u32_e32 v0, 0x180, v0
	s_cmp_lg_u32 s24, 0
	s_waitcnt lgkmcnt(0)
	flat_store_dwordx4 v[2:3], v[4:7]
	v_lshl_add_u64 v[2:3], v[2:3], 0, 16
	s_cbranch_scc1 .LBB226_59
.LBB226_60:
	s_endpgm
	.section	.rodata,"a",@progbits
	.p2align	6, 0x0
	.amdhsa_kernel _ZL38rocblas_trsm_small_left_device_sharedBILi24ELi24ELb1E19rocblas_complex_numIdES1_PKPKS1_PKPS1_Ev13rocblas_fill_18rocblas_operation_17rocblas_diagonal_iiT3_T4_lilT5_lili
		.amdhsa_group_segment_fixed_size 18432
		.amdhsa_private_segment_fixed_size 400
		.amdhsa_kernarg_size 368
		.amdhsa_user_sgpr_count 2
		.amdhsa_user_sgpr_dispatch_ptr 0
		.amdhsa_user_sgpr_queue_ptr 0
		.amdhsa_user_sgpr_kernarg_segment_ptr 1
		.amdhsa_user_sgpr_dispatch_id 0
		.amdhsa_user_sgpr_kernarg_preload_length 0
		.amdhsa_user_sgpr_kernarg_preload_offset 0
		.amdhsa_user_sgpr_private_segment_size 0
		.amdhsa_uses_dynamic_stack 0
		.amdhsa_enable_private_segment 1
		.amdhsa_system_sgpr_workgroup_id_x 1
		.amdhsa_system_sgpr_workgroup_id_y 0
		.amdhsa_system_sgpr_workgroup_id_z 1
		.amdhsa_system_sgpr_workgroup_info 0
		.amdhsa_system_vgpr_workitem_id 0
		.amdhsa_next_free_vgpr 169
		.amdhsa_next_free_sgpr 96
		.amdhsa_accum_offset 20
		.amdhsa_reserve_vcc 1
		.amdhsa_float_round_mode_32 0
		.amdhsa_float_round_mode_16_64 0
		.amdhsa_float_denorm_mode_32 3
		.amdhsa_float_denorm_mode_16_64 3
		.amdhsa_dx10_clamp 1
		.amdhsa_ieee_mode 1
		.amdhsa_fp16_overflow 0
		.amdhsa_tg_split 0
		.amdhsa_exception_fp_ieee_invalid_op 0
		.amdhsa_exception_fp_denorm_src 0
		.amdhsa_exception_fp_ieee_div_zero 0
		.amdhsa_exception_fp_ieee_overflow 0
		.amdhsa_exception_fp_ieee_underflow 0
		.amdhsa_exception_fp_ieee_inexact 0
		.amdhsa_exception_int_div_zero 0
	.end_amdhsa_kernel
	.section	.text._ZL38rocblas_trsm_small_left_device_sharedBILi24ELi24ELb1E19rocblas_complex_numIdES1_PKPKS1_PKPS1_Ev13rocblas_fill_18rocblas_operation_17rocblas_diagonal_iiT3_T4_lilT5_lili,"axG",@progbits,_ZL38rocblas_trsm_small_left_device_sharedBILi24ELi24ELb1E19rocblas_complex_numIdES1_PKPKS1_PKPS1_Ev13rocblas_fill_18rocblas_operation_17rocblas_diagonal_iiT3_T4_lilT5_lili,comdat
.Lfunc_end226:
	.size	_ZL38rocblas_trsm_small_left_device_sharedBILi24ELi24ELb1E19rocblas_complex_numIdES1_PKPKS1_PKPS1_Ev13rocblas_fill_18rocblas_operation_17rocblas_diagonal_iiT3_T4_lilT5_lili, .Lfunc_end226-_ZL38rocblas_trsm_small_left_device_sharedBILi24ELi24ELb1E19rocblas_complex_numIdES1_PKPKS1_PKPS1_Ev13rocblas_fill_18rocblas_operation_17rocblas_diagonal_iiT3_T4_lilT5_lili
                                        ; -- End function
	.set _ZL38rocblas_trsm_small_left_device_sharedBILi24ELi24ELb1E19rocblas_complex_numIdES1_PKPKS1_PKPS1_Ev13rocblas_fill_18rocblas_operation_17rocblas_diagonal_iiT3_T4_lilT5_lili.num_vgpr, 18
	.set _ZL38rocblas_trsm_small_left_device_sharedBILi24ELi24ELb1E19rocblas_complex_numIdES1_PKPKS1_PKPS1_Ev13rocblas_fill_18rocblas_operation_17rocblas_diagonal_iiT3_T4_lilT5_lili.num_agpr, 0
	.set _ZL38rocblas_trsm_small_left_device_sharedBILi24ELi24ELb1E19rocblas_complex_numIdES1_PKPKS1_PKPS1_Ev13rocblas_fill_18rocblas_operation_17rocblas_diagonal_iiT3_T4_lilT5_lili.numbered_sgpr, 29
	.set _ZL38rocblas_trsm_small_left_device_sharedBILi24ELi24ELb1E19rocblas_complex_numIdES1_PKPKS1_PKPS1_Ev13rocblas_fill_18rocblas_operation_17rocblas_diagonal_iiT3_T4_lilT5_lili.num_named_barrier, 0
	.set _ZL38rocblas_trsm_small_left_device_sharedBILi24ELi24ELb1E19rocblas_complex_numIdES1_PKPKS1_PKPS1_Ev13rocblas_fill_18rocblas_operation_17rocblas_diagonal_iiT3_T4_lilT5_lili.private_seg_size, 400
	.set _ZL38rocblas_trsm_small_left_device_sharedBILi24ELi24ELb1E19rocblas_complex_numIdES1_PKPKS1_PKPS1_Ev13rocblas_fill_18rocblas_operation_17rocblas_diagonal_iiT3_T4_lilT5_lili.uses_vcc, 1
	.set _ZL38rocblas_trsm_small_left_device_sharedBILi24ELi24ELb1E19rocblas_complex_numIdES1_PKPKS1_PKPS1_Ev13rocblas_fill_18rocblas_operation_17rocblas_diagonal_iiT3_T4_lilT5_lili.uses_flat_scratch, 0
	.set _ZL38rocblas_trsm_small_left_device_sharedBILi24ELi24ELb1E19rocblas_complex_numIdES1_PKPKS1_PKPS1_Ev13rocblas_fill_18rocblas_operation_17rocblas_diagonal_iiT3_T4_lilT5_lili.has_dyn_sized_stack, 0
	.set _ZL38rocblas_trsm_small_left_device_sharedBILi24ELi24ELb1E19rocblas_complex_numIdES1_PKPKS1_PKPS1_Ev13rocblas_fill_18rocblas_operation_17rocblas_diagonal_iiT3_T4_lilT5_lili.has_recursion, 0
	.set _ZL38rocblas_trsm_small_left_device_sharedBILi24ELi24ELb1E19rocblas_complex_numIdES1_PKPKS1_PKPS1_Ev13rocblas_fill_18rocblas_operation_17rocblas_diagonal_iiT3_T4_lilT5_lili.has_indirect_call, 0
	.section	.AMDGPU.csdata,"",@progbits
; Kernel info:
; codeLenInByte = 2440
; TotalNumSgprs: 35
; NumVgprs: 18
; NumAgprs: 0
; TotalNumVgprs: 18
; ScratchSize: 400
; MemoryBound: 0
; FloatMode: 240
; IeeeMode: 1
; LDSByteSize: 18432 bytes/workgroup (compile time only)
; SGPRBlocks: 12
; VGPRBlocks: 21
; NumSGPRsForWavesPerEU: 102
; NumVGPRsForWavesPerEU: 169
; AccumOffset: 20
; Occupancy: 2
; WaveLimiterHint : 0
; COMPUTE_PGM_RSRC2:SCRATCH_EN: 1
; COMPUTE_PGM_RSRC2:USER_SGPR: 2
; COMPUTE_PGM_RSRC2:TRAP_HANDLER: 0
; COMPUTE_PGM_RSRC2:TGID_X_EN: 1
; COMPUTE_PGM_RSRC2:TGID_Y_EN: 0
; COMPUTE_PGM_RSRC2:TGID_Z_EN: 1
; COMPUTE_PGM_RSRC2:TIDIG_COMP_CNT: 0
; COMPUTE_PGM_RSRC3_GFX90A:ACCUM_OFFSET: 4
; COMPUTE_PGM_RSRC3_GFX90A:TG_SPLIT: 0
	.section	.text._ZL30rocblas_trsm_small_left_deviceILi24ELi24ELb1E19rocblas_complex_numIdES1_PKPKS1_PKPS1_Ev13rocblas_fill_18rocblas_operation_17rocblas_diagonal_iiT3_T4_lilT5_lili,"axG",@progbits,_ZL30rocblas_trsm_small_left_deviceILi24ELi24ELb1E19rocblas_complex_numIdES1_PKPKS1_PKPS1_Ev13rocblas_fill_18rocblas_operation_17rocblas_diagonal_iiT3_T4_lilT5_lili,comdat
	.globl	_ZL30rocblas_trsm_small_left_deviceILi24ELi24ELb1E19rocblas_complex_numIdES1_PKPKS1_PKPS1_Ev13rocblas_fill_18rocblas_operation_17rocblas_diagonal_iiT3_T4_lilT5_lili ; -- Begin function _ZL30rocblas_trsm_small_left_deviceILi24ELi24ELb1E19rocblas_complex_numIdES1_PKPKS1_PKPS1_Ev13rocblas_fill_18rocblas_operation_17rocblas_diagonal_iiT3_T4_lilT5_lili
	.p2align	8
	.type	_ZL30rocblas_trsm_small_left_deviceILi24ELi24ELb1E19rocblas_complex_numIdES1_PKPKS1_PKPS1_Ev13rocblas_fill_18rocblas_operation_17rocblas_diagonal_iiT3_T4_lilT5_lili,@function
_ZL30rocblas_trsm_small_left_deviceILi24ELi24ELb1E19rocblas_complex_numIdES1_PKPKS1_PKPS1_Ev13rocblas_fill_18rocblas_operation_17rocblas_diagonal_iiT3_T4_lilT5_lili: ; @_ZL30rocblas_trsm_small_left_deviceILi24ELi24ELb1E19rocblas_complex_numIdES1_PKPKS1_PKPS1_Ev13rocblas_fill_18rocblas_operation_17rocblas_diagonal_iiT3_T4_lilT5_lili
; %bb.0:
	s_load_dwordx4 s[12:15], s[0:1], 0x4
	s_load_dwordx4 s[16:19], s[0:1], 0x48
	s_load_dwordx8 s[4:11], s[0:1], 0x18
	s_mov_b32 s20, s3
	s_mov_b32 s21, 0
	s_lshl_b64 s[22:23], s[20:21], 3
	s_waitcnt lgkmcnt(0)
	s_add_u32 s16, s16, s22
	s_addc_u32 s17, s17, s23
	s_load_dword s3, s[0:1], 0x70
	s_min_i32 s24, s14, 24
	s_load_dwordx2 s[16:17], s[16:17], 0x0
	v_cmp_gt_i32_e32 vcc, s24, v0
	s_and_saveexec_b64 s[20:21], vcc
	s_cbranch_execz .LBB227_11
; %bb.1:
	s_load_dword s26, s[0:1], 0x38
	v_lshlrev_b32_e32 v2, 4, v0
	v_mov_b32_e32 v3, 0
	v_mov_b32_e32 v1, v2
	s_waitcnt lgkmcnt(0)
	s_ashr_i32 s27, s26, 31
	s_cmpk_eq_i32 s12, 0x71
	s_cselect_b64 vcc, -1, 0
	s_add_u32 s8, s8, s22
	s_addc_u32 s9, s9, s23
	s_load_dwordx2 s[8:9], s[8:9], 0x0
	s_lshl_b64 s[10:11], s[10:11], 4
	s_waitcnt lgkmcnt(0)
	s_add_u32 s10, s8, s10
	s_addc_u32 s11, s9, s11
	s_lshl_b64 s[8:9], s[26:27], 4
	v_lshl_add_u64 v[4:5], s[10:11], 0, v[2:3]
	s_mov_b32 s10, s24
.LBB227_2:                              ; =>This Inner Loop Header: Depth=1
	flat_load_dwordx4 v[6:9], v[4:5]
	s_add_i32 s10, s10, -1
	v_lshl_add_u64 v[4:5], v[4:5], 0, s[8:9]
	s_cmp_eq_u32 s10, 0
	s_waitcnt vmcnt(0) lgkmcnt(0)
	v_xor_b32_e32 v3, 0x80000000, v9
	v_cndmask_b32_e32 v9, v9, v3, vcc
	ds_write_b128 v1, v[6:9]
	v_add_u32_e32 v1, 0x180, v1
	s_cbranch_scc0 .LBB227_2
; %bb.3:
	v_mul_u32_u24_e32 v1, 0x180, v0
	s_cmpk_lg_i32 s13, 0x84
	v_add_u32_e32 v1, v2, v1
	s_cbranch_scc0 .LBB227_9
; %bb.4:
	ds_read_b128 v[2:5], v1
                                        ; implicit-def: $vgpr8_vgpr9
	s_waitcnt lgkmcnt(0)
	v_cmp_ngt_f64_e64 s[8:9], |v[2:3]|, |v[4:5]|
	s_and_saveexec_b64 s[10:11], s[8:9]
	s_xor_b64 s[8:9], exec, s[10:11]
	s_cbranch_execz .LBB227_6
; %bb.5:
	v_div_scale_f64 v[6:7], s[10:11], v[4:5], v[4:5], v[2:3]
	v_rcp_f64_e32 v[8:9], v[6:7]
	v_div_scale_f64 v[10:11], vcc, v[2:3], v[4:5], v[2:3]
	v_fma_f64 v[12:13], -v[6:7], v[8:9], 1.0
	v_fmac_f64_e32 v[8:9], v[8:9], v[12:13]
	v_fma_f64 v[12:13], -v[6:7], v[8:9], 1.0
	v_fmac_f64_e32 v[8:9], v[8:9], v[12:13]
	v_mul_f64 v[12:13], v[10:11], v[8:9]
	v_fma_f64 v[6:7], -v[6:7], v[12:13], v[10:11]
	v_div_fmas_f64 v[6:7], v[6:7], v[8:9], v[12:13]
	v_div_fixup_f64 v[8:9], v[6:7], v[4:5], v[2:3]
	v_fmac_f64_e32 v[4:5], v[2:3], v[8:9]
	v_div_scale_f64 v[2:3], s[10:11], v[4:5], v[4:5], 1.0
	v_rcp_f64_e32 v[6:7], v[2:3]
	s_nop 0
	v_fma_f64 v[10:11], -v[2:3], v[6:7], 1.0
	v_fmac_f64_e32 v[6:7], v[6:7], v[10:11]
	v_fma_f64 v[10:11], -v[2:3], v[6:7], 1.0
	v_fmac_f64_e32 v[6:7], v[6:7], v[10:11]
	v_div_scale_f64 v[10:11], vcc, 1.0, v[4:5], 1.0
	v_mul_f64 v[12:13], v[10:11], v[6:7]
	v_fma_f64 v[2:3], -v[2:3], v[12:13], v[10:11]
	s_nop 1
	v_div_fmas_f64 v[2:3], v[2:3], v[6:7], v[12:13]
	v_div_fixup_f64 v[2:3], v[2:3], v[4:5], 1.0
	v_add_f64 v[4:5], v[8:9], 0
	v_mul_f64 v[6:7], v[4:5], v[2:3]
	v_fma_f64 v[4:5], v[8:9], 0, -1.0
	v_mul_f64 v[8:9], v[4:5], v[2:3]
                                        ; implicit-def: $vgpr2_vgpr3
.LBB227_6:
	s_andn2_saveexec_b64 s[8:9], s[8:9]
	s_cbranch_execz .LBB227_8
; %bb.7:
	v_div_scale_f64 v[6:7], s[10:11], v[2:3], v[2:3], v[4:5]
	v_rcp_f64_e32 v[8:9], v[6:7]
	v_div_scale_f64 v[10:11], vcc, v[4:5], v[2:3], v[4:5]
	v_fma_f64 v[12:13], -v[6:7], v[8:9], 1.0
	v_fmac_f64_e32 v[8:9], v[8:9], v[12:13]
	v_fma_f64 v[12:13], -v[6:7], v[8:9], 1.0
	v_fmac_f64_e32 v[8:9], v[8:9], v[12:13]
	v_mul_f64 v[12:13], v[10:11], v[8:9]
	v_fma_f64 v[6:7], -v[6:7], v[12:13], v[10:11]
	v_div_fmas_f64 v[6:7], v[6:7], v[8:9], v[12:13]
	v_div_fixup_f64 v[8:9], v[6:7], v[2:3], v[4:5]
	v_fmac_f64_e32 v[2:3], v[4:5], v[8:9]
	v_div_scale_f64 v[4:5], s[10:11], v[2:3], v[2:3], 1.0
	v_rcp_f64_e32 v[6:7], v[4:5]
	s_nop 0
	v_fma_f64 v[10:11], -v[4:5], v[6:7], 1.0
	v_fmac_f64_e32 v[6:7], v[6:7], v[10:11]
	v_fma_f64 v[10:11], -v[4:5], v[6:7], 1.0
	v_fmac_f64_e32 v[6:7], v[6:7], v[10:11]
	v_div_scale_f64 v[10:11], vcc, 1.0, v[2:3], 1.0
	v_mul_f64 v[12:13], v[10:11], v[6:7]
	v_fma_f64 v[4:5], -v[4:5], v[12:13], v[10:11]
	s_nop 1
	v_div_fmas_f64 v[4:5], v[4:5], v[6:7], v[12:13]
	v_div_fixup_f64 v[2:3], v[4:5], v[2:3], 1.0
	v_fma_f64 v[4:5], v[8:9], 0, 1.0
	v_mul_f64 v[6:7], v[4:5], v[2:3]
	v_add_f64 v[4:5], -v[8:9], 0
	v_mul_f64 v[8:9], v[4:5], v[2:3]
.LBB227_8:
	s_or_b64 exec, exec, s[8:9]
	s_branch .LBB227_10
.LBB227_9:
	v_mov_b64_e32 v[8:9], 0
	v_mov_b64_e32 v[6:7], 1.0
.LBB227_10:
	ds_write_b128 v1, v[6:9]
.LBB227_11:
	s_or_b64 exec, exec, s[20:21]
	s_mul_i32 s8, s2, 0xffffffe8
	s_waitcnt lgkmcnt(0)
	s_add_i32 s3, s3, -1
	s_add_i32 s8, s15, s8
	s_cmp_ge_u32 s2, s3
	s_cselect_b32 s3, s8, 24
	v_cmp_gt_i32_e32 vcc, s3, v0
	; wave barrier
	s_and_saveexec_b64 s[8:9], vcc
	s_cbranch_execz .LBB227_54
; %bb.12:
	s_load_dword s10, s[0:1], 0x58
	s_lshl_b64 s[0:1], s[18:19], 4
	s_add_u32 s8, s16, s0
	v_mad_u64_u32 v[0:1], s[2:3], s2, 24, v[0:1]
	s_addc_u32 s9, s17, s1
	s_waitcnt lgkmcnt(0)
	v_mad_i64_i32 v[6:7], s[2:3], s10, v0, 0
	v_lshl_add_u64 v[4:5], v[6:7], 4, s[8:9]
	s_cmpk_eq_i32 s12, 0x6f
	s_mov_b64 s[2:3], -1
	s_cbranch_scc1 .LBB227_33
; %bb.13:
	s_add_i32 s18, s24, -1
	s_add_u32 s2, s16, s0
	s_addc_u32 s3, s17, s1
	v_lshl_add_u64 v[8:9], v[6:7], 4, s[2:3]
	s_lshl_b32 s19, s24, 4
	s_mov_b32 s3, 0
	s_add_i32 s19, s19, -16
	s_mov_b32 s2, s3
	s_mov_b32 s8, s18
	s_branch .LBB227_15
.LBB227_14:                             ;   in Loop: Header=BB227_15 Depth=1
	s_cmp_lt_i32 s8, 0
	s_cselect_b64 s[10:11], -1, 0
	s_add_i32 s2, s2, 1
	s_cmp_eq_u32 s2, 3
	s_cselect_b64 s[12:13], -1, 0
	s_or_b64 s[10:11], s[10:11], s[12:13]
	s_andn2_b64 vcc, exec, s[10:11]
	s_cbranch_vccz .LBB227_32
.LBB227_15:                             ; =>This Loop Header: Depth=1
                                        ;     Child Loop BB227_18 Depth 2
                                        ;       Child Loop BB227_19 Depth 3
                                        ;       Child Loop BB227_21 Depth 3
                                        ;         Child Loop BB227_22 Depth 4
                                        ;       Child Loop BB227_26 Depth 3
                                        ;         Child Loop BB227_28 Depth 4
	s_lshl_b64 s[10:11], s[2:3], 2
	s_getpc_b64 s[12:13]
	s_add_u32 s12, s12, __const._ZL30rocblas_trsm_small_left_deviceILi24ELi24ELb1E19rocblas_complex_numIdES1_PKPKS1_PKPS1_Ev13rocblas_fill_18rocblas_operation_17rocblas_diagonal_iiT3_T4_lilT5_lili.step_sizes@rel32@lo+4
	s_addc_u32 s13, s13, __const._ZL30rocblas_trsm_small_left_deviceILi24ELi24ELb1E19rocblas_complex_numIdES1_PKPKS1_PKPS1_Ev13rocblas_fill_18rocblas_operation_17rocblas_diagonal_iiT3_T4_lilT5_lili.step_sizes@rel32@hi+12
	s_add_u32 s10, s12, s10
	s_addc_u32 s11, s13, s11
	s_load_dword s20, s[10:11], 0x0
	s_waitcnt lgkmcnt(0)
	s_add_i32 s21, s20, -1
	s_cmp_lt_i32 s8, s21
	s_cbranch_scc1 .LBB227_14
; %bb.16:                               ;   in Loop: Header=BB227_15 Depth=1
	s_mul_i32 s9, s8, 0x180
	s_max_i32 s22, s20, 1
	s_add_i32 s23, s19, s9
	s_mul_i32 s25, s20, 0xfffffe80
	s_mul_i32 s26, s8, 0x190
	;; [unrolled: 1-line block ×3, first 2 shown]
	s_branch .LBB227_18
.LBB227_17:                             ;   in Loop: Header=BB227_18 Depth=2
	s_sub_i32 s8, s8, s20
	s_add_i32 s23, s23, s25
	s_add_i32 s26, s26, s27
	s_cmp_lt_i32 s8, s21
	s_cbranch_scc1 .LBB227_14
.LBB227_18:                             ;   Parent Loop BB227_15 Depth=1
                                        ; =>  This Loop Header: Depth=2
                                        ;       Child Loop BB227_19 Depth 3
                                        ;       Child Loop BB227_21 Depth 3
                                        ;         Child Loop BB227_22 Depth 4
                                        ;       Child Loop BB227_26 Depth 3
                                        ;         Child Loop BB227_28 Depth 4
	s_ashr_i32 s9, s8, 31
	v_lshl_add_u64 v[0:1], s[8:9], 4, v[8:9]
	s_mov_b32 s10, 0
	s_mov_b32 s11, s22
.LBB227_19:                             ;   Parent Loop BB227_15 Depth=1
                                        ;     Parent Loop BB227_18 Depth=2
                                        ; =>    This Inner Loop Header: Depth=3
	flat_load_dwordx4 v[10:13], v[0:1]
	s_add_i32 s11, s11, -1
	v_lshl_add_u64 v[0:1], v[0:1], 0, -16
	s_waitcnt vmcnt(0) lgkmcnt(0)
	v_mul_f64 v[2:3], s[6:7], v[12:13]
	v_mul_f64 v[14:15], s[4:5], v[12:13]
	v_fma_f64 v[12:13], s[4:5], v[10:11], -v[2:3]
	v_fmac_f64_e32 v[14:15], s[6:7], v[10:11]
	scratch_store_dwordx4 off, v[12:15], s10
	s_add_i32 s10, s10, 16
	s_cmp_eq_u32 s11, 0
	s_cbranch_scc0 .LBB227_19
; %bb.20:                               ;   in Loop: Header=BB227_18 Depth=2
	s_cmp_le_i32 s18, s8
	s_mov_b32 s12, s23
	s_mov_b32 s10, s18
	s_cbranch_scc1 .LBB227_24
.LBB227_21:                             ;   Parent Loop BB227_15 Depth=1
                                        ;     Parent Loop BB227_18 Depth=2
                                        ; =>    This Loop Header: Depth=3
                                        ;         Child Loop BB227_22 Depth 4
	s_ashr_i32 s11, s10, 31
	v_lshl_add_u64 v[0:1], s[10:11], 4, v[4:5]
	flat_load_dwordx4 v[0:3], v[0:1]
	s_mov_b32 s11, 0
	s_mov_b32 s13, s12
	;; [unrolled: 1-line block ×3, first 2 shown]
.LBB227_22:                             ;   Parent Loop BB227_15 Depth=1
                                        ;     Parent Loop BB227_18 Depth=2
                                        ;       Parent Loop BB227_21 Depth=3
                                        ; =>      This Inner Loop Header: Depth=4
	scratch_load_dwordx4 v[10:13], off, s11
	v_mov_b32_e32 v14, s13
	ds_read_b128 v[14:17], v14
	s_add_i32 s14, s14, -1
	s_addk_i32 s13, 0xfe80
	s_waitcnt vmcnt(0) lgkmcnt(0)
	v_mul_f64 v[18:19], v[2:3], v[16:17]
	v_mul_f64 v[16:17], v[0:1], v[16:17]
	v_fma_f64 v[18:19], v[0:1], v[14:15], -v[18:19]
	v_fmac_f64_e32 v[16:17], v[2:3], v[14:15]
	v_add_f64 v[10:11], v[10:11], -v[18:19]
	v_add_f64 v[12:13], v[12:13], -v[16:17]
	scratch_store_dwordx4 off, v[10:13], s11
	s_add_i32 s11, s11, 16
	s_cmp_eq_u32 s14, 0
	s_cbranch_scc0 .LBB227_22
; %bb.23:                               ;   in Loop: Header=BB227_21 Depth=3
	s_add_i32 s10, s10, -1
	s_add_i32 s12, s12, -16
	s_cmp_le_i32 s10, s8
	s_cbranch_scc0 .LBB227_21
.LBB227_24:                             ;   in Loop: Header=BB227_18 Depth=2
	s_mov_b32 s28, 0
	s_mov_b32 s29, s26
	s_branch .LBB227_26
.LBB227_25:                             ;   in Loop: Header=BB227_26 Depth=3
	s_mulk_i32 s12, 0x190
	v_mov_b32_e32 v10, s12
	ds_read_b128 v[10:13], v10
	s_lshl_b32 s12, s28, 4
	s_add_i32 s28, s28, 1
	s_addk_i32 s29, 0xfe80
	s_cmp_eq_u32 s28, s22
	s_waitcnt vmcnt(0) lgkmcnt(0)
	v_mul_f64 v[14:15], v[12:13], v[2:3]
	v_mul_f64 v[16:17], v[10:11], v[2:3]
	v_fma_f64 v[14:15], v[10:11], v[0:1], -v[14:15]
	v_fmac_f64_e32 v[16:17], v[12:13], v[0:1]
	v_lshl_add_u64 v[0:1], s[10:11], 4, v[4:5]
	scratch_store_dwordx4 off, v[14:17], s12
	flat_store_dwordx4 v[0:1], v[14:17]
	s_cbranch_scc1 .LBB227_17
.LBB227_26:                             ;   Parent Loop BB227_15 Depth=1
                                        ;     Parent Loop BB227_18 Depth=2
                                        ; =>    This Loop Header: Depth=3
                                        ;         Child Loop BB227_28 Depth 4
	s_cmp_lg_u32 s28, 0
	s_cbranch_scc0 .LBB227_30
; %bb.27:                               ;   in Loop: Header=BB227_26 Depth=3
	s_lshl_b32 s10, s28, 4
	scratch_load_dwordx4 v[0:3], off, s10
	s_mov_b32 s11, 0
	s_mov_b32 s12, s29
	;; [unrolled: 1-line block ×3, first 2 shown]
.LBB227_28:                             ;   Parent Loop BB227_15 Depth=1
                                        ;     Parent Loop BB227_18 Depth=2
                                        ;       Parent Loop BB227_26 Depth=3
                                        ; =>      This Inner Loop Header: Depth=4
	scratch_load_dwordx4 v[10:13], off, s11
	v_mov_b32_e32 v14, s12
	ds_read_b128 v[14:17], v14
	s_add_i32 s13, s13, -1
	s_add_i32 s12, s12, -16
	s_add_i32 s11, s11, 16
	s_cmp_eq_u32 s13, 0
	s_waitcnt vmcnt(0) lgkmcnt(0)
	v_mul_f64 v[18:19], v[16:17], v[12:13]
	v_mul_f64 v[12:13], v[14:15], v[12:13]
	v_fma_f64 v[14:15], v[14:15], v[10:11], -v[18:19]
	v_fmac_f64_e32 v[12:13], v[16:17], v[10:11]
	v_add_f64 v[0:1], v[0:1], -v[14:15]
	v_add_f64 v[2:3], v[2:3], -v[12:13]
	scratch_store_dwordx4 off, v[0:3], s10
	s_cbranch_scc0 .LBB227_28
; %bb.29:                               ;   in Loop: Header=BB227_26 Depth=3
	s_sub_i32 s12, s8, s28
	s_ashr_i32 s13, s12, 31
	s_mov_b64 s[10:11], s[12:13]
	s_branch .LBB227_25
.LBB227_30:                             ;   in Loop: Header=BB227_26 Depth=3
                                        ; implicit-def: $vgpr0_vgpr1
                                        ; implicit-def: $sgpr12
                                        ; implicit-def: $sgpr10_sgpr11
	s_cbranch_execz .LBB227_25
; %bb.31:                               ;   in Loop: Header=BB227_26 Depth=3
	scratch_load_dwordx4 v[0:3], off, off
	s_mov_b64 s[10:11], s[8:9]
	s_mov_b32 s12, s8
	s_branch .LBB227_25
.LBB227_32:
	s_mov_b64 s[2:3], 0
.LBB227_33:
	s_and_b64 vcc, exec, s[2:3]
	s_cbranch_vccz .LBB227_54
; %bb.34:
	s_add_u32 s0, s16, s0
	s_addc_u32 s1, s17, s1
	v_lshl_add_u64 v[6:7], v[6:7], 4, s[0:1]
	s_mov_b32 s1, 0
	s_mov_b32 s2, s1
	;; [unrolled: 1-line block ×3, first 2 shown]
	s_branch .LBB227_36
.LBB227_35:                             ;   in Loop: Header=BB227_36 Depth=1
	s_cmp_ge_i32 s2, s24
	s_cselect_b64 s[10:11], -1, 0
	s_add_i32 s8, s8, 1
	s_cmp_eq_u32 s8, 3
	s_cselect_b64 s[12:13], -1, 0
	s_or_b64 s[10:11], s[10:11], s[12:13]
	s_and_b64 vcc, exec, s[10:11]
	s_cbranch_vccnz .LBB227_54
.LBB227_36:                             ; =>This Loop Header: Depth=1
                                        ;     Child Loop BB227_39 Depth 2
                                        ;       Child Loop BB227_40 Depth 3
                                        ;       Child Loop BB227_43 Depth 3
                                        ;         Child Loop BB227_44 Depth 4
                                        ;       Child Loop BB227_48 Depth 3
                                        ;         Child Loop BB227_50 Depth 4
	s_mov_b32 s9, s1
	s_lshl_b64 s[10:11], s[8:9], 2
	s_getpc_b64 s[12:13]
	s_add_u32 s12, s12, __const._ZL30rocblas_trsm_small_left_deviceILi24ELi24ELb1E19rocblas_complex_numIdES1_PKPKS1_PKPS1_Ev13rocblas_fill_18rocblas_operation_17rocblas_diagonal_iiT3_T4_lilT5_lili.step_sizes@rel32@lo+4
	s_addc_u32 s13, s13, __const._ZL30rocblas_trsm_small_left_deviceILi24ELi24ELb1E19rocblas_complex_numIdES1_PKPKS1_PKPS1_Ev13rocblas_fill_18rocblas_operation_17rocblas_diagonal_iiT3_T4_lilT5_lili.step_sizes@rel32@hi+12
	s_add_u32 s10, s12, s10
	s_addc_u32 s11, s13, s11
	s_load_dword s10, s[10:11], 0x0
	s_waitcnt lgkmcnt(0)
	s_add_i32 s9, s10, -1
	s_add_i32 s0, s9, s2
	s_cmp_ge_i32 s0, s24
	s_cbranch_scc1 .LBB227_35
; %bb.37:                               ;   in Loop: Header=BB227_36 Depth=1
	s_ashr_i32 s3, s2, 31
	s_ashr_i32 s11, s10, 31
	s_max_i32 s16, s10, 1
	v_lshl_add_u64 v[8:9], s[2:3], 4, v[6:7]
	s_lshl_b64 s[12:13], s[10:11], 4
	s_lshl_b32 s3, s2, 4
	s_lshl_b32 s11, s10, 4
	s_mul_i32 s17, s2, 0x190
	s_mul_i32 s18, s10, 0x190
	s_branch .LBB227_39
.LBB227_38:                             ;   in Loop: Header=BB227_39 Depth=2
	s_add_i32 s2, s2, s10
	s_add_i32 s0, s9, s2
	;; [unrolled: 1-line block ×4, first 2 shown]
	s_cmp_ge_i32 s0, s24
	v_lshl_add_u64 v[8:9], v[8:9], 0, s[12:13]
	s_cbranch_scc1 .LBB227_35
.LBB227_39:                             ;   Parent Loop BB227_36 Depth=1
                                        ; =>  This Loop Header: Depth=2
                                        ;       Child Loop BB227_40 Depth 3
                                        ;       Child Loop BB227_43 Depth 3
                                        ;         Child Loop BB227_44 Depth 4
                                        ;       Child Loop BB227_48 Depth 3
                                        ;         Child Loop BB227_50 Depth 4
	s_mov_b32 s0, 0
	v_mov_b64_e32 v[0:1], v[8:9]
	s_mov_b32 s14, s16
.LBB227_40:                             ;   Parent Loop BB227_36 Depth=1
                                        ;     Parent Loop BB227_39 Depth=2
                                        ; =>    This Inner Loop Header: Depth=3
	flat_load_dwordx4 v[10:13], v[0:1]
	s_add_i32 s14, s14, -1
	v_lshl_add_u64 v[0:1], v[0:1], 0, 16
	s_waitcnt vmcnt(0) lgkmcnt(0)
	v_mul_f64 v[2:3], s[6:7], v[12:13]
	v_mul_f64 v[14:15], s[4:5], v[12:13]
	v_fma_f64 v[12:13], s[4:5], v[10:11], -v[2:3]
	v_fmac_f64_e32 v[14:15], s[6:7], v[10:11]
	scratch_store_dwordx4 off, v[12:15], s0
	s_add_i32 s0, s0, 16
	s_cmp_eq_u32 s14, 0
	s_cbranch_scc0 .LBB227_40
; %bb.41:                               ;   in Loop: Header=BB227_39 Depth=2
	s_cmp_lt_i32 s2, 1
	s_cbranch_scc1 .LBB227_46
; %bb.42:                               ;   in Loop: Header=BB227_39 Depth=2
	s_mov_b32 s0, 0
	s_mov_b32 s14, s3
.LBB227_43:                             ;   Parent Loop BB227_36 Depth=1
                                        ;     Parent Loop BB227_39 Depth=2
                                        ; =>    This Loop Header: Depth=3
                                        ;         Child Loop BB227_44 Depth 4
	v_lshl_add_u64 v[0:1], s[0:1], 4, v[4:5]
	flat_load_dwordx4 v[0:3], v[0:1]
	s_mov_b32 s15, 0
	s_mov_b32 s19, s14
	;; [unrolled: 1-line block ×3, first 2 shown]
.LBB227_44:                             ;   Parent Loop BB227_36 Depth=1
                                        ;     Parent Loop BB227_39 Depth=2
                                        ;       Parent Loop BB227_43 Depth=3
                                        ; =>      This Inner Loop Header: Depth=4
	scratch_load_dwordx4 v[10:13], off, s15
	v_mov_b32_e32 v14, s19
	ds_read_b128 v[14:17], v14
	s_add_i32 s20, s20, -1
	s_add_i32 s19, s19, 16
	s_waitcnt vmcnt(0) lgkmcnt(0)
	v_mul_f64 v[18:19], v[2:3], v[16:17]
	v_mul_f64 v[16:17], v[0:1], v[16:17]
	v_fma_f64 v[18:19], v[0:1], v[14:15], -v[18:19]
	v_fmac_f64_e32 v[16:17], v[2:3], v[14:15]
	v_add_f64 v[10:11], v[10:11], -v[18:19]
	v_add_f64 v[12:13], v[12:13], -v[16:17]
	scratch_store_dwordx4 off, v[10:13], s15
	s_add_i32 s15, s15, 16
	s_cmp_eq_u32 s20, 0
	s_cbranch_scc0 .LBB227_44
; %bb.45:                               ;   in Loop: Header=BB227_43 Depth=3
	s_add_i32 s0, s0, 1
	s_addk_i32 s14, 0x180
	s_cmp_eq_u32 s0, s2
	s_cbranch_scc0 .LBB227_43
.LBB227_46:                             ;   in Loop: Header=BB227_39 Depth=2
	s_mov_b32 s0, 0
	s_mov_b32 s19, s17
	s_branch .LBB227_48
.LBB227_47:                             ;   in Loop: Header=BB227_48 Depth=3
	s_add_i32 s14, s0, s2
	s_mul_i32 s15, s14, 0x190
	v_mov_b32_e32 v10, s15
	ds_read_b128 v[10:13], v10
	s_lshl_b32 s15, s0, 4
	s_add_i32 s0, s0, 1
	s_add_i32 s19, s19, 16
	s_waitcnt vmcnt(0) lgkmcnt(0)
	v_mul_f64 v[14:15], v[12:13], v[2:3]
	v_mul_f64 v[16:17], v[10:11], v[2:3]
	v_fma_f64 v[14:15], v[10:11], v[0:1], -v[14:15]
	v_fmac_f64_e32 v[16:17], v[12:13], v[0:1]
	scratch_store_dwordx4 off, v[14:17], s15
	s_ashr_i32 s15, s14, 31
	v_lshl_add_u64 v[0:1], s[14:15], 4, v[4:5]
	s_cmp_eq_u32 s0, s16
	flat_store_dwordx4 v[0:1], v[14:17]
	s_cbranch_scc1 .LBB227_38
.LBB227_48:                             ;   Parent Loop BB227_36 Depth=1
                                        ;     Parent Loop BB227_39 Depth=2
                                        ; =>    This Loop Header: Depth=3
                                        ;         Child Loop BB227_50 Depth 4
	s_cmp_lg_u32 s0, 0
	s_cbranch_scc0 .LBB227_52
; %bb.49:                               ;   in Loop: Header=BB227_48 Depth=3
	s_lshl_b32 s14, s0, 4
	scratch_load_dwordx4 v[0:3], off, s14
	s_mov_b32 s15, 0
	s_mov_b32 s20, s19
	;; [unrolled: 1-line block ×3, first 2 shown]
.LBB227_50:                             ;   Parent Loop BB227_36 Depth=1
                                        ;     Parent Loop BB227_39 Depth=2
                                        ;       Parent Loop BB227_48 Depth=3
                                        ; =>      This Inner Loop Header: Depth=4
	scratch_load_dwordx4 v[10:13], off, s15
	v_mov_b32_e32 v14, s20
	ds_read_b128 v[14:17], v14
	s_add_i32 s21, s21, -1
	s_addk_i32 s20, 0x180
	s_add_i32 s15, s15, 16
	s_cmp_eq_u32 s21, 0
	s_waitcnt vmcnt(0) lgkmcnt(0)
	v_mul_f64 v[18:19], v[16:17], v[12:13]
	v_mul_f64 v[12:13], v[14:15], v[12:13]
	v_fma_f64 v[14:15], v[14:15], v[10:11], -v[18:19]
	v_fmac_f64_e32 v[12:13], v[16:17], v[10:11]
	v_add_f64 v[0:1], v[0:1], -v[14:15]
	v_add_f64 v[2:3], v[2:3], -v[12:13]
	scratch_store_dwordx4 off, v[0:3], s14
	s_cbranch_scc0 .LBB227_50
; %bb.51:                               ;   in Loop: Header=BB227_48 Depth=3
	s_branch .LBB227_47
.LBB227_52:                             ;   in Loop: Header=BB227_48 Depth=3
                                        ; implicit-def: $vgpr0_vgpr1
	s_cbranch_execz .LBB227_47
; %bb.53:                               ;   in Loop: Header=BB227_48 Depth=3
	scratch_load_dwordx4 v[0:3], off, off
	s_branch .LBB227_47
.LBB227_54:
	s_endpgm
	.section	.rodata,"a",@progbits
	.p2align	6, 0x0
	.amdhsa_kernel _ZL30rocblas_trsm_small_left_deviceILi24ELi24ELb1E19rocblas_complex_numIdES1_PKPKS1_PKPS1_Ev13rocblas_fill_18rocblas_operation_17rocblas_diagonal_iiT3_T4_lilT5_lili
		.amdhsa_group_segment_fixed_size 9216
		.amdhsa_private_segment_fixed_size 400
		.amdhsa_kernarg_size 368
		.amdhsa_user_sgpr_count 2
		.amdhsa_user_sgpr_dispatch_ptr 0
		.amdhsa_user_sgpr_queue_ptr 0
		.amdhsa_user_sgpr_kernarg_segment_ptr 1
		.amdhsa_user_sgpr_dispatch_id 0
		.amdhsa_user_sgpr_kernarg_preload_length 0
		.amdhsa_user_sgpr_kernarg_preload_offset 0
		.amdhsa_user_sgpr_private_segment_size 0
		.amdhsa_uses_dynamic_stack 0
		.amdhsa_enable_private_segment 1
		.amdhsa_system_sgpr_workgroup_id_x 1
		.amdhsa_system_sgpr_workgroup_id_y 0
		.amdhsa_system_sgpr_workgroup_id_z 1
		.amdhsa_system_sgpr_workgroup_info 0
		.amdhsa_system_vgpr_workitem_id 0
		.amdhsa_next_free_vgpr 81
		.amdhsa_next_free_sgpr 96
		.amdhsa_accum_offset 20
		.amdhsa_reserve_vcc 1
		.amdhsa_float_round_mode_32 0
		.amdhsa_float_round_mode_16_64 0
		.amdhsa_float_denorm_mode_32 3
		.amdhsa_float_denorm_mode_16_64 3
		.amdhsa_dx10_clamp 1
		.amdhsa_ieee_mode 1
		.amdhsa_fp16_overflow 0
		.amdhsa_tg_split 0
		.amdhsa_exception_fp_ieee_invalid_op 0
		.amdhsa_exception_fp_denorm_src 0
		.amdhsa_exception_fp_ieee_div_zero 0
		.amdhsa_exception_fp_ieee_overflow 0
		.amdhsa_exception_fp_ieee_underflow 0
		.amdhsa_exception_fp_ieee_inexact 0
		.amdhsa_exception_int_div_zero 0
	.end_amdhsa_kernel
	.section	.text._ZL30rocblas_trsm_small_left_deviceILi24ELi24ELb1E19rocblas_complex_numIdES1_PKPKS1_PKPS1_Ev13rocblas_fill_18rocblas_operation_17rocblas_diagonal_iiT3_T4_lilT5_lili,"axG",@progbits,_ZL30rocblas_trsm_small_left_deviceILi24ELi24ELb1E19rocblas_complex_numIdES1_PKPKS1_PKPS1_Ev13rocblas_fill_18rocblas_operation_17rocblas_diagonal_iiT3_T4_lilT5_lili,comdat
.Lfunc_end227:
	.size	_ZL30rocblas_trsm_small_left_deviceILi24ELi24ELb1E19rocblas_complex_numIdES1_PKPKS1_PKPS1_Ev13rocblas_fill_18rocblas_operation_17rocblas_diagonal_iiT3_T4_lilT5_lili, .Lfunc_end227-_ZL30rocblas_trsm_small_left_deviceILi24ELi24ELb1E19rocblas_complex_numIdES1_PKPKS1_PKPS1_Ev13rocblas_fill_18rocblas_operation_17rocblas_diagonal_iiT3_T4_lilT5_lili
                                        ; -- End function
	.set _ZL30rocblas_trsm_small_left_deviceILi24ELi24ELb1E19rocblas_complex_numIdES1_PKPKS1_PKPS1_Ev13rocblas_fill_18rocblas_operation_17rocblas_diagonal_iiT3_T4_lilT5_lili.num_vgpr, 20
	.set _ZL30rocblas_trsm_small_left_deviceILi24ELi24ELb1E19rocblas_complex_numIdES1_PKPKS1_PKPS1_Ev13rocblas_fill_18rocblas_operation_17rocblas_diagonal_iiT3_T4_lilT5_lili.num_agpr, 0
	.set _ZL30rocblas_trsm_small_left_deviceILi24ELi24ELb1E19rocblas_complex_numIdES1_PKPKS1_PKPS1_Ev13rocblas_fill_18rocblas_operation_17rocblas_diagonal_iiT3_T4_lilT5_lili.numbered_sgpr, 30
	.set _ZL30rocblas_trsm_small_left_deviceILi24ELi24ELb1E19rocblas_complex_numIdES1_PKPKS1_PKPS1_Ev13rocblas_fill_18rocblas_operation_17rocblas_diagonal_iiT3_T4_lilT5_lili.num_named_barrier, 0
	.set _ZL30rocblas_trsm_small_left_deviceILi24ELi24ELb1E19rocblas_complex_numIdES1_PKPKS1_PKPS1_Ev13rocblas_fill_18rocblas_operation_17rocblas_diagonal_iiT3_T4_lilT5_lili.private_seg_size, 400
	.set _ZL30rocblas_trsm_small_left_deviceILi24ELi24ELb1E19rocblas_complex_numIdES1_PKPKS1_PKPS1_Ev13rocblas_fill_18rocblas_operation_17rocblas_diagonal_iiT3_T4_lilT5_lili.uses_vcc, 1
	.set _ZL30rocblas_trsm_small_left_deviceILi24ELi24ELb1E19rocblas_complex_numIdES1_PKPKS1_PKPS1_Ev13rocblas_fill_18rocblas_operation_17rocblas_diagonal_iiT3_T4_lilT5_lili.uses_flat_scratch, 0
	.set _ZL30rocblas_trsm_small_left_deviceILi24ELi24ELb1E19rocblas_complex_numIdES1_PKPKS1_PKPS1_Ev13rocblas_fill_18rocblas_operation_17rocblas_diagonal_iiT3_T4_lilT5_lili.has_dyn_sized_stack, 0
	.set _ZL30rocblas_trsm_small_left_deviceILi24ELi24ELb1E19rocblas_complex_numIdES1_PKPKS1_PKPS1_Ev13rocblas_fill_18rocblas_operation_17rocblas_diagonal_iiT3_T4_lilT5_lili.has_recursion, 0
	.set _ZL30rocblas_trsm_small_left_deviceILi24ELi24ELb1E19rocblas_complex_numIdES1_PKPKS1_PKPS1_Ev13rocblas_fill_18rocblas_operation_17rocblas_diagonal_iiT3_T4_lilT5_lili.has_indirect_call, 0
	.section	.AMDGPU.csdata,"",@progbits
; Kernel info:
; codeLenInByte = 2256
; TotalNumSgprs: 36
; NumVgprs: 20
; NumAgprs: 0
; TotalNumVgprs: 20
; ScratchSize: 400
; MemoryBound: 0
; FloatMode: 240
; IeeeMode: 1
; LDSByteSize: 9216 bytes/workgroup (compile time only)
; SGPRBlocks: 12
; VGPRBlocks: 10
; NumSGPRsForWavesPerEU: 102
; NumVGPRsForWavesPerEU: 81
; AccumOffset: 20
; Occupancy: 5
; WaveLimiterHint : 1
; COMPUTE_PGM_RSRC2:SCRATCH_EN: 1
; COMPUTE_PGM_RSRC2:USER_SGPR: 2
; COMPUTE_PGM_RSRC2:TRAP_HANDLER: 0
; COMPUTE_PGM_RSRC2:TGID_X_EN: 1
; COMPUTE_PGM_RSRC2:TGID_Y_EN: 0
; COMPUTE_PGM_RSRC2:TGID_Z_EN: 1
; COMPUTE_PGM_RSRC2:TIDIG_COMP_CNT: 0
; COMPUTE_PGM_RSRC3_GFX90A:ACCUM_OFFSET: 4
; COMPUTE_PGM_RSRC3_GFX90A:TG_SPLIT: 0
	.section	.text._ZL31rocblas_trsm_small_right_deviceI19rocblas_complex_numIdES1_PKPKS1_PKPS1_Li24EEv13rocblas_fill_18rocblas_operation_17rocblas_diagonal_iiT0_T1_lilT2_lili,"axG",@progbits,_ZL31rocblas_trsm_small_right_deviceI19rocblas_complex_numIdES1_PKPKS1_PKPS1_Li24EEv13rocblas_fill_18rocblas_operation_17rocblas_diagonal_iiT0_T1_lilT2_lili,comdat
	.globl	_ZL31rocblas_trsm_small_right_deviceI19rocblas_complex_numIdES1_PKPKS1_PKPS1_Li24EEv13rocblas_fill_18rocblas_operation_17rocblas_diagonal_iiT0_T1_lilT2_lili ; -- Begin function _ZL31rocblas_trsm_small_right_deviceI19rocblas_complex_numIdES1_PKPKS1_PKPS1_Li24EEv13rocblas_fill_18rocblas_operation_17rocblas_diagonal_iiT0_T1_lilT2_lili
	.p2align	8
	.type	_ZL31rocblas_trsm_small_right_deviceI19rocblas_complex_numIdES1_PKPKS1_PKPS1_Li24EEv13rocblas_fill_18rocblas_operation_17rocblas_diagonal_iiT0_T1_lilT2_lili,@function
_ZL31rocblas_trsm_small_right_deviceI19rocblas_complex_numIdES1_PKPKS1_PKPS1_Li24EEv13rocblas_fill_18rocblas_operation_17rocblas_diagonal_iiT0_T1_lilT2_lili: ; @_ZL31rocblas_trsm_small_right_deviceI19rocblas_complex_numIdES1_PKPKS1_PKPS1_Li24EEv13rocblas_fill_18rocblas_operation_17rocblas_diagonal_iiT0_T1_lilT2_lili
; %bb.0:
	s_mov_b32 s20, s3
	s_load_dwordx4 s[16:19], s[0:1], 0x48
	s_load_dwordx4 s[12:15], s[0:1], 0x0
	s_load_dword s24, s[0:1], 0x10
	s_load_dwordx8 s[4:11], s[0:1], 0x18
	s_mov_b32 s21, 0
	s_lshl_b64 s[22:23], s[20:21], 3
	s_waitcnt lgkmcnt(0)
	s_add_u32 s16, s16, s22
	s_addc_u32 s17, s17, s23
	s_load_dwordx2 s[16:17], s[16:17], 0x0
	s_min_i32 s25, s24, 24
	v_cmp_gt_i32_e32 vcc, s25, v0
	s_and_saveexec_b64 s[20:21], vcc
	s_cbranch_execz .LBB228_5
; %bb.1:
	s_load_dword s26, s[0:1], 0x38
	v_lshlrev_b32_e32 v2, 4, v0
	v_mov_b32_e32 v3, 0
	v_mov_b32_e32 v1, v2
	s_mov_b32 s3, s25
	s_waitcnt lgkmcnt(0)
	s_ashr_i32 s27, s26, 31
	s_cmpk_eq_i32 s13, 0x71
	s_cselect_b64 vcc, -1, 0
	s_add_u32 s8, s8, s22
	s_addc_u32 s9, s9, s23
	s_load_dwordx2 s[8:9], s[8:9], 0x0
	s_lshl_b64 s[10:11], s[10:11], 4
	s_waitcnt lgkmcnt(0)
	s_add_u32 s10, s8, s10
	s_addc_u32 s11, s9, s11
	s_lshl_b64 s[8:9], s[26:27], 4
	v_lshl_add_u64 v[4:5], s[10:11], 0, v[2:3]
.LBB228_2:                              ; =>This Inner Loop Header: Depth=1
	flat_load_dwordx4 v[6:9], v[4:5]
	s_add_i32 s3, s3, -1
	v_lshl_add_u64 v[4:5], v[4:5], 0, s[8:9]
	s_cmp_eq_u32 s3, 0
	s_waitcnt vmcnt(0) lgkmcnt(0)
	v_xor_b32_e32 v3, 0x80000000, v9
	v_cndmask_b32_e32 v9, v9, v3, vcc
	ds_write_b128 v1, v[6:9]
	v_add_u32_e32 v1, 0x180, v1
	s_cbranch_scc0 .LBB228_2
; %bb.3:
	s_cmpk_eq_i32 s14, 0x84
	s_cbranch_scc0 .LBB228_5
; %bb.4:
	s_movk_i32 s3, 0x180
	v_mad_u32_u24 v1, v0, s3, v2
	v_mov_b32_e32 v2, 0
	v_mov_b32_e32 v3, 0x3ff00000
	;; [unrolled: 1-line block ×4, first 2 shown]
	ds_write_b128 v1, v[2:5]
.LBB228_5:
	s_or_b64 exec, exec, s[20:21]
	s_load_dword s3, s[0:1], 0x70
	s_load_dword s8, s[0:1], 0x58
	s_lshl_b64 s[0:1], s[18:19], 4
	s_waitcnt lgkmcnt(0)
	s_add_u32 s0, s16, s0
	s_mul_i32 s9, s2, 0xffffffe8
	s_addc_u32 s1, s17, s1
	s_add_i32 s3, s3, -1
	s_add_i32 s9, s15, s9
	s_cmp_ge_u32 s2, s3
	s_mul_hi_i32 s3, s2, 0x180
	s_mulk_i32 s2, 0x180
	s_cselect_b32 s9, s9, 24
	s_add_u32 s2, s0, s2
	s_addc_u32 s3, s1, s3
	v_cmp_gt_i32_e64 s[0:1], s9, v0
	s_and_saveexec_b64 s[10:11], s[0:1]
	s_cbranch_execz .LBB228_9
; %bb.6:
	s_cmp_lt_i32 s24, 1
	s_cbranch_scc1 .LBB228_9
; %bb.7:
	s_ashr_i32 s9, s8, 31
	v_lshlrev_b32_e32 v4, 4, v0
	v_mov_b32_e32 v5, 0
	v_lshl_add_u64 v[2:3], s[2:3], 0, v[4:5]
	s_lshl_b64 s[14:15], s[8:9], 4
	v_or_b32_e32 v1, 0x2400, v4
	s_mov_b32 s9, s24
.LBB228_8:                              ; =>This Inner Loop Header: Depth=1
	flat_load_dwordx4 v[4:7], v[2:3]
	s_add_i32 s9, s9, -1
	v_lshl_add_u64 v[2:3], v[2:3], 0, s[14:15]
	s_cmp_lg_u32 s9, 0
	s_waitcnt vmcnt(0) lgkmcnt(0)
	v_mul_f64 v[10:11], s[6:7], v[6:7]
	v_mul_f64 v[8:9], s[4:5], v[6:7]
	v_fma_f64 v[6:7], s[4:5], v[4:5], -v[10:11]
	v_fmac_f64_e32 v[8:9], s[6:7], v[4:5]
	ds_write_b128 v1, v[6:9]
	v_add_u32_e32 v1, 0x180, v1
	s_cbranch_scc1 .LBB228_8
.LBB228_9:
	s_or_b64 exec, exec, s[10:11]
	s_cmpk_eq_i32 s13, 0x6f
	s_cselect_b64 s[4:5], -1, 0
	s_cmpk_lg_i32 s12, 0x79
	s_cselect_b64 s[6:7], -1, 0
	s_cmpk_eq_i32 s12, 0x79
	s_cselect_b64 s[10:11], -1, 0
	s_and_b64 s[10:11], s[10:11], s[4:5]
	s_andn2_b64 vcc, exec, s[10:11]
	s_mov_b64 s[10:11], -1
	s_waitcnt lgkmcnt(0)
	; wave barrier
	s_cbranch_vccz .LBB228_110
; %bb.10:
	s_cmpk_lg_i32 s12, 0x7a
	s_cselect_b64 s[12:13], -1, 0
	s_xor_b64 s[4:5], s[4:5], -1
	s_add_i32 s9, s25, -1
	s_or_b64 s[12:13], s[12:13], s[4:5]
	v_mov_b32_e32 v1, 0x2400
	s_cmp_gt_i32 s24, 3
	v_lshl_or_b32 v1, v0, 4, v1
	s_cselect_b64 s[4:5], -1, 0
	s_and_b64 vcc, exec, s[12:13]
	s_cbranch_vccz .LBB228_77
; %bb.11:
	s_andn2_b64 vcc, exec, s[6:7]
	s_mov_b64 s[6:7], -1
	s_cbranch_vccnz .LBB228_44
; %bb.12:
	s_andn2_b64 vcc, exec, s[4:5]
	s_mov_b32 s12, 0
	s_cbranch_vccnz .LBB228_34
; %bb.13:
	v_mov_b32_e32 v2, 0x2400
	v_lshl_or_b32 v26, v0, 4, v2
	s_mov_b32 s10, 0
	s_mov_b32 s11, 0
.LBB228_14:                             ; =>This Loop Header: Depth=1
                                        ;     Child Loop BB228_15 Depth 2
	s_or_b32 s7, s11, 3
	s_mul_i32 s6, s11, 0x180
	v_add_u32_e32 v28, s6, v1
	s_mulk_i32 s7, 0x180
	ds_read_b128 v[18:21], v28
	ds_read_b128 v[14:17], v28 offset:384
	v_add_u32_e32 v27, s7, v1
	ds_read_b128 v[6:9], v28 offset:768
	ds_read_b128 v[2:5], v27
	s_cmp_eq_u32 s11, 0
	v_mov_b32_e32 v10, v26
	s_mov_b32 s7, s10
	s_mov_b32 s12, s11
	s_cbranch_scc1 .LBB228_16
.LBB228_15:                             ;   Parent Loop BB228_14 Depth=1
                                        ; =>  This Inner Loop Header: Depth=2
	v_mov_b32_e32 v11, s7
	ds_read_b128 v[22:25], v10
	ds_read_b128 v[30:33], v11
	ds_read_b128 v[34:37], v11 offset:16
	ds_read_b128 v[38:41], v11 offset:32
	;; [unrolled: 1-line block ×3, first 2 shown]
	s_add_i32 s12, s12, -1
	s_addk_i32 s7, 0x180
	v_add_u32_e32 v10, 0x180, v10
	s_waitcnt lgkmcnt(3)
	v_mul_f64 v[12:13], v[24:25], v[32:33]
	v_mul_f64 v[32:33], v[22:23], v[32:33]
	s_waitcnt lgkmcnt(2)
	v_mul_f64 v[46:47], v[24:25], v[36:37]
	v_mul_f64 v[36:37], v[22:23], v[36:37]
	;; [unrolled: 3-line block ×4, first 2 shown]
	v_fma_f64 v[12:13], v[22:23], v[30:31], -v[12:13]
	v_fmac_f64_e32 v[32:33], v[24:25], v[30:31]
	v_fma_f64 v[30:31], v[22:23], v[34:35], -v[46:47]
	v_fmac_f64_e32 v[36:37], v[24:25], v[34:35]
	;; [unrolled: 2-line block ×4, first 2 shown]
	s_cmp_eq_u32 s12, 0
	v_add_f64 v[18:19], v[18:19], -v[12:13]
	v_add_f64 v[20:21], v[20:21], -v[32:33]
	;; [unrolled: 1-line block ×8, first 2 shown]
	s_cbranch_scc0 .LBB228_15
.LBB228_16:                             ;   in Loop: Header=BB228_14 Depth=1
	s_lshl_b32 s12, s11, 4
	s_add_i32 s13, s12, s6
	v_mov_b32_e32 v10, s13
	ds_read_b128 v[22:25], v10
	s_mov_b64 s[6:7], -1
                                        ; implicit-def: $vgpr12_vgpr13
	s_waitcnt lgkmcnt(0)
	v_cmp_ngt_f64_e64 s[14:15], |v[22:23]|, |v[24:25]|
	s_and_b64 vcc, exec, s[14:15]
	s_cbranch_vccz .LBB228_18
; %bb.17:                               ;   in Loop: Header=BB228_14 Depth=1
	v_div_scale_f64 v[10:11], s[6:7], v[24:25], v[24:25], v[22:23]
	v_rcp_f64_e32 v[12:13], v[10:11]
	v_div_scale_f64 v[30:31], vcc, v[22:23], v[24:25], v[22:23]
	v_fma_f64 v[32:33], -v[10:11], v[12:13], 1.0
	v_fmac_f64_e32 v[12:13], v[12:13], v[32:33]
	v_fma_f64 v[32:33], -v[10:11], v[12:13], 1.0
	v_fmac_f64_e32 v[12:13], v[12:13], v[32:33]
	v_mul_f64 v[32:33], v[30:31], v[12:13]
	v_fma_f64 v[10:11], -v[10:11], v[32:33], v[30:31]
	v_div_fmas_f64 v[10:11], v[10:11], v[12:13], v[32:33]
	v_div_fixup_f64 v[12:13], v[10:11], v[24:25], v[22:23]
	v_fma_f64 v[10:11], v[22:23], v[12:13], v[24:25]
	v_div_scale_f64 v[30:31], s[6:7], v[10:11], v[10:11], 1.0
	v_rcp_f64_e32 v[32:33], v[30:31]
	s_mov_b64 s[6:7], 0
	v_fma_f64 v[34:35], -v[30:31], v[32:33], 1.0
	v_fmac_f64_e32 v[32:33], v[32:33], v[34:35]
	v_fma_f64 v[34:35], -v[30:31], v[32:33], 1.0
	v_fmac_f64_e32 v[32:33], v[32:33], v[34:35]
	v_div_scale_f64 v[34:35], vcc, 1.0, v[10:11], 1.0
	v_mul_f64 v[36:37], v[34:35], v[32:33]
	v_fma_f64 v[30:31], -v[30:31], v[36:37], v[34:35]
	s_nop 1
	v_div_fmas_f64 v[30:31], v[30:31], v[32:33], v[36:37]
	v_div_fixup_f64 v[30:31], v[30:31], v[10:11], 1.0
	v_fma_f64 v[10:11], v[18:19], v[12:13], v[20:21]
	v_fma_f64 v[12:13], v[20:21], v[12:13], -v[18:19]
	v_mul_f64 v[10:11], v[10:11], v[30:31]
	v_mul_f64 v[12:13], v[12:13], v[30:31]
.LBB228_18:                             ;   in Loop: Header=BB228_14 Depth=1
	s_andn2_b64 vcc, exec, s[6:7]
	s_cbranch_vccnz .LBB228_20
; %bb.19:                               ;   in Loop: Header=BB228_14 Depth=1
	v_div_scale_f64 v[10:11], s[6:7], v[22:23], v[22:23], v[24:25]
	v_rcp_f64_e32 v[12:13], v[10:11]
	v_div_scale_f64 v[30:31], vcc, v[24:25], v[22:23], v[24:25]
	v_fma_f64 v[32:33], -v[10:11], v[12:13], 1.0
	v_fmac_f64_e32 v[12:13], v[12:13], v[32:33]
	v_fma_f64 v[32:33], -v[10:11], v[12:13], 1.0
	v_fmac_f64_e32 v[12:13], v[12:13], v[32:33]
	v_mul_f64 v[32:33], v[30:31], v[12:13]
	v_fma_f64 v[10:11], -v[10:11], v[32:33], v[30:31]
	v_div_fmas_f64 v[10:11], v[10:11], v[12:13], v[32:33]
	v_div_fixup_f64 v[12:13], v[10:11], v[22:23], v[24:25]
	v_fmac_f64_e32 v[22:23], v[24:25], v[12:13]
	v_div_scale_f64 v[10:11], s[6:7], v[22:23], v[22:23], 1.0
	v_rcp_f64_e32 v[24:25], v[10:11]
	s_nop 0
	v_fma_f64 v[30:31], -v[10:11], v[24:25], 1.0
	v_fmac_f64_e32 v[24:25], v[24:25], v[30:31]
	v_fma_f64 v[30:31], -v[10:11], v[24:25], 1.0
	v_fmac_f64_e32 v[24:25], v[24:25], v[30:31]
	v_div_scale_f64 v[30:31], vcc, 1.0, v[22:23], 1.0
	v_mul_f64 v[32:33], v[30:31], v[24:25]
	v_fma_f64 v[10:11], -v[10:11], v[32:33], v[30:31]
	s_nop 1
	v_div_fmas_f64 v[10:11], v[10:11], v[24:25], v[32:33]
	v_div_fixup_f64 v[22:23], v[10:11], v[22:23], 1.0
	v_fma_f64 v[10:11], v[20:21], v[12:13], v[18:19]
	v_fma_f64 v[12:13], -v[18:19], v[12:13], v[20:21]
	v_mul_f64 v[10:11], v[10:11], v[22:23]
	v_mul_f64 v[12:13], v[12:13], v[22:23]
.LBB228_20:                             ;   in Loop: Header=BB228_14 Depth=1
	v_mov_b32_e32 v18, s13
	ds_read_b128 v[22:25], v18 offset:16
	ds_read_b128 v[18:21], v18 offset:400
	s_mov_b64 s[6:7], -1
	ds_write_b128 v28, v[10:13]
	s_waitcnt lgkmcnt(2)
	v_mul_f64 v[30:31], v[12:13], v[24:25]
	v_mul_f64 v[24:25], v[10:11], v[24:25]
	v_fma_f64 v[30:31], v[10:11], v[22:23], -v[30:31]
	v_fmac_f64_e32 v[24:25], v[12:13], v[22:23]
	s_waitcnt lgkmcnt(1)
	v_cmp_ngt_f64_e64 s[14:15], |v[18:19]|, |v[20:21]|
	v_add_f64 v[22:23], v[14:15], -v[30:31]
	v_add_f64 v[24:25], v[16:17], -v[24:25]
	s_and_b64 vcc, exec, s[14:15]
                                        ; implicit-def: $vgpr16_vgpr17
	s_cbranch_vccz .LBB228_22
; %bb.21:                               ;   in Loop: Header=BB228_14 Depth=1
	v_div_scale_f64 v[14:15], s[6:7], v[20:21], v[20:21], v[18:19]
	v_rcp_f64_e32 v[16:17], v[14:15]
	v_div_scale_f64 v[30:31], vcc, v[18:19], v[20:21], v[18:19]
	v_fma_f64 v[32:33], -v[14:15], v[16:17], 1.0
	v_fmac_f64_e32 v[16:17], v[16:17], v[32:33]
	v_fma_f64 v[32:33], -v[14:15], v[16:17], 1.0
	v_fmac_f64_e32 v[16:17], v[16:17], v[32:33]
	v_mul_f64 v[32:33], v[30:31], v[16:17]
	v_fma_f64 v[14:15], -v[14:15], v[32:33], v[30:31]
	v_div_fmas_f64 v[14:15], v[14:15], v[16:17], v[32:33]
	v_div_fixup_f64 v[16:17], v[14:15], v[20:21], v[18:19]
	v_fma_f64 v[14:15], v[18:19], v[16:17], v[20:21]
	v_div_scale_f64 v[30:31], s[6:7], v[14:15], v[14:15], 1.0
	v_rcp_f64_e32 v[32:33], v[30:31]
	s_mov_b64 s[6:7], 0
	v_fma_f64 v[34:35], -v[30:31], v[32:33], 1.0
	v_fmac_f64_e32 v[32:33], v[32:33], v[34:35]
	v_fma_f64 v[34:35], -v[30:31], v[32:33], 1.0
	v_fmac_f64_e32 v[32:33], v[32:33], v[34:35]
	v_div_scale_f64 v[34:35], vcc, 1.0, v[14:15], 1.0
	v_mul_f64 v[36:37], v[34:35], v[32:33]
	v_fma_f64 v[30:31], -v[30:31], v[36:37], v[34:35]
	s_nop 1
	v_div_fmas_f64 v[30:31], v[30:31], v[32:33], v[36:37]
	v_div_fixup_f64 v[30:31], v[30:31], v[14:15], 1.0
	v_fma_f64 v[14:15], v[16:17], v[22:23], v[24:25]
	v_fma_f64 v[16:17], v[16:17], v[24:25], -v[22:23]
	v_mul_f64 v[14:15], v[14:15], v[30:31]
	v_mul_f64 v[16:17], v[16:17], v[30:31]
.LBB228_22:                             ;   in Loop: Header=BB228_14 Depth=1
	s_andn2_b64 vcc, exec, s[6:7]
	s_cbranch_vccnz .LBB228_24
; %bb.23:                               ;   in Loop: Header=BB228_14 Depth=1
	v_div_scale_f64 v[14:15], s[6:7], v[18:19], v[18:19], v[20:21]
	v_rcp_f64_e32 v[16:17], v[14:15]
	v_div_scale_f64 v[30:31], vcc, v[20:21], v[18:19], v[20:21]
	v_fma_f64 v[32:33], -v[14:15], v[16:17], 1.0
	v_fmac_f64_e32 v[16:17], v[16:17], v[32:33]
	v_fma_f64 v[32:33], -v[14:15], v[16:17], 1.0
	v_fmac_f64_e32 v[16:17], v[16:17], v[32:33]
	v_mul_f64 v[32:33], v[30:31], v[16:17]
	v_fma_f64 v[14:15], -v[14:15], v[32:33], v[30:31]
	v_div_fmas_f64 v[14:15], v[14:15], v[16:17], v[32:33]
	v_div_fixup_f64 v[16:17], v[14:15], v[18:19], v[20:21]
	v_fmac_f64_e32 v[18:19], v[20:21], v[16:17]
	v_div_scale_f64 v[14:15], s[6:7], v[18:19], v[18:19], 1.0
	v_rcp_f64_e32 v[20:21], v[14:15]
	s_nop 0
	v_fma_f64 v[30:31], -v[14:15], v[20:21], 1.0
	v_fmac_f64_e32 v[20:21], v[20:21], v[30:31]
	v_fma_f64 v[30:31], -v[14:15], v[20:21], 1.0
	v_fmac_f64_e32 v[20:21], v[20:21], v[30:31]
	v_div_scale_f64 v[30:31], vcc, 1.0, v[18:19], 1.0
	v_mul_f64 v[32:33], v[30:31], v[20:21]
	v_fma_f64 v[14:15], -v[14:15], v[32:33], v[30:31]
	s_nop 1
	v_div_fmas_f64 v[14:15], v[14:15], v[20:21], v[32:33]
	v_div_fixup_f64 v[18:19], v[14:15], v[18:19], 1.0
	v_fma_f64 v[14:15], v[16:17], v[24:25], v[22:23]
	v_fma_f64 v[16:17], -v[16:17], v[22:23], v[24:25]
	v_mul_f64 v[14:15], v[14:15], v[18:19]
	v_mul_f64 v[16:17], v[16:17], v[18:19]
.LBB228_24:                             ;   in Loop: Header=BB228_14 Depth=1
	v_mov_b32_e32 v18, s13
	ds_read_b128 v[22:25], v18 offset:32
	s_add_i32 s15, s13, 0x190
	s_or_b32 s6, s12, 16
	s_sub_i32 s14, s15, s6
	s_add_i32 s14, s14, s12
	s_waitcnt lgkmcnt(0)
	v_mul_f64 v[30:31], v[12:13], v[24:25]
	v_mov_b32_e32 v29, s14
	ds_read_b128 v[18:21], v18 offset:800
	v_fma_f64 v[34:35], v[10:11], v[22:23], -v[30:31]
	ds_read_b128 v[30:33], v29 offset:32
	v_mul_f64 v[24:25], v[10:11], v[24:25]
	v_fmac_f64_e32 v[24:25], v[12:13], v[22:23]
	v_add_f64 v[8:9], v[8:9], -v[24:25]
	v_add_f64 v[6:7], v[6:7], -v[34:35]
	s_waitcnt lgkmcnt(0)
	v_mul_f64 v[22:23], v[16:17], v[32:33]
	v_mul_f64 v[24:25], v[14:15], v[32:33]
	v_fma_f64 v[22:23], v[14:15], v[30:31], -v[22:23]
	v_fmac_f64_e32 v[24:25], v[16:17], v[30:31]
	v_cmp_ngt_f64_e64 s[16:17], |v[18:19]|, |v[20:21]|
	v_add_f64 v[6:7], v[6:7], -v[22:23]
	v_add_f64 v[8:9], v[8:9], -v[24:25]
	s_mov_b64 s[6:7], -1
	s_and_b64 vcc, exec, s[16:17]
	ds_write_b128 v28, v[14:17] offset:384
                                        ; implicit-def: $vgpr24_vgpr25
	s_cbranch_vccz .LBB228_26
; %bb.25:                               ;   in Loop: Header=BB228_14 Depth=1
	v_div_scale_f64 v[22:23], s[6:7], v[20:21], v[20:21], v[18:19]
	v_rcp_f64_e32 v[24:25], v[22:23]
	v_div_scale_f64 v[30:31], vcc, v[18:19], v[20:21], v[18:19]
	v_fma_f64 v[32:33], -v[22:23], v[24:25], 1.0
	v_fmac_f64_e32 v[24:25], v[24:25], v[32:33]
	v_fma_f64 v[32:33], -v[22:23], v[24:25], 1.0
	v_fmac_f64_e32 v[24:25], v[24:25], v[32:33]
	v_mul_f64 v[32:33], v[30:31], v[24:25]
	v_fma_f64 v[22:23], -v[22:23], v[32:33], v[30:31]
	v_div_fmas_f64 v[22:23], v[22:23], v[24:25], v[32:33]
	v_div_fixup_f64 v[24:25], v[22:23], v[20:21], v[18:19]
	v_fma_f64 v[22:23], v[18:19], v[24:25], v[20:21]
	v_div_scale_f64 v[30:31], s[6:7], v[22:23], v[22:23], 1.0
	v_rcp_f64_e32 v[32:33], v[30:31]
	s_mov_b64 s[6:7], 0
	v_fma_f64 v[34:35], -v[30:31], v[32:33], 1.0
	v_fmac_f64_e32 v[32:33], v[32:33], v[34:35]
	v_fma_f64 v[34:35], -v[30:31], v[32:33], 1.0
	v_fmac_f64_e32 v[32:33], v[32:33], v[34:35]
	v_div_scale_f64 v[34:35], vcc, 1.0, v[22:23], 1.0
	v_mul_f64 v[36:37], v[34:35], v[32:33]
	v_fma_f64 v[30:31], -v[30:31], v[36:37], v[34:35]
	s_nop 1
	v_div_fmas_f64 v[30:31], v[30:31], v[32:33], v[36:37]
	v_div_fixup_f64 v[30:31], v[30:31], v[22:23], 1.0
	v_fma_f64 v[22:23], v[24:25], v[6:7], v[8:9]
	v_fma_f64 v[24:25], v[24:25], v[8:9], -v[6:7]
	v_mul_f64 v[22:23], v[22:23], v[30:31]
	v_mul_f64 v[24:25], v[24:25], v[30:31]
.LBB228_26:                             ;   in Loop: Header=BB228_14 Depth=1
	s_andn2_b64 vcc, exec, s[6:7]
	s_cbranch_vccnz .LBB228_28
; %bb.27:                               ;   in Loop: Header=BB228_14 Depth=1
	v_div_scale_f64 v[22:23], s[6:7], v[18:19], v[18:19], v[20:21]
	v_rcp_f64_e32 v[24:25], v[22:23]
	v_div_scale_f64 v[30:31], vcc, v[20:21], v[18:19], v[20:21]
	v_fma_f64 v[32:33], -v[22:23], v[24:25], 1.0
	v_fmac_f64_e32 v[24:25], v[24:25], v[32:33]
	v_fma_f64 v[32:33], -v[22:23], v[24:25], 1.0
	v_fmac_f64_e32 v[24:25], v[24:25], v[32:33]
	v_mul_f64 v[32:33], v[30:31], v[24:25]
	v_fma_f64 v[22:23], -v[22:23], v[32:33], v[30:31]
	v_div_fmas_f64 v[22:23], v[22:23], v[24:25], v[32:33]
	v_div_fixup_f64 v[24:25], v[22:23], v[18:19], v[20:21]
	v_fmac_f64_e32 v[18:19], v[20:21], v[24:25]
	v_div_scale_f64 v[20:21], s[6:7], v[18:19], v[18:19], 1.0
	v_rcp_f64_e32 v[22:23], v[20:21]
	s_nop 0
	v_fma_f64 v[30:31], -v[20:21], v[22:23], 1.0
	v_fmac_f64_e32 v[22:23], v[22:23], v[30:31]
	v_fma_f64 v[30:31], -v[20:21], v[22:23], 1.0
	v_fmac_f64_e32 v[22:23], v[22:23], v[30:31]
	v_div_scale_f64 v[30:31], vcc, 1.0, v[18:19], 1.0
	v_mul_f64 v[32:33], v[30:31], v[22:23]
	v_fma_f64 v[20:21], -v[20:21], v[32:33], v[30:31]
	s_nop 1
	v_div_fmas_f64 v[20:21], v[20:21], v[22:23], v[32:33]
	v_div_fixup_f64 v[18:19], v[20:21], v[18:19], 1.0
	v_fma_f64 v[20:21], v[24:25], v[8:9], v[6:7]
	v_fma_f64 v[6:7], -v[24:25], v[6:7], v[8:9]
	v_mul_f64 v[22:23], v[20:21], v[18:19]
	v_mul_f64 v[24:25], v[6:7], v[18:19]
.LBB228_28:                             ;   in Loop: Header=BB228_14 Depth=1
	v_mov_b32_e32 v6, s13
	ds_read_b128 v[18:21], v6 offset:48
	s_or_b32 s6, s12, 32
	ds_write_b128 v28, v[22:25] offset:768
	s_sub_i32 s6, s15, s6
	s_add_i32 s6, s6, s12
	s_waitcnt lgkmcnt(1)
	v_mul_f64 v[28:29], v[12:13], v[20:21]
	v_fma_f64 v[28:29], v[10:11], v[18:19], -v[28:29]
	v_mul_f64 v[20:21], v[10:11], v[20:21]
	v_fmac_f64_e32 v[20:21], v[12:13], v[18:19]
	v_add_f64 v[18:19], v[2:3], -v[28:29]
	v_mov_b32_e32 v2, s14
	ds_read_b128 v[6:9], v6 offset:1200
	ds_read_b128 v[10:13], v2 offset:48
	v_mov_b32_e32 v2, s6
	v_add_f64 v[20:21], v[4:5], -v[20:21]
	ds_read_b128 v[2:5], v2 offset:448
	s_waitcnt lgkmcnt(2)
	v_cmp_ngt_f64_e64 s[12:13], |v[6:7]|, |v[8:9]|
	s_waitcnt lgkmcnt(1)
	v_mul_f64 v[28:29], v[16:17], v[12:13]
	v_mul_f64 v[12:13], v[14:15], v[12:13]
	v_fma_f64 v[28:29], v[14:15], v[10:11], -v[28:29]
	v_fmac_f64_e32 v[12:13], v[16:17], v[10:11]
	s_waitcnt lgkmcnt(0)
	v_mul_f64 v[14:15], v[24:25], v[4:5]
	v_mul_f64 v[4:5], v[22:23], v[4:5]
	v_add_f64 v[10:11], v[18:19], -v[28:29]
	v_add_f64 v[12:13], v[20:21], -v[12:13]
	v_fma_f64 v[14:15], v[22:23], v[2:3], -v[14:15]
	v_fmac_f64_e32 v[4:5], v[24:25], v[2:3]
	v_add_f64 v[10:11], v[10:11], -v[14:15]
	v_add_f64 v[12:13], v[12:13], -v[4:5]
	s_mov_b64 s[6:7], -1
	s_and_b64 vcc, exec, s[12:13]
                                        ; implicit-def: $vgpr4_vgpr5
	s_cbranch_vccz .LBB228_30
; %bb.29:                               ;   in Loop: Header=BB228_14 Depth=1
	v_div_scale_f64 v[2:3], s[6:7], v[8:9], v[8:9], v[6:7]
	v_rcp_f64_e32 v[4:5], v[2:3]
	v_div_scale_f64 v[14:15], vcc, v[6:7], v[8:9], v[6:7]
	v_fma_f64 v[16:17], -v[2:3], v[4:5], 1.0
	v_fmac_f64_e32 v[4:5], v[4:5], v[16:17]
	v_fma_f64 v[16:17], -v[2:3], v[4:5], 1.0
	v_fmac_f64_e32 v[4:5], v[4:5], v[16:17]
	v_mul_f64 v[16:17], v[14:15], v[4:5]
	v_fma_f64 v[2:3], -v[2:3], v[16:17], v[14:15]
	v_div_fmas_f64 v[2:3], v[2:3], v[4:5], v[16:17]
	v_div_fixup_f64 v[4:5], v[2:3], v[8:9], v[6:7]
	v_fma_f64 v[2:3], v[6:7], v[4:5], v[8:9]
	v_div_scale_f64 v[14:15], s[6:7], v[2:3], v[2:3], 1.0
	v_rcp_f64_e32 v[16:17], v[14:15]
	s_mov_b64 s[6:7], 0
	v_fma_f64 v[18:19], -v[14:15], v[16:17], 1.0
	v_fmac_f64_e32 v[16:17], v[16:17], v[18:19]
	v_fma_f64 v[18:19], -v[14:15], v[16:17], 1.0
	v_fmac_f64_e32 v[16:17], v[16:17], v[18:19]
	v_div_scale_f64 v[18:19], vcc, 1.0, v[2:3], 1.0
	v_mul_f64 v[20:21], v[18:19], v[16:17]
	v_fma_f64 v[14:15], -v[14:15], v[20:21], v[18:19]
	s_nop 1
	v_div_fmas_f64 v[14:15], v[14:15], v[16:17], v[20:21]
	v_div_fixup_f64 v[14:15], v[14:15], v[2:3], 1.0
	v_fma_f64 v[2:3], v[4:5], v[10:11], v[12:13]
	v_fma_f64 v[4:5], v[4:5], v[12:13], -v[10:11]
	v_mul_f64 v[2:3], v[2:3], v[14:15]
	v_mul_f64 v[4:5], v[4:5], v[14:15]
.LBB228_30:                             ;   in Loop: Header=BB228_14 Depth=1
	s_andn2_b64 vcc, exec, s[6:7]
	s_cbranch_vccnz .LBB228_32
; %bb.31:                               ;   in Loop: Header=BB228_14 Depth=1
	v_div_scale_f64 v[2:3], s[6:7], v[6:7], v[6:7], v[8:9]
	v_rcp_f64_e32 v[4:5], v[2:3]
	v_div_scale_f64 v[14:15], vcc, v[8:9], v[6:7], v[8:9]
	v_fma_f64 v[16:17], -v[2:3], v[4:5], 1.0
	v_fmac_f64_e32 v[4:5], v[4:5], v[16:17]
	v_fma_f64 v[16:17], -v[2:3], v[4:5], 1.0
	v_fmac_f64_e32 v[4:5], v[4:5], v[16:17]
	v_mul_f64 v[16:17], v[14:15], v[4:5]
	v_fma_f64 v[2:3], -v[2:3], v[16:17], v[14:15]
	v_div_fmas_f64 v[2:3], v[2:3], v[4:5], v[16:17]
	v_div_fixup_f64 v[4:5], v[2:3], v[6:7], v[8:9]
	v_fmac_f64_e32 v[6:7], v[8:9], v[4:5]
	v_div_scale_f64 v[2:3], s[6:7], v[6:7], v[6:7], 1.0
	v_rcp_f64_e32 v[8:9], v[2:3]
	s_nop 0
	v_fma_f64 v[14:15], -v[2:3], v[8:9], 1.0
	v_fmac_f64_e32 v[8:9], v[8:9], v[14:15]
	v_fma_f64 v[14:15], -v[2:3], v[8:9], 1.0
	v_fmac_f64_e32 v[8:9], v[8:9], v[14:15]
	v_div_scale_f64 v[14:15], vcc, 1.0, v[6:7], 1.0
	v_mul_f64 v[16:17], v[14:15], v[8:9]
	v_fma_f64 v[2:3], -v[2:3], v[16:17], v[14:15]
	s_nop 1
	v_div_fmas_f64 v[2:3], v[2:3], v[8:9], v[16:17]
	v_div_fixup_f64 v[6:7], v[2:3], v[6:7], 1.0
	v_fma_f64 v[2:3], v[4:5], v[12:13], v[10:11]
	v_fma_f64 v[4:5], -v[4:5], v[10:11], v[12:13]
	v_mul_f64 v[2:3], v[2:3], v[6:7]
	v_mul_f64 v[4:5], v[4:5], v[6:7]
.LBB228_32:                             ;   in Loop: Header=BB228_14 Depth=1
	s_add_i32 s12, s11, 4
	s_add_i32 s6, s11, 7
	;; [unrolled: 1-line block ×3, first 2 shown]
	s_cmp_ge_i32 s6, s25
	ds_write_b128 v27, v[2:5]
	s_cbranch_scc1 .LBB228_34
; %bb.33:                               ;   in Loop: Header=BB228_14 Depth=1
	s_mov_b32 s11, s12
	s_branch .LBB228_14
.LBB228_34:
	s_cmp_ge_i32 s12, s25
	s_cbranch_scc1 .LBB228_43
; %bb.35:
	v_mov_b32_e32 v2, 0x2400
	s_lshl_b32 s10, s12, 4
	v_lshl_or_b32 v14, v0, 4, v2
	s_branch .LBB228_37
.LBB228_36:                             ;   in Loop: Header=BB228_37 Depth=1
	s_add_i32 s12, s12, 1
	s_add_i32 s10, s10, 16
	s_cmp_ge_i32 s12, s25
	ds_write_b128 v15, v[10:13]
	s_cbranch_scc1 .LBB228_43
.LBB228_37:                             ; =>This Loop Header: Depth=1
                                        ;     Child Loop BB228_38 Depth 2
	s_mul_i32 s6, s12, 0x180
	v_add_u32_e32 v15, s6, v1
	ds_read_b128 v[2:5], v15
	s_cmp_eq_u32 s12, 0
	v_mov_b32_e32 v6, v14
	s_mov_b32 s7, s10
	s_mov_b32 s11, s12
	s_cbranch_scc1 .LBB228_39
.LBB228_38:                             ;   Parent Loop BB228_37 Depth=1
                                        ; =>  This Inner Loop Header: Depth=2
	v_mov_b32_e32 v7, s7
	ds_read_b128 v[8:11], v6
	ds_read_b128 v[16:19], v7
	s_add_i32 s11, s11, -1
	s_addk_i32 s7, 0x180
	v_add_u32_e32 v6, 0x180, v6
	s_cmp_eq_u32 s11, 0
	s_waitcnt lgkmcnt(0)
	v_mul_f64 v[12:13], v[18:19], v[10:11]
	v_mul_f64 v[10:11], v[16:17], v[10:11]
	v_fma_f64 v[12:13], v[16:17], v[8:9], -v[12:13]
	v_fmac_f64_e32 v[10:11], v[18:19], v[8:9]
	v_add_f64 v[2:3], v[2:3], -v[12:13]
	v_add_f64 v[4:5], v[4:5], -v[10:11]
	s_cbranch_scc0 .LBB228_38
.LBB228_39:                             ;   in Loop: Header=BB228_37 Depth=1
	s_lshl_b32 s7, s12, 4
	s_add_i32 s6, s7, s6
	v_mov_b32_e32 v6, s6
	ds_read_b128 v[6:9], v6
	s_mov_b64 s[6:7], -1
                                        ; implicit-def: $vgpr10_vgpr11
	s_waitcnt lgkmcnt(0)
	v_cmp_ngt_f64_e64 s[14:15], |v[6:7]|, |v[8:9]|
	s_and_b64 vcc, exec, s[14:15]
	s_cbranch_vccz .LBB228_41
; %bb.40:                               ;   in Loop: Header=BB228_37 Depth=1
	v_div_scale_f64 v[10:11], s[6:7], v[8:9], v[8:9], v[6:7]
	v_rcp_f64_e32 v[12:13], v[10:11]
	v_div_scale_f64 v[16:17], vcc, v[6:7], v[8:9], v[6:7]
	v_fma_f64 v[18:19], -v[10:11], v[12:13], 1.0
	v_fmac_f64_e32 v[12:13], v[12:13], v[18:19]
	v_fma_f64 v[18:19], -v[10:11], v[12:13], 1.0
	v_fmac_f64_e32 v[12:13], v[12:13], v[18:19]
	v_mul_f64 v[18:19], v[16:17], v[12:13]
	v_fma_f64 v[10:11], -v[10:11], v[18:19], v[16:17]
	v_div_fmas_f64 v[10:11], v[10:11], v[12:13], v[18:19]
	v_div_fixup_f64 v[12:13], v[10:11], v[8:9], v[6:7]
	v_fma_f64 v[10:11], v[6:7], v[12:13], v[8:9]
	v_div_scale_f64 v[16:17], s[6:7], v[10:11], v[10:11], 1.0
	v_rcp_f64_e32 v[18:19], v[16:17]
	s_mov_b64 s[6:7], 0
	v_fma_f64 v[20:21], -v[16:17], v[18:19], 1.0
	v_fmac_f64_e32 v[18:19], v[18:19], v[20:21]
	v_fma_f64 v[20:21], -v[16:17], v[18:19], 1.0
	v_fmac_f64_e32 v[18:19], v[18:19], v[20:21]
	v_div_scale_f64 v[20:21], vcc, 1.0, v[10:11], 1.0
	v_mul_f64 v[22:23], v[20:21], v[18:19]
	v_fma_f64 v[16:17], -v[16:17], v[22:23], v[20:21]
	s_nop 1
	v_div_fmas_f64 v[16:17], v[16:17], v[18:19], v[22:23]
	v_div_fixup_f64 v[16:17], v[16:17], v[10:11], 1.0
	v_fma_f64 v[10:11], v[2:3], v[12:13], v[4:5]
	v_fma_f64 v[12:13], v[4:5], v[12:13], -v[2:3]
	v_mul_f64 v[10:11], v[10:11], v[16:17]
	v_mul_f64 v[12:13], v[12:13], v[16:17]
.LBB228_41:                             ;   in Loop: Header=BB228_37 Depth=1
	s_andn2_b64 vcc, exec, s[6:7]
	s_cbranch_vccnz .LBB228_36
; %bb.42:                               ;   in Loop: Header=BB228_37 Depth=1
	v_div_scale_f64 v[10:11], s[6:7], v[6:7], v[6:7], v[8:9]
	v_rcp_f64_e32 v[12:13], v[10:11]
	v_div_scale_f64 v[16:17], vcc, v[8:9], v[6:7], v[8:9]
	v_fma_f64 v[18:19], -v[10:11], v[12:13], 1.0
	v_fmac_f64_e32 v[12:13], v[12:13], v[18:19]
	v_fma_f64 v[18:19], -v[10:11], v[12:13], 1.0
	v_fmac_f64_e32 v[12:13], v[12:13], v[18:19]
	v_mul_f64 v[18:19], v[16:17], v[12:13]
	v_fma_f64 v[10:11], -v[10:11], v[18:19], v[16:17]
	v_div_fmas_f64 v[10:11], v[10:11], v[12:13], v[18:19]
	v_div_fixup_f64 v[12:13], v[10:11], v[6:7], v[8:9]
	v_fmac_f64_e32 v[6:7], v[8:9], v[12:13]
	v_div_scale_f64 v[8:9], s[6:7], v[6:7], v[6:7], 1.0
	v_rcp_f64_e32 v[10:11], v[8:9]
	s_nop 0
	v_fma_f64 v[16:17], -v[8:9], v[10:11], 1.0
	v_fmac_f64_e32 v[10:11], v[10:11], v[16:17]
	v_fma_f64 v[16:17], -v[8:9], v[10:11], 1.0
	v_fmac_f64_e32 v[10:11], v[10:11], v[16:17]
	v_div_scale_f64 v[16:17], vcc, 1.0, v[6:7], 1.0
	v_mul_f64 v[18:19], v[16:17], v[10:11]
	v_fma_f64 v[8:9], -v[8:9], v[18:19], v[16:17]
	s_nop 1
	v_div_fmas_f64 v[8:9], v[8:9], v[10:11], v[18:19]
	v_div_fixup_f64 v[6:7], v[8:9], v[6:7], 1.0
	v_fma_f64 v[8:9], v[4:5], v[12:13], v[2:3]
	v_fma_f64 v[2:3], -v[2:3], v[12:13], v[4:5]
	v_mul_f64 v[10:11], v[8:9], v[6:7]
	v_mul_f64 v[12:13], v[2:3], v[6:7]
	s_branch .LBB228_36
.LBB228_43:
	s_mov_b64 s[6:7], 0
.LBB228_44:
	s_and_b64 vcc, exec, s[6:7]
	s_cbranch_vccz .LBB228_76
; %bb.45:
	s_andn2_b64 vcc, exec, s[4:5]
	s_mov_b32 s12, s9
	s_cbranch_vccnz .LBB228_67
; %bb.46:
	s_mul_i32 s6, s25, 0x190
	s_add_i32 s10, s6, 0xfffffe40
	s_mul_i32 s6, s25, 0x180
	v_lshl_add_u32 v2, v0, 4, s6
	v_add_u32_e32 v26, 0x2280, v2
	s_mov_b32 s11, s9
.LBB228_47:                             ; =>This Loop Header: Depth=1
                                        ;     Child Loop BB228_48 Depth 2
	s_mul_i32 s6, s11, 0x180
	v_add_u32_e32 v30, s6, v1
	v_add_u32_e32 v28, 0xfffffd00, v30
	s_add_i32 s7, s6, 0xfffffb80
	v_add_u32_e32 v29, 0xfffffe80, v30
	ds_read_b128 v[18:21], v30
	ds_read_b128 v[14:17], v29
	v_add_u32_e32 v27, s7, v1
	ds_read_b128 v[6:9], v28
	ds_read_b128 v[2:5], v27
	s_cmp_le_i32 s9, s11
	v_mov_b32_e32 v10, v26
	s_mov_b32 s7, s10
	s_mov_b32 s12, s9
	s_cbranch_scc1 .LBB228_49
.LBB228_48:                             ;   Parent Loop BB228_47 Depth=1
                                        ; =>  This Inner Loop Header: Depth=2
	v_mov_b32_e32 v11, s7
	ds_read_b128 v[22:25], v10
	ds_read_b128 v[32:35], v11 offset:48
	ds_read_b128 v[36:39], v11 offset:32
	ds_read_b128 v[40:43], v11
	ds_read_b128 v[44:47], v11 offset:16
	s_add_i32 s12, s12, -1
	s_addk_i32 s7, 0xfe80
	v_add_u32_e32 v10, 0xfffffe80, v10
	s_waitcnt lgkmcnt(3)
	v_mul_f64 v[12:13], v[24:25], v[34:35]
	v_mul_f64 v[34:35], v[22:23], v[34:35]
	s_waitcnt lgkmcnt(2)
	v_mul_f64 v[48:49], v[24:25], v[38:39]
	v_mul_f64 v[38:39], v[22:23], v[38:39]
	;; [unrolled: 3-line block ×3, first 2 shown]
	v_mul_f64 v[52:53], v[24:25], v[42:43]
	v_mul_f64 v[42:43], v[22:23], v[42:43]
	v_fma_f64 v[12:13], v[22:23], v[32:33], -v[12:13]
	v_fmac_f64_e32 v[34:35], v[24:25], v[32:33]
	v_fma_f64 v[32:33], v[22:23], v[36:37], -v[48:49]
	v_fmac_f64_e32 v[38:39], v[24:25], v[36:37]
	;; [unrolled: 2-line block ×4, first 2 shown]
	s_cmp_le_i32 s12, s11
	v_add_f64 v[18:19], v[18:19], -v[12:13]
	v_add_f64 v[20:21], v[20:21], -v[34:35]
	;; [unrolled: 1-line block ×8, first 2 shown]
	s_cbranch_scc0 .LBB228_48
.LBB228_49:                             ;   in Loop: Header=BB228_47 Depth=1
	s_lshl_b32 s13, s11, 4
	s_add_i32 s13, s13, s6
	v_mov_b32_e32 v10, s13
	ds_read_b128 v[22:25], v10
	s_add_i32 s12, s11, -3
	s_mov_b64 s[6:7], -1
                                        ; implicit-def: $vgpr12_vgpr13
	s_waitcnt lgkmcnt(0)
	v_cmp_ngt_f64_e64 s[14:15], |v[22:23]|, |v[24:25]|
	s_and_b64 vcc, exec, s[14:15]
	s_cbranch_vccz .LBB228_51
; %bb.50:                               ;   in Loop: Header=BB228_47 Depth=1
	v_div_scale_f64 v[10:11], s[6:7], v[24:25], v[24:25], v[22:23]
	v_rcp_f64_e32 v[12:13], v[10:11]
	v_div_scale_f64 v[32:33], vcc, v[22:23], v[24:25], v[22:23]
	v_fma_f64 v[34:35], -v[10:11], v[12:13], 1.0
	v_fmac_f64_e32 v[12:13], v[12:13], v[34:35]
	v_fma_f64 v[34:35], -v[10:11], v[12:13], 1.0
	v_fmac_f64_e32 v[12:13], v[12:13], v[34:35]
	v_mul_f64 v[34:35], v[32:33], v[12:13]
	v_fma_f64 v[10:11], -v[10:11], v[34:35], v[32:33]
	v_div_fmas_f64 v[10:11], v[10:11], v[12:13], v[34:35]
	v_div_fixup_f64 v[12:13], v[10:11], v[24:25], v[22:23]
	v_fma_f64 v[10:11], v[22:23], v[12:13], v[24:25]
	v_div_scale_f64 v[32:33], s[6:7], v[10:11], v[10:11], 1.0
	v_rcp_f64_e32 v[34:35], v[32:33]
	s_mov_b64 s[6:7], 0
	v_fma_f64 v[36:37], -v[32:33], v[34:35], 1.0
	v_fmac_f64_e32 v[34:35], v[34:35], v[36:37]
	v_fma_f64 v[36:37], -v[32:33], v[34:35], 1.0
	v_fmac_f64_e32 v[34:35], v[34:35], v[36:37]
	v_div_scale_f64 v[36:37], vcc, 1.0, v[10:11], 1.0
	v_mul_f64 v[38:39], v[36:37], v[34:35]
	v_fma_f64 v[32:33], -v[32:33], v[38:39], v[36:37]
	s_nop 1
	v_div_fmas_f64 v[32:33], v[32:33], v[34:35], v[38:39]
	v_div_fixup_f64 v[32:33], v[32:33], v[10:11], 1.0
	v_fma_f64 v[10:11], v[18:19], v[12:13], v[20:21]
	v_fma_f64 v[12:13], v[20:21], v[12:13], -v[18:19]
	v_mul_f64 v[10:11], v[10:11], v[32:33]
	v_mul_f64 v[12:13], v[12:13], v[32:33]
.LBB228_51:                             ;   in Loop: Header=BB228_47 Depth=1
	s_andn2_b64 vcc, exec, s[6:7]
	s_cbranch_vccnz .LBB228_53
; %bb.52:                               ;   in Loop: Header=BB228_47 Depth=1
	v_div_scale_f64 v[10:11], s[6:7], v[22:23], v[22:23], v[24:25]
	v_rcp_f64_e32 v[12:13], v[10:11]
	v_div_scale_f64 v[32:33], vcc, v[24:25], v[22:23], v[24:25]
	v_fma_f64 v[34:35], -v[10:11], v[12:13], 1.0
	v_fmac_f64_e32 v[12:13], v[12:13], v[34:35]
	v_fma_f64 v[34:35], -v[10:11], v[12:13], 1.0
	v_fmac_f64_e32 v[12:13], v[12:13], v[34:35]
	v_mul_f64 v[34:35], v[32:33], v[12:13]
	v_fma_f64 v[10:11], -v[10:11], v[34:35], v[32:33]
	v_div_fmas_f64 v[10:11], v[10:11], v[12:13], v[34:35]
	v_div_fixup_f64 v[12:13], v[10:11], v[22:23], v[24:25]
	v_fmac_f64_e32 v[22:23], v[24:25], v[12:13]
	v_div_scale_f64 v[10:11], s[6:7], v[22:23], v[22:23], 1.0
	v_rcp_f64_e32 v[24:25], v[10:11]
	s_nop 0
	v_fma_f64 v[32:33], -v[10:11], v[24:25], 1.0
	v_fmac_f64_e32 v[24:25], v[24:25], v[32:33]
	v_fma_f64 v[32:33], -v[10:11], v[24:25], 1.0
	v_fmac_f64_e32 v[24:25], v[24:25], v[32:33]
	v_div_scale_f64 v[32:33], vcc, 1.0, v[22:23], 1.0
	v_mul_f64 v[34:35], v[32:33], v[24:25]
	v_fma_f64 v[10:11], -v[10:11], v[34:35], v[32:33]
	s_nop 1
	v_div_fmas_f64 v[10:11], v[10:11], v[24:25], v[34:35]
	v_div_fixup_f64 v[22:23], v[10:11], v[22:23], 1.0
	v_fma_f64 v[10:11], v[20:21], v[12:13], v[18:19]
	v_fma_f64 v[12:13], -v[18:19], v[12:13], v[20:21]
	v_mul_f64 v[10:11], v[10:11], v[22:23]
	v_mul_f64 v[12:13], v[12:13], v[22:23]
.LBB228_53:                             ;   in Loop: Header=BB228_47 Depth=1
	s_add_i32 s6, s13, -16
	v_mov_b32_e32 v18, s6
	s_add_i32 s14, s13, 0xfffffe70
	ds_read_b128 v[22:25], v18
	v_mov_b32_e32 v18, s14
	ds_read_b128 v[18:21], v18
	ds_write_b128 v30, v[10:13]
	s_mov_b64 s[6:7], -1
	s_waitcnt lgkmcnt(2)
	v_mul_f64 v[30:31], v[12:13], v[24:25]
	v_mul_f64 v[24:25], v[10:11], v[24:25]
	v_fma_f64 v[30:31], v[10:11], v[22:23], -v[30:31]
	v_fmac_f64_e32 v[24:25], v[12:13], v[22:23]
	s_waitcnt lgkmcnt(1)
	v_cmp_ngt_f64_e64 s[16:17], |v[18:19]|, |v[20:21]|
	v_add_f64 v[22:23], v[14:15], -v[30:31]
	v_add_f64 v[24:25], v[16:17], -v[24:25]
	s_and_b64 vcc, exec, s[16:17]
                                        ; implicit-def: $vgpr16_vgpr17
	s_cbranch_vccz .LBB228_55
; %bb.54:                               ;   in Loop: Header=BB228_47 Depth=1
	v_div_scale_f64 v[14:15], s[6:7], v[20:21], v[20:21], v[18:19]
	v_rcp_f64_e32 v[16:17], v[14:15]
	v_div_scale_f64 v[30:31], vcc, v[18:19], v[20:21], v[18:19]
	v_fma_f64 v[32:33], -v[14:15], v[16:17], 1.0
	v_fmac_f64_e32 v[16:17], v[16:17], v[32:33]
	v_fma_f64 v[32:33], -v[14:15], v[16:17], 1.0
	v_fmac_f64_e32 v[16:17], v[16:17], v[32:33]
	v_mul_f64 v[32:33], v[30:31], v[16:17]
	v_fma_f64 v[14:15], -v[14:15], v[32:33], v[30:31]
	v_div_fmas_f64 v[14:15], v[14:15], v[16:17], v[32:33]
	v_div_fixup_f64 v[16:17], v[14:15], v[20:21], v[18:19]
	v_fma_f64 v[14:15], v[18:19], v[16:17], v[20:21]
	v_div_scale_f64 v[30:31], s[6:7], v[14:15], v[14:15], 1.0
	v_rcp_f64_e32 v[32:33], v[30:31]
	s_mov_b64 s[6:7], 0
	v_fma_f64 v[34:35], -v[30:31], v[32:33], 1.0
	v_fmac_f64_e32 v[32:33], v[32:33], v[34:35]
	v_fma_f64 v[34:35], -v[30:31], v[32:33], 1.0
	v_fmac_f64_e32 v[32:33], v[32:33], v[34:35]
	v_div_scale_f64 v[34:35], vcc, 1.0, v[14:15], 1.0
	v_mul_f64 v[36:37], v[34:35], v[32:33]
	v_fma_f64 v[30:31], -v[30:31], v[36:37], v[34:35]
	s_nop 1
	v_div_fmas_f64 v[30:31], v[30:31], v[32:33], v[36:37]
	v_div_fixup_f64 v[30:31], v[30:31], v[14:15], 1.0
	v_fma_f64 v[14:15], v[16:17], v[22:23], v[24:25]
	v_fma_f64 v[16:17], v[16:17], v[24:25], -v[22:23]
	v_mul_f64 v[14:15], v[14:15], v[30:31]
	v_mul_f64 v[16:17], v[16:17], v[30:31]
.LBB228_55:                             ;   in Loop: Header=BB228_47 Depth=1
	s_andn2_b64 vcc, exec, s[6:7]
	s_cbranch_vccnz .LBB228_57
; %bb.56:                               ;   in Loop: Header=BB228_47 Depth=1
	v_div_scale_f64 v[14:15], s[6:7], v[18:19], v[18:19], v[20:21]
	v_rcp_f64_e32 v[16:17], v[14:15]
	v_div_scale_f64 v[30:31], vcc, v[20:21], v[18:19], v[20:21]
	v_fma_f64 v[32:33], -v[14:15], v[16:17], 1.0
	v_fmac_f64_e32 v[16:17], v[16:17], v[32:33]
	v_fma_f64 v[32:33], -v[14:15], v[16:17], 1.0
	v_fmac_f64_e32 v[16:17], v[16:17], v[32:33]
	v_mul_f64 v[32:33], v[30:31], v[16:17]
	v_fma_f64 v[14:15], -v[14:15], v[32:33], v[30:31]
	v_div_fmas_f64 v[14:15], v[14:15], v[16:17], v[32:33]
	v_div_fixup_f64 v[16:17], v[14:15], v[18:19], v[20:21]
	v_fmac_f64_e32 v[18:19], v[20:21], v[16:17]
	v_div_scale_f64 v[14:15], s[6:7], v[18:19], v[18:19], 1.0
	v_rcp_f64_e32 v[20:21], v[14:15]
	s_nop 0
	v_fma_f64 v[30:31], -v[14:15], v[20:21], 1.0
	v_fmac_f64_e32 v[20:21], v[20:21], v[30:31]
	v_fma_f64 v[30:31], -v[14:15], v[20:21], 1.0
	v_fmac_f64_e32 v[20:21], v[20:21], v[30:31]
	v_div_scale_f64 v[30:31], vcc, 1.0, v[18:19], 1.0
	v_mul_f64 v[32:33], v[30:31], v[20:21]
	v_fma_f64 v[14:15], -v[14:15], v[32:33], v[30:31]
	s_nop 1
	v_div_fmas_f64 v[14:15], v[14:15], v[20:21], v[32:33]
	v_div_fixup_f64 v[18:19], v[14:15], v[18:19], 1.0
	v_fma_f64 v[14:15], v[16:17], v[24:25], v[22:23]
	v_fma_f64 v[16:17], -v[16:17], v[22:23], v[24:25]
	v_mul_f64 v[14:15], v[14:15], v[18:19]
	v_mul_f64 v[16:17], v[16:17], v[18:19]
.LBB228_57:                             ;   in Loop: Header=BB228_47 Depth=1
	s_add_i32 s6, s11, -1
	s_add_i32 s7, s11, -2
	s_sub_i32 s15, s13, 32
	s_lshl_b32 s6, s6, 4
	v_mov_b32_e32 v18, s15
	s_sub_i32 s16, s14, s6
	s_lshl_b32 s14, s7, 4
	ds_read_b128 v[18:21], v18
	s_add_i32 s6, s16, s14
	v_mov_b32_e32 v22, s6
	ds_read_b128 v[22:25], v22
	s_add_i32 s15, s13, 0xfffffce0
	s_waitcnt lgkmcnt(1)
	v_mul_f64 v[30:31], v[12:13], v[20:21]
	v_fma_f64 v[30:31], v[10:11], v[18:19], -v[30:31]
	v_mul_f64 v[20:21], v[10:11], v[20:21]
	v_fmac_f64_e32 v[20:21], v[12:13], v[18:19]
	v_add_f64 v[18:19], v[6:7], -v[30:31]
	s_waitcnt lgkmcnt(0)
	v_mul_f64 v[6:7], v[16:17], v[24:25]
	v_fma_f64 v[30:31], v[14:15], v[22:23], -v[6:7]
	v_mov_b32_e32 v6, s15
	v_add_f64 v[20:21], v[8:9], -v[20:21]
	ds_read_b128 v[6:9], v6
	v_mul_f64 v[24:25], v[14:15], v[24:25]
	v_fmac_f64_e32 v[24:25], v[16:17], v[22:23]
	v_add_f64 v[22:23], v[18:19], -v[30:31]
	v_add_f64 v[24:25], v[20:21], -v[24:25]
	s_waitcnt lgkmcnt(0)
	v_cmp_ngt_f64_e64 s[18:19], |v[6:7]|, |v[8:9]|
	s_mov_b64 s[6:7], -1
	s_and_b64 vcc, exec, s[18:19]
	ds_write_b128 v29, v[14:17]
                                        ; implicit-def: $vgpr20_vgpr21
	s_cbranch_vccz .LBB228_59
; %bb.58:                               ;   in Loop: Header=BB228_47 Depth=1
	v_div_scale_f64 v[18:19], s[6:7], v[8:9], v[8:9], v[6:7]
	v_rcp_f64_e32 v[20:21], v[18:19]
	v_div_scale_f64 v[30:31], vcc, v[6:7], v[8:9], v[6:7]
	v_fma_f64 v[32:33], -v[18:19], v[20:21], 1.0
	v_fmac_f64_e32 v[20:21], v[20:21], v[32:33]
	v_fma_f64 v[32:33], -v[18:19], v[20:21], 1.0
	v_fmac_f64_e32 v[20:21], v[20:21], v[32:33]
	v_mul_f64 v[32:33], v[30:31], v[20:21]
	v_fma_f64 v[18:19], -v[18:19], v[32:33], v[30:31]
	v_div_fmas_f64 v[18:19], v[18:19], v[20:21], v[32:33]
	v_div_fixup_f64 v[20:21], v[18:19], v[8:9], v[6:7]
	v_fma_f64 v[18:19], v[6:7], v[20:21], v[8:9]
	v_div_scale_f64 v[30:31], s[6:7], v[18:19], v[18:19], 1.0
	v_rcp_f64_e32 v[32:33], v[30:31]
	s_mov_b64 s[6:7], 0
	v_fma_f64 v[34:35], -v[30:31], v[32:33], 1.0
	v_fmac_f64_e32 v[32:33], v[32:33], v[34:35]
	v_fma_f64 v[34:35], -v[30:31], v[32:33], 1.0
	v_fmac_f64_e32 v[32:33], v[32:33], v[34:35]
	v_div_scale_f64 v[34:35], vcc, 1.0, v[18:19], 1.0
	v_mul_f64 v[36:37], v[34:35], v[32:33]
	v_fma_f64 v[30:31], -v[30:31], v[36:37], v[34:35]
	s_nop 1
	v_div_fmas_f64 v[30:31], v[30:31], v[32:33], v[36:37]
	v_div_fixup_f64 v[30:31], v[30:31], v[18:19], 1.0
	v_fma_f64 v[18:19], v[20:21], v[22:23], v[24:25]
	v_fma_f64 v[20:21], v[20:21], v[24:25], -v[22:23]
	v_mul_f64 v[18:19], v[18:19], v[30:31]
	v_mul_f64 v[20:21], v[20:21], v[30:31]
.LBB228_59:                             ;   in Loop: Header=BB228_47 Depth=1
	s_andn2_b64 vcc, exec, s[6:7]
	s_cbranch_vccnz .LBB228_61
; %bb.60:                               ;   in Loop: Header=BB228_47 Depth=1
	v_div_scale_f64 v[18:19], s[6:7], v[6:7], v[6:7], v[8:9]
	v_rcp_f64_e32 v[20:21], v[18:19]
	v_div_scale_f64 v[30:31], vcc, v[8:9], v[6:7], v[8:9]
	v_fma_f64 v[32:33], -v[18:19], v[20:21], 1.0
	v_fmac_f64_e32 v[20:21], v[20:21], v[32:33]
	v_fma_f64 v[32:33], -v[18:19], v[20:21], 1.0
	v_fmac_f64_e32 v[20:21], v[20:21], v[32:33]
	v_mul_f64 v[32:33], v[30:31], v[20:21]
	v_fma_f64 v[18:19], -v[18:19], v[32:33], v[30:31]
	v_div_fmas_f64 v[18:19], v[18:19], v[20:21], v[32:33]
	v_div_fixup_f64 v[20:21], v[18:19], v[6:7], v[8:9]
	v_fmac_f64_e32 v[6:7], v[8:9], v[20:21]
	v_div_scale_f64 v[8:9], s[6:7], v[6:7], v[6:7], 1.0
	v_rcp_f64_e32 v[18:19], v[8:9]
	s_nop 0
	v_fma_f64 v[30:31], -v[8:9], v[18:19], 1.0
	v_fmac_f64_e32 v[18:19], v[18:19], v[30:31]
	v_fma_f64 v[30:31], -v[8:9], v[18:19], 1.0
	v_fmac_f64_e32 v[18:19], v[18:19], v[30:31]
	v_div_scale_f64 v[30:31], vcc, 1.0, v[6:7], 1.0
	v_mul_f64 v[32:33], v[30:31], v[18:19]
	v_fma_f64 v[8:9], -v[8:9], v[32:33], v[30:31]
	s_nop 1
	v_div_fmas_f64 v[8:9], v[8:9], v[18:19], v[32:33]
	v_div_fixup_f64 v[6:7], v[8:9], v[6:7], 1.0
	v_fma_f64 v[8:9], v[20:21], v[24:25], v[22:23]
	v_mul_f64 v[18:19], v[8:9], v[6:7]
	v_fma_f64 v[8:9], -v[20:21], v[22:23], v[24:25]
	v_mul_f64 v[20:21], v[8:9], v[6:7]
.LBB228_61:                             ;   in Loop: Header=BB228_47 Depth=1
	s_sub_i32 s6, s13, 48
	v_mov_b32_e32 v6, s6
	s_lshl_b32 s6, s12, 4
	s_add_i32 s7, s16, s6
	ds_read_b128 v[6:9], v6
	v_mov_b32_e32 v22, s7
	ds_read_b128 v[22:25], v22
	ds_write_b128 v28, v[18:21]
	s_sub_i32 s7, s15, s14
	s_waitcnt lgkmcnt(2)
	v_mul_f64 v[28:29], v[12:13], v[8:9]
	v_mul_f64 v[8:9], v[10:11], v[8:9]
	v_fma_f64 v[28:29], v[10:11], v[6:7], -v[28:29]
	v_fmac_f64_e32 v[8:9], v[12:13], v[6:7]
	s_waitcnt lgkmcnt(1)
	v_mul_f64 v[6:7], v[16:17], v[24:25]
	v_add_f64 v[2:3], v[2:3], -v[28:29]
	v_fma_f64 v[6:7], v[14:15], v[22:23], -v[6:7]
	s_add_i32 s6, s7, s6
	v_mul_f64 v[10:11], v[14:15], v[24:25]
	v_add_f64 v[12:13], v[2:3], -v[6:7]
	v_mov_b32_e32 v2, s6
	s_add_i32 s6, s15, 0xfffffe70
	v_add_f64 v[4:5], v[4:5], -v[8:9]
	v_fmac_f64_e32 v[10:11], v[16:17], v[22:23]
	ds_read_b128 v[6:9], v2
	v_mov_b32_e32 v2, s6
	v_add_f64 v[14:15], v[4:5], -v[10:11]
	ds_read_b128 v[2:5], v2
	s_mov_b64 s[6:7], -1
	s_waitcnt lgkmcnt(1)
	v_mul_f64 v[10:11], v[20:21], v[8:9]
	v_mul_f64 v[8:9], v[18:19], v[8:9]
	v_fma_f64 v[10:11], v[18:19], v[6:7], -v[10:11]
	v_fmac_f64_e32 v[8:9], v[20:21], v[6:7]
	s_waitcnt lgkmcnt(0)
	v_cmp_ngt_f64_e64 s[12:13], |v[2:3]|, |v[4:5]|
	v_add_f64 v[10:11], v[12:13], -v[10:11]
	v_add_f64 v[12:13], v[14:15], -v[8:9]
	s_and_b64 vcc, exec, s[12:13]
                                        ; implicit-def: $vgpr8_vgpr9
	s_cbranch_vccz .LBB228_63
; %bb.62:                               ;   in Loop: Header=BB228_47 Depth=1
	v_div_scale_f64 v[6:7], s[6:7], v[4:5], v[4:5], v[2:3]
	v_rcp_f64_e32 v[8:9], v[6:7]
	v_div_scale_f64 v[14:15], vcc, v[2:3], v[4:5], v[2:3]
	v_fma_f64 v[16:17], -v[6:7], v[8:9], 1.0
	v_fmac_f64_e32 v[8:9], v[8:9], v[16:17]
	v_fma_f64 v[16:17], -v[6:7], v[8:9], 1.0
	v_fmac_f64_e32 v[8:9], v[8:9], v[16:17]
	v_mul_f64 v[16:17], v[14:15], v[8:9]
	v_fma_f64 v[6:7], -v[6:7], v[16:17], v[14:15]
	v_div_fmas_f64 v[6:7], v[6:7], v[8:9], v[16:17]
	v_div_fixup_f64 v[8:9], v[6:7], v[4:5], v[2:3]
	v_fma_f64 v[6:7], v[2:3], v[8:9], v[4:5]
	v_div_scale_f64 v[14:15], s[6:7], v[6:7], v[6:7], 1.0
	v_rcp_f64_e32 v[16:17], v[14:15]
	s_mov_b64 s[6:7], 0
	v_fma_f64 v[18:19], -v[14:15], v[16:17], 1.0
	v_fmac_f64_e32 v[16:17], v[16:17], v[18:19]
	v_fma_f64 v[18:19], -v[14:15], v[16:17], 1.0
	v_fmac_f64_e32 v[16:17], v[16:17], v[18:19]
	v_div_scale_f64 v[18:19], vcc, 1.0, v[6:7], 1.0
	v_mul_f64 v[20:21], v[18:19], v[16:17]
	v_fma_f64 v[14:15], -v[14:15], v[20:21], v[18:19]
	s_nop 1
	v_div_fmas_f64 v[14:15], v[14:15], v[16:17], v[20:21]
	v_div_fixup_f64 v[14:15], v[14:15], v[6:7], 1.0
	v_fma_f64 v[6:7], v[8:9], v[10:11], v[12:13]
	v_fma_f64 v[8:9], v[8:9], v[12:13], -v[10:11]
	v_mul_f64 v[6:7], v[6:7], v[14:15]
	v_mul_f64 v[8:9], v[8:9], v[14:15]
.LBB228_63:                             ;   in Loop: Header=BB228_47 Depth=1
	s_andn2_b64 vcc, exec, s[6:7]
	s_cbranch_vccnz .LBB228_65
; %bb.64:                               ;   in Loop: Header=BB228_47 Depth=1
	v_div_scale_f64 v[6:7], s[6:7], v[2:3], v[2:3], v[4:5]
	v_rcp_f64_e32 v[8:9], v[6:7]
	v_div_scale_f64 v[14:15], vcc, v[4:5], v[2:3], v[4:5]
	v_fma_f64 v[16:17], -v[6:7], v[8:9], 1.0
	v_fmac_f64_e32 v[8:9], v[8:9], v[16:17]
	v_fma_f64 v[16:17], -v[6:7], v[8:9], 1.0
	v_fmac_f64_e32 v[8:9], v[8:9], v[16:17]
	v_mul_f64 v[16:17], v[14:15], v[8:9]
	v_fma_f64 v[6:7], -v[6:7], v[16:17], v[14:15]
	v_div_fmas_f64 v[6:7], v[6:7], v[8:9], v[16:17]
	v_div_fixup_f64 v[8:9], v[6:7], v[2:3], v[4:5]
	v_fmac_f64_e32 v[2:3], v[4:5], v[8:9]
	v_div_scale_f64 v[4:5], s[6:7], v[2:3], v[2:3], 1.0
	v_rcp_f64_e32 v[6:7], v[4:5]
	s_nop 0
	v_fma_f64 v[14:15], -v[4:5], v[6:7], 1.0
	v_fmac_f64_e32 v[6:7], v[6:7], v[14:15]
	v_fma_f64 v[14:15], -v[4:5], v[6:7], 1.0
	v_fmac_f64_e32 v[6:7], v[6:7], v[14:15]
	v_div_scale_f64 v[14:15], vcc, 1.0, v[2:3], 1.0
	v_mul_f64 v[16:17], v[14:15], v[6:7]
	v_fma_f64 v[4:5], -v[4:5], v[16:17], v[14:15]
	s_nop 1
	v_div_fmas_f64 v[4:5], v[4:5], v[6:7], v[16:17]
	v_div_fixup_f64 v[2:3], v[4:5], v[2:3], 1.0
	v_fma_f64 v[4:5], v[8:9], v[12:13], v[10:11]
	v_mul_f64 v[6:7], v[4:5], v[2:3]
	v_fma_f64 v[4:5], -v[8:9], v[10:11], v[12:13]
	v_mul_f64 v[8:9], v[4:5], v[2:3]
.LBB228_65:                             ;   in Loop: Header=BB228_47 Depth=1
	s_add_i32 s12, s11, -4
	s_sub_i32 s10, s10, 64
	s_cmp_lt_i32 s11, 7
	ds_write_b128 v27, v[6:9]
	s_cbranch_scc1 .LBB228_67
; %bb.66:                               ;   in Loop: Header=BB228_47 Depth=1
	s_mov_b32 s11, s12
	s_branch .LBB228_47
.LBB228_67:
	s_cmp_lt_i32 s12, 0
	s_cbranch_scc1 .LBB228_76
; %bb.68:
	s_mul_i32 s6, s25, 0x180
	s_lshl_b32 s7, s12, 4
	s_add_i32 s7, s6, s7
	v_lshl_add_u32 v2, v0, 4, s6
	s_add_i32 s10, s7, 0xfffffe80
	v_add_u32_e32 v14, 0x2280, v2
	s_branch .LBB228_70
.LBB228_69:                             ;   in Loop: Header=BB228_70 Depth=1
	v_sub_co_u32_e64 v2, s[6:7], s12, 1
	s_nop 0
	v_readfirstlane_b32 s12, v2
	s_add_i32 s10, s10, -16
	s_and_b64 vcc, exec, s[6:7]
	ds_write_b128 v15, v[10:13]
	s_cbranch_vccnz .LBB228_76
.LBB228_70:                             ; =>This Loop Header: Depth=1
                                        ;     Child Loop BB228_71 Depth 2
	s_mul_i32 s6, s12, 0x180
	v_add_u32_e32 v15, s6, v1
	ds_read_b128 v[2:5], v15
	s_cmp_le_i32 s9, s12
	v_mov_b32_e32 v6, v14
	s_mov_b32 s7, s10
	s_mov_b32 s11, s9
	s_cbranch_scc1 .LBB228_72
.LBB228_71:                             ;   Parent Loop BB228_70 Depth=1
                                        ; =>  This Inner Loop Header: Depth=2
	v_mov_b32_e32 v7, s7
	ds_read_b128 v[8:11], v6
	ds_read_b128 v[16:19], v7
	s_add_i32 s11, s11, -1
	s_addk_i32 s7, 0xfe80
	v_add_u32_e32 v6, 0xfffffe80, v6
	s_cmp_le_u32 s11, s12
	s_waitcnt lgkmcnt(0)
	v_mul_f64 v[12:13], v[18:19], v[10:11]
	v_mul_f64 v[10:11], v[16:17], v[10:11]
	v_fma_f64 v[12:13], v[16:17], v[8:9], -v[12:13]
	v_fmac_f64_e32 v[10:11], v[18:19], v[8:9]
	v_add_f64 v[2:3], v[2:3], -v[12:13]
	v_add_f64 v[4:5], v[4:5], -v[10:11]
	s_cbranch_scc0 .LBB228_71
.LBB228_72:                             ;   in Loop: Header=BB228_70 Depth=1
	s_lshl_b32 s7, s12, 4
	s_add_i32 s6, s7, s6
	v_mov_b32_e32 v6, s6
	ds_read_b128 v[6:9], v6
	s_mov_b64 s[6:7], -1
                                        ; implicit-def: $vgpr10_vgpr11
	s_waitcnt lgkmcnt(0)
	v_cmp_ngt_f64_e64 s[14:15], |v[6:7]|, |v[8:9]|
	s_and_b64 vcc, exec, s[14:15]
	s_cbranch_vccz .LBB228_74
; %bb.73:                               ;   in Loop: Header=BB228_70 Depth=1
	v_div_scale_f64 v[10:11], s[6:7], v[8:9], v[8:9], v[6:7]
	v_rcp_f64_e32 v[12:13], v[10:11]
	v_div_scale_f64 v[16:17], vcc, v[6:7], v[8:9], v[6:7]
	v_fma_f64 v[18:19], -v[10:11], v[12:13], 1.0
	v_fmac_f64_e32 v[12:13], v[12:13], v[18:19]
	v_fma_f64 v[18:19], -v[10:11], v[12:13], 1.0
	v_fmac_f64_e32 v[12:13], v[12:13], v[18:19]
	v_mul_f64 v[18:19], v[16:17], v[12:13]
	v_fma_f64 v[10:11], -v[10:11], v[18:19], v[16:17]
	v_div_fmas_f64 v[10:11], v[10:11], v[12:13], v[18:19]
	v_div_fixup_f64 v[12:13], v[10:11], v[8:9], v[6:7]
	v_fma_f64 v[10:11], v[6:7], v[12:13], v[8:9]
	v_div_scale_f64 v[16:17], s[6:7], v[10:11], v[10:11], 1.0
	v_rcp_f64_e32 v[18:19], v[16:17]
	s_mov_b64 s[6:7], 0
	v_fma_f64 v[20:21], -v[16:17], v[18:19], 1.0
	v_fmac_f64_e32 v[18:19], v[18:19], v[20:21]
	v_fma_f64 v[20:21], -v[16:17], v[18:19], 1.0
	v_fmac_f64_e32 v[18:19], v[18:19], v[20:21]
	v_div_scale_f64 v[20:21], vcc, 1.0, v[10:11], 1.0
	v_mul_f64 v[22:23], v[20:21], v[18:19]
	v_fma_f64 v[16:17], -v[16:17], v[22:23], v[20:21]
	s_nop 1
	v_div_fmas_f64 v[16:17], v[16:17], v[18:19], v[22:23]
	v_div_fixup_f64 v[16:17], v[16:17], v[10:11], 1.0
	v_fma_f64 v[10:11], v[2:3], v[12:13], v[4:5]
	v_fma_f64 v[12:13], v[4:5], v[12:13], -v[2:3]
	v_mul_f64 v[10:11], v[10:11], v[16:17]
	v_mul_f64 v[12:13], v[12:13], v[16:17]
.LBB228_74:                             ;   in Loop: Header=BB228_70 Depth=1
	s_andn2_b64 vcc, exec, s[6:7]
	s_cbranch_vccnz .LBB228_69
; %bb.75:                               ;   in Loop: Header=BB228_70 Depth=1
	v_div_scale_f64 v[10:11], s[6:7], v[6:7], v[6:7], v[8:9]
	v_rcp_f64_e32 v[12:13], v[10:11]
	v_div_scale_f64 v[16:17], vcc, v[8:9], v[6:7], v[8:9]
	v_fma_f64 v[18:19], -v[10:11], v[12:13], 1.0
	v_fmac_f64_e32 v[12:13], v[12:13], v[18:19]
	v_fma_f64 v[18:19], -v[10:11], v[12:13], 1.0
	v_fmac_f64_e32 v[12:13], v[12:13], v[18:19]
	v_mul_f64 v[18:19], v[16:17], v[12:13]
	v_fma_f64 v[10:11], -v[10:11], v[18:19], v[16:17]
	v_div_fmas_f64 v[10:11], v[10:11], v[12:13], v[18:19]
	v_div_fixup_f64 v[12:13], v[10:11], v[6:7], v[8:9]
	v_fmac_f64_e32 v[6:7], v[8:9], v[12:13]
	v_div_scale_f64 v[8:9], s[6:7], v[6:7], v[6:7], 1.0
	v_rcp_f64_e32 v[10:11], v[8:9]
	s_nop 0
	v_fma_f64 v[16:17], -v[8:9], v[10:11], 1.0
	v_fmac_f64_e32 v[10:11], v[10:11], v[16:17]
	v_fma_f64 v[16:17], -v[8:9], v[10:11], 1.0
	v_fmac_f64_e32 v[10:11], v[10:11], v[16:17]
	v_div_scale_f64 v[16:17], vcc, 1.0, v[6:7], 1.0
	v_mul_f64 v[18:19], v[16:17], v[10:11]
	v_fma_f64 v[8:9], -v[8:9], v[18:19], v[16:17]
	s_nop 1
	v_div_fmas_f64 v[8:9], v[8:9], v[10:11], v[18:19]
	v_div_fixup_f64 v[6:7], v[8:9], v[6:7], 1.0
	v_fma_f64 v[8:9], v[4:5], v[12:13], v[2:3]
	v_fma_f64 v[2:3], -v[2:3], v[12:13], v[4:5]
	v_mul_f64 v[10:11], v[8:9], v[6:7]
	v_mul_f64 v[12:13], v[2:3], v[6:7]
	s_branch .LBB228_69
.LBB228_76:
	s_mov_b64 s[10:11], 0
.LBB228_77:
	s_andn2_b64 vcc, exec, s[10:11]
	s_cbranch_vccnz .LBB228_109
; %bb.78:
	s_andn2_b64 vcc, exec, s[4:5]
	s_mul_i32 s6, s25, 0x180
	s_mov_b32 s11, s9
	s_cbranch_vccnz .LBB228_100
; %bb.79:
	v_lshl_add_u32 v2, v0, 4, s6
	s_mul_i32 s4, s25, 0x190
	v_add_u32_e32 v26, 0x2280, v2
	s_add_i32 s7, s4, 0xfffff9f0
	s_mov_b32 s10, s9
.LBB228_80:                             ; =>This Loop Header: Depth=1
                                        ;     Child Loop BB228_81 Depth 2
	s_mul_i32 s11, s10, 24
	v_lshl_add_u32 v30, s11, 4, v1
	v_add_u32_e32 v28, 0xfffffd00, v30
	v_add_u32_e32 v29, 0xfffffe80, v30
	ds_read_b128 v[18:21], v30
	ds_read_b128 v[14:17], v29
	v_add_u32_e32 v27, 0xfffffb80, v30
	ds_read_b128 v[6:9], v28
	ds_read_b128 v[2:5], v27
	s_cmp_le_i32 s9, s10
	s_mov_b32 s4, s7
	v_mov_b32_e32 v10, v26
	s_mov_b32 s5, s9
	s_cbranch_scc1 .LBB228_82
.LBB228_81:                             ;   Parent Loop BB228_80 Depth=1
                                        ; =>  This Inner Loop Header: Depth=2
	v_mov_b32_e32 v11, s4
	ds_read_b128 v[22:25], v10
	ds_read_b128 v[32:35], v11 offset:1152
	ds_read_b128 v[36:39], v11 offset:768
	;; [unrolled: 1-line block ×3, first 2 shown]
	ds_read_b128 v[44:47], v11
	s_add_i32 s5, s5, -1
	s_add_i32 s4, s4, -16
	v_add_u32_e32 v10, 0xfffffe80, v10
	s_waitcnt lgkmcnt(3)
	v_mul_f64 v[12:13], v[24:25], v[34:35]
	v_mul_f64 v[34:35], v[22:23], v[34:35]
	s_waitcnt lgkmcnt(2)
	v_mul_f64 v[48:49], v[24:25], v[38:39]
	v_mul_f64 v[38:39], v[22:23], v[38:39]
	;; [unrolled: 3-line block ×4, first 2 shown]
	v_fma_f64 v[12:13], v[22:23], v[32:33], -v[12:13]
	v_fmac_f64_e32 v[34:35], v[24:25], v[32:33]
	v_fma_f64 v[32:33], v[22:23], v[36:37], -v[48:49]
	v_fmac_f64_e32 v[38:39], v[24:25], v[36:37]
	;; [unrolled: 2-line block ×4, first 2 shown]
	s_cmp_le_i32 s5, s10
	v_add_f64 v[18:19], v[18:19], -v[12:13]
	v_add_f64 v[20:21], v[20:21], -v[34:35]
	;; [unrolled: 1-line block ×8, first 2 shown]
	s_cbranch_scc0 .LBB228_81
.LBB228_82:                             ;   in Loop: Header=BB228_80 Depth=1
	s_mul_i32 s4, s10, 0x190
	v_mov_b32_e32 v10, s4
	ds_read_b128 v[22:25], v10
	s_mov_b64 s[4:5], -1
                                        ; implicit-def: $vgpr12_vgpr13
	s_waitcnt lgkmcnt(0)
	v_cmp_ngt_f64_e64 s[12:13], |v[22:23]|, |v[24:25]|
	s_and_b64 vcc, exec, s[12:13]
	s_cbranch_vccz .LBB228_84
; %bb.83:                               ;   in Loop: Header=BB228_80 Depth=1
	v_div_scale_f64 v[10:11], s[4:5], v[24:25], v[24:25], v[22:23]
	v_rcp_f64_e32 v[12:13], v[10:11]
	v_div_scale_f64 v[32:33], vcc, v[22:23], v[24:25], v[22:23]
	v_fma_f64 v[34:35], -v[10:11], v[12:13], 1.0
	v_fmac_f64_e32 v[12:13], v[12:13], v[34:35]
	v_fma_f64 v[34:35], -v[10:11], v[12:13], 1.0
	v_fmac_f64_e32 v[12:13], v[12:13], v[34:35]
	v_mul_f64 v[34:35], v[32:33], v[12:13]
	v_fma_f64 v[10:11], -v[10:11], v[34:35], v[32:33]
	v_div_fmas_f64 v[10:11], v[10:11], v[12:13], v[34:35]
	v_div_fixup_f64 v[12:13], v[10:11], v[24:25], v[22:23]
	v_fma_f64 v[10:11], v[22:23], v[12:13], v[24:25]
	v_div_scale_f64 v[32:33], s[4:5], v[10:11], v[10:11], 1.0
	v_rcp_f64_e32 v[34:35], v[32:33]
	s_mov_b64 s[4:5], 0
	v_fma_f64 v[36:37], -v[32:33], v[34:35], 1.0
	v_fmac_f64_e32 v[34:35], v[34:35], v[36:37]
	v_fma_f64 v[36:37], -v[32:33], v[34:35], 1.0
	v_fmac_f64_e32 v[34:35], v[34:35], v[36:37]
	v_div_scale_f64 v[36:37], vcc, 1.0, v[10:11], 1.0
	v_mul_f64 v[38:39], v[36:37], v[34:35]
	v_fma_f64 v[32:33], -v[32:33], v[38:39], v[36:37]
	s_nop 1
	v_div_fmas_f64 v[32:33], v[32:33], v[34:35], v[38:39]
	v_div_fixup_f64 v[32:33], v[32:33], v[10:11], 1.0
	v_fma_f64 v[10:11], v[18:19], v[12:13], v[20:21]
	v_fma_f64 v[12:13], v[20:21], v[12:13], -v[18:19]
	v_mul_f64 v[10:11], v[10:11], v[32:33]
	v_mul_f64 v[12:13], v[12:13], v[32:33]
.LBB228_84:                             ;   in Loop: Header=BB228_80 Depth=1
	s_andn2_b64 vcc, exec, s[4:5]
	s_cbranch_vccnz .LBB228_86
; %bb.85:                               ;   in Loop: Header=BB228_80 Depth=1
	v_div_scale_f64 v[10:11], s[4:5], v[22:23], v[22:23], v[24:25]
	v_rcp_f64_e32 v[12:13], v[10:11]
	v_div_scale_f64 v[32:33], vcc, v[24:25], v[22:23], v[24:25]
	v_fma_f64 v[34:35], -v[10:11], v[12:13], 1.0
	v_fmac_f64_e32 v[12:13], v[12:13], v[34:35]
	v_fma_f64 v[34:35], -v[10:11], v[12:13], 1.0
	v_fmac_f64_e32 v[12:13], v[12:13], v[34:35]
	v_mul_f64 v[34:35], v[32:33], v[12:13]
	v_fma_f64 v[10:11], -v[10:11], v[34:35], v[32:33]
	v_div_fmas_f64 v[10:11], v[10:11], v[12:13], v[34:35]
	v_div_fixup_f64 v[12:13], v[10:11], v[22:23], v[24:25]
	v_fmac_f64_e32 v[22:23], v[24:25], v[12:13]
	v_div_scale_f64 v[10:11], s[4:5], v[22:23], v[22:23], 1.0
	v_rcp_f64_e32 v[24:25], v[10:11]
	s_nop 0
	v_fma_f64 v[32:33], -v[10:11], v[24:25], 1.0
	v_fmac_f64_e32 v[24:25], v[24:25], v[32:33]
	v_fma_f64 v[32:33], -v[10:11], v[24:25], 1.0
	v_fmac_f64_e32 v[24:25], v[24:25], v[32:33]
	v_div_scale_f64 v[32:33], vcc, 1.0, v[22:23], 1.0
	v_mul_f64 v[34:35], v[32:33], v[24:25]
	v_fma_f64 v[10:11], -v[10:11], v[34:35], v[32:33]
	s_nop 1
	v_div_fmas_f64 v[10:11], v[10:11], v[24:25], v[34:35]
	v_div_fixup_f64 v[22:23], v[10:11], v[22:23], 1.0
	v_fma_f64 v[10:11], v[20:21], v[12:13], v[18:19]
	v_fma_f64 v[12:13], -v[18:19], v[12:13], v[20:21]
	v_mul_f64 v[10:11], v[10:11], v[22:23]
	v_mul_f64 v[12:13], v[12:13], v[22:23]
.LBB228_86:                             ;   in Loop: Header=BB228_80 Depth=1
	s_lshl_b32 s11, s11, 4
	s_addk_i32 s11, 0xfe80
	s_lshl_b32 s12, s10, 4
	s_add_i32 s4, s11, s12
	v_mov_b32_e32 v18, s4
	s_add_i32 s4, s4, -16
	ds_read_b128 v[22:25], v18
	v_mov_b32_e32 v18, s4
	ds_read_b128 v[18:21], v18
	ds_write_b128 v30, v[10:13]
	s_mov_b64 s[4:5], -1
	s_waitcnt lgkmcnt(2)
	v_mul_f64 v[30:31], v[12:13], v[24:25]
	v_mul_f64 v[24:25], v[10:11], v[24:25]
	v_fma_f64 v[30:31], v[10:11], v[22:23], -v[30:31]
	v_fmac_f64_e32 v[24:25], v[12:13], v[22:23]
	s_waitcnt lgkmcnt(1)
	v_cmp_ngt_f64_e64 s[14:15], |v[18:19]|, |v[20:21]|
	v_add_f64 v[22:23], v[14:15], -v[30:31]
	v_add_f64 v[24:25], v[16:17], -v[24:25]
	s_and_b64 vcc, exec, s[14:15]
                                        ; implicit-def: $vgpr16_vgpr17
	s_cbranch_vccz .LBB228_88
; %bb.87:                               ;   in Loop: Header=BB228_80 Depth=1
	v_div_scale_f64 v[14:15], s[4:5], v[20:21], v[20:21], v[18:19]
	v_rcp_f64_e32 v[16:17], v[14:15]
	v_div_scale_f64 v[30:31], vcc, v[18:19], v[20:21], v[18:19]
	v_fma_f64 v[32:33], -v[14:15], v[16:17], 1.0
	v_fmac_f64_e32 v[16:17], v[16:17], v[32:33]
	v_fma_f64 v[32:33], -v[14:15], v[16:17], 1.0
	v_fmac_f64_e32 v[16:17], v[16:17], v[32:33]
	v_mul_f64 v[32:33], v[30:31], v[16:17]
	v_fma_f64 v[14:15], -v[14:15], v[32:33], v[30:31]
	v_div_fmas_f64 v[14:15], v[14:15], v[16:17], v[32:33]
	v_div_fixup_f64 v[16:17], v[14:15], v[20:21], v[18:19]
	v_fma_f64 v[14:15], v[18:19], v[16:17], v[20:21]
	v_div_scale_f64 v[30:31], s[4:5], v[14:15], v[14:15], 1.0
	v_rcp_f64_e32 v[32:33], v[30:31]
	s_mov_b64 s[4:5], 0
	v_fma_f64 v[34:35], -v[30:31], v[32:33], 1.0
	v_fmac_f64_e32 v[32:33], v[32:33], v[34:35]
	v_fma_f64 v[34:35], -v[30:31], v[32:33], 1.0
	v_fmac_f64_e32 v[32:33], v[32:33], v[34:35]
	v_div_scale_f64 v[34:35], vcc, 1.0, v[14:15], 1.0
	v_mul_f64 v[36:37], v[34:35], v[32:33]
	v_fma_f64 v[30:31], -v[30:31], v[36:37], v[34:35]
	s_nop 1
	v_div_fmas_f64 v[30:31], v[30:31], v[32:33], v[36:37]
	v_div_fixup_f64 v[30:31], v[30:31], v[14:15], 1.0
	v_fma_f64 v[14:15], v[16:17], v[22:23], v[24:25]
	v_fma_f64 v[16:17], v[16:17], v[24:25], -v[22:23]
	v_mul_f64 v[14:15], v[14:15], v[30:31]
	v_mul_f64 v[16:17], v[16:17], v[30:31]
.LBB228_88:                             ;   in Loop: Header=BB228_80 Depth=1
	s_andn2_b64 vcc, exec, s[4:5]
	s_cbranch_vccnz .LBB228_90
; %bb.89:                               ;   in Loop: Header=BB228_80 Depth=1
	v_div_scale_f64 v[14:15], s[4:5], v[18:19], v[18:19], v[20:21]
	v_rcp_f64_e32 v[16:17], v[14:15]
	v_div_scale_f64 v[30:31], vcc, v[20:21], v[18:19], v[20:21]
	v_fma_f64 v[32:33], -v[14:15], v[16:17], 1.0
	v_fmac_f64_e32 v[16:17], v[16:17], v[32:33]
	v_fma_f64 v[32:33], -v[14:15], v[16:17], 1.0
	v_fmac_f64_e32 v[16:17], v[16:17], v[32:33]
	v_mul_f64 v[32:33], v[30:31], v[16:17]
	v_fma_f64 v[14:15], -v[14:15], v[32:33], v[30:31]
	v_div_fmas_f64 v[14:15], v[14:15], v[16:17], v[32:33]
	v_div_fixup_f64 v[16:17], v[14:15], v[18:19], v[20:21]
	v_fmac_f64_e32 v[18:19], v[20:21], v[16:17]
	v_div_scale_f64 v[14:15], s[4:5], v[18:19], v[18:19], 1.0
	v_rcp_f64_e32 v[20:21], v[14:15]
	s_nop 0
	v_fma_f64 v[30:31], -v[14:15], v[20:21], 1.0
	v_fmac_f64_e32 v[20:21], v[20:21], v[30:31]
	v_fma_f64 v[30:31], -v[14:15], v[20:21], 1.0
	v_fmac_f64_e32 v[20:21], v[20:21], v[30:31]
	v_div_scale_f64 v[30:31], vcc, 1.0, v[18:19], 1.0
	v_mul_f64 v[32:33], v[30:31], v[20:21]
	v_fma_f64 v[14:15], -v[14:15], v[32:33], v[30:31]
	s_nop 1
	v_div_fmas_f64 v[14:15], v[14:15], v[20:21], v[32:33]
	v_div_fixup_f64 v[18:19], v[14:15], v[18:19], 1.0
	v_fma_f64 v[14:15], v[16:17], v[24:25], v[22:23]
	v_fma_f64 v[16:17], -v[16:17], v[22:23], v[24:25]
	v_mul_f64 v[14:15], v[14:15], v[18:19]
	v_mul_f64 v[16:17], v[16:17], v[18:19]
.LBB228_90:                             ;   in Loop: Header=BB228_80 Depth=1
	s_addk_i32 s11, 0xfe80
	s_add_i32 s11, s11, s12
	v_mov_b32_e32 v18, s11
	ds_read_b128 v[18:21], v18
	s_add_i32 s4, s11, -16
	v_mov_b32_e32 v22, s4
	ds_read_b128 v[22:25], v22
	s_sub_i32 s4, s11, 32
	s_waitcnt lgkmcnt(1)
	v_mul_f64 v[30:31], v[12:13], v[20:21]
	v_fma_f64 v[30:31], v[10:11], v[18:19], -v[30:31]
	v_mul_f64 v[20:21], v[10:11], v[20:21]
	v_fmac_f64_e32 v[20:21], v[12:13], v[18:19]
	v_add_f64 v[18:19], v[6:7], -v[30:31]
	s_waitcnt lgkmcnt(0)
	v_mul_f64 v[6:7], v[16:17], v[24:25]
	v_fma_f64 v[30:31], v[14:15], v[22:23], -v[6:7]
	v_mov_b32_e32 v6, s4
	v_add_f64 v[20:21], v[8:9], -v[20:21]
	ds_read_b128 v[6:9], v6
	v_mul_f64 v[24:25], v[14:15], v[24:25]
	v_fmac_f64_e32 v[24:25], v[16:17], v[22:23]
	v_add_f64 v[22:23], v[18:19], -v[30:31]
	v_add_f64 v[24:25], v[20:21], -v[24:25]
	s_waitcnt lgkmcnt(0)
	v_cmp_ngt_f64_e64 s[12:13], |v[6:7]|, |v[8:9]|
	s_mov_b64 s[4:5], -1
	s_and_b64 vcc, exec, s[12:13]
	ds_write_b128 v29, v[14:17]
                                        ; implicit-def: $vgpr20_vgpr21
	s_cbranch_vccz .LBB228_92
; %bb.91:                               ;   in Loop: Header=BB228_80 Depth=1
	v_div_scale_f64 v[18:19], s[4:5], v[8:9], v[8:9], v[6:7]
	v_rcp_f64_e32 v[20:21], v[18:19]
	v_div_scale_f64 v[30:31], vcc, v[6:7], v[8:9], v[6:7]
	v_fma_f64 v[32:33], -v[18:19], v[20:21], 1.0
	v_fmac_f64_e32 v[20:21], v[20:21], v[32:33]
	v_fma_f64 v[32:33], -v[18:19], v[20:21], 1.0
	v_fmac_f64_e32 v[20:21], v[20:21], v[32:33]
	v_mul_f64 v[32:33], v[30:31], v[20:21]
	v_fma_f64 v[18:19], -v[18:19], v[32:33], v[30:31]
	v_div_fmas_f64 v[18:19], v[18:19], v[20:21], v[32:33]
	v_div_fixup_f64 v[20:21], v[18:19], v[8:9], v[6:7]
	v_fma_f64 v[18:19], v[6:7], v[20:21], v[8:9]
	v_div_scale_f64 v[30:31], s[4:5], v[18:19], v[18:19], 1.0
	v_rcp_f64_e32 v[32:33], v[30:31]
	s_mov_b64 s[4:5], 0
	v_fma_f64 v[34:35], -v[30:31], v[32:33], 1.0
	v_fmac_f64_e32 v[32:33], v[32:33], v[34:35]
	v_fma_f64 v[34:35], -v[30:31], v[32:33], 1.0
	v_fmac_f64_e32 v[32:33], v[32:33], v[34:35]
	v_div_scale_f64 v[34:35], vcc, 1.0, v[18:19], 1.0
	v_mul_f64 v[36:37], v[34:35], v[32:33]
	v_fma_f64 v[30:31], -v[30:31], v[36:37], v[34:35]
	s_nop 1
	v_div_fmas_f64 v[30:31], v[30:31], v[32:33], v[36:37]
	v_div_fixup_f64 v[30:31], v[30:31], v[18:19], 1.0
	v_fma_f64 v[18:19], v[20:21], v[22:23], v[24:25]
	v_fma_f64 v[20:21], v[20:21], v[24:25], -v[22:23]
	v_mul_f64 v[18:19], v[18:19], v[30:31]
	v_mul_f64 v[20:21], v[20:21], v[30:31]
.LBB228_92:                             ;   in Loop: Header=BB228_80 Depth=1
	s_andn2_b64 vcc, exec, s[4:5]
	s_cbranch_vccnz .LBB228_94
; %bb.93:                               ;   in Loop: Header=BB228_80 Depth=1
	v_div_scale_f64 v[18:19], s[4:5], v[6:7], v[6:7], v[8:9]
	v_rcp_f64_e32 v[20:21], v[18:19]
	v_div_scale_f64 v[30:31], vcc, v[8:9], v[6:7], v[8:9]
	v_fma_f64 v[32:33], -v[18:19], v[20:21], 1.0
	v_fmac_f64_e32 v[20:21], v[20:21], v[32:33]
	v_fma_f64 v[32:33], -v[18:19], v[20:21], 1.0
	v_fmac_f64_e32 v[20:21], v[20:21], v[32:33]
	v_mul_f64 v[32:33], v[30:31], v[20:21]
	v_fma_f64 v[18:19], -v[18:19], v[32:33], v[30:31]
	v_div_fmas_f64 v[18:19], v[18:19], v[20:21], v[32:33]
	v_div_fixup_f64 v[20:21], v[18:19], v[6:7], v[8:9]
	v_fmac_f64_e32 v[6:7], v[8:9], v[20:21]
	v_div_scale_f64 v[8:9], s[4:5], v[6:7], v[6:7], 1.0
	v_rcp_f64_e32 v[18:19], v[8:9]
	s_nop 0
	v_fma_f64 v[30:31], -v[8:9], v[18:19], 1.0
	v_fmac_f64_e32 v[18:19], v[18:19], v[30:31]
	v_fma_f64 v[30:31], -v[8:9], v[18:19], 1.0
	v_fmac_f64_e32 v[18:19], v[18:19], v[30:31]
	v_div_scale_f64 v[30:31], vcc, 1.0, v[6:7], 1.0
	v_mul_f64 v[32:33], v[30:31], v[18:19]
	v_fma_f64 v[8:9], -v[8:9], v[32:33], v[30:31]
	s_nop 1
	v_div_fmas_f64 v[8:9], v[8:9], v[18:19], v[32:33]
	v_div_fixup_f64 v[6:7], v[8:9], v[6:7], 1.0
	v_fma_f64 v[8:9], v[20:21], v[24:25], v[22:23]
	v_mul_f64 v[18:19], v[8:9], v[6:7]
	v_fma_f64 v[8:9], -v[20:21], v[22:23], v[24:25]
	v_mul_f64 v[20:21], v[8:9], v[6:7]
.LBB228_94:                             ;   in Loop: Header=BB228_80 Depth=1
	s_add_i32 s4, s11, 0xfffffe80
	v_mov_b32_e32 v6, s4
	s_add_i32 s4, s11, 0xfffffe70
	ds_read_b128 v[6:9], v6
	v_mov_b32_e32 v22, s4
	ds_read_b128 v[22:25], v22
	ds_write_b128 v28, v[18:21]
	s_add_i32 s4, s11, 0xfffffe60
	s_waitcnt lgkmcnt(2)
	v_mul_f64 v[28:29], v[12:13], v[8:9]
	v_mul_f64 v[8:9], v[10:11], v[8:9]
	v_fma_f64 v[28:29], v[10:11], v[6:7], -v[28:29]
	v_fmac_f64_e32 v[8:9], v[12:13], v[6:7]
	s_waitcnt lgkmcnt(1)
	v_mul_f64 v[6:7], v[16:17], v[24:25]
	v_add_f64 v[2:3], v[2:3], -v[28:29]
	v_fma_f64 v[6:7], v[14:15], v[22:23], -v[6:7]
	v_mul_f64 v[10:11], v[14:15], v[24:25]
	v_add_f64 v[12:13], v[2:3], -v[6:7]
	v_mov_b32_e32 v2, s4
	s_add_i32 s4, s11, 0xfffffe50
	v_add_f64 v[4:5], v[4:5], -v[8:9]
	v_fmac_f64_e32 v[10:11], v[16:17], v[22:23]
	ds_read_b128 v[6:9], v2
	v_mov_b32_e32 v2, s4
	v_add_f64 v[14:15], v[4:5], -v[10:11]
	ds_read_b128 v[2:5], v2
	s_mov_b64 s[4:5], -1
	s_waitcnt lgkmcnt(1)
	v_mul_f64 v[10:11], v[20:21], v[8:9]
	v_mul_f64 v[8:9], v[18:19], v[8:9]
	v_fma_f64 v[10:11], v[18:19], v[6:7], -v[10:11]
	v_fmac_f64_e32 v[8:9], v[20:21], v[6:7]
	s_waitcnt lgkmcnt(0)
	v_cmp_ngt_f64_e64 s[12:13], |v[2:3]|, |v[4:5]|
	v_add_f64 v[10:11], v[12:13], -v[10:11]
	v_add_f64 v[12:13], v[14:15], -v[8:9]
	s_and_b64 vcc, exec, s[12:13]
                                        ; implicit-def: $vgpr8_vgpr9
	s_cbranch_vccz .LBB228_96
; %bb.95:                               ;   in Loop: Header=BB228_80 Depth=1
	v_div_scale_f64 v[6:7], s[4:5], v[4:5], v[4:5], v[2:3]
	v_rcp_f64_e32 v[8:9], v[6:7]
	v_div_scale_f64 v[14:15], vcc, v[2:3], v[4:5], v[2:3]
	v_fma_f64 v[16:17], -v[6:7], v[8:9], 1.0
	v_fmac_f64_e32 v[8:9], v[8:9], v[16:17]
	v_fma_f64 v[16:17], -v[6:7], v[8:9], 1.0
	v_fmac_f64_e32 v[8:9], v[8:9], v[16:17]
	v_mul_f64 v[16:17], v[14:15], v[8:9]
	v_fma_f64 v[6:7], -v[6:7], v[16:17], v[14:15]
	v_div_fmas_f64 v[6:7], v[6:7], v[8:9], v[16:17]
	v_div_fixup_f64 v[8:9], v[6:7], v[4:5], v[2:3]
	v_fma_f64 v[6:7], v[2:3], v[8:9], v[4:5]
	v_div_scale_f64 v[14:15], s[4:5], v[6:7], v[6:7], 1.0
	v_rcp_f64_e32 v[16:17], v[14:15]
	s_mov_b64 s[4:5], 0
	v_fma_f64 v[18:19], -v[14:15], v[16:17], 1.0
	v_fmac_f64_e32 v[16:17], v[16:17], v[18:19]
	v_fma_f64 v[18:19], -v[14:15], v[16:17], 1.0
	v_fmac_f64_e32 v[16:17], v[16:17], v[18:19]
	v_div_scale_f64 v[18:19], vcc, 1.0, v[6:7], 1.0
	v_mul_f64 v[20:21], v[18:19], v[16:17]
	v_fma_f64 v[14:15], -v[14:15], v[20:21], v[18:19]
	s_nop 1
	v_div_fmas_f64 v[14:15], v[14:15], v[16:17], v[20:21]
	v_div_fixup_f64 v[14:15], v[14:15], v[6:7], 1.0
	v_fma_f64 v[6:7], v[8:9], v[10:11], v[12:13]
	v_fma_f64 v[8:9], v[8:9], v[12:13], -v[10:11]
	v_mul_f64 v[6:7], v[6:7], v[14:15]
	v_mul_f64 v[8:9], v[8:9], v[14:15]
.LBB228_96:                             ;   in Loop: Header=BB228_80 Depth=1
	s_andn2_b64 vcc, exec, s[4:5]
	s_cbranch_vccnz .LBB228_98
; %bb.97:                               ;   in Loop: Header=BB228_80 Depth=1
	v_div_scale_f64 v[6:7], s[4:5], v[2:3], v[2:3], v[4:5]
	v_rcp_f64_e32 v[8:9], v[6:7]
	v_div_scale_f64 v[14:15], vcc, v[4:5], v[2:3], v[4:5]
	v_fma_f64 v[16:17], -v[6:7], v[8:9], 1.0
	v_fmac_f64_e32 v[8:9], v[8:9], v[16:17]
	v_fma_f64 v[16:17], -v[6:7], v[8:9], 1.0
	v_fmac_f64_e32 v[8:9], v[8:9], v[16:17]
	v_mul_f64 v[16:17], v[14:15], v[8:9]
	v_fma_f64 v[6:7], -v[6:7], v[16:17], v[14:15]
	v_div_fmas_f64 v[6:7], v[6:7], v[8:9], v[16:17]
	v_div_fixup_f64 v[8:9], v[6:7], v[2:3], v[4:5]
	v_fmac_f64_e32 v[2:3], v[4:5], v[8:9]
	v_div_scale_f64 v[4:5], s[4:5], v[2:3], v[2:3], 1.0
	v_rcp_f64_e32 v[6:7], v[4:5]
	s_nop 0
	v_fma_f64 v[14:15], -v[4:5], v[6:7], 1.0
	v_fmac_f64_e32 v[6:7], v[6:7], v[14:15]
	v_fma_f64 v[14:15], -v[4:5], v[6:7], 1.0
	v_fmac_f64_e32 v[6:7], v[6:7], v[14:15]
	v_div_scale_f64 v[14:15], vcc, 1.0, v[2:3], 1.0
	v_mul_f64 v[16:17], v[14:15], v[6:7]
	v_fma_f64 v[4:5], -v[4:5], v[16:17], v[14:15]
	s_nop 1
	v_div_fmas_f64 v[4:5], v[4:5], v[6:7], v[16:17]
	v_div_fixup_f64 v[2:3], v[4:5], v[2:3], 1.0
	v_fma_f64 v[4:5], v[8:9], v[12:13], v[10:11]
	v_mul_f64 v[6:7], v[4:5], v[2:3]
	v_fma_f64 v[4:5], -v[8:9], v[10:11], v[12:13]
	v_mul_f64 v[8:9], v[4:5], v[2:3]
.LBB228_98:                             ;   in Loop: Header=BB228_80 Depth=1
	s_add_i32 s11, s10, -4
	s_addk_i32 s7, 0xfa00
	s_cmp_lt_i32 s10, 7
	ds_write_b128 v27, v[6:9]
	s_cbranch_scc1 .LBB228_100
; %bb.99:                               ;   in Loop: Header=BB228_80 Depth=1
	s_mov_b32 s10, s11
	s_branch .LBB228_80
.LBB228_100:
	s_cmp_lt_i32 s11, 0
	s_cbranch_scc1 .LBB228_109
; %bb.101:
	s_mul_i32 s4, s11, 0x180
	s_lshl_b32 s5, s25, 4
	v_lshl_add_u32 v2, v0, 4, s6
	s_add_i32 s4, s4, s5
	v_add_u32_e32 v14, 0x2280, v2
	s_add_i32 s6, s4, -16
	s_branch .LBB228_103
.LBB228_102:                            ;   in Loop: Header=BB228_103 Depth=1
	v_sub_co_u32_e64 v2, s[4:5], s11, 1
	s_nop 0
	v_readfirstlane_b32 s11, v2
	s_addk_i32 s6, 0xfe80
	s_and_b64 vcc, exec, s[4:5]
	ds_write_b128 v15, v[10:13]
	s_cbranch_vccnz .LBB228_109
.LBB228_103:                            ; =>This Loop Header: Depth=1
                                        ;     Child Loop BB228_104 Depth 2
	s_mul_i32 s4, s11, 0x180
	v_add_u32_e32 v15, s4, v1
	ds_read_b128 v[2:5], v15
	s_cmp_le_i32 s9, s11
	s_mov_b32 s4, s6
	v_mov_b32_e32 v6, v14
	s_mov_b32 s5, s9
	s_cbranch_scc1 .LBB228_105
.LBB228_104:                            ;   Parent Loop BB228_103 Depth=1
                                        ; =>  This Inner Loop Header: Depth=2
	v_mov_b32_e32 v7, s4
	ds_read_b128 v[8:11], v6
	ds_read_b128 v[16:19], v7
	s_add_i32 s5, s5, -1
	s_add_i32 s4, s4, -16
	v_add_u32_e32 v6, 0xfffffe80, v6
	s_cmp_le_u32 s5, s11
	s_waitcnt lgkmcnt(0)
	v_mul_f64 v[12:13], v[18:19], v[10:11]
	v_mul_f64 v[10:11], v[16:17], v[10:11]
	v_fma_f64 v[12:13], v[16:17], v[8:9], -v[12:13]
	v_fmac_f64_e32 v[10:11], v[18:19], v[8:9]
	v_add_f64 v[2:3], v[2:3], -v[12:13]
	v_add_f64 v[4:5], v[4:5], -v[10:11]
	s_cbranch_scc0 .LBB228_104
.LBB228_105:                            ;   in Loop: Header=BB228_103 Depth=1
	s_mul_i32 s4, s11, 0x190
	v_mov_b32_e32 v6, s4
	ds_read_b128 v[6:9], v6
	s_mov_b64 s[4:5], -1
                                        ; implicit-def: $vgpr10_vgpr11
	s_waitcnt lgkmcnt(0)
	v_cmp_ngt_f64_e64 s[12:13], |v[6:7]|, |v[8:9]|
	s_and_b64 vcc, exec, s[12:13]
	s_cbranch_vccz .LBB228_107
; %bb.106:                              ;   in Loop: Header=BB228_103 Depth=1
	v_div_scale_f64 v[10:11], s[4:5], v[8:9], v[8:9], v[6:7]
	v_rcp_f64_e32 v[12:13], v[10:11]
	v_div_scale_f64 v[16:17], vcc, v[6:7], v[8:9], v[6:7]
	v_fma_f64 v[18:19], -v[10:11], v[12:13], 1.0
	v_fmac_f64_e32 v[12:13], v[12:13], v[18:19]
	v_fma_f64 v[18:19], -v[10:11], v[12:13], 1.0
	v_fmac_f64_e32 v[12:13], v[12:13], v[18:19]
	v_mul_f64 v[18:19], v[16:17], v[12:13]
	v_fma_f64 v[10:11], -v[10:11], v[18:19], v[16:17]
	v_div_fmas_f64 v[10:11], v[10:11], v[12:13], v[18:19]
	v_div_fixup_f64 v[12:13], v[10:11], v[8:9], v[6:7]
	v_fma_f64 v[10:11], v[6:7], v[12:13], v[8:9]
	v_div_scale_f64 v[16:17], s[4:5], v[10:11], v[10:11], 1.0
	v_rcp_f64_e32 v[18:19], v[16:17]
	s_mov_b64 s[4:5], 0
	v_fma_f64 v[20:21], -v[16:17], v[18:19], 1.0
	v_fmac_f64_e32 v[18:19], v[18:19], v[20:21]
	v_fma_f64 v[20:21], -v[16:17], v[18:19], 1.0
	v_fmac_f64_e32 v[18:19], v[18:19], v[20:21]
	v_div_scale_f64 v[20:21], vcc, 1.0, v[10:11], 1.0
	v_mul_f64 v[22:23], v[20:21], v[18:19]
	v_fma_f64 v[16:17], -v[16:17], v[22:23], v[20:21]
	s_nop 1
	v_div_fmas_f64 v[16:17], v[16:17], v[18:19], v[22:23]
	v_div_fixup_f64 v[16:17], v[16:17], v[10:11], 1.0
	v_fma_f64 v[10:11], v[2:3], v[12:13], v[4:5]
	v_fma_f64 v[12:13], v[4:5], v[12:13], -v[2:3]
	v_mul_f64 v[10:11], v[10:11], v[16:17]
	v_mul_f64 v[12:13], v[12:13], v[16:17]
.LBB228_107:                            ;   in Loop: Header=BB228_103 Depth=1
	s_andn2_b64 vcc, exec, s[4:5]
	s_cbranch_vccnz .LBB228_102
; %bb.108:                              ;   in Loop: Header=BB228_103 Depth=1
	v_div_scale_f64 v[10:11], s[4:5], v[6:7], v[6:7], v[8:9]
	v_rcp_f64_e32 v[12:13], v[10:11]
	v_div_scale_f64 v[16:17], vcc, v[8:9], v[6:7], v[8:9]
	v_fma_f64 v[18:19], -v[10:11], v[12:13], 1.0
	v_fmac_f64_e32 v[12:13], v[12:13], v[18:19]
	v_fma_f64 v[18:19], -v[10:11], v[12:13], 1.0
	v_fmac_f64_e32 v[12:13], v[12:13], v[18:19]
	v_mul_f64 v[18:19], v[16:17], v[12:13]
	v_fma_f64 v[10:11], -v[10:11], v[18:19], v[16:17]
	v_div_fmas_f64 v[10:11], v[10:11], v[12:13], v[18:19]
	v_div_fixup_f64 v[12:13], v[10:11], v[6:7], v[8:9]
	v_fmac_f64_e32 v[6:7], v[8:9], v[12:13]
	v_div_scale_f64 v[8:9], s[4:5], v[6:7], v[6:7], 1.0
	v_rcp_f64_e32 v[10:11], v[8:9]
	s_nop 0
	v_fma_f64 v[16:17], -v[8:9], v[10:11], 1.0
	v_fmac_f64_e32 v[10:11], v[10:11], v[16:17]
	v_fma_f64 v[16:17], -v[8:9], v[10:11], 1.0
	v_fmac_f64_e32 v[10:11], v[10:11], v[16:17]
	v_div_scale_f64 v[16:17], vcc, 1.0, v[6:7], 1.0
	v_mul_f64 v[18:19], v[16:17], v[10:11]
	v_fma_f64 v[8:9], -v[8:9], v[18:19], v[16:17]
	s_nop 1
	v_div_fmas_f64 v[8:9], v[8:9], v[10:11], v[18:19]
	v_div_fixup_f64 v[6:7], v[8:9], v[6:7], 1.0
	v_fma_f64 v[8:9], v[4:5], v[12:13], v[2:3]
	v_fma_f64 v[2:3], -v[2:3], v[12:13], v[4:5]
	v_mul_f64 v[10:11], v[8:9], v[6:7]
	v_mul_f64 v[12:13], v[2:3], v[6:7]
	s_branch .LBB228_102
.LBB228_109:
	s_mov_b64 s[10:11], 0
.LBB228_110:
	s_andn2_b64 vcc, exec, s[10:11]
	s_cbranch_vccnz .LBB228_142
; %bb.111:
	v_mov_b32_e32 v1, 0x2400
	v_lshl_or_b32 v1, v0, 4, v1
	s_cmp_lt_i32 s24, 4
	s_mov_b32 s9, 0
	s_cbranch_scc1 .LBB228_133
; %bb.112:
	s_mov_b32 s6, 0
	s_mov_b32 s7, 0
.LBB228_113:                            ; =>This Loop Header: Depth=1
                                        ;     Child Loop BB228_114 Depth 2
	s_mul_i32 s9, s7, 24
	v_lshl_add_u32 v26, s9, 4, v1
	ds_read_b128 v[18:21], v26
	ds_read_b128 v[14:17], v26 offset:384
	ds_read_b128 v[6:9], v26 offset:768
	;; [unrolled: 1-line block ×3, first 2 shown]
	s_cmp_eq_u32 s7, 0
	s_mov_b32 s4, s6
	v_mov_b32_e32 v10, v1
	s_mov_b32 s5, s7
	s_cbranch_scc1 .LBB228_115
.LBB228_114:                            ;   Parent Loop BB228_113 Depth=1
                                        ; =>  This Inner Loop Header: Depth=2
	v_mov_b32_e32 v11, s4
	ds_read_b128 v[22:25], v10
	ds_read_b128 v[28:31], v11
	ds_read_b128 v[32:35], v11 offset:384
	ds_read_b128 v[36:39], v11 offset:768
	;; [unrolled: 1-line block ×3, first 2 shown]
	s_add_i32 s5, s5, -1
	s_add_i32 s4, s4, 16
	v_add_u32_e32 v10, 0x180, v10
	s_waitcnt lgkmcnt(3)
	v_mul_f64 v[12:13], v[24:25], v[30:31]
	v_mul_f64 v[30:31], v[22:23], v[30:31]
	s_waitcnt lgkmcnt(2)
	v_mul_f64 v[44:45], v[24:25], v[34:35]
	v_mul_f64 v[34:35], v[22:23], v[34:35]
	;; [unrolled: 3-line block ×4, first 2 shown]
	v_fma_f64 v[12:13], v[22:23], v[28:29], -v[12:13]
	v_fmac_f64_e32 v[30:31], v[24:25], v[28:29]
	v_fma_f64 v[28:29], v[22:23], v[32:33], -v[44:45]
	v_fmac_f64_e32 v[34:35], v[24:25], v[32:33]
	;; [unrolled: 2-line block ×4, first 2 shown]
	s_cmp_eq_u32 s5, 0
	v_add_f64 v[18:19], v[18:19], -v[12:13]
	v_add_f64 v[20:21], v[20:21], -v[30:31]
	;; [unrolled: 1-line block ×8, first 2 shown]
	s_cbranch_scc0 .LBB228_114
.LBB228_115:                            ;   in Loop: Header=BB228_113 Depth=1
	s_mul_i32 s4, s7, 0x190
	v_mov_b32_e32 v10, s4
	ds_read_b128 v[22:25], v10
	s_mov_b64 s[4:5], -1
                                        ; implicit-def: $vgpr12_vgpr13
	s_waitcnt lgkmcnt(0)
	v_cmp_ngt_f64_e64 s[10:11], |v[22:23]|, |v[24:25]|
	s_and_b64 vcc, exec, s[10:11]
	s_cbranch_vccz .LBB228_117
; %bb.116:                              ;   in Loop: Header=BB228_113 Depth=1
	v_div_scale_f64 v[10:11], s[4:5], v[24:25], v[24:25], v[22:23]
	v_rcp_f64_e32 v[12:13], v[10:11]
	v_div_scale_f64 v[28:29], vcc, v[22:23], v[24:25], v[22:23]
	v_fma_f64 v[30:31], -v[10:11], v[12:13], 1.0
	v_fmac_f64_e32 v[12:13], v[12:13], v[30:31]
	v_fma_f64 v[30:31], -v[10:11], v[12:13], 1.0
	v_fmac_f64_e32 v[12:13], v[12:13], v[30:31]
	v_mul_f64 v[30:31], v[28:29], v[12:13]
	v_fma_f64 v[10:11], -v[10:11], v[30:31], v[28:29]
	v_div_fmas_f64 v[10:11], v[10:11], v[12:13], v[30:31]
	v_div_fixup_f64 v[12:13], v[10:11], v[24:25], v[22:23]
	v_fma_f64 v[10:11], v[22:23], v[12:13], v[24:25]
	v_div_scale_f64 v[28:29], s[4:5], v[10:11], v[10:11], 1.0
	v_rcp_f64_e32 v[30:31], v[28:29]
	s_mov_b64 s[4:5], 0
	v_fma_f64 v[32:33], -v[28:29], v[30:31], 1.0
	v_fmac_f64_e32 v[30:31], v[30:31], v[32:33]
	v_fma_f64 v[32:33], -v[28:29], v[30:31], 1.0
	v_fmac_f64_e32 v[30:31], v[30:31], v[32:33]
	v_div_scale_f64 v[32:33], vcc, 1.0, v[10:11], 1.0
	v_mul_f64 v[34:35], v[32:33], v[30:31]
	v_fma_f64 v[28:29], -v[28:29], v[34:35], v[32:33]
	s_nop 1
	v_div_fmas_f64 v[28:29], v[28:29], v[30:31], v[34:35]
	v_div_fixup_f64 v[28:29], v[28:29], v[10:11], 1.0
	v_fma_f64 v[10:11], v[18:19], v[12:13], v[20:21]
	v_fma_f64 v[12:13], v[20:21], v[12:13], -v[18:19]
	v_mul_f64 v[10:11], v[10:11], v[28:29]
	v_mul_f64 v[12:13], v[12:13], v[28:29]
.LBB228_117:                            ;   in Loop: Header=BB228_113 Depth=1
	s_andn2_b64 vcc, exec, s[4:5]
	s_cbranch_vccnz .LBB228_119
; %bb.118:                              ;   in Loop: Header=BB228_113 Depth=1
	v_div_scale_f64 v[10:11], s[4:5], v[22:23], v[22:23], v[24:25]
	v_rcp_f64_e32 v[12:13], v[10:11]
	v_div_scale_f64 v[28:29], vcc, v[24:25], v[22:23], v[24:25]
	v_fma_f64 v[30:31], -v[10:11], v[12:13], 1.0
	v_fmac_f64_e32 v[12:13], v[12:13], v[30:31]
	v_fma_f64 v[30:31], -v[10:11], v[12:13], 1.0
	v_fmac_f64_e32 v[12:13], v[12:13], v[30:31]
	v_mul_f64 v[30:31], v[28:29], v[12:13]
	v_fma_f64 v[10:11], -v[10:11], v[30:31], v[28:29]
	v_div_fmas_f64 v[10:11], v[10:11], v[12:13], v[30:31]
	v_div_fixup_f64 v[12:13], v[10:11], v[22:23], v[24:25]
	v_fmac_f64_e32 v[22:23], v[24:25], v[12:13]
	v_div_scale_f64 v[10:11], s[4:5], v[22:23], v[22:23], 1.0
	v_rcp_f64_e32 v[24:25], v[10:11]
	s_nop 0
	v_fma_f64 v[28:29], -v[10:11], v[24:25], 1.0
	v_fmac_f64_e32 v[24:25], v[24:25], v[28:29]
	v_fma_f64 v[28:29], -v[10:11], v[24:25], 1.0
	v_fmac_f64_e32 v[24:25], v[24:25], v[28:29]
	v_div_scale_f64 v[28:29], vcc, 1.0, v[22:23], 1.0
	v_mul_f64 v[30:31], v[28:29], v[24:25]
	v_fma_f64 v[10:11], -v[10:11], v[30:31], v[28:29]
	s_nop 1
	v_div_fmas_f64 v[10:11], v[10:11], v[24:25], v[30:31]
	v_div_fixup_f64 v[22:23], v[10:11], v[22:23], 1.0
	v_fma_f64 v[10:11], v[20:21], v[12:13], v[18:19]
	v_fma_f64 v[12:13], -v[18:19], v[12:13], v[20:21]
	v_mul_f64 v[10:11], v[10:11], v[22:23]
	v_mul_f64 v[12:13], v[12:13], v[22:23]
.LBB228_119:                            ;   in Loop: Header=BB228_113 Depth=1
	s_lshl_b32 s9, s9, 4
	s_addk_i32 s9, 0x180
	s_lshl_b32 s10, s7, 4
	s_add_i32 s4, s9, s10
	v_mov_b32_e32 v18, s4
	ds_read_b128 v[22:25], v18
	ds_read_b128 v[18:21], v18 offset:16
	s_mov_b64 s[4:5], -1
	ds_write_b128 v26, v[10:13]
	s_waitcnt lgkmcnt(2)
	v_mul_f64 v[28:29], v[12:13], v[24:25]
	v_mul_f64 v[24:25], v[10:11], v[24:25]
	v_fma_f64 v[28:29], v[10:11], v[22:23], -v[28:29]
	v_fmac_f64_e32 v[24:25], v[12:13], v[22:23]
	s_waitcnt lgkmcnt(1)
	v_cmp_ngt_f64_e64 s[12:13], |v[18:19]|, |v[20:21]|
	v_add_f64 v[22:23], v[14:15], -v[28:29]
	v_add_f64 v[24:25], v[16:17], -v[24:25]
	s_and_b64 vcc, exec, s[12:13]
                                        ; implicit-def: $vgpr16_vgpr17
	s_cbranch_vccz .LBB228_121
; %bb.120:                              ;   in Loop: Header=BB228_113 Depth=1
	v_div_scale_f64 v[14:15], s[4:5], v[20:21], v[20:21], v[18:19]
	v_rcp_f64_e32 v[16:17], v[14:15]
	v_div_scale_f64 v[28:29], vcc, v[18:19], v[20:21], v[18:19]
	v_fma_f64 v[30:31], -v[14:15], v[16:17], 1.0
	v_fmac_f64_e32 v[16:17], v[16:17], v[30:31]
	v_fma_f64 v[30:31], -v[14:15], v[16:17], 1.0
	v_fmac_f64_e32 v[16:17], v[16:17], v[30:31]
	v_mul_f64 v[30:31], v[28:29], v[16:17]
	v_fma_f64 v[14:15], -v[14:15], v[30:31], v[28:29]
	v_div_fmas_f64 v[14:15], v[14:15], v[16:17], v[30:31]
	v_div_fixup_f64 v[16:17], v[14:15], v[20:21], v[18:19]
	v_fma_f64 v[14:15], v[18:19], v[16:17], v[20:21]
	v_div_scale_f64 v[28:29], s[4:5], v[14:15], v[14:15], 1.0
	v_rcp_f64_e32 v[30:31], v[28:29]
	s_mov_b64 s[4:5], 0
	v_fma_f64 v[32:33], -v[28:29], v[30:31], 1.0
	v_fmac_f64_e32 v[30:31], v[30:31], v[32:33]
	v_fma_f64 v[32:33], -v[28:29], v[30:31], 1.0
	v_fmac_f64_e32 v[30:31], v[30:31], v[32:33]
	v_div_scale_f64 v[32:33], vcc, 1.0, v[14:15], 1.0
	v_mul_f64 v[34:35], v[32:33], v[30:31]
	v_fma_f64 v[28:29], -v[28:29], v[34:35], v[32:33]
	s_nop 1
	v_div_fmas_f64 v[28:29], v[28:29], v[30:31], v[34:35]
	v_div_fixup_f64 v[28:29], v[28:29], v[14:15], 1.0
	v_fma_f64 v[14:15], v[16:17], v[22:23], v[24:25]
	v_fma_f64 v[16:17], v[16:17], v[24:25], -v[22:23]
	v_mul_f64 v[14:15], v[14:15], v[28:29]
	v_mul_f64 v[16:17], v[16:17], v[28:29]
.LBB228_121:                            ;   in Loop: Header=BB228_113 Depth=1
	s_andn2_b64 vcc, exec, s[4:5]
	s_cbranch_vccnz .LBB228_123
; %bb.122:                              ;   in Loop: Header=BB228_113 Depth=1
	v_div_scale_f64 v[14:15], s[4:5], v[18:19], v[18:19], v[20:21]
	v_rcp_f64_e32 v[16:17], v[14:15]
	v_div_scale_f64 v[28:29], vcc, v[20:21], v[18:19], v[20:21]
	v_fma_f64 v[30:31], -v[14:15], v[16:17], 1.0
	v_fmac_f64_e32 v[16:17], v[16:17], v[30:31]
	v_fma_f64 v[30:31], -v[14:15], v[16:17], 1.0
	v_fmac_f64_e32 v[16:17], v[16:17], v[30:31]
	v_mul_f64 v[30:31], v[28:29], v[16:17]
	v_fma_f64 v[14:15], -v[14:15], v[30:31], v[28:29]
	v_div_fmas_f64 v[14:15], v[14:15], v[16:17], v[30:31]
	v_div_fixup_f64 v[16:17], v[14:15], v[18:19], v[20:21]
	v_fmac_f64_e32 v[18:19], v[20:21], v[16:17]
	v_div_scale_f64 v[14:15], s[4:5], v[18:19], v[18:19], 1.0
	v_rcp_f64_e32 v[20:21], v[14:15]
	s_nop 0
	v_fma_f64 v[28:29], -v[14:15], v[20:21], 1.0
	v_fmac_f64_e32 v[20:21], v[20:21], v[28:29]
	v_fma_f64 v[28:29], -v[14:15], v[20:21], 1.0
	v_fmac_f64_e32 v[20:21], v[20:21], v[28:29]
	v_div_scale_f64 v[28:29], vcc, 1.0, v[18:19], 1.0
	v_mul_f64 v[30:31], v[28:29], v[20:21]
	v_fma_f64 v[14:15], -v[14:15], v[30:31], v[28:29]
	s_nop 1
	v_div_fmas_f64 v[14:15], v[14:15], v[20:21], v[30:31]
	v_div_fixup_f64 v[18:19], v[14:15], v[18:19], 1.0
	v_fma_f64 v[14:15], v[16:17], v[24:25], v[22:23]
	v_fma_f64 v[16:17], -v[16:17], v[22:23], v[24:25]
	v_mul_f64 v[14:15], v[14:15], v[18:19]
	v_mul_f64 v[16:17], v[16:17], v[18:19]
.LBB228_123:                            ;   in Loop: Header=BB228_113 Depth=1
	s_addk_i32 s9, 0x180
	s_add_i32 s9, s9, s10
	v_mov_b32_e32 v18, s9
	ds_read_b128 v[22:25], v18
	ds_write_b128 v26, v[14:17] offset:384
	ds_read_b128 v[28:31], v18 offset:16
	ds_read_b128 v[18:21], v18 offset:32
	s_mov_b64 s[4:5], -1
	s_waitcnt lgkmcnt(3)
	v_mul_f64 v[32:33], v[12:13], v[24:25]
	v_mul_f64 v[24:25], v[10:11], v[24:25]
	v_fmac_f64_e32 v[24:25], v[12:13], v[22:23]
	v_fma_f64 v[32:33], v[10:11], v[22:23], -v[32:33]
	v_add_f64 v[8:9], v[8:9], -v[24:25]
	s_waitcnt lgkmcnt(1)
	v_mul_f64 v[22:23], v[16:17], v[30:31]
	v_mul_f64 v[24:25], v[14:15], v[30:31]
	v_add_f64 v[6:7], v[6:7], -v[32:33]
	v_fma_f64 v[22:23], v[14:15], v[28:29], -v[22:23]
	v_fmac_f64_e32 v[24:25], v[16:17], v[28:29]
	s_waitcnt lgkmcnt(0)
	v_cmp_ngt_f64_e64 s[10:11], |v[18:19]|, |v[20:21]|
	v_add_f64 v[6:7], v[6:7], -v[22:23]
	v_add_f64 v[8:9], v[8:9], -v[24:25]
	s_and_b64 vcc, exec, s[10:11]
                                        ; implicit-def: $vgpr24_vgpr25
	s_cbranch_vccz .LBB228_125
; %bb.124:                              ;   in Loop: Header=BB228_113 Depth=1
	v_div_scale_f64 v[22:23], s[4:5], v[20:21], v[20:21], v[18:19]
	v_rcp_f64_e32 v[24:25], v[22:23]
	v_div_scale_f64 v[28:29], vcc, v[18:19], v[20:21], v[18:19]
	v_fma_f64 v[30:31], -v[22:23], v[24:25], 1.0
	v_fmac_f64_e32 v[24:25], v[24:25], v[30:31]
	v_fma_f64 v[30:31], -v[22:23], v[24:25], 1.0
	v_fmac_f64_e32 v[24:25], v[24:25], v[30:31]
	v_mul_f64 v[30:31], v[28:29], v[24:25]
	v_fma_f64 v[22:23], -v[22:23], v[30:31], v[28:29]
	v_div_fmas_f64 v[22:23], v[22:23], v[24:25], v[30:31]
	v_div_fixup_f64 v[24:25], v[22:23], v[20:21], v[18:19]
	v_fma_f64 v[22:23], v[18:19], v[24:25], v[20:21]
	v_div_scale_f64 v[28:29], s[4:5], v[22:23], v[22:23], 1.0
	v_rcp_f64_e32 v[30:31], v[28:29]
	s_mov_b64 s[4:5], 0
	v_fma_f64 v[32:33], -v[28:29], v[30:31], 1.0
	v_fmac_f64_e32 v[30:31], v[30:31], v[32:33]
	v_fma_f64 v[32:33], -v[28:29], v[30:31], 1.0
	v_fmac_f64_e32 v[30:31], v[30:31], v[32:33]
	v_div_scale_f64 v[32:33], vcc, 1.0, v[22:23], 1.0
	v_mul_f64 v[34:35], v[32:33], v[30:31]
	v_fma_f64 v[28:29], -v[28:29], v[34:35], v[32:33]
	s_nop 1
	v_div_fmas_f64 v[28:29], v[28:29], v[30:31], v[34:35]
	v_div_fixup_f64 v[28:29], v[28:29], v[22:23], 1.0
	v_fma_f64 v[22:23], v[24:25], v[6:7], v[8:9]
	v_fma_f64 v[24:25], v[24:25], v[8:9], -v[6:7]
	v_mul_f64 v[22:23], v[22:23], v[28:29]
	v_mul_f64 v[24:25], v[24:25], v[28:29]
.LBB228_125:                            ;   in Loop: Header=BB228_113 Depth=1
	s_andn2_b64 vcc, exec, s[4:5]
	s_cbranch_vccnz .LBB228_127
; %bb.126:                              ;   in Loop: Header=BB228_113 Depth=1
	v_div_scale_f64 v[22:23], s[4:5], v[18:19], v[18:19], v[20:21]
	v_rcp_f64_e32 v[24:25], v[22:23]
	v_div_scale_f64 v[28:29], vcc, v[20:21], v[18:19], v[20:21]
	v_fma_f64 v[30:31], -v[22:23], v[24:25], 1.0
	v_fmac_f64_e32 v[24:25], v[24:25], v[30:31]
	v_fma_f64 v[30:31], -v[22:23], v[24:25], 1.0
	v_fmac_f64_e32 v[24:25], v[24:25], v[30:31]
	v_mul_f64 v[30:31], v[28:29], v[24:25]
	v_fma_f64 v[22:23], -v[22:23], v[30:31], v[28:29]
	v_div_fmas_f64 v[22:23], v[22:23], v[24:25], v[30:31]
	v_div_fixup_f64 v[24:25], v[22:23], v[18:19], v[20:21]
	v_fmac_f64_e32 v[18:19], v[20:21], v[24:25]
	v_div_scale_f64 v[20:21], s[4:5], v[18:19], v[18:19], 1.0
	v_rcp_f64_e32 v[22:23], v[20:21]
	s_nop 0
	v_fma_f64 v[28:29], -v[20:21], v[22:23], 1.0
	v_fmac_f64_e32 v[22:23], v[22:23], v[28:29]
	v_fma_f64 v[28:29], -v[20:21], v[22:23], 1.0
	v_fmac_f64_e32 v[22:23], v[22:23], v[28:29]
	v_div_scale_f64 v[28:29], vcc, 1.0, v[18:19], 1.0
	v_mul_f64 v[30:31], v[28:29], v[22:23]
	v_fma_f64 v[20:21], -v[20:21], v[30:31], v[28:29]
	s_nop 1
	v_div_fmas_f64 v[20:21], v[20:21], v[22:23], v[30:31]
	v_div_fixup_f64 v[18:19], v[20:21], v[18:19], 1.0
	v_fma_f64 v[20:21], v[24:25], v[8:9], v[6:7]
	v_fma_f64 v[6:7], -v[24:25], v[6:7], v[8:9]
	v_mul_f64 v[22:23], v[20:21], v[18:19]
	v_mul_f64 v[24:25], v[6:7], v[18:19]
.LBB228_127:                            ;   in Loop: Header=BB228_113 Depth=1
	v_mov_b32_e32 v6, s9
	ds_read_b128 v[18:21], v6 offset:384
	ds_write_b128 v26, v[22:25] offset:768
	ds_read_b128 v[28:31], v6 offset:400
	ds_read_b128 v[32:35], v6 offset:416
	;; [unrolled: 1-line block ×3, first 2 shown]
	s_mov_b64 s[4:5], -1
	s_waitcnt lgkmcnt(4)
	v_mul_f64 v[36:37], v[12:13], v[20:21]
	v_fma_f64 v[36:37], v[10:11], v[18:19], -v[36:37]
	v_mul_f64 v[10:11], v[10:11], v[20:21]
	v_fmac_f64_e32 v[10:11], v[12:13], v[18:19]
	v_add_f64 v[4:5], v[4:5], -v[10:11]
	s_waitcnt lgkmcnt(2)
	v_mul_f64 v[10:11], v[16:17], v[30:31]
	v_mul_f64 v[12:13], v[14:15], v[30:31]
	v_add_f64 v[2:3], v[2:3], -v[36:37]
	v_fma_f64 v[10:11], v[14:15], v[28:29], -v[10:11]
	v_fmac_f64_e32 v[12:13], v[16:17], v[28:29]
	v_add_f64 v[2:3], v[2:3], -v[10:11]
	v_add_f64 v[4:5], v[4:5], -v[12:13]
	s_waitcnt lgkmcnt(1)
	v_mul_f64 v[10:11], v[24:25], v[34:35]
	v_mul_f64 v[12:13], v[22:23], v[34:35]
	v_fma_f64 v[10:11], v[22:23], v[32:33], -v[10:11]
	v_fmac_f64_e32 v[12:13], v[24:25], v[32:33]
	s_waitcnt lgkmcnt(0)
	v_cmp_ngt_f64_e64 s[10:11], |v[6:7]|, |v[8:9]|
	v_add_f64 v[10:11], v[2:3], -v[10:11]
	v_add_f64 v[12:13], v[4:5], -v[12:13]
	s_and_b64 vcc, exec, s[10:11]
                                        ; implicit-def: $vgpr4_vgpr5
	s_cbranch_vccz .LBB228_129
; %bb.128:                              ;   in Loop: Header=BB228_113 Depth=1
	v_div_scale_f64 v[2:3], s[4:5], v[8:9], v[8:9], v[6:7]
	v_rcp_f64_e32 v[4:5], v[2:3]
	v_div_scale_f64 v[14:15], vcc, v[6:7], v[8:9], v[6:7]
	v_fma_f64 v[16:17], -v[2:3], v[4:5], 1.0
	v_fmac_f64_e32 v[4:5], v[4:5], v[16:17]
	v_fma_f64 v[16:17], -v[2:3], v[4:5], 1.0
	v_fmac_f64_e32 v[4:5], v[4:5], v[16:17]
	v_mul_f64 v[16:17], v[14:15], v[4:5]
	v_fma_f64 v[2:3], -v[2:3], v[16:17], v[14:15]
	v_div_fmas_f64 v[2:3], v[2:3], v[4:5], v[16:17]
	v_div_fixup_f64 v[4:5], v[2:3], v[8:9], v[6:7]
	v_fma_f64 v[2:3], v[6:7], v[4:5], v[8:9]
	v_div_scale_f64 v[14:15], s[4:5], v[2:3], v[2:3], 1.0
	v_rcp_f64_e32 v[16:17], v[14:15]
	s_mov_b64 s[4:5], 0
	v_fma_f64 v[18:19], -v[14:15], v[16:17], 1.0
	v_fmac_f64_e32 v[16:17], v[16:17], v[18:19]
	v_fma_f64 v[18:19], -v[14:15], v[16:17], 1.0
	v_fmac_f64_e32 v[16:17], v[16:17], v[18:19]
	v_div_scale_f64 v[18:19], vcc, 1.0, v[2:3], 1.0
	v_mul_f64 v[20:21], v[18:19], v[16:17]
	v_fma_f64 v[14:15], -v[14:15], v[20:21], v[18:19]
	s_nop 1
	v_div_fmas_f64 v[14:15], v[14:15], v[16:17], v[20:21]
	v_div_fixup_f64 v[14:15], v[14:15], v[2:3], 1.0
	v_fma_f64 v[2:3], v[4:5], v[10:11], v[12:13]
	v_fma_f64 v[4:5], v[4:5], v[12:13], -v[10:11]
	v_mul_f64 v[2:3], v[2:3], v[14:15]
	v_mul_f64 v[4:5], v[4:5], v[14:15]
.LBB228_129:                            ;   in Loop: Header=BB228_113 Depth=1
	s_andn2_b64 vcc, exec, s[4:5]
	s_cbranch_vccnz .LBB228_131
; %bb.130:                              ;   in Loop: Header=BB228_113 Depth=1
	v_div_scale_f64 v[2:3], s[4:5], v[6:7], v[6:7], v[8:9]
	v_rcp_f64_e32 v[4:5], v[2:3]
	v_div_scale_f64 v[14:15], vcc, v[8:9], v[6:7], v[8:9]
	v_fma_f64 v[16:17], -v[2:3], v[4:5], 1.0
	v_fmac_f64_e32 v[4:5], v[4:5], v[16:17]
	v_fma_f64 v[16:17], -v[2:3], v[4:5], 1.0
	v_fmac_f64_e32 v[4:5], v[4:5], v[16:17]
	v_mul_f64 v[16:17], v[14:15], v[4:5]
	v_fma_f64 v[2:3], -v[2:3], v[16:17], v[14:15]
	v_div_fmas_f64 v[2:3], v[2:3], v[4:5], v[16:17]
	v_div_fixup_f64 v[4:5], v[2:3], v[6:7], v[8:9]
	v_fmac_f64_e32 v[6:7], v[8:9], v[4:5]
	v_div_scale_f64 v[2:3], s[4:5], v[6:7], v[6:7], 1.0
	v_rcp_f64_e32 v[8:9], v[2:3]
	s_nop 0
	v_fma_f64 v[14:15], -v[2:3], v[8:9], 1.0
	v_fmac_f64_e32 v[8:9], v[8:9], v[14:15]
	v_fma_f64 v[14:15], -v[2:3], v[8:9], 1.0
	v_fmac_f64_e32 v[8:9], v[8:9], v[14:15]
	v_div_scale_f64 v[14:15], vcc, 1.0, v[6:7], 1.0
	v_mul_f64 v[16:17], v[14:15], v[8:9]
	v_fma_f64 v[2:3], -v[2:3], v[16:17], v[14:15]
	s_nop 1
	v_div_fmas_f64 v[2:3], v[2:3], v[8:9], v[16:17]
	v_div_fixup_f64 v[6:7], v[2:3], v[6:7], 1.0
	v_fma_f64 v[2:3], v[4:5], v[12:13], v[10:11]
	v_fma_f64 v[4:5], -v[4:5], v[10:11], v[12:13]
	v_mul_f64 v[2:3], v[2:3], v[6:7]
	v_mul_f64 v[4:5], v[4:5], v[6:7]
.LBB228_131:                            ;   in Loop: Header=BB228_113 Depth=1
	s_add_i32 s9, s7, 4
	s_add_i32 s4, s7, 7
	s_addk_i32 s6, 0x600
	s_cmp_ge_i32 s4, s25
	ds_write_b128 v26, v[2:5] offset:1152
	s_cbranch_scc1 .LBB228_133
; %bb.132:                              ;   in Loop: Header=BB228_113 Depth=1
	s_mov_b32 s7, s9
	s_branch .LBB228_113
.LBB228_133:
	s_cmp_ge_i32 s9, s25
	s_cbranch_scc1 .LBB228_142
; %bb.134:
	v_mov_b32_e32 v2, 0x2400
	v_lshl_or_b32 v14, v0, 4, v2
	s_mul_i32 s6, s9, 0x180
	s_branch .LBB228_136
.LBB228_135:                            ;   in Loop: Header=BB228_136 Depth=1
	s_add_i32 s9, s9, 1
	s_addk_i32 s6, 0x180
	s_cmp_ge_i32 s9, s25
	ds_write_b128 v15, v[10:13]
	s_cbranch_scc1 .LBB228_142
.LBB228_136:                            ; =>This Loop Header: Depth=1
                                        ;     Child Loop BB228_137 Depth 2
	s_mul_i32 s4, s9, 0x180
	v_add_u32_e32 v15, s4, v1
	ds_read_b128 v[2:5], v15
	s_cmp_eq_u32 s9, 0
	s_mov_b32 s4, s6
	v_mov_b32_e32 v6, v14
	s_mov_b32 s5, s9
	s_cbranch_scc1 .LBB228_138
.LBB228_137:                            ;   Parent Loop BB228_136 Depth=1
                                        ; =>  This Inner Loop Header: Depth=2
	v_mov_b32_e32 v7, s4
	ds_read_b128 v[8:11], v6
	ds_read_b128 v[16:19], v7
	s_add_i32 s5, s5, -1
	s_add_i32 s4, s4, 16
	v_add_u32_e32 v6, 0x180, v6
	s_cmp_eq_u32 s5, 0
	s_waitcnt lgkmcnt(0)
	v_mul_f64 v[12:13], v[18:19], v[10:11]
	v_mul_f64 v[10:11], v[16:17], v[10:11]
	v_fma_f64 v[12:13], v[16:17], v[8:9], -v[12:13]
	v_fmac_f64_e32 v[10:11], v[18:19], v[8:9]
	v_add_f64 v[2:3], v[2:3], -v[12:13]
	v_add_f64 v[4:5], v[4:5], -v[10:11]
	s_cbranch_scc0 .LBB228_137
.LBB228_138:                            ;   in Loop: Header=BB228_136 Depth=1
	s_mul_i32 s4, s9, 0x190
	v_mov_b32_e32 v6, s4
	ds_read_b128 v[6:9], v6
	s_mov_b64 s[4:5], -1
                                        ; implicit-def: $vgpr10_vgpr11
	s_waitcnt lgkmcnt(0)
	v_cmp_ngt_f64_e64 s[10:11], |v[6:7]|, |v[8:9]|
	s_and_b64 vcc, exec, s[10:11]
	s_cbranch_vccz .LBB228_140
; %bb.139:                              ;   in Loop: Header=BB228_136 Depth=1
	v_div_scale_f64 v[10:11], s[4:5], v[8:9], v[8:9], v[6:7]
	v_rcp_f64_e32 v[12:13], v[10:11]
	v_div_scale_f64 v[16:17], vcc, v[6:7], v[8:9], v[6:7]
	v_fma_f64 v[18:19], -v[10:11], v[12:13], 1.0
	v_fmac_f64_e32 v[12:13], v[12:13], v[18:19]
	v_fma_f64 v[18:19], -v[10:11], v[12:13], 1.0
	v_fmac_f64_e32 v[12:13], v[12:13], v[18:19]
	v_mul_f64 v[18:19], v[16:17], v[12:13]
	v_fma_f64 v[10:11], -v[10:11], v[18:19], v[16:17]
	v_div_fmas_f64 v[10:11], v[10:11], v[12:13], v[18:19]
	v_div_fixup_f64 v[12:13], v[10:11], v[8:9], v[6:7]
	v_fma_f64 v[10:11], v[6:7], v[12:13], v[8:9]
	v_div_scale_f64 v[16:17], s[4:5], v[10:11], v[10:11], 1.0
	v_rcp_f64_e32 v[18:19], v[16:17]
	s_mov_b64 s[4:5], 0
	v_fma_f64 v[20:21], -v[16:17], v[18:19], 1.0
	v_fmac_f64_e32 v[18:19], v[18:19], v[20:21]
	v_fma_f64 v[20:21], -v[16:17], v[18:19], 1.0
	v_fmac_f64_e32 v[18:19], v[18:19], v[20:21]
	v_div_scale_f64 v[20:21], vcc, 1.0, v[10:11], 1.0
	v_mul_f64 v[22:23], v[20:21], v[18:19]
	v_fma_f64 v[16:17], -v[16:17], v[22:23], v[20:21]
	s_nop 1
	v_div_fmas_f64 v[16:17], v[16:17], v[18:19], v[22:23]
	v_div_fixup_f64 v[16:17], v[16:17], v[10:11], 1.0
	v_fma_f64 v[10:11], v[2:3], v[12:13], v[4:5]
	v_fma_f64 v[12:13], v[4:5], v[12:13], -v[2:3]
	v_mul_f64 v[10:11], v[10:11], v[16:17]
	v_mul_f64 v[12:13], v[12:13], v[16:17]
.LBB228_140:                            ;   in Loop: Header=BB228_136 Depth=1
	s_andn2_b64 vcc, exec, s[4:5]
	s_cbranch_vccnz .LBB228_135
; %bb.141:                              ;   in Loop: Header=BB228_136 Depth=1
	v_div_scale_f64 v[10:11], s[4:5], v[6:7], v[6:7], v[8:9]
	v_rcp_f64_e32 v[12:13], v[10:11]
	v_div_scale_f64 v[16:17], vcc, v[8:9], v[6:7], v[8:9]
	v_fma_f64 v[18:19], -v[10:11], v[12:13], 1.0
	v_fmac_f64_e32 v[12:13], v[12:13], v[18:19]
	v_fma_f64 v[18:19], -v[10:11], v[12:13], 1.0
	v_fmac_f64_e32 v[12:13], v[12:13], v[18:19]
	v_mul_f64 v[18:19], v[16:17], v[12:13]
	v_fma_f64 v[10:11], -v[10:11], v[18:19], v[16:17]
	v_div_fmas_f64 v[10:11], v[10:11], v[12:13], v[18:19]
	v_div_fixup_f64 v[12:13], v[10:11], v[6:7], v[8:9]
	v_fmac_f64_e32 v[6:7], v[8:9], v[12:13]
	v_div_scale_f64 v[8:9], s[4:5], v[6:7], v[6:7], 1.0
	v_rcp_f64_e32 v[10:11], v[8:9]
	s_nop 0
	v_fma_f64 v[16:17], -v[8:9], v[10:11], 1.0
	v_fmac_f64_e32 v[10:11], v[10:11], v[16:17]
	v_fma_f64 v[16:17], -v[8:9], v[10:11], 1.0
	v_fmac_f64_e32 v[10:11], v[10:11], v[16:17]
	v_div_scale_f64 v[16:17], vcc, 1.0, v[6:7], 1.0
	v_mul_f64 v[18:19], v[16:17], v[10:11]
	v_fma_f64 v[8:9], -v[8:9], v[18:19], v[16:17]
	s_nop 1
	v_div_fmas_f64 v[8:9], v[8:9], v[10:11], v[18:19]
	v_div_fixup_f64 v[6:7], v[8:9], v[6:7], 1.0
	v_fma_f64 v[8:9], v[4:5], v[12:13], v[2:3]
	v_fma_f64 v[2:3], -v[2:3], v[12:13], v[4:5]
	v_mul_f64 v[10:11], v[8:9], v[6:7]
	v_mul_f64 v[12:13], v[2:3], v[6:7]
	s_branch .LBB228_135
.LBB228_142:
	s_and_saveexec_b64 s[4:5], s[0:1]
	s_cbranch_execz .LBB228_146
; %bb.143:
	s_cmp_lt_i32 s24, 1
	s_cbranch_scc1 .LBB228_146
; %bb.144:
	s_ashr_i32 s9, s8, 31
	v_lshlrev_b32_e32 v2, 4, v0
	v_mov_b32_e32 v3, 0
	v_lshl_add_u64 v[0:1], s[2:3], 0, v[2:3]
	s_lshl_b64 s[0:1], s[8:9], 4
	v_or_b32_e32 v2, 0x2400, v2
.LBB228_145:                            ; =>This Inner Loop Header: Depth=1
	ds_read2_b64 v[4:7], v2 offset1:1
	s_add_i32 s24, s24, -1
	v_add_u32_e32 v2, 0x180, v2
	s_cmp_lg_u32 s24, 0
	s_waitcnt lgkmcnt(0)
	flat_store_dwordx4 v[0:1], v[4:7]
	v_lshl_add_u64 v[0:1], v[0:1], 0, s[0:1]
	s_cbranch_scc1 .LBB228_145
.LBB228_146:
	s_endpgm
	.section	.rodata,"a",@progbits
	.p2align	6, 0x0
	.amdhsa_kernel _ZL31rocblas_trsm_small_right_deviceI19rocblas_complex_numIdES1_PKPKS1_PKPS1_Li24EEv13rocblas_fill_18rocblas_operation_17rocblas_diagonal_iiT0_T1_lilT2_lili
		.amdhsa_group_segment_fixed_size 18432
		.amdhsa_private_segment_fixed_size 0
		.amdhsa_kernarg_size 368
		.amdhsa_user_sgpr_count 2
		.amdhsa_user_sgpr_dispatch_ptr 0
		.amdhsa_user_sgpr_queue_ptr 0
		.amdhsa_user_sgpr_kernarg_segment_ptr 1
		.amdhsa_user_sgpr_dispatch_id 0
		.amdhsa_user_sgpr_kernarg_preload_length 0
		.amdhsa_user_sgpr_kernarg_preload_offset 0
		.amdhsa_user_sgpr_private_segment_size 0
		.amdhsa_uses_dynamic_stack 0
		.amdhsa_enable_private_segment 0
		.amdhsa_system_sgpr_workgroup_id_x 1
		.amdhsa_system_sgpr_workgroup_id_y 0
		.amdhsa_system_sgpr_workgroup_id_z 1
		.amdhsa_system_sgpr_workgroup_info 0
		.amdhsa_system_vgpr_workitem_id 0
		.amdhsa_next_free_vgpr 169
		.amdhsa_next_free_sgpr 96
		.amdhsa_accum_offset 56
		.amdhsa_reserve_vcc 1
		.amdhsa_float_round_mode_32 0
		.amdhsa_float_round_mode_16_64 0
		.amdhsa_float_denorm_mode_32 3
		.amdhsa_float_denorm_mode_16_64 3
		.amdhsa_dx10_clamp 1
		.amdhsa_ieee_mode 1
		.amdhsa_fp16_overflow 0
		.amdhsa_tg_split 0
		.amdhsa_exception_fp_ieee_invalid_op 0
		.amdhsa_exception_fp_denorm_src 0
		.amdhsa_exception_fp_ieee_div_zero 0
		.amdhsa_exception_fp_ieee_overflow 0
		.amdhsa_exception_fp_ieee_underflow 0
		.amdhsa_exception_fp_ieee_inexact 0
		.amdhsa_exception_int_div_zero 0
	.end_amdhsa_kernel
	.section	.text._ZL31rocblas_trsm_small_right_deviceI19rocblas_complex_numIdES1_PKPKS1_PKPS1_Li24EEv13rocblas_fill_18rocblas_operation_17rocblas_diagonal_iiT0_T1_lilT2_lili,"axG",@progbits,_ZL31rocblas_trsm_small_right_deviceI19rocblas_complex_numIdES1_PKPKS1_PKPS1_Li24EEv13rocblas_fill_18rocblas_operation_17rocblas_diagonal_iiT0_T1_lilT2_lili,comdat
.Lfunc_end228:
	.size	_ZL31rocblas_trsm_small_right_deviceI19rocblas_complex_numIdES1_PKPKS1_PKPS1_Li24EEv13rocblas_fill_18rocblas_operation_17rocblas_diagonal_iiT0_T1_lilT2_lili, .Lfunc_end228-_ZL31rocblas_trsm_small_right_deviceI19rocblas_complex_numIdES1_PKPKS1_PKPS1_Li24EEv13rocblas_fill_18rocblas_operation_17rocblas_diagonal_iiT0_T1_lilT2_lili
                                        ; -- End function
	.set _ZL31rocblas_trsm_small_right_deviceI19rocblas_complex_numIdES1_PKPKS1_PKPS1_Li24EEv13rocblas_fill_18rocblas_operation_17rocblas_diagonal_iiT0_T1_lilT2_lili.num_vgpr, 54
	.set _ZL31rocblas_trsm_small_right_deviceI19rocblas_complex_numIdES1_PKPKS1_PKPS1_Li24EEv13rocblas_fill_18rocblas_operation_17rocblas_diagonal_iiT0_T1_lilT2_lili.num_agpr, 0
	.set _ZL31rocblas_trsm_small_right_deviceI19rocblas_complex_numIdES1_PKPKS1_PKPS1_Li24EEv13rocblas_fill_18rocblas_operation_17rocblas_diagonal_iiT0_T1_lilT2_lili.numbered_sgpr, 28
	.set _ZL31rocblas_trsm_small_right_deviceI19rocblas_complex_numIdES1_PKPKS1_PKPS1_Li24EEv13rocblas_fill_18rocblas_operation_17rocblas_diagonal_iiT0_T1_lilT2_lili.num_named_barrier, 0
	.set _ZL31rocblas_trsm_small_right_deviceI19rocblas_complex_numIdES1_PKPKS1_PKPS1_Li24EEv13rocblas_fill_18rocblas_operation_17rocblas_diagonal_iiT0_T1_lilT2_lili.private_seg_size, 0
	.set _ZL31rocblas_trsm_small_right_deviceI19rocblas_complex_numIdES1_PKPKS1_PKPS1_Li24EEv13rocblas_fill_18rocblas_operation_17rocblas_diagonal_iiT0_T1_lilT2_lili.uses_vcc, 1
	.set _ZL31rocblas_trsm_small_right_deviceI19rocblas_complex_numIdES1_PKPKS1_PKPS1_Li24EEv13rocblas_fill_18rocblas_operation_17rocblas_diagonal_iiT0_T1_lilT2_lili.uses_flat_scratch, 0
	.set _ZL31rocblas_trsm_small_right_deviceI19rocblas_complex_numIdES1_PKPKS1_PKPS1_Li24EEv13rocblas_fill_18rocblas_operation_17rocblas_diagonal_iiT0_T1_lilT2_lili.has_dyn_sized_stack, 0
	.set _ZL31rocblas_trsm_small_right_deviceI19rocblas_complex_numIdES1_PKPKS1_PKPS1_Li24EEv13rocblas_fill_18rocblas_operation_17rocblas_diagonal_iiT0_T1_lilT2_lili.has_recursion, 0
	.set _ZL31rocblas_trsm_small_right_deviceI19rocblas_complex_numIdES1_PKPKS1_PKPS1_Li24EEv13rocblas_fill_18rocblas_operation_17rocblas_diagonal_iiT0_T1_lilT2_lili.has_indirect_call, 0
	.section	.AMDGPU.csdata,"",@progbits
; Kernel info:
; codeLenInByte = 13808
; TotalNumSgprs: 34
; NumVgprs: 54
; NumAgprs: 0
; TotalNumVgprs: 54
; ScratchSize: 0
; MemoryBound: 0
; FloatMode: 240
; IeeeMode: 1
; LDSByteSize: 18432 bytes/workgroup (compile time only)
; SGPRBlocks: 12
; VGPRBlocks: 21
; NumSGPRsForWavesPerEU: 102
; NumVGPRsForWavesPerEU: 169
; AccumOffset: 56
; Occupancy: 2
; WaveLimiterHint : 0
; COMPUTE_PGM_RSRC2:SCRATCH_EN: 0
; COMPUTE_PGM_RSRC2:USER_SGPR: 2
; COMPUTE_PGM_RSRC2:TRAP_HANDLER: 0
; COMPUTE_PGM_RSRC2:TGID_X_EN: 1
; COMPUTE_PGM_RSRC2:TGID_Y_EN: 0
; COMPUTE_PGM_RSRC2:TGID_Z_EN: 1
; COMPUTE_PGM_RSRC2:TIDIG_COMP_CNT: 0
; COMPUTE_PGM_RSRC3_GFX90A:ACCUM_OFFSET: 13
; COMPUTE_PGM_RSRC3_GFX90A:TG_SPLIT: 0
	.section	.text._ZL38rocblas_trsm_small_left_device_sharedBILi28ELi28ELb0E19rocblas_complex_numIdES1_PKPKS1_PKPS1_Ev13rocblas_fill_18rocblas_operation_17rocblas_diagonal_iiT3_T4_lilT5_lili,"axG",@progbits,_ZL38rocblas_trsm_small_left_device_sharedBILi28ELi28ELb0E19rocblas_complex_numIdES1_PKPKS1_PKPS1_Ev13rocblas_fill_18rocblas_operation_17rocblas_diagonal_iiT3_T4_lilT5_lili,comdat
	.globl	_ZL38rocblas_trsm_small_left_device_sharedBILi28ELi28ELb0E19rocblas_complex_numIdES1_PKPKS1_PKPS1_Ev13rocblas_fill_18rocblas_operation_17rocblas_diagonal_iiT3_T4_lilT5_lili ; -- Begin function _ZL38rocblas_trsm_small_left_device_sharedBILi28ELi28ELb0E19rocblas_complex_numIdES1_PKPKS1_PKPS1_Ev13rocblas_fill_18rocblas_operation_17rocblas_diagonal_iiT3_T4_lilT5_lili
	.p2align	8
	.type	_ZL38rocblas_trsm_small_left_device_sharedBILi28ELi28ELb0E19rocblas_complex_numIdES1_PKPKS1_PKPS1_Ev13rocblas_fill_18rocblas_operation_17rocblas_diagonal_iiT3_T4_lilT5_lili,@function
_ZL38rocblas_trsm_small_left_device_sharedBILi28ELi28ELb0E19rocblas_complex_numIdES1_PKPKS1_PKPS1_Ev13rocblas_fill_18rocblas_operation_17rocblas_diagonal_iiT3_T4_lilT5_lili: ; @_ZL38rocblas_trsm_small_left_device_sharedBILi28ELi28ELb0E19rocblas_complex_numIdES1_PKPKS1_PKPS1_Ev13rocblas_fill_18rocblas_operation_17rocblas_diagonal_iiT3_T4_lilT5_lili
; %bb.0:
	s_load_dwordx4 s[12:15], s[0:1], 0x4
	s_load_dwordx4 s[16:19], s[0:1], 0x48
	s_load_dwordx8 s[4:11], s[0:1], 0x18
	s_mov_b32 s20, s3
	s_mov_b32 s21, 0
	s_lshl_b64 s[22:23], s[20:21], 3
	s_waitcnt lgkmcnt(0)
	s_add_u32 s16, s16, s22
	s_addc_u32 s17, s17, s23
	s_load_dword s3, s[0:1], 0x70
	s_min_i32 s24, s14, 28
	s_load_dwordx2 s[16:17], s[16:17], 0x0
	v_cmp_gt_i32_e32 vcc, s24, v0
	s_and_saveexec_b64 s[20:21], vcc
	s_cbranch_execz .LBB229_11
; %bb.1:
	s_load_dword s26, s[0:1], 0x38
	v_lshlrev_b32_e32 v2, 4, v0
	v_mov_b32_e32 v3, 0
	v_mov_b32_e32 v1, v2
	s_waitcnt lgkmcnt(0)
	s_ashr_i32 s27, s26, 31
	s_cmpk_eq_i32 s12, 0x71
	s_cselect_b64 vcc, -1, 0
	s_add_u32 s8, s8, s22
	s_addc_u32 s9, s9, s23
	s_load_dwordx2 s[8:9], s[8:9], 0x0
	s_lshl_b64 s[10:11], s[10:11], 4
	s_waitcnt lgkmcnt(0)
	s_add_u32 s10, s8, s10
	s_addc_u32 s11, s9, s11
	s_lshl_b64 s[8:9], s[26:27], 4
	v_lshl_add_u64 v[4:5], s[10:11], 0, v[2:3]
	s_mov_b32 s10, s24
.LBB229_2:                              ; =>This Inner Loop Header: Depth=1
	flat_load_dwordx4 v[6:9], v[4:5]
	s_add_i32 s10, s10, -1
	v_lshl_add_u64 v[4:5], v[4:5], 0, s[8:9]
	s_cmp_eq_u32 s10, 0
	s_waitcnt vmcnt(0) lgkmcnt(0)
	v_xor_b32_e32 v3, 0x80000000, v9
	v_cndmask_b32_e32 v9, v9, v3, vcc
	ds_write_b128 v1, v[6:9]
	v_add_u32_e32 v1, 0x1c0, v1
	s_cbranch_scc0 .LBB229_2
; %bb.3:
	v_mul_u32_u24_e32 v1, 0x1c0, v0
	s_cmpk_lg_i32 s13, 0x84
	v_add_u32_e32 v1, v2, v1
	s_cbranch_scc0 .LBB229_9
; %bb.4:
	ds_read_b128 v[2:5], v1
                                        ; implicit-def: $vgpr8_vgpr9
	s_waitcnt lgkmcnt(0)
	v_cmp_ngt_f64_e64 s[8:9], |v[2:3]|, |v[4:5]|
	s_and_saveexec_b64 s[10:11], s[8:9]
	s_xor_b64 s[8:9], exec, s[10:11]
	s_cbranch_execz .LBB229_6
; %bb.5:
	v_div_scale_f64 v[6:7], s[10:11], v[4:5], v[4:5], v[2:3]
	v_rcp_f64_e32 v[8:9], v[6:7]
	v_div_scale_f64 v[10:11], vcc, v[2:3], v[4:5], v[2:3]
	v_fma_f64 v[12:13], -v[6:7], v[8:9], 1.0
	v_fmac_f64_e32 v[8:9], v[8:9], v[12:13]
	v_fma_f64 v[12:13], -v[6:7], v[8:9], 1.0
	v_fmac_f64_e32 v[8:9], v[8:9], v[12:13]
	v_mul_f64 v[12:13], v[10:11], v[8:9]
	v_fma_f64 v[6:7], -v[6:7], v[12:13], v[10:11]
	v_div_fmas_f64 v[6:7], v[6:7], v[8:9], v[12:13]
	v_div_fixup_f64 v[8:9], v[6:7], v[4:5], v[2:3]
	v_fmac_f64_e32 v[4:5], v[2:3], v[8:9]
	v_div_scale_f64 v[2:3], s[10:11], v[4:5], v[4:5], 1.0
	v_rcp_f64_e32 v[6:7], v[2:3]
	s_nop 0
	v_fma_f64 v[10:11], -v[2:3], v[6:7], 1.0
	v_fmac_f64_e32 v[6:7], v[6:7], v[10:11]
	v_fma_f64 v[10:11], -v[2:3], v[6:7], 1.0
	v_fmac_f64_e32 v[6:7], v[6:7], v[10:11]
	v_div_scale_f64 v[10:11], vcc, 1.0, v[4:5], 1.0
	v_mul_f64 v[12:13], v[10:11], v[6:7]
	v_fma_f64 v[2:3], -v[2:3], v[12:13], v[10:11]
	s_nop 1
	v_div_fmas_f64 v[2:3], v[2:3], v[6:7], v[12:13]
	v_div_fixup_f64 v[2:3], v[2:3], v[4:5], 1.0
	v_add_f64 v[4:5], v[8:9], 0
	v_mul_f64 v[6:7], v[4:5], v[2:3]
	v_fma_f64 v[4:5], v[8:9], 0, -1.0
	v_mul_f64 v[8:9], v[4:5], v[2:3]
                                        ; implicit-def: $vgpr2_vgpr3
.LBB229_6:
	s_andn2_saveexec_b64 s[8:9], s[8:9]
	s_cbranch_execz .LBB229_8
; %bb.7:
	v_div_scale_f64 v[6:7], s[10:11], v[2:3], v[2:3], v[4:5]
	v_rcp_f64_e32 v[8:9], v[6:7]
	v_div_scale_f64 v[10:11], vcc, v[4:5], v[2:3], v[4:5]
	v_fma_f64 v[12:13], -v[6:7], v[8:9], 1.0
	v_fmac_f64_e32 v[8:9], v[8:9], v[12:13]
	v_fma_f64 v[12:13], -v[6:7], v[8:9], 1.0
	v_fmac_f64_e32 v[8:9], v[8:9], v[12:13]
	v_mul_f64 v[12:13], v[10:11], v[8:9]
	v_fma_f64 v[6:7], -v[6:7], v[12:13], v[10:11]
	v_div_fmas_f64 v[6:7], v[6:7], v[8:9], v[12:13]
	v_div_fixup_f64 v[8:9], v[6:7], v[2:3], v[4:5]
	v_fmac_f64_e32 v[2:3], v[4:5], v[8:9]
	v_div_scale_f64 v[4:5], s[10:11], v[2:3], v[2:3], 1.0
	v_rcp_f64_e32 v[6:7], v[4:5]
	s_nop 0
	v_fma_f64 v[10:11], -v[4:5], v[6:7], 1.0
	v_fmac_f64_e32 v[6:7], v[6:7], v[10:11]
	v_fma_f64 v[10:11], -v[4:5], v[6:7], 1.0
	v_fmac_f64_e32 v[6:7], v[6:7], v[10:11]
	v_div_scale_f64 v[10:11], vcc, 1.0, v[2:3], 1.0
	v_mul_f64 v[12:13], v[10:11], v[6:7]
	v_fma_f64 v[4:5], -v[4:5], v[12:13], v[10:11]
	s_nop 1
	v_div_fmas_f64 v[4:5], v[4:5], v[6:7], v[12:13]
	v_div_fixup_f64 v[2:3], v[4:5], v[2:3], 1.0
	v_fma_f64 v[4:5], v[8:9], 0, 1.0
	v_mul_f64 v[6:7], v[4:5], v[2:3]
	v_add_f64 v[4:5], -v[8:9], 0
	v_mul_f64 v[8:9], v[4:5], v[2:3]
.LBB229_8:
	s_or_b64 exec, exec, s[8:9]
	s_branch .LBB229_10
.LBB229_9:
	v_mov_b64_e32 v[8:9], 0
	v_mov_b64_e32 v[6:7], 1.0
.LBB229_10:
	ds_write_b128 v1, v[6:9]
.LBB229_11:
	s_or_b64 exec, exec, s[20:21]
	s_load_dword s13, s[0:1], 0x58
	s_lshl_b64 s[0:1], s[18:19], 4
	s_waitcnt lgkmcnt(0)
	s_add_u32 s8, s16, s0
	s_mul_i32 s0, s2, 0xffffffe4
	s_addc_u32 s9, s17, s1
	s_add_i32 s3, s3, -1
	s_add_i32 s0, s15, s0
	s_cmp_ge_u32 s2, s3
	s_mul_i32 s2, s2, 28
	s_cselect_b32 s10, s0, 28
	s_mul_hi_i32 s1, s13, s2
	s_mul_i32 s0, s13, s2
	s_lshl_b64 s[0:1], s[0:1], 4
	s_add_u32 s2, s8, s0
	s_addc_u32 s3, s9, s1
	s_cmp_gt_i32 s14, 0
	v_cmp_gt_i32_e64 s[0:1], s10, v0
	s_cselect_b64 s[8:9], -1, 0
	s_and_b64 s[14:15], s[0:1], s[8:9]
	s_and_saveexec_b64 s[10:11], s[14:15]
	s_cbranch_execz .LBB229_14
; %bb.12:
	v_mad_i64_i32 v[2:3], s[14:15], s13, v0, 0
	v_mov_b32_e32 v1, 0x3100
	v_lshl_add_u64 v[2:3], v[2:3], 4, s[2:3]
	v_lshl_add_u32 v1, v0, 4, v1
	s_mov_b32 s14, s24
.LBB229_13:                             ; =>This Inner Loop Header: Depth=1
	flat_load_dwordx4 v[4:7], v[2:3]
	s_add_i32 s14, s14, -1
	v_lshl_add_u64 v[2:3], v[2:3], 0, 16
	s_cmp_lg_u32 s14, 0
	s_waitcnt vmcnt(0) lgkmcnt(0)
	v_mul_f64 v[10:11], s[6:7], v[6:7]
	v_mul_f64 v[8:9], s[4:5], v[6:7]
	v_fma_f64 v[6:7], s[4:5], v[4:5], -v[10:11]
	v_fmac_f64_e32 v[8:9], s[6:7], v[4:5]
	ds_write_b128 v1, v[6:9]
	v_add_u32_e32 v1, 0x1c0, v1
	s_cbranch_scc1 .LBB229_13
.LBB229_14:
	s_or_b64 exec, exec, s[10:11]
	v_mov_b32_e32 v1, 0x3100
	s_cmpk_eq_i32 s12, 0x6f
	v_lshl_add_u32 v1, v0, 4, v1
	s_mov_b64 s[4:5], -1
	s_waitcnt lgkmcnt(0)
	; wave barrier
	s_cbranch_scc1 .LBB229_36
; %bb.15:
	s_mov_b32 s5, 0
	s_mov_b32 s4, s5
	;; [unrolled: 1-line block ×3, first 2 shown]
	s_branch .LBB229_17
.LBB229_16:                             ;   in Loop: Header=BB229_17 Depth=1
	s_cmp_ge_i32 s10, s24
	s_cselect_b64 s[6:7], -1, 0
	s_add_i32 s4, s4, 1
	s_cmp_eq_u32 s4, 3
	s_cselect_b64 s[14:15], -1, 0
	s_or_b64 s[6:7], s[6:7], s[14:15]
	s_andn2_b64 vcc, exec, s[6:7]
	s_cbranch_vccz .LBB229_35
.LBB229_17:                             ; =>This Loop Header: Depth=1
                                        ;     Child Loop BB229_20 Depth 2
                                        ;       Child Loop BB229_21 Depth 3
                                        ;       Child Loop BB229_24 Depth 3
                                        ;         Child Loop BB229_25 Depth 4
                                        ;       Child Loop BB229_29 Depth 3
                                        ;         Child Loop BB229_31 Depth 4
	s_lshl_b64 s[6:7], s[4:5], 2
	s_getpc_b64 s[14:15]
	s_add_u32 s14, s14, __const._ZL38rocblas_trsm_small_left_device_sharedBILi28ELi28ELb0E19rocblas_complex_numIdES1_PKPKS1_PKPS1_Ev13rocblas_fill_18rocblas_operation_17rocblas_diagonal_iiT3_T4_lilT5_lili.step_sizes@rel32@lo+4
	s_addc_u32 s15, s15, __const._ZL38rocblas_trsm_small_left_device_sharedBILi28ELi28ELb0E19rocblas_complex_numIdES1_PKPKS1_PKPS1_Ev13rocblas_fill_18rocblas_operation_17rocblas_diagonal_iiT3_T4_lilT5_lili.step_sizes@rel32@hi+12
	s_add_u32 s6, s14, s6
	s_addc_u32 s7, s15, s7
	s_load_dword s11, s[6:7], 0x0
	s_waitcnt lgkmcnt(0)
	s_add_i32 s12, s11, -1
	s_add_i32 s6, s12, s10
	s_cmp_ge_i32 s6, s24
	s_cbranch_scc1 .LBB229_16
; %bb.18:                               ;   in Loop: Header=BB229_17 Depth=1
	s_mul_i32 s15, s10, 0x1c0
	s_max_i32 s14, s11, 1
	v_add_u32_e32 v6, s15, v1
	s_mul_i32 s16, s11, 0x1c0
	s_mul_i32 s17, s10, 0x1d0
	;; [unrolled: 1-line block ×3, first 2 shown]
	s_branch .LBB229_20
.LBB229_19:                             ;   in Loop: Header=BB229_20 Depth=2
	s_add_i32 s10, s10, s11
	s_add_i32 s6, s12, s10
	;; [unrolled: 1-line block ×4, first 2 shown]
	s_cmp_ge_i32 s6, s24
	v_add_u32_e32 v6, s16, v6
	s_cbranch_scc1 .LBB229_16
.LBB229_20:                             ;   Parent Loop BB229_17 Depth=1
                                        ; =>  This Loop Header: Depth=2
                                        ;       Child Loop BB229_21 Depth 3
                                        ;       Child Loop BB229_24 Depth 3
                                        ;         Child Loop BB229_25 Depth 4
                                        ;       Child Loop BB229_29 Depth 3
                                        ;         Child Loop BB229_31 Depth 4
	s_mov_b32 s6, 0
	v_mov_b32_e32 v2, v6
	s_mov_b32 s7, s14
.LBB229_21:                             ;   Parent Loop BB229_17 Depth=1
                                        ;     Parent Loop BB229_20 Depth=2
                                        ; =>    This Inner Loop Header: Depth=3
	ds_read_b128 v[8:11], v2
	s_add_i32 s7, s7, -1
	v_add_u32_e32 v2, 0x1c0, v2
	s_waitcnt lgkmcnt(0)
	scratch_store_dwordx4 off, v[8:11], s6
	s_add_i32 s6, s6, 16
	s_cmp_eq_u32 s7, 0
	s_cbranch_scc0 .LBB229_21
; %bb.22:                               ;   in Loop: Header=BB229_20 Depth=2
	s_cmp_lt_i32 s10, 1
	s_cbranch_scc1 .LBB229_27
; %bb.23:                               ;   in Loop: Header=BB229_20 Depth=2
	s_mov_b32 s6, 0
	s_mov_b32 s7, s15
.LBB229_24:                             ;   Parent Loop BB229_17 Depth=1
                                        ;     Parent Loop BB229_20 Depth=2
                                        ; =>    This Loop Header: Depth=3
                                        ;         Child Loop BB229_25 Depth 4
	s_mul_i32 s19, s6, 0x1c0
	v_add_u32_e32 v2, s19, v1
	ds_read_b128 v[2:5], v2
	s_mov_b32 s19, 0
	s_mov_b32 s20, s7
	;; [unrolled: 1-line block ×3, first 2 shown]
.LBB229_25:                             ;   Parent Loop BB229_17 Depth=1
                                        ;     Parent Loop BB229_20 Depth=2
                                        ;       Parent Loop BB229_24 Depth=3
                                        ; =>      This Inner Loop Header: Depth=4
	scratch_load_dwordx4 v[8:11], off, s19
	v_mov_b32_e32 v7, s20
	ds_read_b128 v[12:15], v7
	s_add_i32 s21, s21, -1
	s_addk_i32 s20, 0x1c0
	s_waitcnt lgkmcnt(0)
	v_mul_f64 v[16:17], v[4:5], v[14:15]
	v_mul_f64 v[14:15], v[2:3], v[14:15]
	v_fma_f64 v[16:17], v[2:3], v[12:13], -v[16:17]
	v_fmac_f64_e32 v[14:15], v[4:5], v[12:13]
	s_waitcnt vmcnt(0)
	v_add_f64 v[8:9], v[8:9], -v[16:17]
	v_add_f64 v[10:11], v[10:11], -v[14:15]
	scratch_store_dwordx4 off, v[8:11], s19
	s_add_i32 s19, s19, 16
	s_cmp_eq_u32 s21, 0
	s_cbranch_scc0 .LBB229_25
; %bb.26:                               ;   in Loop: Header=BB229_24 Depth=3
	s_add_i32 s6, s6, 1
	s_add_i32 s7, s7, 16
	s_cmp_eq_u32 s6, s10
	s_cbranch_scc0 .LBB229_24
.LBB229_27:                             ;   in Loop: Header=BB229_20 Depth=2
	s_mul_i32 s19, s10, 0x1c0
	s_mov_b32 s20, 0
	s_mov_b32 s21, s17
	s_branch .LBB229_29
.LBB229_28:                             ;   in Loop: Header=BB229_29 Depth=3
	s_mul_i32 s6, s23, 0x1d0
	v_mov_b32_e32 v7, s6
	ds_read_b128 v[8:11], v7
	s_lshl_b32 s6, s20, 4
	s_add_i32 s20, s20, 1
	s_addk_i32 s21, 0x1c0
	s_cmp_eq_u32 s20, s14
	s_waitcnt vmcnt(0) lgkmcnt(0)
	v_mul_f64 v[12:13], v[10:11], v[4:5]
	v_mul_f64 v[14:15], v[8:9], v[4:5]
	v_fma_f64 v[12:13], v[8:9], v[2:3], -v[12:13]
	v_fmac_f64_e32 v[14:15], v[10:11], v[2:3]
	v_add_u32_e32 v2, s22, v1
	scratch_store_dwordx4 off, v[12:15], s6
	ds_write_b128 v2, v[12:15]
	s_cbranch_scc1 .LBB229_19
.LBB229_29:                             ;   Parent Loop BB229_17 Depth=1
                                        ;     Parent Loop BB229_20 Depth=2
                                        ; =>    This Loop Header: Depth=3
                                        ;         Child Loop BB229_31 Depth 4
	s_cmp_lg_u32 s20, 0
	s_cbranch_scc0 .LBB229_33
; %bb.30:                               ;   in Loop: Header=BB229_29 Depth=3
	s_lshl_b32 s6, s20, 4
	scratch_load_dwordx4 v[2:5], off, s6
	s_add_i32 s23, s20, s10
	s_mul_i32 s22, s23, 0x1c0
	s_mov_b32 s7, 0
	s_mov_b32 s25, s21
	;; [unrolled: 1-line block ×3, first 2 shown]
.LBB229_31:                             ;   Parent Loop BB229_17 Depth=1
                                        ;     Parent Loop BB229_20 Depth=2
                                        ;       Parent Loop BB229_29 Depth=3
                                        ; =>      This Inner Loop Header: Depth=4
	scratch_load_dwordx4 v[8:11], off, s7
	v_mov_b32_e32 v7, s25
	ds_read_b128 v[12:15], v7
	s_add_i32 s26, s26, -1
	s_add_i32 s7, s7, 16
	s_add_i32 s25, s25, 16
	s_cmp_eq_u32 s26, 0
	s_waitcnt vmcnt(0) lgkmcnt(0)
	v_mul_f64 v[16:17], v[14:15], v[10:11]
	v_mul_f64 v[10:11], v[12:13], v[10:11]
	v_fma_f64 v[12:13], v[12:13], v[8:9], -v[16:17]
	v_fmac_f64_e32 v[10:11], v[14:15], v[8:9]
	v_add_f64 v[2:3], v[2:3], -v[12:13]
	v_add_f64 v[4:5], v[4:5], -v[10:11]
	scratch_store_dwordx4 off, v[2:5], s6
	s_cbranch_scc0 .LBB229_31
; %bb.32:                               ;   in Loop: Header=BB229_29 Depth=3
	s_branch .LBB229_28
.LBB229_33:                             ;   in Loop: Header=BB229_29 Depth=3
                                        ; implicit-def: $vgpr2_vgpr3
                                        ; implicit-def: $sgpr23
                                        ; implicit-def: $sgpr22
	s_cbranch_execz .LBB229_28
; %bb.34:                               ;   in Loop: Header=BB229_29 Depth=3
	scratch_load_dwordx4 v[2:5], off, off
	s_mov_b32 s22, s19
	s_mov_b32 s23, s10
	s_branch .LBB229_28
.LBB229_35:
	s_mov_b64 s[4:5], 0
.LBB229_36:
	s_and_b64 vcc, exec, s[4:5]
	s_cbranch_vccz .LBB229_56
; %bb.37:
	s_add_i32 s10, s24, -1
	v_mov_b32_e32 v2, 0x3100
	s_mul_i32 s11, s24, 0x1c0
	s_mov_b32 s5, 0
	v_lshl_add_u32 v6, v0, 4, v2
	s_addk_i32 s11, 0xfe40
	s_mov_b32 s4, s5
	s_mov_b32 s12, s10
	s_branch .LBB229_39
.LBB229_38:                             ;   in Loop: Header=BB229_39 Depth=1
	s_cmp_lt_i32 s12, 0
	s_cselect_b64 s[6:7], -1, 0
	s_add_i32 s4, s4, 1
	s_cmp_eq_u32 s4, 3
	s_cselect_b64 s[14:15], -1, 0
	s_or_b64 s[6:7], s[6:7], s[14:15]
	s_and_b64 vcc, exec, s[6:7]
	s_cbranch_vccnz .LBB229_56
.LBB229_39:                             ; =>This Loop Header: Depth=1
                                        ;     Child Loop BB229_42 Depth 2
                                        ;       Child Loop BB229_43 Depth 3
                                        ;       Child Loop BB229_45 Depth 3
                                        ;         Child Loop BB229_46 Depth 4
                                        ;       Child Loop BB229_50 Depth 3
                                        ;         Child Loop BB229_52 Depth 4
	s_lshl_b64 s[6:7], s[4:5], 2
	s_getpc_b64 s[14:15]
	s_add_u32 s14, s14, __const._ZL38rocblas_trsm_small_left_device_sharedBILi28ELi28ELb0E19rocblas_complex_numIdES1_PKPKS1_PKPS1_Ev13rocblas_fill_18rocblas_operation_17rocblas_diagonal_iiT3_T4_lilT5_lili.step_sizes@rel32@lo+4
	s_addc_u32 s15, s15, __const._ZL38rocblas_trsm_small_left_device_sharedBILi28ELi28ELb0E19rocblas_complex_numIdES1_PKPKS1_PKPS1_Ev13rocblas_fill_18rocblas_operation_17rocblas_diagonal_iiT3_T4_lilT5_lili.step_sizes@rel32@hi+12
	s_add_u32 s6, s14, s6
	s_addc_u32 s7, s15, s7
	s_load_dword s14, s[6:7], 0x0
	s_waitcnt lgkmcnt(0)
	s_add_i32 s15, s14, -1
	s_cmp_lt_i32 s12, s15
	s_cbranch_scc1 .LBB229_38
; %bb.40:                               ;   in Loop: Header=BB229_39 Depth=1
	s_mul_i32 s6, s12, 0x1c0
	v_add_u32_e32 v7, s6, v6
	s_lshl_b32 s6, s12, 4
	s_add_i32 s18, s11, s6
	s_lshl_b32 s6, s14, 4
	s_max_i32 s16, s14, 1
	s_mul_i32 s17, s14, 0xfffffe40
	s_sub_i32 s19, 0, s6
	s_mul_i32 s20, s12, 0x1d0
	s_mul_i32 s21, s14, 0xfffffe30
	s_branch .LBB229_42
.LBB229_41:                             ;   in Loop: Header=BB229_42 Depth=2
	s_sub_i32 s12, s12, s14
	s_add_i32 s18, s18, s19
	s_add_i32 s20, s20, s21
	s_cmp_lt_i32 s12, s15
	v_add_u32_e32 v7, s17, v7
	s_cbranch_scc1 .LBB229_38
.LBB229_42:                             ;   Parent Loop BB229_39 Depth=1
                                        ; =>  This Loop Header: Depth=2
                                        ;       Child Loop BB229_43 Depth 3
                                        ;       Child Loop BB229_45 Depth 3
                                        ;         Child Loop BB229_46 Depth 4
                                        ;       Child Loop BB229_50 Depth 3
                                        ;         Child Loop BB229_52 Depth 4
	s_mov_b32 s6, 0
	v_mov_b32_e32 v2, v7
	s_mov_b32 s7, s16
.LBB229_43:                             ;   Parent Loop BB229_39 Depth=1
                                        ;     Parent Loop BB229_42 Depth=2
                                        ; =>    This Inner Loop Header: Depth=3
	ds_read_b128 v[8:11], v2
	s_add_i32 s7, s7, -1
	v_add_u32_e32 v2, 0xfffffe40, v2
	s_waitcnt lgkmcnt(0)
	scratch_store_dwordx4 off, v[8:11], s6
	s_add_i32 s6, s6, 16
	s_cmp_eq_u32 s7, 0
	s_cbranch_scc0 .LBB229_43
; %bb.44:                               ;   in Loop: Header=BB229_42 Depth=2
	s_cmp_le_i32 s10, s12
	s_mov_b32 s6, s18
	s_mov_b32 s7, s10
	s_cbranch_scc1 .LBB229_48
.LBB229_45:                             ;   Parent Loop BB229_39 Depth=1
                                        ;     Parent Loop BB229_42 Depth=2
                                        ; =>    This Loop Header: Depth=3
                                        ;         Child Loop BB229_46 Depth 4
	s_mul_i32 s22, s7, 0x1c0
	v_add_u32_e32 v2, s22, v1
	ds_read_b128 v[2:5], v2
	s_mov_b32 s22, 0
	s_mov_b32 s23, s6
	;; [unrolled: 1-line block ×3, first 2 shown]
.LBB229_46:                             ;   Parent Loop BB229_39 Depth=1
                                        ;     Parent Loop BB229_42 Depth=2
                                        ;       Parent Loop BB229_45 Depth=3
                                        ; =>      This Inner Loop Header: Depth=4
	scratch_load_dwordx4 v[8:11], off, s22
	v_mov_b32_e32 v12, s23
	ds_read_b128 v[12:15], v12
	s_add_i32 s25, s25, -1
	s_add_i32 s23, s23, -16
	s_waitcnt lgkmcnt(0)
	v_mul_f64 v[16:17], v[4:5], v[14:15]
	v_mul_f64 v[14:15], v[2:3], v[14:15]
	v_fma_f64 v[16:17], v[2:3], v[12:13], -v[16:17]
	v_fmac_f64_e32 v[14:15], v[4:5], v[12:13]
	s_waitcnt vmcnt(0)
	v_add_f64 v[8:9], v[8:9], -v[16:17]
	v_add_f64 v[10:11], v[10:11], -v[14:15]
	scratch_store_dwordx4 off, v[8:11], s22
	s_add_i32 s22, s22, 16
	s_cmp_eq_u32 s25, 0
	s_cbranch_scc0 .LBB229_46
; %bb.47:                               ;   in Loop: Header=BB229_45 Depth=3
	s_add_i32 s7, s7, -1
	s_addk_i32 s6, 0xfe40
	s_cmp_le_i32 s7, s12
	s_cbranch_scc0 .LBB229_45
.LBB229_48:                             ;   in Loop: Header=BB229_42 Depth=2
	s_mov_b32 s22, 0
	s_mov_b32 s23, s20
	s_branch .LBB229_50
.LBB229_49:                             ;   in Loop: Header=BB229_50 Depth=3
	s_mul_i32 s6, s25, 0x1d0
	v_mov_b32_e32 v8, s6
	ds_read_b128 v[8:11], v8
	s_lshl_b32 s6, s22, 4
	s_add_i32 s22, s22, 1
	s_add_i32 s23, s23, -16
	s_cmp_eq_u32 s22, s16
	s_waitcnt vmcnt(0) lgkmcnt(0)
	v_mul_f64 v[12:13], v[10:11], v[4:5]
	v_mul_f64 v[14:15], v[8:9], v[4:5]
	v_fma_f64 v[12:13], v[8:9], v[2:3], -v[12:13]
	v_fmac_f64_e32 v[14:15], v[10:11], v[2:3]
	scratch_store_dwordx4 off, v[12:15], s6
	s_mul_i32 s6, s25, 0x1c0
	v_add_u32_e32 v2, s6, v1
	ds_write_b128 v2, v[12:15]
	s_cbranch_scc1 .LBB229_41
.LBB229_50:                             ;   Parent Loop BB229_39 Depth=1
                                        ;     Parent Loop BB229_42 Depth=2
                                        ; =>    This Loop Header: Depth=3
                                        ;         Child Loop BB229_52 Depth 4
	s_cmp_lg_u32 s22, 0
	s_cbranch_scc0 .LBB229_54
; %bb.51:                               ;   in Loop: Header=BB229_50 Depth=3
	s_lshl_b32 s6, s22, 4
	scratch_load_dwordx4 v[2:5], off, s6
	s_sub_i32 s25, s12, s22
	s_mov_b32 s7, 0
	s_mov_b32 s26, s23
	s_mov_b32 s27, s22
.LBB229_52:                             ;   Parent Loop BB229_39 Depth=1
                                        ;     Parent Loop BB229_42 Depth=2
                                        ;       Parent Loop BB229_50 Depth=3
                                        ; =>      This Inner Loop Header: Depth=4
	scratch_load_dwordx4 v[8:11], off, s7
	v_mov_b32_e32 v12, s26
	ds_read_b128 v[12:15], v12
	s_add_i32 s27, s27, -1
	s_addk_i32 s26, 0xfe40
	s_add_i32 s7, s7, 16
	s_cmp_eq_u32 s27, 0
	s_waitcnt vmcnt(0) lgkmcnt(0)
	v_mul_f64 v[16:17], v[14:15], v[10:11]
	v_mul_f64 v[10:11], v[12:13], v[10:11]
	v_fma_f64 v[12:13], v[12:13], v[8:9], -v[16:17]
	v_fmac_f64_e32 v[10:11], v[14:15], v[8:9]
	v_add_f64 v[2:3], v[2:3], -v[12:13]
	v_add_f64 v[4:5], v[4:5], -v[10:11]
	scratch_store_dwordx4 off, v[2:5], s6
	s_cbranch_scc0 .LBB229_52
; %bb.53:                               ;   in Loop: Header=BB229_50 Depth=3
	s_branch .LBB229_49
.LBB229_54:                             ;   in Loop: Header=BB229_50 Depth=3
                                        ; implicit-def: $vgpr2_vgpr3
                                        ; implicit-def: $sgpr25
	s_cbranch_execz .LBB229_49
; %bb.55:                               ;   in Loop: Header=BB229_50 Depth=3
	scratch_load_dwordx4 v[2:5], off, off
	s_mov_b32 s25, s12
	s_branch .LBB229_49
.LBB229_56:
	s_waitcnt lgkmcnt(0)
	; wave barrier
	s_and_saveexec_b64 s[4:5], s[0:1]
	s_cbranch_execz .LBB229_60
; %bb.57:
	s_andn2_b64 vcc, exec, s[8:9]
	s_cbranch_vccnz .LBB229_60
; %bb.58:
	v_mad_i64_i32 v[2:3], s[0:1], s13, v0, 0
	v_mov_b32_e32 v1, 0x3100
	v_lshl_add_u64 v[2:3], v[2:3], 4, s[2:3]
	v_lshl_add_u32 v0, v0, 4, v1
.LBB229_59:                             ; =>This Inner Loop Header: Depth=1
	ds_read2_b64 v[4:7], v0 offset1:1
	s_add_i32 s24, s24, -1
	v_add_u32_e32 v0, 0x1c0, v0
	s_cmp_lg_u32 s24, 0
	s_waitcnt lgkmcnt(0)
	flat_store_dwordx4 v[2:3], v[4:7]
	v_lshl_add_u64 v[2:3], v[2:3], 0, 16
	s_cbranch_scc1 .LBB229_59
.LBB229_60:
	s_endpgm
	.section	.rodata,"a",@progbits
	.p2align	6, 0x0
	.amdhsa_kernel _ZL38rocblas_trsm_small_left_device_sharedBILi28ELi28ELb0E19rocblas_complex_numIdES1_PKPKS1_PKPS1_Ev13rocblas_fill_18rocblas_operation_17rocblas_diagonal_iiT3_T4_lilT5_lili
		.amdhsa_group_segment_fixed_size 25088
		.amdhsa_private_segment_fixed_size 464
		.amdhsa_kernarg_size 368
		.amdhsa_user_sgpr_count 2
		.amdhsa_user_sgpr_dispatch_ptr 0
		.amdhsa_user_sgpr_queue_ptr 0
		.amdhsa_user_sgpr_kernarg_segment_ptr 1
		.amdhsa_user_sgpr_dispatch_id 0
		.amdhsa_user_sgpr_kernarg_preload_length 0
		.amdhsa_user_sgpr_kernarg_preload_offset 0
		.amdhsa_user_sgpr_private_segment_size 0
		.amdhsa_uses_dynamic_stack 0
		.amdhsa_enable_private_segment 1
		.amdhsa_system_sgpr_workgroup_id_x 1
		.amdhsa_system_sgpr_workgroup_id_y 0
		.amdhsa_system_sgpr_workgroup_id_z 1
		.amdhsa_system_sgpr_workgroup_info 0
		.amdhsa_system_vgpr_workitem_id 0
		.amdhsa_next_free_vgpr 169
		.amdhsa_next_free_sgpr 96
		.amdhsa_accum_offset 20
		.amdhsa_reserve_vcc 1
		.amdhsa_float_round_mode_32 0
		.amdhsa_float_round_mode_16_64 0
		.amdhsa_float_denorm_mode_32 3
		.amdhsa_float_denorm_mode_16_64 3
		.amdhsa_dx10_clamp 1
		.amdhsa_ieee_mode 1
		.amdhsa_fp16_overflow 0
		.amdhsa_tg_split 0
		.amdhsa_exception_fp_ieee_invalid_op 0
		.amdhsa_exception_fp_denorm_src 0
		.amdhsa_exception_fp_ieee_div_zero 0
		.amdhsa_exception_fp_ieee_overflow 0
		.amdhsa_exception_fp_ieee_underflow 0
		.amdhsa_exception_fp_ieee_inexact 0
		.amdhsa_exception_int_div_zero 0
	.end_amdhsa_kernel
	.section	.text._ZL38rocblas_trsm_small_left_device_sharedBILi28ELi28ELb0E19rocblas_complex_numIdES1_PKPKS1_PKPS1_Ev13rocblas_fill_18rocblas_operation_17rocblas_diagonal_iiT3_T4_lilT5_lili,"axG",@progbits,_ZL38rocblas_trsm_small_left_device_sharedBILi28ELi28ELb0E19rocblas_complex_numIdES1_PKPKS1_PKPS1_Ev13rocblas_fill_18rocblas_operation_17rocblas_diagonal_iiT3_T4_lilT5_lili,comdat
.Lfunc_end229:
	.size	_ZL38rocblas_trsm_small_left_device_sharedBILi28ELi28ELb0E19rocblas_complex_numIdES1_PKPKS1_PKPS1_Ev13rocblas_fill_18rocblas_operation_17rocblas_diagonal_iiT3_T4_lilT5_lili, .Lfunc_end229-_ZL38rocblas_trsm_small_left_device_sharedBILi28ELi28ELb0E19rocblas_complex_numIdES1_PKPKS1_PKPS1_Ev13rocblas_fill_18rocblas_operation_17rocblas_diagonal_iiT3_T4_lilT5_lili
                                        ; -- End function
	.set _ZL38rocblas_trsm_small_left_device_sharedBILi28ELi28ELb0E19rocblas_complex_numIdES1_PKPKS1_PKPS1_Ev13rocblas_fill_18rocblas_operation_17rocblas_diagonal_iiT3_T4_lilT5_lili.num_vgpr, 18
	.set _ZL38rocblas_trsm_small_left_device_sharedBILi28ELi28ELb0E19rocblas_complex_numIdES1_PKPKS1_PKPS1_Ev13rocblas_fill_18rocblas_operation_17rocblas_diagonal_iiT3_T4_lilT5_lili.num_agpr, 0
	.set _ZL38rocblas_trsm_small_left_device_sharedBILi28ELi28ELb0E19rocblas_complex_numIdES1_PKPKS1_PKPS1_Ev13rocblas_fill_18rocblas_operation_17rocblas_diagonal_iiT3_T4_lilT5_lili.numbered_sgpr, 28
	.set _ZL38rocblas_trsm_small_left_device_sharedBILi28ELi28ELb0E19rocblas_complex_numIdES1_PKPKS1_PKPS1_Ev13rocblas_fill_18rocblas_operation_17rocblas_diagonal_iiT3_T4_lilT5_lili.num_named_barrier, 0
	.set _ZL38rocblas_trsm_small_left_device_sharedBILi28ELi28ELb0E19rocblas_complex_numIdES1_PKPKS1_PKPS1_Ev13rocblas_fill_18rocblas_operation_17rocblas_diagonal_iiT3_T4_lilT5_lili.private_seg_size, 464
	.set _ZL38rocblas_trsm_small_left_device_sharedBILi28ELi28ELb0E19rocblas_complex_numIdES1_PKPKS1_PKPS1_Ev13rocblas_fill_18rocblas_operation_17rocblas_diagonal_iiT3_T4_lilT5_lili.uses_vcc, 1
	.set _ZL38rocblas_trsm_small_left_device_sharedBILi28ELi28ELb0E19rocblas_complex_numIdES1_PKPKS1_PKPS1_Ev13rocblas_fill_18rocblas_operation_17rocblas_diagonal_iiT3_T4_lilT5_lili.uses_flat_scratch, 0
	.set _ZL38rocblas_trsm_small_left_device_sharedBILi28ELi28ELb0E19rocblas_complex_numIdES1_PKPKS1_PKPS1_Ev13rocblas_fill_18rocblas_operation_17rocblas_diagonal_iiT3_T4_lilT5_lili.has_dyn_sized_stack, 0
	.set _ZL38rocblas_trsm_small_left_device_sharedBILi28ELi28ELb0E19rocblas_complex_numIdES1_PKPKS1_PKPS1_Ev13rocblas_fill_18rocblas_operation_17rocblas_diagonal_iiT3_T4_lilT5_lili.has_recursion, 0
	.set _ZL38rocblas_trsm_small_left_device_sharedBILi28ELi28ELb0E19rocblas_complex_numIdES1_PKPKS1_PKPS1_Ev13rocblas_fill_18rocblas_operation_17rocblas_diagonal_iiT3_T4_lilT5_lili.has_indirect_call, 0
	.section	.AMDGPU.csdata,"",@progbits
; Kernel info:
; codeLenInByte = 2456
; TotalNumSgprs: 34
; NumVgprs: 18
; NumAgprs: 0
; TotalNumVgprs: 18
; ScratchSize: 464
; MemoryBound: 0
; FloatMode: 240
; IeeeMode: 1
; LDSByteSize: 25088 bytes/workgroup (compile time only)
; SGPRBlocks: 12
; VGPRBlocks: 21
; NumSGPRsForWavesPerEU: 102
; NumVGPRsForWavesPerEU: 169
; AccumOffset: 20
; Occupancy: 2
; WaveLimiterHint : 0
; COMPUTE_PGM_RSRC2:SCRATCH_EN: 1
; COMPUTE_PGM_RSRC2:USER_SGPR: 2
; COMPUTE_PGM_RSRC2:TRAP_HANDLER: 0
; COMPUTE_PGM_RSRC2:TGID_X_EN: 1
; COMPUTE_PGM_RSRC2:TGID_Y_EN: 0
; COMPUTE_PGM_RSRC2:TGID_Z_EN: 1
; COMPUTE_PGM_RSRC2:TIDIG_COMP_CNT: 0
; COMPUTE_PGM_RSRC3_GFX90A:ACCUM_OFFSET: 4
; COMPUTE_PGM_RSRC3_GFX90A:TG_SPLIT: 0
	.section	.text._ZL30rocblas_trsm_small_left_deviceILi28ELi28ELb0E19rocblas_complex_numIdES1_PKPKS1_PKPS1_Ev13rocblas_fill_18rocblas_operation_17rocblas_diagonal_iiT3_T4_lilT5_lili,"axG",@progbits,_ZL30rocblas_trsm_small_left_deviceILi28ELi28ELb0E19rocblas_complex_numIdES1_PKPKS1_PKPS1_Ev13rocblas_fill_18rocblas_operation_17rocblas_diagonal_iiT3_T4_lilT5_lili,comdat
	.globl	_ZL30rocblas_trsm_small_left_deviceILi28ELi28ELb0E19rocblas_complex_numIdES1_PKPKS1_PKPS1_Ev13rocblas_fill_18rocblas_operation_17rocblas_diagonal_iiT3_T4_lilT5_lili ; -- Begin function _ZL30rocblas_trsm_small_left_deviceILi28ELi28ELb0E19rocblas_complex_numIdES1_PKPKS1_PKPS1_Ev13rocblas_fill_18rocblas_operation_17rocblas_diagonal_iiT3_T4_lilT5_lili
	.p2align	8
	.type	_ZL30rocblas_trsm_small_left_deviceILi28ELi28ELb0E19rocblas_complex_numIdES1_PKPKS1_PKPS1_Ev13rocblas_fill_18rocblas_operation_17rocblas_diagonal_iiT3_T4_lilT5_lili,@function
_ZL30rocblas_trsm_small_left_deviceILi28ELi28ELb0E19rocblas_complex_numIdES1_PKPKS1_PKPS1_Ev13rocblas_fill_18rocblas_operation_17rocblas_diagonal_iiT3_T4_lilT5_lili: ; @_ZL30rocblas_trsm_small_left_deviceILi28ELi28ELb0E19rocblas_complex_numIdES1_PKPKS1_PKPS1_Ev13rocblas_fill_18rocblas_operation_17rocblas_diagonal_iiT3_T4_lilT5_lili
; %bb.0:
	s_load_dwordx4 s[12:15], s[0:1], 0x4
	s_load_dwordx4 s[16:19], s[0:1], 0x48
	s_load_dwordx8 s[4:11], s[0:1], 0x18
	s_mov_b32 s20, s3
	s_mov_b32 s21, 0
	s_lshl_b64 s[22:23], s[20:21], 3
	s_waitcnt lgkmcnt(0)
	s_add_u32 s16, s16, s22
	s_addc_u32 s17, s17, s23
	s_load_dword s3, s[0:1], 0x70
	s_min_i32 s24, s14, 28
	s_load_dwordx2 s[16:17], s[16:17], 0x0
	v_cmp_gt_i32_e32 vcc, s24, v0
	s_and_saveexec_b64 s[20:21], vcc
	s_cbranch_execz .LBB230_11
; %bb.1:
	s_load_dword s26, s[0:1], 0x38
	v_lshlrev_b32_e32 v2, 4, v0
	v_mov_b32_e32 v3, 0
	v_mov_b32_e32 v1, v2
	s_waitcnt lgkmcnt(0)
	s_ashr_i32 s27, s26, 31
	s_cmpk_eq_i32 s12, 0x71
	s_cselect_b64 vcc, -1, 0
	s_add_u32 s8, s8, s22
	s_addc_u32 s9, s9, s23
	s_load_dwordx2 s[8:9], s[8:9], 0x0
	s_lshl_b64 s[10:11], s[10:11], 4
	s_waitcnt lgkmcnt(0)
	s_add_u32 s10, s8, s10
	s_addc_u32 s11, s9, s11
	s_lshl_b64 s[8:9], s[26:27], 4
	v_lshl_add_u64 v[4:5], s[10:11], 0, v[2:3]
	s_mov_b32 s10, s24
.LBB230_2:                              ; =>This Inner Loop Header: Depth=1
	flat_load_dwordx4 v[6:9], v[4:5]
	s_add_i32 s10, s10, -1
	v_lshl_add_u64 v[4:5], v[4:5], 0, s[8:9]
	s_cmp_eq_u32 s10, 0
	s_waitcnt vmcnt(0) lgkmcnt(0)
	v_xor_b32_e32 v3, 0x80000000, v9
	v_cndmask_b32_e32 v9, v9, v3, vcc
	ds_write_b128 v1, v[6:9]
	v_add_u32_e32 v1, 0x1c0, v1
	s_cbranch_scc0 .LBB230_2
; %bb.3:
	v_mul_u32_u24_e32 v1, 0x1c0, v0
	s_cmpk_lg_i32 s13, 0x84
	v_add_u32_e32 v1, v2, v1
	s_cbranch_scc0 .LBB230_9
; %bb.4:
	ds_read_b128 v[2:5], v1
                                        ; implicit-def: $vgpr8_vgpr9
	s_waitcnt lgkmcnt(0)
	v_cmp_ngt_f64_e64 s[8:9], |v[2:3]|, |v[4:5]|
	s_and_saveexec_b64 s[10:11], s[8:9]
	s_xor_b64 s[8:9], exec, s[10:11]
	s_cbranch_execz .LBB230_6
; %bb.5:
	v_div_scale_f64 v[6:7], s[10:11], v[4:5], v[4:5], v[2:3]
	v_rcp_f64_e32 v[8:9], v[6:7]
	v_div_scale_f64 v[10:11], vcc, v[2:3], v[4:5], v[2:3]
	v_fma_f64 v[12:13], -v[6:7], v[8:9], 1.0
	v_fmac_f64_e32 v[8:9], v[8:9], v[12:13]
	v_fma_f64 v[12:13], -v[6:7], v[8:9], 1.0
	v_fmac_f64_e32 v[8:9], v[8:9], v[12:13]
	v_mul_f64 v[12:13], v[10:11], v[8:9]
	v_fma_f64 v[6:7], -v[6:7], v[12:13], v[10:11]
	v_div_fmas_f64 v[6:7], v[6:7], v[8:9], v[12:13]
	v_div_fixup_f64 v[8:9], v[6:7], v[4:5], v[2:3]
	v_fmac_f64_e32 v[4:5], v[2:3], v[8:9]
	v_div_scale_f64 v[2:3], s[10:11], v[4:5], v[4:5], 1.0
	v_rcp_f64_e32 v[6:7], v[2:3]
	s_nop 0
	v_fma_f64 v[10:11], -v[2:3], v[6:7], 1.0
	v_fmac_f64_e32 v[6:7], v[6:7], v[10:11]
	v_fma_f64 v[10:11], -v[2:3], v[6:7], 1.0
	v_fmac_f64_e32 v[6:7], v[6:7], v[10:11]
	v_div_scale_f64 v[10:11], vcc, 1.0, v[4:5], 1.0
	v_mul_f64 v[12:13], v[10:11], v[6:7]
	v_fma_f64 v[2:3], -v[2:3], v[12:13], v[10:11]
	s_nop 1
	v_div_fmas_f64 v[2:3], v[2:3], v[6:7], v[12:13]
	v_div_fixup_f64 v[2:3], v[2:3], v[4:5], 1.0
	v_add_f64 v[4:5], v[8:9], 0
	v_mul_f64 v[6:7], v[4:5], v[2:3]
	v_fma_f64 v[4:5], v[8:9], 0, -1.0
	v_mul_f64 v[8:9], v[4:5], v[2:3]
                                        ; implicit-def: $vgpr2_vgpr3
.LBB230_6:
	s_andn2_saveexec_b64 s[8:9], s[8:9]
	s_cbranch_execz .LBB230_8
; %bb.7:
	v_div_scale_f64 v[6:7], s[10:11], v[2:3], v[2:3], v[4:5]
	v_rcp_f64_e32 v[8:9], v[6:7]
	v_div_scale_f64 v[10:11], vcc, v[4:5], v[2:3], v[4:5]
	v_fma_f64 v[12:13], -v[6:7], v[8:9], 1.0
	v_fmac_f64_e32 v[8:9], v[8:9], v[12:13]
	v_fma_f64 v[12:13], -v[6:7], v[8:9], 1.0
	v_fmac_f64_e32 v[8:9], v[8:9], v[12:13]
	v_mul_f64 v[12:13], v[10:11], v[8:9]
	v_fma_f64 v[6:7], -v[6:7], v[12:13], v[10:11]
	v_div_fmas_f64 v[6:7], v[6:7], v[8:9], v[12:13]
	v_div_fixup_f64 v[8:9], v[6:7], v[2:3], v[4:5]
	v_fmac_f64_e32 v[2:3], v[4:5], v[8:9]
	v_div_scale_f64 v[4:5], s[10:11], v[2:3], v[2:3], 1.0
	v_rcp_f64_e32 v[6:7], v[4:5]
	s_nop 0
	v_fma_f64 v[10:11], -v[4:5], v[6:7], 1.0
	v_fmac_f64_e32 v[6:7], v[6:7], v[10:11]
	v_fma_f64 v[10:11], -v[4:5], v[6:7], 1.0
	v_fmac_f64_e32 v[6:7], v[6:7], v[10:11]
	v_div_scale_f64 v[10:11], vcc, 1.0, v[2:3], 1.0
	v_mul_f64 v[12:13], v[10:11], v[6:7]
	v_fma_f64 v[4:5], -v[4:5], v[12:13], v[10:11]
	s_nop 1
	v_div_fmas_f64 v[4:5], v[4:5], v[6:7], v[12:13]
	v_div_fixup_f64 v[2:3], v[4:5], v[2:3], 1.0
	v_fma_f64 v[4:5], v[8:9], 0, 1.0
	v_mul_f64 v[6:7], v[4:5], v[2:3]
	v_add_f64 v[4:5], -v[8:9], 0
	v_mul_f64 v[8:9], v[4:5], v[2:3]
.LBB230_8:
	s_or_b64 exec, exec, s[8:9]
	s_branch .LBB230_10
.LBB230_9:
	v_mov_b64_e32 v[8:9], 0
	v_mov_b64_e32 v[6:7], 1.0
.LBB230_10:
	ds_write_b128 v1, v[6:9]
.LBB230_11:
	s_or_b64 exec, exec, s[20:21]
	s_mul_i32 s8, s2, 0xffffffe4
	s_waitcnt lgkmcnt(0)
	s_add_i32 s3, s3, -1
	s_add_i32 s8, s15, s8
	s_cmp_ge_u32 s2, s3
	s_cselect_b32 s3, s8, 28
	v_cmp_gt_i32_e32 vcc, s3, v0
	; wave barrier
	s_and_saveexec_b64 s[8:9], vcc
	s_cbranch_execz .LBB230_54
; %bb.12:
	s_load_dword s10, s[0:1], 0x58
	s_lshl_b64 s[0:1], s[18:19], 4
	s_add_u32 s8, s16, s0
	v_mad_u64_u32 v[0:1], s[2:3], s2, 28, v[0:1]
	s_addc_u32 s9, s17, s1
	s_waitcnt lgkmcnt(0)
	v_mad_i64_i32 v[6:7], s[2:3], s10, v0, 0
	v_lshl_add_u64 v[4:5], v[6:7], 4, s[8:9]
	s_cmpk_eq_i32 s12, 0x6f
	s_mov_b64 s[2:3], -1
	s_cbranch_scc1 .LBB230_34
; %bb.13:
	s_add_u32 s2, s16, s0
	s_addc_u32 s3, s17, s1
	v_lshl_add_u64 v[8:9], v[6:7], 4, s[2:3]
	s_mov_b32 s3, 0
	s_mov_b32 s8, s3
	;; [unrolled: 1-line block ×3, first 2 shown]
	s_branch .LBB230_15
.LBB230_14:                             ;   in Loop: Header=BB230_15 Depth=1
	s_cmp_ge_i32 s10, s24
	s_cselect_b64 s[12:13], -1, 0
	s_add_i32 s8, s8, 1
	s_cmp_eq_u32 s8, 3
	s_cselect_b64 s[14:15], -1, 0
	s_or_b64 s[12:13], s[12:13], s[14:15]
	s_andn2_b64 vcc, exec, s[12:13]
	s_cbranch_vccz .LBB230_33
.LBB230_15:                             ; =>This Loop Header: Depth=1
                                        ;     Child Loop BB230_18 Depth 2
                                        ;       Child Loop BB230_19 Depth 3
                                        ;       Child Loop BB230_22 Depth 3
                                        ;         Child Loop BB230_23 Depth 4
                                        ;       Child Loop BB230_27 Depth 3
                                        ;         Child Loop BB230_29 Depth 4
	s_mov_b32 s9, s3
	s_lshl_b64 s[12:13], s[8:9], 2
	s_getpc_b64 s[14:15]
	s_add_u32 s14, s14, __const._ZL30rocblas_trsm_small_left_deviceILi28ELi28ELb0E19rocblas_complex_numIdES1_PKPKS1_PKPS1_Ev13rocblas_fill_18rocblas_operation_17rocblas_diagonal_iiT3_T4_lilT5_lili.step_sizes@rel32@lo+4
	s_addc_u32 s15, s15, __const._ZL30rocblas_trsm_small_left_deviceILi28ELi28ELb0E19rocblas_complex_numIdES1_PKPKS1_PKPS1_Ev13rocblas_fill_18rocblas_operation_17rocblas_diagonal_iiT3_T4_lilT5_lili.step_sizes@rel32@hi+12
	s_add_u32 s12, s14, s12
	s_addc_u32 s13, s15, s13
	s_load_dword s12, s[12:13], 0x0
	s_waitcnt lgkmcnt(0)
	s_add_i32 s9, s12, -1
	s_add_i32 s2, s9, s10
	s_cmp_ge_i32 s2, s24
	s_cbranch_scc1 .LBB230_14
; %bb.16:                               ;   in Loop: Header=BB230_15 Depth=1
	s_ashr_i32 s11, s10, 31
	s_ashr_i32 s13, s12, 31
	s_max_i32 s22, s12, 1
	v_lshl_add_u64 v[10:11], s[10:11], 4, v[8:9]
	s_lshl_b64 s[14:15], s[12:13], 4
	s_mul_i32 s11, s10, 0x1c0
	s_mul_i32 s13, s12, 0x1c0
	;; [unrolled: 1-line block ×4, first 2 shown]
	s_branch .LBB230_18
.LBB230_17:                             ;   in Loop: Header=BB230_18 Depth=2
	s_add_i32 s10, s10, s12
	s_add_i32 s2, s9, s10
	;; [unrolled: 1-line block ×4, first 2 shown]
	s_cmp_ge_i32 s2, s24
	v_lshl_add_u64 v[10:11], v[10:11], 0, s[14:15]
	s_cbranch_scc1 .LBB230_14
.LBB230_18:                             ;   Parent Loop BB230_15 Depth=1
                                        ; =>  This Loop Header: Depth=2
                                        ;       Child Loop BB230_19 Depth 3
                                        ;       Child Loop BB230_22 Depth 3
                                        ;         Child Loop BB230_23 Depth 4
                                        ;       Child Loop BB230_27 Depth 3
                                        ;         Child Loop BB230_29 Depth 4
	s_mov_b32 s2, 0
	v_mov_b64_e32 v[0:1], v[10:11]
	s_mov_b32 s18, s22
.LBB230_19:                             ;   Parent Loop BB230_15 Depth=1
                                        ;     Parent Loop BB230_18 Depth=2
                                        ; =>    This Inner Loop Header: Depth=3
	flat_load_dwordx4 v[12:15], v[0:1]
	s_add_i32 s18, s18, -1
	v_lshl_add_u64 v[0:1], v[0:1], 0, 16
	s_waitcnt vmcnt(0) lgkmcnt(0)
	v_mul_f64 v[2:3], s[6:7], v[14:15]
	v_mul_f64 v[16:17], s[4:5], v[14:15]
	v_fma_f64 v[14:15], s[4:5], v[12:13], -v[2:3]
	v_fmac_f64_e32 v[16:17], s[6:7], v[12:13]
	scratch_store_dwordx4 off, v[14:17], s2
	s_add_i32 s2, s2, 16
	s_cmp_eq_u32 s18, 0
	s_cbranch_scc0 .LBB230_19
; %bb.20:                               ;   in Loop: Header=BB230_18 Depth=2
	s_cmp_lt_i32 s10, 1
	s_cbranch_scc1 .LBB230_25
; %bb.21:                               ;   in Loop: Header=BB230_18 Depth=2
	s_mov_b32 s2, 0
	s_mov_b32 s18, s11
.LBB230_22:                             ;   Parent Loop BB230_15 Depth=1
                                        ;     Parent Loop BB230_18 Depth=2
                                        ; =>    This Loop Header: Depth=3
                                        ;         Child Loop BB230_23 Depth 4
	v_lshl_add_u64 v[0:1], s[2:3], 4, v[4:5]
	flat_load_dwordx4 v[0:3], v[0:1]
	s_mov_b32 s19, 0
	s_mov_b32 s20, s18
	;; [unrolled: 1-line block ×3, first 2 shown]
.LBB230_23:                             ;   Parent Loop BB230_15 Depth=1
                                        ;     Parent Loop BB230_18 Depth=2
                                        ;       Parent Loop BB230_22 Depth=3
                                        ; =>      This Inner Loop Header: Depth=4
	scratch_load_dwordx4 v[12:15], off, s19
	v_mov_b32_e32 v16, s20
	ds_read_b128 v[16:19], v16
	s_add_i32 s21, s21, -1
	s_addk_i32 s20, 0x1c0
	s_waitcnt vmcnt(0) lgkmcnt(0)
	v_mul_f64 v[20:21], v[2:3], v[18:19]
	v_mul_f64 v[18:19], v[0:1], v[18:19]
	v_fma_f64 v[20:21], v[0:1], v[16:17], -v[20:21]
	v_fmac_f64_e32 v[18:19], v[2:3], v[16:17]
	v_add_f64 v[12:13], v[12:13], -v[20:21]
	v_add_f64 v[14:15], v[14:15], -v[18:19]
	scratch_store_dwordx4 off, v[12:15], s19
	s_add_i32 s19, s19, 16
	s_cmp_eq_u32 s21, 0
	s_cbranch_scc0 .LBB230_23
; %bb.24:                               ;   in Loop: Header=BB230_22 Depth=3
	s_add_i32 s2, s2, 1
	s_add_i32 s18, s18, 16
	s_cmp_eq_u32 s2, s10
	s_cbranch_scc0 .LBB230_22
.LBB230_25:                             ;   in Loop: Header=BB230_18 Depth=2
	s_mov_b32 s2, 0
	s_mov_b32 s26, s23
	s_branch .LBB230_27
.LBB230_26:                             ;   in Loop: Header=BB230_27 Depth=3
	s_mul_i32 s19, s18, 0x1d0
	v_mov_b32_e32 v12, s19
	ds_read_b128 v[12:15], v12
	s_lshl_b32 s19, s2, 4
	s_add_i32 s2, s2, 1
	s_addk_i32 s26, 0x1c0
	s_waitcnt vmcnt(0) lgkmcnt(0)
	v_mul_f64 v[16:17], v[14:15], v[2:3]
	v_mul_f64 v[18:19], v[12:13], v[2:3]
	v_fma_f64 v[16:17], v[12:13], v[0:1], -v[16:17]
	v_fmac_f64_e32 v[18:19], v[14:15], v[0:1]
	scratch_store_dwordx4 off, v[16:19], s19
	s_ashr_i32 s19, s18, 31
	v_lshl_add_u64 v[0:1], s[18:19], 4, v[4:5]
	s_cmp_eq_u32 s2, s22
	flat_store_dwordx4 v[0:1], v[16:19]
	s_cbranch_scc1 .LBB230_17
.LBB230_27:                             ;   Parent Loop BB230_15 Depth=1
                                        ;     Parent Loop BB230_18 Depth=2
                                        ; =>    This Loop Header: Depth=3
                                        ;         Child Loop BB230_29 Depth 4
	s_cmp_lg_u32 s2, 0
	s_cbranch_scc0 .LBB230_31
; %bb.28:                               ;   in Loop: Header=BB230_27 Depth=3
	s_lshl_b32 s19, s2, 4
	scratch_load_dwordx4 v[0:3], off, s19
	s_add_i32 s18, s2, s10
	s_mov_b32 s20, 0
	s_mov_b32 s21, s26
	s_mov_b32 s27, s2
.LBB230_29:                             ;   Parent Loop BB230_15 Depth=1
                                        ;     Parent Loop BB230_18 Depth=2
                                        ;       Parent Loop BB230_27 Depth=3
                                        ; =>      This Inner Loop Header: Depth=4
	scratch_load_dwordx4 v[12:15], off, s20
	v_mov_b32_e32 v16, s21
	ds_read_b128 v[16:19], v16
	s_add_i32 s27, s27, -1
	s_add_i32 s20, s20, 16
	s_add_i32 s21, s21, 16
	s_cmp_eq_u32 s27, 0
	s_waitcnt vmcnt(0) lgkmcnt(0)
	v_mul_f64 v[20:21], v[18:19], v[14:15]
	v_mul_f64 v[14:15], v[16:17], v[14:15]
	v_fma_f64 v[16:17], v[16:17], v[12:13], -v[20:21]
	v_fmac_f64_e32 v[14:15], v[18:19], v[12:13]
	v_add_f64 v[0:1], v[0:1], -v[16:17]
	v_add_f64 v[2:3], v[2:3], -v[14:15]
	scratch_store_dwordx4 off, v[0:3], s19
	s_cbranch_scc0 .LBB230_29
; %bb.30:                               ;   in Loop: Header=BB230_27 Depth=3
	s_branch .LBB230_26
.LBB230_31:                             ;   in Loop: Header=BB230_27 Depth=3
                                        ; implicit-def: $vgpr0_vgpr1
                                        ; implicit-def: $sgpr18
	s_cbranch_execz .LBB230_26
; %bb.32:                               ;   in Loop: Header=BB230_27 Depth=3
	scratch_load_dwordx4 v[0:3], off, off
	s_mov_b32 s18, s10
	s_branch .LBB230_26
.LBB230_33:
	s_mov_b64 s[2:3], 0
.LBB230_34:
	s_and_b64 vcc, exec, s[2:3]
	s_cbranch_vccz .LBB230_54
; %bb.35:
	s_add_i32 s14, s24, -1
	s_add_u32 s0, s16, s0
	s_addc_u32 s1, s17, s1
	v_lshl_add_u64 v[6:7], v[6:7], 4, s[0:1]
	s_mul_i32 s15, s24, 0x1c0
	s_mov_b32 s1, 0
	s_addk_i32 s15, 0xfe40
	s_mov_b32 s2, s14
	s_mov_b32 s0, s1
	s_branch .LBB230_37
.LBB230_36:                             ;   in Loop: Header=BB230_37 Depth=1
	s_cmp_lt_i32 s2, 0
	s_cselect_b64 s[8:9], -1, 0
	s_add_i32 s0, s0, 1
	s_cmp_eq_u32 s0, 3
	s_cselect_b64 s[10:11], -1, 0
	s_or_b64 s[8:9], s[8:9], s[10:11]
	s_and_b64 vcc, exec, s[8:9]
	s_cbranch_vccnz .LBB230_54
.LBB230_37:                             ; =>This Loop Header: Depth=1
                                        ;     Child Loop BB230_40 Depth 2
                                        ;       Child Loop BB230_41 Depth 3
                                        ;       Child Loop BB230_43 Depth 3
                                        ;         Child Loop BB230_44 Depth 4
                                        ;       Child Loop BB230_48 Depth 3
                                        ;         Child Loop BB230_50 Depth 4
	s_lshl_b64 s[8:9], s[0:1], 2
	s_getpc_b64 s[10:11]
	s_add_u32 s10, s10, __const._ZL30rocblas_trsm_small_left_deviceILi28ELi28ELb0E19rocblas_complex_numIdES1_PKPKS1_PKPS1_Ev13rocblas_fill_18rocblas_operation_17rocblas_diagonal_iiT3_T4_lilT5_lili.step_sizes@rel32@lo+4
	s_addc_u32 s11, s11, __const._ZL30rocblas_trsm_small_left_deviceILi28ELi28ELb0E19rocblas_complex_numIdES1_PKPKS1_PKPS1_Ev13rocblas_fill_18rocblas_operation_17rocblas_diagonal_iiT3_T4_lilT5_lili.step_sizes@rel32@hi+12
	s_add_u32 s8, s10, s8
	s_addc_u32 s9, s11, s9
	s_load_dword s16, s[8:9], 0x0
	s_waitcnt lgkmcnt(0)
	s_add_i32 s17, s16, -1
	s_cmp_lt_i32 s2, s17
	s_cbranch_scc1 .LBB230_36
; %bb.38:                               ;   in Loop: Header=BB230_37 Depth=1
	s_lshl_b32 s3, s2, 4
	s_add_i32 s19, s15, s3
	s_lshl_b32 s3, s16, 4
	s_max_i32 s18, s16, 1
	s_sub_i32 s20, 0, s3
	s_mul_i32 s21, s2, 0x1d0
	s_mul_i32 s22, s16, 0xfffffe30
	s_branch .LBB230_40
.LBB230_39:                             ;   in Loop: Header=BB230_40 Depth=2
	s_sub_i32 s2, s2, s16
	s_add_i32 s19, s19, s20
	s_add_i32 s21, s21, s22
	s_cmp_lt_i32 s2, s17
	s_cbranch_scc1 .LBB230_36
.LBB230_40:                             ;   Parent Loop BB230_37 Depth=1
                                        ; =>  This Loop Header: Depth=2
                                        ;       Child Loop BB230_41 Depth 3
                                        ;       Child Loop BB230_43 Depth 3
                                        ;         Child Loop BB230_44 Depth 4
                                        ;       Child Loop BB230_48 Depth 3
                                        ;         Child Loop BB230_50 Depth 4
	s_ashr_i32 s3, s2, 31
	v_lshl_add_u64 v[0:1], s[2:3], 4, v[6:7]
	s_mov_b32 s8, 0
	s_mov_b32 s9, s18
.LBB230_41:                             ;   Parent Loop BB230_37 Depth=1
                                        ;     Parent Loop BB230_40 Depth=2
                                        ; =>    This Inner Loop Header: Depth=3
	flat_load_dwordx4 v[8:11], v[0:1]
	s_add_i32 s9, s9, -1
	v_lshl_add_u64 v[0:1], v[0:1], 0, -16
	s_waitcnt vmcnt(0) lgkmcnt(0)
	v_mul_f64 v[2:3], s[6:7], v[10:11]
	v_mul_f64 v[12:13], s[4:5], v[10:11]
	v_fma_f64 v[10:11], s[4:5], v[8:9], -v[2:3]
	v_fmac_f64_e32 v[12:13], s[6:7], v[8:9]
	scratch_store_dwordx4 off, v[10:13], s8
	s_add_i32 s8, s8, 16
	s_cmp_eq_u32 s9, 0
	s_cbranch_scc0 .LBB230_41
; %bb.42:                               ;   in Loop: Header=BB230_40 Depth=2
	s_cmp_le_i32 s14, s2
	s_mov_b32 s10, s19
	s_mov_b32 s8, s14
	s_cbranch_scc1 .LBB230_46
.LBB230_43:                             ;   Parent Loop BB230_37 Depth=1
                                        ;     Parent Loop BB230_40 Depth=2
                                        ; =>    This Loop Header: Depth=3
                                        ;         Child Loop BB230_44 Depth 4
	s_ashr_i32 s9, s8, 31
	v_lshl_add_u64 v[0:1], s[8:9], 4, v[4:5]
	flat_load_dwordx4 v[0:3], v[0:1]
	s_mov_b32 s9, 0
	s_mov_b32 s11, s10
	;; [unrolled: 1-line block ×3, first 2 shown]
.LBB230_44:                             ;   Parent Loop BB230_37 Depth=1
                                        ;     Parent Loop BB230_40 Depth=2
                                        ;       Parent Loop BB230_43 Depth=3
                                        ; =>      This Inner Loop Header: Depth=4
	scratch_load_dwordx4 v[8:11], off, s9
	v_mov_b32_e32 v12, s11
	ds_read_b128 v[12:15], v12
	s_add_i32 s12, s12, -1
	s_add_i32 s11, s11, -16
	s_waitcnt vmcnt(0) lgkmcnt(0)
	v_mul_f64 v[16:17], v[2:3], v[14:15]
	v_mul_f64 v[14:15], v[0:1], v[14:15]
	v_fma_f64 v[16:17], v[0:1], v[12:13], -v[16:17]
	v_fmac_f64_e32 v[14:15], v[2:3], v[12:13]
	v_add_f64 v[8:9], v[8:9], -v[16:17]
	v_add_f64 v[10:11], v[10:11], -v[14:15]
	scratch_store_dwordx4 off, v[8:11], s9
	s_add_i32 s9, s9, 16
	s_cmp_eq_u32 s12, 0
	s_cbranch_scc0 .LBB230_44
; %bb.45:                               ;   in Loop: Header=BB230_43 Depth=3
	s_add_i32 s8, s8, -1
	s_addk_i32 s10, 0xfe40
	s_cmp_le_i32 s8, s2
	s_cbranch_scc0 .LBB230_43
.LBB230_46:                             ;   in Loop: Header=BB230_40 Depth=2
	s_mov_b32 s23, 0
	s_mov_b32 s24, s21
	s_branch .LBB230_48
.LBB230_47:                             ;   in Loop: Header=BB230_48 Depth=3
	s_mulk_i32 s10, 0x1d0
	v_mov_b32_e32 v8, s10
	ds_read_b128 v[8:11], v8
	s_lshl_b32 s10, s23, 4
	s_add_i32 s23, s23, 1
	s_add_i32 s24, s24, -16
	s_cmp_eq_u32 s23, s18
	s_waitcnt vmcnt(0) lgkmcnt(0)
	v_mul_f64 v[12:13], v[10:11], v[2:3]
	v_mul_f64 v[14:15], v[8:9], v[2:3]
	v_fma_f64 v[12:13], v[8:9], v[0:1], -v[12:13]
	v_fmac_f64_e32 v[14:15], v[10:11], v[0:1]
	v_lshl_add_u64 v[0:1], s[8:9], 4, v[4:5]
	scratch_store_dwordx4 off, v[12:15], s10
	flat_store_dwordx4 v[0:1], v[12:15]
	s_cbranch_scc1 .LBB230_39
.LBB230_48:                             ;   Parent Loop BB230_37 Depth=1
                                        ;     Parent Loop BB230_40 Depth=2
                                        ; =>    This Loop Header: Depth=3
                                        ;         Child Loop BB230_50 Depth 4
	s_cmp_lg_u32 s23, 0
	s_cbranch_scc0 .LBB230_52
; %bb.49:                               ;   in Loop: Header=BB230_48 Depth=3
	s_lshl_b32 s8, s23, 4
	scratch_load_dwordx4 v[0:3], off, s8
	s_mov_b32 s9, 0
	s_mov_b32 s10, s24
	;; [unrolled: 1-line block ×3, first 2 shown]
.LBB230_50:                             ;   Parent Loop BB230_37 Depth=1
                                        ;     Parent Loop BB230_40 Depth=2
                                        ;       Parent Loop BB230_48 Depth=3
                                        ; =>      This Inner Loop Header: Depth=4
	scratch_load_dwordx4 v[8:11], off, s9
	v_mov_b32_e32 v12, s10
	ds_read_b128 v[12:15], v12
	s_add_i32 s11, s11, -1
	s_addk_i32 s10, 0xfe40
	s_add_i32 s9, s9, 16
	s_cmp_eq_u32 s11, 0
	s_waitcnt vmcnt(0) lgkmcnt(0)
	v_mul_f64 v[16:17], v[14:15], v[10:11]
	v_mul_f64 v[10:11], v[12:13], v[10:11]
	v_fma_f64 v[12:13], v[12:13], v[8:9], -v[16:17]
	v_fmac_f64_e32 v[10:11], v[14:15], v[8:9]
	v_add_f64 v[0:1], v[0:1], -v[12:13]
	v_add_f64 v[2:3], v[2:3], -v[10:11]
	scratch_store_dwordx4 off, v[0:3], s8
	s_cbranch_scc0 .LBB230_50
; %bb.51:                               ;   in Loop: Header=BB230_48 Depth=3
	s_sub_i32 s10, s2, s23
	s_ashr_i32 s11, s10, 31
	s_mov_b64 s[8:9], s[10:11]
	s_branch .LBB230_47
.LBB230_52:                             ;   in Loop: Header=BB230_48 Depth=3
                                        ; implicit-def: $vgpr0_vgpr1
                                        ; implicit-def: $sgpr10
                                        ; implicit-def: $sgpr8_sgpr9
	s_cbranch_execz .LBB230_47
; %bb.53:                               ;   in Loop: Header=BB230_48 Depth=3
	scratch_load_dwordx4 v[0:3], off, off
	s_mov_b64 s[8:9], s[2:3]
	s_mov_b32 s10, s2
	s_branch .LBB230_47
.LBB230_54:
	s_endpgm
	.section	.rodata,"a",@progbits
	.p2align	6, 0x0
	.amdhsa_kernel _ZL30rocblas_trsm_small_left_deviceILi28ELi28ELb0E19rocblas_complex_numIdES1_PKPKS1_PKPS1_Ev13rocblas_fill_18rocblas_operation_17rocblas_diagonal_iiT3_T4_lilT5_lili
		.amdhsa_group_segment_fixed_size 12544
		.amdhsa_private_segment_fixed_size 464
		.amdhsa_kernarg_size 368
		.amdhsa_user_sgpr_count 2
		.amdhsa_user_sgpr_dispatch_ptr 0
		.amdhsa_user_sgpr_queue_ptr 0
		.amdhsa_user_sgpr_kernarg_segment_ptr 1
		.amdhsa_user_sgpr_dispatch_id 0
		.amdhsa_user_sgpr_kernarg_preload_length 0
		.amdhsa_user_sgpr_kernarg_preload_offset 0
		.amdhsa_user_sgpr_private_segment_size 0
		.amdhsa_uses_dynamic_stack 0
		.amdhsa_enable_private_segment 1
		.amdhsa_system_sgpr_workgroup_id_x 1
		.amdhsa_system_sgpr_workgroup_id_y 0
		.amdhsa_system_sgpr_workgroup_id_z 1
		.amdhsa_system_sgpr_workgroup_info 0
		.amdhsa_system_vgpr_workitem_id 0
		.amdhsa_next_free_vgpr 97
		.amdhsa_next_free_sgpr 96
		.amdhsa_accum_offset 24
		.amdhsa_reserve_vcc 1
		.amdhsa_float_round_mode_32 0
		.amdhsa_float_round_mode_16_64 0
		.amdhsa_float_denorm_mode_32 3
		.amdhsa_float_denorm_mode_16_64 3
		.amdhsa_dx10_clamp 1
		.amdhsa_ieee_mode 1
		.amdhsa_fp16_overflow 0
		.amdhsa_tg_split 0
		.amdhsa_exception_fp_ieee_invalid_op 0
		.amdhsa_exception_fp_denorm_src 0
		.amdhsa_exception_fp_ieee_div_zero 0
		.amdhsa_exception_fp_ieee_overflow 0
		.amdhsa_exception_fp_ieee_underflow 0
		.amdhsa_exception_fp_ieee_inexact 0
		.amdhsa_exception_int_div_zero 0
	.end_amdhsa_kernel
	.section	.text._ZL30rocblas_trsm_small_left_deviceILi28ELi28ELb0E19rocblas_complex_numIdES1_PKPKS1_PKPS1_Ev13rocblas_fill_18rocblas_operation_17rocblas_diagonal_iiT3_T4_lilT5_lili,"axG",@progbits,_ZL30rocblas_trsm_small_left_deviceILi28ELi28ELb0E19rocblas_complex_numIdES1_PKPKS1_PKPS1_Ev13rocblas_fill_18rocblas_operation_17rocblas_diagonal_iiT3_T4_lilT5_lili,comdat
.Lfunc_end230:
	.size	_ZL30rocblas_trsm_small_left_deviceILi28ELi28ELb0E19rocblas_complex_numIdES1_PKPKS1_PKPS1_Ev13rocblas_fill_18rocblas_operation_17rocblas_diagonal_iiT3_T4_lilT5_lili, .Lfunc_end230-_ZL30rocblas_trsm_small_left_deviceILi28ELi28ELb0E19rocblas_complex_numIdES1_PKPKS1_PKPS1_Ev13rocblas_fill_18rocblas_operation_17rocblas_diagonal_iiT3_T4_lilT5_lili
                                        ; -- End function
	.set _ZL30rocblas_trsm_small_left_deviceILi28ELi28ELb0E19rocblas_complex_numIdES1_PKPKS1_PKPS1_Ev13rocblas_fill_18rocblas_operation_17rocblas_diagonal_iiT3_T4_lilT5_lili.num_vgpr, 22
	.set _ZL30rocblas_trsm_small_left_deviceILi28ELi28ELb0E19rocblas_complex_numIdES1_PKPKS1_PKPS1_Ev13rocblas_fill_18rocblas_operation_17rocblas_diagonal_iiT3_T4_lilT5_lili.num_agpr, 0
	.set _ZL30rocblas_trsm_small_left_deviceILi28ELi28ELb0E19rocblas_complex_numIdES1_PKPKS1_PKPS1_Ev13rocblas_fill_18rocblas_operation_17rocblas_diagonal_iiT3_T4_lilT5_lili.numbered_sgpr, 28
	.set _ZL30rocblas_trsm_small_left_deviceILi28ELi28ELb0E19rocblas_complex_numIdES1_PKPKS1_PKPS1_Ev13rocblas_fill_18rocblas_operation_17rocblas_diagonal_iiT3_T4_lilT5_lili.num_named_barrier, 0
	.set _ZL30rocblas_trsm_small_left_deviceILi28ELi28ELb0E19rocblas_complex_numIdES1_PKPKS1_PKPS1_Ev13rocblas_fill_18rocblas_operation_17rocblas_diagonal_iiT3_T4_lilT5_lili.private_seg_size, 464
	.set _ZL30rocblas_trsm_small_left_deviceILi28ELi28ELb0E19rocblas_complex_numIdES1_PKPKS1_PKPS1_Ev13rocblas_fill_18rocblas_operation_17rocblas_diagonal_iiT3_T4_lilT5_lili.uses_vcc, 1
	.set _ZL30rocblas_trsm_small_left_deviceILi28ELi28ELb0E19rocblas_complex_numIdES1_PKPKS1_PKPS1_Ev13rocblas_fill_18rocblas_operation_17rocblas_diagonal_iiT3_T4_lilT5_lili.uses_flat_scratch, 0
	.set _ZL30rocblas_trsm_small_left_deviceILi28ELi28ELb0E19rocblas_complex_numIdES1_PKPKS1_PKPS1_Ev13rocblas_fill_18rocblas_operation_17rocblas_diagonal_iiT3_T4_lilT5_lili.has_dyn_sized_stack, 0
	.set _ZL30rocblas_trsm_small_left_deviceILi28ELi28ELb0E19rocblas_complex_numIdES1_PKPKS1_PKPS1_Ev13rocblas_fill_18rocblas_operation_17rocblas_diagonal_iiT3_T4_lilT5_lili.has_recursion, 0
	.set _ZL30rocblas_trsm_small_left_deviceILi28ELi28ELb0E19rocblas_complex_numIdES1_PKPKS1_PKPS1_Ev13rocblas_fill_18rocblas_operation_17rocblas_diagonal_iiT3_T4_lilT5_lili.has_indirect_call, 0
	.section	.AMDGPU.csdata,"",@progbits
; Kernel info:
; codeLenInByte = 2268
; TotalNumSgprs: 34
; NumVgprs: 22
; NumAgprs: 0
; TotalNumVgprs: 22
; ScratchSize: 464
; MemoryBound: 0
; FloatMode: 240
; IeeeMode: 1
; LDSByteSize: 12544 bytes/workgroup (compile time only)
; SGPRBlocks: 12
; VGPRBlocks: 12
; NumSGPRsForWavesPerEU: 102
; NumVGPRsForWavesPerEU: 97
; AccumOffset: 24
; Occupancy: 4
; WaveLimiterHint : 1
; COMPUTE_PGM_RSRC2:SCRATCH_EN: 1
; COMPUTE_PGM_RSRC2:USER_SGPR: 2
; COMPUTE_PGM_RSRC2:TRAP_HANDLER: 0
; COMPUTE_PGM_RSRC2:TGID_X_EN: 1
; COMPUTE_PGM_RSRC2:TGID_Y_EN: 0
; COMPUTE_PGM_RSRC2:TGID_Z_EN: 1
; COMPUTE_PGM_RSRC2:TIDIG_COMP_CNT: 0
; COMPUTE_PGM_RSRC3_GFX90A:ACCUM_OFFSET: 5
; COMPUTE_PGM_RSRC3_GFX90A:TG_SPLIT: 0
	.section	.text._ZL38rocblas_trsm_small_left_device_sharedBILi28ELi28ELb1E19rocblas_complex_numIdES1_PKPKS1_PKPS1_Ev13rocblas_fill_18rocblas_operation_17rocblas_diagonal_iiT3_T4_lilT5_lili,"axG",@progbits,_ZL38rocblas_trsm_small_left_device_sharedBILi28ELi28ELb1E19rocblas_complex_numIdES1_PKPKS1_PKPS1_Ev13rocblas_fill_18rocblas_operation_17rocblas_diagonal_iiT3_T4_lilT5_lili,comdat
	.globl	_ZL38rocblas_trsm_small_left_device_sharedBILi28ELi28ELb1E19rocblas_complex_numIdES1_PKPKS1_PKPS1_Ev13rocblas_fill_18rocblas_operation_17rocblas_diagonal_iiT3_T4_lilT5_lili ; -- Begin function _ZL38rocblas_trsm_small_left_device_sharedBILi28ELi28ELb1E19rocblas_complex_numIdES1_PKPKS1_PKPS1_Ev13rocblas_fill_18rocblas_operation_17rocblas_diagonal_iiT3_T4_lilT5_lili
	.p2align	8
	.type	_ZL38rocblas_trsm_small_left_device_sharedBILi28ELi28ELb1E19rocblas_complex_numIdES1_PKPKS1_PKPS1_Ev13rocblas_fill_18rocblas_operation_17rocblas_diagonal_iiT3_T4_lilT5_lili,@function
_ZL38rocblas_trsm_small_left_device_sharedBILi28ELi28ELb1E19rocblas_complex_numIdES1_PKPKS1_PKPS1_Ev13rocblas_fill_18rocblas_operation_17rocblas_diagonal_iiT3_T4_lilT5_lili: ; @_ZL38rocblas_trsm_small_left_device_sharedBILi28ELi28ELb1E19rocblas_complex_numIdES1_PKPKS1_PKPS1_Ev13rocblas_fill_18rocblas_operation_17rocblas_diagonal_iiT3_T4_lilT5_lili
; %bb.0:
	s_load_dwordx4 s[12:15], s[0:1], 0x4
	s_load_dwordx4 s[16:19], s[0:1], 0x48
	s_load_dwordx8 s[4:11], s[0:1], 0x18
	s_mov_b32 s20, s3
	s_mov_b32 s21, 0
	s_lshl_b64 s[22:23], s[20:21], 3
	s_waitcnt lgkmcnt(0)
	s_add_u32 s16, s16, s22
	s_addc_u32 s17, s17, s23
	s_load_dword s3, s[0:1], 0x70
	s_min_i32 s24, s14, 28
	s_load_dwordx2 s[16:17], s[16:17], 0x0
	v_cmp_gt_i32_e32 vcc, s24, v0
	s_and_saveexec_b64 s[20:21], vcc
	s_cbranch_execz .LBB231_11
; %bb.1:
	s_load_dword s26, s[0:1], 0x38
	v_lshlrev_b32_e32 v2, 4, v0
	v_mov_b32_e32 v3, 0
	v_mov_b32_e32 v1, v2
	s_waitcnt lgkmcnt(0)
	s_ashr_i32 s27, s26, 31
	s_cmpk_eq_i32 s12, 0x71
	s_cselect_b64 vcc, -1, 0
	s_add_u32 s8, s8, s22
	s_addc_u32 s9, s9, s23
	s_load_dwordx2 s[8:9], s[8:9], 0x0
	s_lshl_b64 s[10:11], s[10:11], 4
	s_waitcnt lgkmcnt(0)
	s_add_u32 s10, s8, s10
	s_addc_u32 s11, s9, s11
	s_lshl_b64 s[8:9], s[26:27], 4
	v_lshl_add_u64 v[4:5], s[10:11], 0, v[2:3]
	s_mov_b32 s10, s24
.LBB231_2:                              ; =>This Inner Loop Header: Depth=1
	flat_load_dwordx4 v[6:9], v[4:5]
	s_add_i32 s10, s10, -1
	v_lshl_add_u64 v[4:5], v[4:5], 0, s[8:9]
	s_cmp_eq_u32 s10, 0
	s_waitcnt vmcnt(0) lgkmcnt(0)
	v_xor_b32_e32 v3, 0x80000000, v9
	v_cndmask_b32_e32 v9, v9, v3, vcc
	ds_write_b128 v1, v[6:9]
	v_add_u32_e32 v1, 0x1c0, v1
	s_cbranch_scc0 .LBB231_2
; %bb.3:
	v_mul_u32_u24_e32 v1, 0x1c0, v0
	s_cmpk_lg_i32 s13, 0x84
	v_add_u32_e32 v1, v2, v1
	s_cbranch_scc0 .LBB231_9
; %bb.4:
	ds_read_b128 v[2:5], v1
                                        ; implicit-def: $vgpr8_vgpr9
	s_waitcnt lgkmcnt(0)
	v_cmp_ngt_f64_e64 s[8:9], |v[2:3]|, |v[4:5]|
	s_and_saveexec_b64 s[10:11], s[8:9]
	s_xor_b64 s[8:9], exec, s[10:11]
	s_cbranch_execz .LBB231_6
; %bb.5:
	v_div_scale_f64 v[6:7], s[10:11], v[4:5], v[4:5], v[2:3]
	v_rcp_f64_e32 v[8:9], v[6:7]
	v_div_scale_f64 v[10:11], vcc, v[2:3], v[4:5], v[2:3]
	v_fma_f64 v[12:13], -v[6:7], v[8:9], 1.0
	v_fmac_f64_e32 v[8:9], v[8:9], v[12:13]
	v_fma_f64 v[12:13], -v[6:7], v[8:9], 1.0
	v_fmac_f64_e32 v[8:9], v[8:9], v[12:13]
	v_mul_f64 v[12:13], v[10:11], v[8:9]
	v_fma_f64 v[6:7], -v[6:7], v[12:13], v[10:11]
	v_div_fmas_f64 v[6:7], v[6:7], v[8:9], v[12:13]
	v_div_fixup_f64 v[8:9], v[6:7], v[4:5], v[2:3]
	v_fmac_f64_e32 v[4:5], v[2:3], v[8:9]
	v_div_scale_f64 v[2:3], s[10:11], v[4:5], v[4:5], 1.0
	v_rcp_f64_e32 v[6:7], v[2:3]
	s_nop 0
	v_fma_f64 v[10:11], -v[2:3], v[6:7], 1.0
	v_fmac_f64_e32 v[6:7], v[6:7], v[10:11]
	v_fma_f64 v[10:11], -v[2:3], v[6:7], 1.0
	v_fmac_f64_e32 v[6:7], v[6:7], v[10:11]
	v_div_scale_f64 v[10:11], vcc, 1.0, v[4:5], 1.0
	v_mul_f64 v[12:13], v[10:11], v[6:7]
	v_fma_f64 v[2:3], -v[2:3], v[12:13], v[10:11]
	s_nop 1
	v_div_fmas_f64 v[2:3], v[2:3], v[6:7], v[12:13]
	v_div_fixup_f64 v[2:3], v[2:3], v[4:5], 1.0
	v_add_f64 v[4:5], v[8:9], 0
	v_mul_f64 v[6:7], v[4:5], v[2:3]
	v_fma_f64 v[4:5], v[8:9], 0, -1.0
	v_mul_f64 v[8:9], v[4:5], v[2:3]
                                        ; implicit-def: $vgpr2_vgpr3
.LBB231_6:
	s_andn2_saveexec_b64 s[8:9], s[8:9]
	s_cbranch_execz .LBB231_8
; %bb.7:
	v_div_scale_f64 v[6:7], s[10:11], v[2:3], v[2:3], v[4:5]
	v_rcp_f64_e32 v[8:9], v[6:7]
	v_div_scale_f64 v[10:11], vcc, v[4:5], v[2:3], v[4:5]
	v_fma_f64 v[12:13], -v[6:7], v[8:9], 1.0
	v_fmac_f64_e32 v[8:9], v[8:9], v[12:13]
	v_fma_f64 v[12:13], -v[6:7], v[8:9], 1.0
	v_fmac_f64_e32 v[8:9], v[8:9], v[12:13]
	v_mul_f64 v[12:13], v[10:11], v[8:9]
	v_fma_f64 v[6:7], -v[6:7], v[12:13], v[10:11]
	v_div_fmas_f64 v[6:7], v[6:7], v[8:9], v[12:13]
	v_div_fixup_f64 v[8:9], v[6:7], v[2:3], v[4:5]
	v_fmac_f64_e32 v[2:3], v[4:5], v[8:9]
	v_div_scale_f64 v[4:5], s[10:11], v[2:3], v[2:3], 1.0
	v_rcp_f64_e32 v[6:7], v[4:5]
	s_nop 0
	v_fma_f64 v[10:11], -v[4:5], v[6:7], 1.0
	v_fmac_f64_e32 v[6:7], v[6:7], v[10:11]
	v_fma_f64 v[10:11], -v[4:5], v[6:7], 1.0
	v_fmac_f64_e32 v[6:7], v[6:7], v[10:11]
	v_div_scale_f64 v[10:11], vcc, 1.0, v[2:3], 1.0
	v_mul_f64 v[12:13], v[10:11], v[6:7]
	v_fma_f64 v[4:5], -v[4:5], v[12:13], v[10:11]
	s_nop 1
	v_div_fmas_f64 v[4:5], v[4:5], v[6:7], v[12:13]
	v_div_fixup_f64 v[2:3], v[4:5], v[2:3], 1.0
	v_fma_f64 v[4:5], v[8:9], 0, 1.0
	v_mul_f64 v[6:7], v[4:5], v[2:3]
	v_add_f64 v[4:5], -v[8:9], 0
	v_mul_f64 v[8:9], v[4:5], v[2:3]
.LBB231_8:
	s_or_b64 exec, exec, s[8:9]
	s_branch .LBB231_10
.LBB231_9:
	v_mov_b64_e32 v[8:9], 0
	v_mov_b64_e32 v[6:7], 1.0
.LBB231_10:
	ds_write_b128 v1, v[6:9]
.LBB231_11:
	s_or_b64 exec, exec, s[20:21]
	s_load_dword s13, s[0:1], 0x58
	s_lshl_b64 s[0:1], s[18:19], 4
	s_waitcnt lgkmcnt(0)
	s_add_u32 s8, s16, s0
	s_mul_i32 s0, s2, 0xffffffe4
	s_addc_u32 s9, s17, s1
	s_add_i32 s3, s3, -1
	s_add_i32 s0, s15, s0
	s_cmp_ge_u32 s2, s3
	s_mul_i32 s2, s2, 28
	s_cselect_b32 s10, s0, 28
	s_mul_hi_i32 s1, s13, s2
	s_mul_i32 s0, s13, s2
	s_lshl_b64 s[0:1], s[0:1], 4
	s_add_u32 s2, s8, s0
	s_addc_u32 s3, s9, s1
	s_cmp_gt_i32 s14, 0
	v_cmp_gt_i32_e64 s[0:1], s10, v0
	s_cselect_b64 s[8:9], -1, 0
	s_and_b64 s[14:15], s[0:1], s[8:9]
	s_and_saveexec_b64 s[10:11], s[14:15]
	s_cbranch_execz .LBB231_14
; %bb.12:
	v_mad_i64_i32 v[2:3], s[14:15], s13, v0, 0
	v_mov_b32_e32 v1, 0x3100
	v_lshl_add_u64 v[2:3], v[2:3], 4, s[2:3]
	v_lshl_add_u32 v1, v0, 4, v1
	s_mov_b32 s14, s24
.LBB231_13:                             ; =>This Inner Loop Header: Depth=1
	flat_load_dwordx4 v[4:7], v[2:3]
	s_add_i32 s14, s14, -1
	v_lshl_add_u64 v[2:3], v[2:3], 0, 16
	s_cmp_lg_u32 s14, 0
	s_waitcnt vmcnt(0) lgkmcnt(0)
	v_mul_f64 v[10:11], s[6:7], v[6:7]
	v_mul_f64 v[8:9], s[4:5], v[6:7]
	v_fma_f64 v[6:7], s[4:5], v[4:5], -v[10:11]
	v_fmac_f64_e32 v[8:9], s[6:7], v[4:5]
	ds_write_b128 v1, v[6:9]
	v_add_u32_e32 v1, 0x1c0, v1
	s_cbranch_scc1 .LBB231_13
.LBB231_14:
	s_or_b64 exec, exec, s[10:11]
	v_mov_b32_e32 v1, 0x3100
	s_cmpk_eq_i32 s12, 0x6f
	v_lshl_add_u32 v1, v0, 4, v1
	s_mov_b64 s[4:5], -1
	s_waitcnt lgkmcnt(0)
	; wave barrier
	s_cbranch_scc1 .LBB231_35
; %bb.15:
	s_add_i32 s10, s24, -1
	s_lshl_b32 s11, s24, 4
	s_mov_b32 s5, 0
	s_add_i32 s11, s11, -16
	s_mov_b32 s4, s5
	s_mov_b32 s12, s10
	s_branch .LBB231_17
.LBB231_16:                             ;   in Loop: Header=BB231_17 Depth=1
	s_cmp_lt_i32 s12, 0
	s_cselect_b64 s[6:7], -1, 0
	s_add_i32 s4, s4, 1
	s_cmp_eq_u32 s4, 3
	s_cselect_b64 s[14:15], -1, 0
	s_or_b64 s[6:7], s[6:7], s[14:15]
	s_andn2_b64 vcc, exec, s[6:7]
	s_cbranch_vccz .LBB231_34
.LBB231_17:                             ; =>This Loop Header: Depth=1
                                        ;     Child Loop BB231_20 Depth 2
                                        ;       Child Loop BB231_21 Depth 3
                                        ;       Child Loop BB231_23 Depth 3
                                        ;         Child Loop BB231_24 Depth 4
                                        ;       Child Loop BB231_28 Depth 3
                                        ;         Child Loop BB231_30 Depth 4
	s_lshl_b64 s[6:7], s[4:5], 2
	s_getpc_b64 s[14:15]
	s_add_u32 s14, s14, __const._ZL38rocblas_trsm_small_left_device_sharedBILi28ELi28ELb1E19rocblas_complex_numIdES1_PKPKS1_PKPS1_Ev13rocblas_fill_18rocblas_operation_17rocblas_diagonal_iiT3_T4_lilT5_lili.step_sizes@rel32@lo+4
	s_addc_u32 s15, s15, __const._ZL38rocblas_trsm_small_left_device_sharedBILi28ELi28ELb1E19rocblas_complex_numIdES1_PKPKS1_PKPS1_Ev13rocblas_fill_18rocblas_operation_17rocblas_diagonal_iiT3_T4_lilT5_lili.step_sizes@rel32@hi+12
	s_add_u32 s6, s14, s6
	s_addc_u32 s7, s15, s7
	s_load_dword s14, s[6:7], 0x0
	s_waitcnt lgkmcnt(0)
	s_add_i32 s15, s14, -1
	s_cmp_lt_i32 s12, s15
	s_cbranch_scc1 .LBB231_16
; %bb.18:                               ;   in Loop: Header=BB231_17 Depth=1
	s_mul_i32 s6, s12, 0x1c0
	s_max_i32 s16, s14, 1
	v_add_u32_e32 v6, s6, v1
	s_mul_i32 s17, s14, 0xfffffe40
	s_add_i32 s18, s11, s6
	s_mul_i32 s19, s12, 0x1d0
	s_mul_i32 s20, s14, 0xfffffe30
	s_branch .LBB231_20
.LBB231_19:                             ;   in Loop: Header=BB231_20 Depth=2
	s_sub_i32 s12, s12, s14
	s_add_i32 s18, s18, s17
	s_add_i32 s19, s19, s20
	s_cmp_lt_i32 s12, s15
	v_add_u32_e32 v6, s17, v6
	s_cbranch_scc1 .LBB231_16
.LBB231_20:                             ;   Parent Loop BB231_17 Depth=1
                                        ; =>  This Loop Header: Depth=2
                                        ;       Child Loop BB231_21 Depth 3
                                        ;       Child Loop BB231_23 Depth 3
                                        ;         Child Loop BB231_24 Depth 4
                                        ;       Child Loop BB231_28 Depth 3
                                        ;         Child Loop BB231_30 Depth 4
	s_mov_b32 s6, 0
	v_mov_b32_e32 v2, v6
	s_mov_b32 s7, s16
.LBB231_21:                             ;   Parent Loop BB231_17 Depth=1
                                        ;     Parent Loop BB231_20 Depth=2
                                        ; =>    This Inner Loop Header: Depth=3
	ds_read_b128 v[8:11], v2
	s_add_i32 s7, s7, -1
	v_add_u32_e32 v2, 0xfffffe40, v2
	s_waitcnt lgkmcnt(0)
	scratch_store_dwordx4 off, v[8:11], s6
	s_add_i32 s6, s6, 16
	s_cmp_eq_u32 s7, 0
	s_cbranch_scc0 .LBB231_21
; %bb.22:                               ;   in Loop: Header=BB231_20 Depth=2
	s_cmp_le_i32 s10, s12
	s_mov_b32 s6, s18
	s_mov_b32 s7, s10
	s_cbranch_scc1 .LBB231_26
.LBB231_23:                             ;   Parent Loop BB231_17 Depth=1
                                        ;     Parent Loop BB231_20 Depth=2
                                        ; =>    This Loop Header: Depth=3
                                        ;         Child Loop BB231_24 Depth 4
	s_mul_i32 s21, s7, 0x1c0
	v_add_u32_e32 v2, s21, v1
	ds_read_b128 v[2:5], v2
	s_mov_b32 s21, 0
	s_mov_b32 s22, s6
	;; [unrolled: 1-line block ×3, first 2 shown]
.LBB231_24:                             ;   Parent Loop BB231_17 Depth=1
                                        ;     Parent Loop BB231_20 Depth=2
                                        ;       Parent Loop BB231_23 Depth=3
                                        ; =>      This Inner Loop Header: Depth=4
	scratch_load_dwordx4 v[8:11], off, s21
	v_mov_b32_e32 v7, s22
	ds_read_b128 v[12:15], v7
	s_add_i32 s23, s23, -1
	s_addk_i32 s22, 0xfe40
	s_waitcnt lgkmcnt(0)
	v_mul_f64 v[16:17], v[4:5], v[14:15]
	v_mul_f64 v[14:15], v[2:3], v[14:15]
	v_fma_f64 v[16:17], v[2:3], v[12:13], -v[16:17]
	v_fmac_f64_e32 v[14:15], v[4:5], v[12:13]
	s_waitcnt vmcnt(0)
	v_add_f64 v[8:9], v[8:9], -v[16:17]
	v_add_f64 v[10:11], v[10:11], -v[14:15]
	scratch_store_dwordx4 off, v[8:11], s21
	s_add_i32 s21, s21, 16
	s_cmp_eq_u32 s23, 0
	s_cbranch_scc0 .LBB231_24
; %bb.25:                               ;   in Loop: Header=BB231_23 Depth=3
	s_add_i32 s7, s7, -1
	s_add_i32 s6, s6, -16
	s_cmp_le_i32 s7, s12
	s_cbranch_scc0 .LBB231_23
.LBB231_26:                             ;   in Loop: Header=BB231_20 Depth=2
	s_mul_i32 s21, s12, 0x1c0
	s_mov_b32 s22, 0
	s_mov_b32 s23, s19
	s_branch .LBB231_28
.LBB231_27:                             ;   in Loop: Header=BB231_28 Depth=3
	s_mul_i32 s6, s26, 0x1d0
	v_mov_b32_e32 v7, s6
	ds_read_b128 v[8:11], v7
	s_lshl_b32 s6, s22, 4
	s_add_i32 s22, s22, 1
	s_addk_i32 s23, 0xfe40
	s_cmp_eq_u32 s22, s16
	s_waitcnt vmcnt(0) lgkmcnt(0)
	v_mul_f64 v[12:13], v[10:11], v[4:5]
	v_mul_f64 v[14:15], v[8:9], v[4:5]
	v_fma_f64 v[12:13], v[8:9], v[2:3], -v[12:13]
	v_fmac_f64_e32 v[14:15], v[10:11], v[2:3]
	v_add_u32_e32 v2, s25, v1
	scratch_store_dwordx4 off, v[12:15], s6
	ds_write_b128 v2, v[12:15]
	s_cbranch_scc1 .LBB231_19
.LBB231_28:                             ;   Parent Loop BB231_17 Depth=1
                                        ;     Parent Loop BB231_20 Depth=2
                                        ; =>    This Loop Header: Depth=3
                                        ;         Child Loop BB231_30 Depth 4
	s_cmp_lg_u32 s22, 0
	s_cbranch_scc0 .LBB231_32
; %bb.29:                               ;   in Loop: Header=BB231_28 Depth=3
	s_lshl_b32 s6, s22, 4
	scratch_load_dwordx4 v[2:5], off, s6
	s_sub_i32 s26, s12, s22
	s_mul_i32 s25, s26, 0x1c0
	s_mov_b32 s7, 0
	s_mov_b32 s27, s23
	;; [unrolled: 1-line block ×3, first 2 shown]
.LBB231_30:                             ;   Parent Loop BB231_17 Depth=1
                                        ;     Parent Loop BB231_20 Depth=2
                                        ;       Parent Loop BB231_28 Depth=3
                                        ; =>      This Inner Loop Header: Depth=4
	scratch_load_dwordx4 v[8:11], off, s7
	v_mov_b32_e32 v7, s27
	ds_read_b128 v[12:15], v7
	s_add_i32 s28, s28, -1
	s_add_i32 s27, s27, -16
	s_add_i32 s7, s7, 16
	s_cmp_eq_u32 s28, 0
	s_waitcnt vmcnt(0) lgkmcnt(0)
	v_mul_f64 v[16:17], v[14:15], v[10:11]
	v_mul_f64 v[10:11], v[12:13], v[10:11]
	v_fma_f64 v[12:13], v[12:13], v[8:9], -v[16:17]
	v_fmac_f64_e32 v[10:11], v[14:15], v[8:9]
	v_add_f64 v[2:3], v[2:3], -v[12:13]
	v_add_f64 v[4:5], v[4:5], -v[10:11]
	scratch_store_dwordx4 off, v[2:5], s6
	s_cbranch_scc0 .LBB231_30
; %bb.31:                               ;   in Loop: Header=BB231_28 Depth=3
	s_branch .LBB231_27
.LBB231_32:                             ;   in Loop: Header=BB231_28 Depth=3
                                        ; implicit-def: $vgpr2_vgpr3
                                        ; implicit-def: $sgpr26
                                        ; implicit-def: $sgpr25
	s_cbranch_execz .LBB231_27
; %bb.33:                               ;   in Loop: Header=BB231_28 Depth=3
	scratch_load_dwordx4 v[2:5], off, off
	s_mov_b32 s25, s21
	s_mov_b32 s26, s12
	s_branch .LBB231_27
.LBB231_34:
	s_mov_b64 s[4:5], 0
.LBB231_35:
	s_and_b64 vcc, exec, s[4:5]
	s_cbranch_vccz .LBB231_56
; %bb.36:
	v_mov_b32_e32 v2, 0x3100
	s_mov_b32 s5, 0
	v_lshl_add_u32 v6, v0, 4, v2
	s_mov_b32 s4, s5
	s_mov_b32 s10, s5
	s_branch .LBB231_38
.LBB231_37:                             ;   in Loop: Header=BB231_38 Depth=1
	s_cmp_ge_i32 s10, s24
	s_cselect_b64 s[6:7], -1, 0
	s_add_i32 s4, s4, 1
	s_cmp_eq_u32 s4, 3
	s_cselect_b64 s[14:15], -1, 0
	s_or_b64 s[6:7], s[6:7], s[14:15]
	s_and_b64 vcc, exec, s[6:7]
	s_cbranch_vccnz .LBB231_56
.LBB231_38:                             ; =>This Loop Header: Depth=1
                                        ;     Child Loop BB231_41 Depth 2
                                        ;       Child Loop BB231_42 Depth 3
                                        ;       Child Loop BB231_45 Depth 3
                                        ;         Child Loop BB231_46 Depth 4
                                        ;       Child Loop BB231_50 Depth 3
                                        ;         Child Loop BB231_52 Depth 4
	s_lshl_b64 s[6:7], s[4:5], 2
	s_getpc_b64 s[14:15]
	s_add_u32 s14, s14, __const._ZL38rocblas_trsm_small_left_device_sharedBILi28ELi28ELb1E19rocblas_complex_numIdES1_PKPKS1_PKPS1_Ev13rocblas_fill_18rocblas_operation_17rocblas_diagonal_iiT3_T4_lilT5_lili.step_sizes@rel32@lo+4
	s_addc_u32 s15, s15, __const._ZL38rocblas_trsm_small_left_device_sharedBILi28ELi28ELb1E19rocblas_complex_numIdES1_PKPKS1_PKPS1_Ev13rocblas_fill_18rocblas_operation_17rocblas_diagonal_iiT3_T4_lilT5_lili.step_sizes@rel32@hi+12
	s_add_u32 s6, s14, s6
	s_addc_u32 s7, s15, s7
	s_load_dword s11, s[6:7], 0x0
	s_waitcnt lgkmcnt(0)
	s_add_i32 s12, s11, -1
	s_add_i32 s6, s12, s10
	s_cmp_ge_i32 s6, s24
	s_cbranch_scc1 .LBB231_37
; %bb.39:                               ;   in Loop: Header=BB231_38 Depth=1
	s_mul_i32 s6, s10, 0x1c0
	s_max_i32 s14, s11, 1
	v_add_u32_e32 v7, s6, v6
	s_mul_i32 s15, s11, 0x1c0
	s_lshl_b32 s16, s10, 4
	s_lshl_b32 s17, s11, 4
	s_mul_i32 s18, s10, 0x1d0
	s_mul_i32 s19, s11, 0x1d0
	s_branch .LBB231_41
.LBB231_40:                             ;   in Loop: Header=BB231_41 Depth=2
	s_add_i32 s10, s10, s11
	s_add_i32 s6, s12, s10
	s_add_i32 s16, s16, s17
	s_add_i32 s18, s18, s19
	s_cmp_ge_i32 s6, s24
	v_add_u32_e32 v7, s15, v7
	s_cbranch_scc1 .LBB231_37
.LBB231_41:                             ;   Parent Loop BB231_38 Depth=1
                                        ; =>  This Loop Header: Depth=2
                                        ;       Child Loop BB231_42 Depth 3
                                        ;       Child Loop BB231_45 Depth 3
                                        ;         Child Loop BB231_46 Depth 4
                                        ;       Child Loop BB231_50 Depth 3
                                        ;         Child Loop BB231_52 Depth 4
	s_mov_b32 s6, 0
	v_mov_b32_e32 v2, v7
	s_mov_b32 s7, s14
.LBB231_42:                             ;   Parent Loop BB231_38 Depth=1
                                        ;     Parent Loop BB231_41 Depth=2
                                        ; =>    This Inner Loop Header: Depth=3
	ds_read_b128 v[8:11], v2
	s_add_i32 s7, s7, -1
	v_add_u32_e32 v2, 0x1c0, v2
	s_waitcnt lgkmcnt(0)
	scratch_store_dwordx4 off, v[8:11], s6
	s_add_i32 s6, s6, 16
	s_cmp_eq_u32 s7, 0
	s_cbranch_scc0 .LBB231_42
; %bb.43:                               ;   in Loop: Header=BB231_41 Depth=2
	s_cmp_lt_i32 s10, 1
	s_cbranch_scc1 .LBB231_48
; %bb.44:                               ;   in Loop: Header=BB231_41 Depth=2
	s_mov_b32 s6, 0
	s_mov_b32 s7, s16
.LBB231_45:                             ;   Parent Loop BB231_38 Depth=1
                                        ;     Parent Loop BB231_41 Depth=2
                                        ; =>    This Loop Header: Depth=3
                                        ;         Child Loop BB231_46 Depth 4
	s_mul_i32 s20, s6, 0x1c0
	v_add_u32_e32 v2, s20, v1
	ds_read_b128 v[2:5], v2
	s_mov_b32 s20, 0
	s_mov_b32 s21, s7
	;; [unrolled: 1-line block ×3, first 2 shown]
.LBB231_46:                             ;   Parent Loop BB231_38 Depth=1
                                        ;     Parent Loop BB231_41 Depth=2
                                        ;       Parent Loop BB231_45 Depth=3
                                        ; =>      This Inner Loop Header: Depth=4
	scratch_load_dwordx4 v[8:11], off, s20
	v_mov_b32_e32 v12, s21
	ds_read_b128 v[12:15], v12
	s_add_i32 s22, s22, -1
	s_add_i32 s21, s21, 16
	s_waitcnt lgkmcnt(0)
	v_mul_f64 v[16:17], v[4:5], v[14:15]
	v_mul_f64 v[14:15], v[2:3], v[14:15]
	v_fma_f64 v[16:17], v[2:3], v[12:13], -v[16:17]
	v_fmac_f64_e32 v[14:15], v[4:5], v[12:13]
	s_waitcnt vmcnt(0)
	v_add_f64 v[8:9], v[8:9], -v[16:17]
	v_add_f64 v[10:11], v[10:11], -v[14:15]
	scratch_store_dwordx4 off, v[8:11], s20
	s_add_i32 s20, s20, 16
	s_cmp_eq_u32 s22, 0
	s_cbranch_scc0 .LBB231_46
; %bb.47:                               ;   in Loop: Header=BB231_45 Depth=3
	s_add_i32 s6, s6, 1
	s_addk_i32 s7, 0x1c0
	s_cmp_eq_u32 s6, s10
	s_cbranch_scc0 .LBB231_45
.LBB231_48:                             ;   in Loop: Header=BB231_41 Depth=2
	s_mov_b32 s20, 0
	s_mov_b32 s21, s18
	s_branch .LBB231_50
.LBB231_49:                             ;   in Loop: Header=BB231_50 Depth=3
	s_add_i32 s6, s20, s10
	s_mul_i32 s7, s6, 0x1d0
	v_mov_b32_e32 v8, s7
	ds_read_b128 v[8:11], v8
	s_lshl_b32 s7, s20, 4
	s_mulk_i32 s6, 0x1c0
	s_add_i32 s20, s20, 1
	s_add_i32 s21, s21, 16
	s_waitcnt vmcnt(0) lgkmcnt(0)
	v_mul_f64 v[12:13], v[10:11], v[4:5]
	v_mul_f64 v[14:15], v[8:9], v[4:5]
	v_fma_f64 v[12:13], v[8:9], v[2:3], -v[12:13]
	v_fmac_f64_e32 v[14:15], v[10:11], v[2:3]
	v_add_u32_e32 v2, s6, v1
	s_cmp_eq_u32 s20, s14
	scratch_store_dwordx4 off, v[12:15], s7
	ds_write_b128 v2, v[12:15]
	s_cbranch_scc1 .LBB231_40
.LBB231_50:                             ;   Parent Loop BB231_38 Depth=1
                                        ;     Parent Loop BB231_41 Depth=2
                                        ; =>    This Loop Header: Depth=3
                                        ;         Child Loop BB231_52 Depth 4
	s_cmp_lg_u32 s20, 0
	s_cbranch_scc0 .LBB231_54
; %bb.51:                               ;   in Loop: Header=BB231_50 Depth=3
	s_lshl_b32 s6, s20, 4
	scratch_load_dwordx4 v[2:5], off, s6
	s_mov_b32 s7, 0
	s_mov_b32 s22, s21
	;; [unrolled: 1-line block ×3, first 2 shown]
.LBB231_52:                             ;   Parent Loop BB231_38 Depth=1
                                        ;     Parent Loop BB231_41 Depth=2
                                        ;       Parent Loop BB231_50 Depth=3
                                        ; =>      This Inner Loop Header: Depth=4
	scratch_load_dwordx4 v[8:11], off, s7
	v_mov_b32_e32 v12, s22
	ds_read_b128 v[12:15], v12
	s_add_i32 s23, s23, -1
	s_addk_i32 s22, 0x1c0
	s_add_i32 s7, s7, 16
	s_cmp_eq_u32 s23, 0
	s_waitcnt vmcnt(0) lgkmcnt(0)
	v_mul_f64 v[16:17], v[14:15], v[10:11]
	v_mul_f64 v[10:11], v[12:13], v[10:11]
	v_fma_f64 v[12:13], v[12:13], v[8:9], -v[16:17]
	v_fmac_f64_e32 v[10:11], v[14:15], v[8:9]
	v_add_f64 v[2:3], v[2:3], -v[12:13]
	v_add_f64 v[4:5], v[4:5], -v[10:11]
	scratch_store_dwordx4 off, v[2:5], s6
	s_cbranch_scc0 .LBB231_52
; %bb.53:                               ;   in Loop: Header=BB231_50 Depth=3
	s_branch .LBB231_49
.LBB231_54:                             ;   in Loop: Header=BB231_50 Depth=3
                                        ; implicit-def: $vgpr2_vgpr3
	s_cbranch_execz .LBB231_49
; %bb.55:                               ;   in Loop: Header=BB231_50 Depth=3
	scratch_load_dwordx4 v[2:5], off, off
	s_branch .LBB231_49
.LBB231_56:
	s_waitcnt lgkmcnt(0)
	; wave barrier
	s_and_saveexec_b64 s[4:5], s[0:1]
	s_cbranch_execz .LBB231_60
; %bb.57:
	s_andn2_b64 vcc, exec, s[8:9]
	s_cbranch_vccnz .LBB231_60
; %bb.58:
	v_mad_i64_i32 v[2:3], s[0:1], s13, v0, 0
	v_mov_b32_e32 v1, 0x3100
	v_lshl_add_u64 v[2:3], v[2:3], 4, s[2:3]
	v_lshl_add_u32 v0, v0, 4, v1
.LBB231_59:                             ; =>This Inner Loop Header: Depth=1
	ds_read2_b64 v[4:7], v0 offset1:1
	s_add_i32 s24, s24, -1
	v_add_u32_e32 v0, 0x1c0, v0
	s_cmp_lg_u32 s24, 0
	s_waitcnt lgkmcnt(0)
	flat_store_dwordx4 v[2:3], v[4:7]
	v_lshl_add_u64 v[2:3], v[2:3], 0, 16
	s_cbranch_scc1 .LBB231_59
.LBB231_60:
	s_endpgm
	.section	.rodata,"a",@progbits
	.p2align	6, 0x0
	.amdhsa_kernel _ZL38rocblas_trsm_small_left_device_sharedBILi28ELi28ELb1E19rocblas_complex_numIdES1_PKPKS1_PKPS1_Ev13rocblas_fill_18rocblas_operation_17rocblas_diagonal_iiT3_T4_lilT5_lili
		.amdhsa_group_segment_fixed_size 25088
		.amdhsa_private_segment_fixed_size 464
		.amdhsa_kernarg_size 368
		.amdhsa_user_sgpr_count 2
		.amdhsa_user_sgpr_dispatch_ptr 0
		.amdhsa_user_sgpr_queue_ptr 0
		.amdhsa_user_sgpr_kernarg_segment_ptr 1
		.amdhsa_user_sgpr_dispatch_id 0
		.amdhsa_user_sgpr_kernarg_preload_length 0
		.amdhsa_user_sgpr_kernarg_preload_offset 0
		.amdhsa_user_sgpr_private_segment_size 0
		.amdhsa_uses_dynamic_stack 0
		.amdhsa_enable_private_segment 1
		.amdhsa_system_sgpr_workgroup_id_x 1
		.amdhsa_system_sgpr_workgroup_id_y 0
		.amdhsa_system_sgpr_workgroup_id_z 1
		.amdhsa_system_sgpr_workgroup_info 0
		.amdhsa_system_vgpr_workitem_id 0
		.amdhsa_next_free_vgpr 169
		.amdhsa_next_free_sgpr 96
		.amdhsa_accum_offset 20
		.amdhsa_reserve_vcc 1
		.amdhsa_float_round_mode_32 0
		.amdhsa_float_round_mode_16_64 0
		.amdhsa_float_denorm_mode_32 3
		.amdhsa_float_denorm_mode_16_64 3
		.amdhsa_dx10_clamp 1
		.amdhsa_ieee_mode 1
		.amdhsa_fp16_overflow 0
		.amdhsa_tg_split 0
		.amdhsa_exception_fp_ieee_invalid_op 0
		.amdhsa_exception_fp_denorm_src 0
		.amdhsa_exception_fp_ieee_div_zero 0
		.amdhsa_exception_fp_ieee_overflow 0
		.amdhsa_exception_fp_ieee_underflow 0
		.amdhsa_exception_fp_ieee_inexact 0
		.amdhsa_exception_int_div_zero 0
	.end_amdhsa_kernel
	.section	.text._ZL38rocblas_trsm_small_left_device_sharedBILi28ELi28ELb1E19rocblas_complex_numIdES1_PKPKS1_PKPS1_Ev13rocblas_fill_18rocblas_operation_17rocblas_diagonal_iiT3_T4_lilT5_lili,"axG",@progbits,_ZL38rocblas_trsm_small_left_device_sharedBILi28ELi28ELb1E19rocblas_complex_numIdES1_PKPKS1_PKPS1_Ev13rocblas_fill_18rocblas_operation_17rocblas_diagonal_iiT3_T4_lilT5_lili,comdat
.Lfunc_end231:
	.size	_ZL38rocblas_trsm_small_left_device_sharedBILi28ELi28ELb1E19rocblas_complex_numIdES1_PKPKS1_PKPS1_Ev13rocblas_fill_18rocblas_operation_17rocblas_diagonal_iiT3_T4_lilT5_lili, .Lfunc_end231-_ZL38rocblas_trsm_small_left_device_sharedBILi28ELi28ELb1E19rocblas_complex_numIdES1_PKPKS1_PKPS1_Ev13rocblas_fill_18rocblas_operation_17rocblas_diagonal_iiT3_T4_lilT5_lili
                                        ; -- End function
	.set _ZL38rocblas_trsm_small_left_device_sharedBILi28ELi28ELb1E19rocblas_complex_numIdES1_PKPKS1_PKPS1_Ev13rocblas_fill_18rocblas_operation_17rocblas_diagonal_iiT3_T4_lilT5_lili.num_vgpr, 18
	.set _ZL38rocblas_trsm_small_left_device_sharedBILi28ELi28ELb1E19rocblas_complex_numIdES1_PKPKS1_PKPS1_Ev13rocblas_fill_18rocblas_operation_17rocblas_diagonal_iiT3_T4_lilT5_lili.num_agpr, 0
	.set _ZL38rocblas_trsm_small_left_device_sharedBILi28ELi28ELb1E19rocblas_complex_numIdES1_PKPKS1_PKPS1_Ev13rocblas_fill_18rocblas_operation_17rocblas_diagonal_iiT3_T4_lilT5_lili.numbered_sgpr, 29
	.set _ZL38rocblas_trsm_small_left_device_sharedBILi28ELi28ELb1E19rocblas_complex_numIdES1_PKPKS1_PKPS1_Ev13rocblas_fill_18rocblas_operation_17rocblas_diagonal_iiT3_T4_lilT5_lili.num_named_barrier, 0
	.set _ZL38rocblas_trsm_small_left_device_sharedBILi28ELi28ELb1E19rocblas_complex_numIdES1_PKPKS1_PKPS1_Ev13rocblas_fill_18rocblas_operation_17rocblas_diagonal_iiT3_T4_lilT5_lili.private_seg_size, 464
	.set _ZL38rocblas_trsm_small_left_device_sharedBILi28ELi28ELb1E19rocblas_complex_numIdES1_PKPKS1_PKPS1_Ev13rocblas_fill_18rocblas_operation_17rocblas_diagonal_iiT3_T4_lilT5_lili.uses_vcc, 1
	.set _ZL38rocblas_trsm_small_left_device_sharedBILi28ELi28ELb1E19rocblas_complex_numIdES1_PKPKS1_PKPS1_Ev13rocblas_fill_18rocblas_operation_17rocblas_diagonal_iiT3_T4_lilT5_lili.uses_flat_scratch, 0
	.set _ZL38rocblas_trsm_small_left_device_sharedBILi28ELi28ELb1E19rocblas_complex_numIdES1_PKPKS1_PKPS1_Ev13rocblas_fill_18rocblas_operation_17rocblas_diagonal_iiT3_T4_lilT5_lili.has_dyn_sized_stack, 0
	.set _ZL38rocblas_trsm_small_left_device_sharedBILi28ELi28ELb1E19rocblas_complex_numIdES1_PKPKS1_PKPS1_Ev13rocblas_fill_18rocblas_operation_17rocblas_diagonal_iiT3_T4_lilT5_lili.has_recursion, 0
	.set _ZL38rocblas_trsm_small_left_device_sharedBILi28ELi28ELb1E19rocblas_complex_numIdES1_PKPKS1_PKPS1_Ev13rocblas_fill_18rocblas_operation_17rocblas_diagonal_iiT3_T4_lilT5_lili.has_indirect_call, 0
	.section	.AMDGPU.csdata,"",@progbits
; Kernel info:
; codeLenInByte = 2440
; TotalNumSgprs: 35
; NumVgprs: 18
; NumAgprs: 0
; TotalNumVgprs: 18
; ScratchSize: 464
; MemoryBound: 0
; FloatMode: 240
; IeeeMode: 1
; LDSByteSize: 25088 bytes/workgroup (compile time only)
; SGPRBlocks: 12
; VGPRBlocks: 21
; NumSGPRsForWavesPerEU: 102
; NumVGPRsForWavesPerEU: 169
; AccumOffset: 20
; Occupancy: 2
; WaveLimiterHint : 0
; COMPUTE_PGM_RSRC2:SCRATCH_EN: 1
; COMPUTE_PGM_RSRC2:USER_SGPR: 2
; COMPUTE_PGM_RSRC2:TRAP_HANDLER: 0
; COMPUTE_PGM_RSRC2:TGID_X_EN: 1
; COMPUTE_PGM_RSRC2:TGID_Y_EN: 0
; COMPUTE_PGM_RSRC2:TGID_Z_EN: 1
; COMPUTE_PGM_RSRC2:TIDIG_COMP_CNT: 0
; COMPUTE_PGM_RSRC3_GFX90A:ACCUM_OFFSET: 4
; COMPUTE_PGM_RSRC3_GFX90A:TG_SPLIT: 0
	.section	.text._ZL30rocblas_trsm_small_left_deviceILi28ELi28ELb1E19rocblas_complex_numIdES1_PKPKS1_PKPS1_Ev13rocblas_fill_18rocblas_operation_17rocblas_diagonal_iiT3_T4_lilT5_lili,"axG",@progbits,_ZL30rocblas_trsm_small_left_deviceILi28ELi28ELb1E19rocblas_complex_numIdES1_PKPKS1_PKPS1_Ev13rocblas_fill_18rocblas_operation_17rocblas_diagonal_iiT3_T4_lilT5_lili,comdat
	.globl	_ZL30rocblas_trsm_small_left_deviceILi28ELi28ELb1E19rocblas_complex_numIdES1_PKPKS1_PKPS1_Ev13rocblas_fill_18rocblas_operation_17rocblas_diagonal_iiT3_T4_lilT5_lili ; -- Begin function _ZL30rocblas_trsm_small_left_deviceILi28ELi28ELb1E19rocblas_complex_numIdES1_PKPKS1_PKPS1_Ev13rocblas_fill_18rocblas_operation_17rocblas_diagonal_iiT3_T4_lilT5_lili
	.p2align	8
	.type	_ZL30rocblas_trsm_small_left_deviceILi28ELi28ELb1E19rocblas_complex_numIdES1_PKPKS1_PKPS1_Ev13rocblas_fill_18rocblas_operation_17rocblas_diagonal_iiT3_T4_lilT5_lili,@function
_ZL30rocblas_trsm_small_left_deviceILi28ELi28ELb1E19rocblas_complex_numIdES1_PKPKS1_PKPS1_Ev13rocblas_fill_18rocblas_operation_17rocblas_diagonal_iiT3_T4_lilT5_lili: ; @_ZL30rocblas_trsm_small_left_deviceILi28ELi28ELb1E19rocblas_complex_numIdES1_PKPKS1_PKPS1_Ev13rocblas_fill_18rocblas_operation_17rocblas_diagonal_iiT3_T4_lilT5_lili
; %bb.0:
	s_load_dwordx4 s[12:15], s[0:1], 0x4
	s_load_dwordx4 s[16:19], s[0:1], 0x48
	s_load_dwordx8 s[4:11], s[0:1], 0x18
	s_mov_b32 s20, s3
	s_mov_b32 s21, 0
	s_lshl_b64 s[22:23], s[20:21], 3
	s_waitcnt lgkmcnt(0)
	s_add_u32 s16, s16, s22
	s_addc_u32 s17, s17, s23
	s_load_dword s3, s[0:1], 0x70
	s_min_i32 s24, s14, 28
	s_load_dwordx2 s[16:17], s[16:17], 0x0
	v_cmp_gt_i32_e32 vcc, s24, v0
	s_and_saveexec_b64 s[20:21], vcc
	s_cbranch_execz .LBB232_11
; %bb.1:
	s_load_dword s26, s[0:1], 0x38
	v_lshlrev_b32_e32 v2, 4, v0
	v_mov_b32_e32 v3, 0
	v_mov_b32_e32 v1, v2
	s_waitcnt lgkmcnt(0)
	s_ashr_i32 s27, s26, 31
	s_cmpk_eq_i32 s12, 0x71
	s_cselect_b64 vcc, -1, 0
	s_add_u32 s8, s8, s22
	s_addc_u32 s9, s9, s23
	s_load_dwordx2 s[8:9], s[8:9], 0x0
	s_lshl_b64 s[10:11], s[10:11], 4
	s_waitcnt lgkmcnt(0)
	s_add_u32 s10, s8, s10
	s_addc_u32 s11, s9, s11
	s_lshl_b64 s[8:9], s[26:27], 4
	v_lshl_add_u64 v[4:5], s[10:11], 0, v[2:3]
	s_mov_b32 s10, s24
.LBB232_2:                              ; =>This Inner Loop Header: Depth=1
	flat_load_dwordx4 v[6:9], v[4:5]
	s_add_i32 s10, s10, -1
	v_lshl_add_u64 v[4:5], v[4:5], 0, s[8:9]
	s_cmp_eq_u32 s10, 0
	s_waitcnt vmcnt(0) lgkmcnt(0)
	v_xor_b32_e32 v3, 0x80000000, v9
	v_cndmask_b32_e32 v9, v9, v3, vcc
	ds_write_b128 v1, v[6:9]
	v_add_u32_e32 v1, 0x1c0, v1
	s_cbranch_scc0 .LBB232_2
; %bb.3:
	v_mul_u32_u24_e32 v1, 0x1c0, v0
	s_cmpk_lg_i32 s13, 0x84
	v_add_u32_e32 v1, v2, v1
	s_cbranch_scc0 .LBB232_9
; %bb.4:
	ds_read_b128 v[2:5], v1
                                        ; implicit-def: $vgpr8_vgpr9
	s_waitcnt lgkmcnt(0)
	v_cmp_ngt_f64_e64 s[8:9], |v[2:3]|, |v[4:5]|
	s_and_saveexec_b64 s[10:11], s[8:9]
	s_xor_b64 s[8:9], exec, s[10:11]
	s_cbranch_execz .LBB232_6
; %bb.5:
	v_div_scale_f64 v[6:7], s[10:11], v[4:5], v[4:5], v[2:3]
	v_rcp_f64_e32 v[8:9], v[6:7]
	v_div_scale_f64 v[10:11], vcc, v[2:3], v[4:5], v[2:3]
	v_fma_f64 v[12:13], -v[6:7], v[8:9], 1.0
	v_fmac_f64_e32 v[8:9], v[8:9], v[12:13]
	v_fma_f64 v[12:13], -v[6:7], v[8:9], 1.0
	v_fmac_f64_e32 v[8:9], v[8:9], v[12:13]
	v_mul_f64 v[12:13], v[10:11], v[8:9]
	v_fma_f64 v[6:7], -v[6:7], v[12:13], v[10:11]
	v_div_fmas_f64 v[6:7], v[6:7], v[8:9], v[12:13]
	v_div_fixup_f64 v[8:9], v[6:7], v[4:5], v[2:3]
	v_fmac_f64_e32 v[4:5], v[2:3], v[8:9]
	v_div_scale_f64 v[2:3], s[10:11], v[4:5], v[4:5], 1.0
	v_rcp_f64_e32 v[6:7], v[2:3]
	s_nop 0
	v_fma_f64 v[10:11], -v[2:3], v[6:7], 1.0
	v_fmac_f64_e32 v[6:7], v[6:7], v[10:11]
	v_fma_f64 v[10:11], -v[2:3], v[6:7], 1.0
	v_fmac_f64_e32 v[6:7], v[6:7], v[10:11]
	v_div_scale_f64 v[10:11], vcc, 1.0, v[4:5], 1.0
	v_mul_f64 v[12:13], v[10:11], v[6:7]
	v_fma_f64 v[2:3], -v[2:3], v[12:13], v[10:11]
	s_nop 1
	v_div_fmas_f64 v[2:3], v[2:3], v[6:7], v[12:13]
	v_div_fixup_f64 v[2:3], v[2:3], v[4:5], 1.0
	v_add_f64 v[4:5], v[8:9], 0
	v_mul_f64 v[6:7], v[4:5], v[2:3]
	v_fma_f64 v[4:5], v[8:9], 0, -1.0
	v_mul_f64 v[8:9], v[4:5], v[2:3]
                                        ; implicit-def: $vgpr2_vgpr3
.LBB232_6:
	s_andn2_saveexec_b64 s[8:9], s[8:9]
	s_cbranch_execz .LBB232_8
; %bb.7:
	v_div_scale_f64 v[6:7], s[10:11], v[2:3], v[2:3], v[4:5]
	v_rcp_f64_e32 v[8:9], v[6:7]
	v_div_scale_f64 v[10:11], vcc, v[4:5], v[2:3], v[4:5]
	v_fma_f64 v[12:13], -v[6:7], v[8:9], 1.0
	v_fmac_f64_e32 v[8:9], v[8:9], v[12:13]
	v_fma_f64 v[12:13], -v[6:7], v[8:9], 1.0
	v_fmac_f64_e32 v[8:9], v[8:9], v[12:13]
	v_mul_f64 v[12:13], v[10:11], v[8:9]
	v_fma_f64 v[6:7], -v[6:7], v[12:13], v[10:11]
	v_div_fmas_f64 v[6:7], v[6:7], v[8:9], v[12:13]
	v_div_fixup_f64 v[8:9], v[6:7], v[2:3], v[4:5]
	v_fmac_f64_e32 v[2:3], v[4:5], v[8:9]
	v_div_scale_f64 v[4:5], s[10:11], v[2:3], v[2:3], 1.0
	v_rcp_f64_e32 v[6:7], v[4:5]
	s_nop 0
	v_fma_f64 v[10:11], -v[4:5], v[6:7], 1.0
	v_fmac_f64_e32 v[6:7], v[6:7], v[10:11]
	v_fma_f64 v[10:11], -v[4:5], v[6:7], 1.0
	v_fmac_f64_e32 v[6:7], v[6:7], v[10:11]
	v_div_scale_f64 v[10:11], vcc, 1.0, v[2:3], 1.0
	v_mul_f64 v[12:13], v[10:11], v[6:7]
	v_fma_f64 v[4:5], -v[4:5], v[12:13], v[10:11]
	s_nop 1
	v_div_fmas_f64 v[4:5], v[4:5], v[6:7], v[12:13]
	v_div_fixup_f64 v[2:3], v[4:5], v[2:3], 1.0
	v_fma_f64 v[4:5], v[8:9], 0, 1.0
	v_mul_f64 v[6:7], v[4:5], v[2:3]
	v_add_f64 v[4:5], -v[8:9], 0
	v_mul_f64 v[8:9], v[4:5], v[2:3]
.LBB232_8:
	s_or_b64 exec, exec, s[8:9]
	s_branch .LBB232_10
.LBB232_9:
	v_mov_b64_e32 v[8:9], 0
	v_mov_b64_e32 v[6:7], 1.0
.LBB232_10:
	ds_write_b128 v1, v[6:9]
.LBB232_11:
	s_or_b64 exec, exec, s[20:21]
	s_mul_i32 s8, s2, 0xffffffe4
	s_waitcnt lgkmcnt(0)
	s_add_i32 s3, s3, -1
	s_add_i32 s8, s15, s8
	s_cmp_ge_u32 s2, s3
	s_cselect_b32 s3, s8, 28
	v_cmp_gt_i32_e32 vcc, s3, v0
	; wave barrier
	s_and_saveexec_b64 s[8:9], vcc
	s_cbranch_execz .LBB232_54
; %bb.12:
	s_load_dword s10, s[0:1], 0x58
	s_lshl_b64 s[0:1], s[18:19], 4
	s_add_u32 s8, s16, s0
	v_mad_u64_u32 v[0:1], s[2:3], s2, 28, v[0:1]
	s_addc_u32 s9, s17, s1
	s_waitcnt lgkmcnt(0)
	v_mad_i64_i32 v[6:7], s[2:3], s10, v0, 0
	v_lshl_add_u64 v[4:5], v[6:7], 4, s[8:9]
	s_cmpk_eq_i32 s12, 0x6f
	s_mov_b64 s[2:3], -1
	s_cbranch_scc1 .LBB232_33
; %bb.13:
	s_add_i32 s18, s24, -1
	s_add_u32 s2, s16, s0
	s_addc_u32 s3, s17, s1
	v_lshl_add_u64 v[8:9], v[6:7], 4, s[2:3]
	s_lshl_b32 s19, s24, 4
	s_mov_b32 s3, 0
	s_add_i32 s19, s19, -16
	s_mov_b32 s2, s3
	s_mov_b32 s8, s18
	s_branch .LBB232_15
.LBB232_14:                             ;   in Loop: Header=BB232_15 Depth=1
	s_cmp_lt_i32 s8, 0
	s_cselect_b64 s[10:11], -1, 0
	s_add_i32 s2, s2, 1
	s_cmp_eq_u32 s2, 3
	s_cselect_b64 s[12:13], -1, 0
	s_or_b64 s[10:11], s[10:11], s[12:13]
	s_andn2_b64 vcc, exec, s[10:11]
	s_cbranch_vccz .LBB232_32
.LBB232_15:                             ; =>This Loop Header: Depth=1
                                        ;     Child Loop BB232_18 Depth 2
                                        ;       Child Loop BB232_19 Depth 3
                                        ;       Child Loop BB232_21 Depth 3
                                        ;         Child Loop BB232_22 Depth 4
                                        ;       Child Loop BB232_26 Depth 3
                                        ;         Child Loop BB232_28 Depth 4
	s_lshl_b64 s[10:11], s[2:3], 2
	s_getpc_b64 s[12:13]
	s_add_u32 s12, s12, __const._ZL30rocblas_trsm_small_left_deviceILi28ELi28ELb1E19rocblas_complex_numIdES1_PKPKS1_PKPS1_Ev13rocblas_fill_18rocblas_operation_17rocblas_diagonal_iiT3_T4_lilT5_lili.step_sizes@rel32@lo+4
	s_addc_u32 s13, s13, __const._ZL30rocblas_trsm_small_left_deviceILi28ELi28ELb1E19rocblas_complex_numIdES1_PKPKS1_PKPS1_Ev13rocblas_fill_18rocblas_operation_17rocblas_diagonal_iiT3_T4_lilT5_lili.step_sizes@rel32@hi+12
	s_add_u32 s10, s12, s10
	s_addc_u32 s11, s13, s11
	s_load_dword s20, s[10:11], 0x0
	s_waitcnt lgkmcnt(0)
	s_add_i32 s21, s20, -1
	s_cmp_lt_i32 s8, s21
	s_cbranch_scc1 .LBB232_14
; %bb.16:                               ;   in Loop: Header=BB232_15 Depth=1
	s_mul_i32 s9, s8, 0x1c0
	s_max_i32 s22, s20, 1
	s_add_i32 s23, s19, s9
	s_mul_i32 s25, s20, 0xfffffe40
	s_mul_i32 s26, s8, 0x1d0
	;; [unrolled: 1-line block ×3, first 2 shown]
	s_branch .LBB232_18
.LBB232_17:                             ;   in Loop: Header=BB232_18 Depth=2
	s_sub_i32 s8, s8, s20
	s_add_i32 s23, s23, s25
	s_add_i32 s26, s26, s27
	s_cmp_lt_i32 s8, s21
	s_cbranch_scc1 .LBB232_14
.LBB232_18:                             ;   Parent Loop BB232_15 Depth=1
                                        ; =>  This Loop Header: Depth=2
                                        ;       Child Loop BB232_19 Depth 3
                                        ;       Child Loop BB232_21 Depth 3
                                        ;         Child Loop BB232_22 Depth 4
                                        ;       Child Loop BB232_26 Depth 3
                                        ;         Child Loop BB232_28 Depth 4
	s_ashr_i32 s9, s8, 31
	v_lshl_add_u64 v[0:1], s[8:9], 4, v[8:9]
	s_mov_b32 s10, 0
	s_mov_b32 s11, s22
.LBB232_19:                             ;   Parent Loop BB232_15 Depth=1
                                        ;     Parent Loop BB232_18 Depth=2
                                        ; =>    This Inner Loop Header: Depth=3
	flat_load_dwordx4 v[10:13], v[0:1]
	s_add_i32 s11, s11, -1
	v_lshl_add_u64 v[0:1], v[0:1], 0, -16
	s_waitcnt vmcnt(0) lgkmcnt(0)
	v_mul_f64 v[2:3], s[6:7], v[12:13]
	v_mul_f64 v[14:15], s[4:5], v[12:13]
	v_fma_f64 v[12:13], s[4:5], v[10:11], -v[2:3]
	v_fmac_f64_e32 v[14:15], s[6:7], v[10:11]
	scratch_store_dwordx4 off, v[12:15], s10
	s_add_i32 s10, s10, 16
	s_cmp_eq_u32 s11, 0
	s_cbranch_scc0 .LBB232_19
; %bb.20:                               ;   in Loop: Header=BB232_18 Depth=2
	s_cmp_le_i32 s18, s8
	s_mov_b32 s12, s23
	s_mov_b32 s10, s18
	s_cbranch_scc1 .LBB232_24
.LBB232_21:                             ;   Parent Loop BB232_15 Depth=1
                                        ;     Parent Loop BB232_18 Depth=2
                                        ; =>    This Loop Header: Depth=3
                                        ;         Child Loop BB232_22 Depth 4
	s_ashr_i32 s11, s10, 31
	v_lshl_add_u64 v[0:1], s[10:11], 4, v[4:5]
	flat_load_dwordx4 v[0:3], v[0:1]
	s_mov_b32 s11, 0
	s_mov_b32 s13, s12
	;; [unrolled: 1-line block ×3, first 2 shown]
.LBB232_22:                             ;   Parent Loop BB232_15 Depth=1
                                        ;     Parent Loop BB232_18 Depth=2
                                        ;       Parent Loop BB232_21 Depth=3
                                        ; =>      This Inner Loop Header: Depth=4
	scratch_load_dwordx4 v[10:13], off, s11
	v_mov_b32_e32 v14, s13
	ds_read_b128 v[14:17], v14
	s_add_i32 s14, s14, -1
	s_addk_i32 s13, 0xfe40
	s_waitcnt vmcnt(0) lgkmcnt(0)
	v_mul_f64 v[18:19], v[2:3], v[16:17]
	v_mul_f64 v[16:17], v[0:1], v[16:17]
	v_fma_f64 v[18:19], v[0:1], v[14:15], -v[18:19]
	v_fmac_f64_e32 v[16:17], v[2:3], v[14:15]
	v_add_f64 v[10:11], v[10:11], -v[18:19]
	v_add_f64 v[12:13], v[12:13], -v[16:17]
	scratch_store_dwordx4 off, v[10:13], s11
	s_add_i32 s11, s11, 16
	s_cmp_eq_u32 s14, 0
	s_cbranch_scc0 .LBB232_22
; %bb.23:                               ;   in Loop: Header=BB232_21 Depth=3
	s_add_i32 s10, s10, -1
	s_add_i32 s12, s12, -16
	s_cmp_le_i32 s10, s8
	s_cbranch_scc0 .LBB232_21
.LBB232_24:                             ;   in Loop: Header=BB232_18 Depth=2
	s_mov_b32 s28, 0
	s_mov_b32 s29, s26
	s_branch .LBB232_26
.LBB232_25:                             ;   in Loop: Header=BB232_26 Depth=3
	s_mulk_i32 s12, 0x1d0
	v_mov_b32_e32 v10, s12
	ds_read_b128 v[10:13], v10
	s_lshl_b32 s12, s28, 4
	s_add_i32 s28, s28, 1
	s_addk_i32 s29, 0xfe40
	s_cmp_eq_u32 s28, s22
	s_waitcnt vmcnt(0) lgkmcnt(0)
	v_mul_f64 v[14:15], v[12:13], v[2:3]
	v_mul_f64 v[16:17], v[10:11], v[2:3]
	v_fma_f64 v[14:15], v[10:11], v[0:1], -v[14:15]
	v_fmac_f64_e32 v[16:17], v[12:13], v[0:1]
	v_lshl_add_u64 v[0:1], s[10:11], 4, v[4:5]
	scratch_store_dwordx4 off, v[14:17], s12
	flat_store_dwordx4 v[0:1], v[14:17]
	s_cbranch_scc1 .LBB232_17
.LBB232_26:                             ;   Parent Loop BB232_15 Depth=1
                                        ;     Parent Loop BB232_18 Depth=2
                                        ; =>    This Loop Header: Depth=3
                                        ;         Child Loop BB232_28 Depth 4
	s_cmp_lg_u32 s28, 0
	s_cbranch_scc0 .LBB232_30
; %bb.27:                               ;   in Loop: Header=BB232_26 Depth=3
	s_lshl_b32 s10, s28, 4
	scratch_load_dwordx4 v[0:3], off, s10
	s_mov_b32 s11, 0
	s_mov_b32 s12, s29
	s_mov_b32 s13, s28
.LBB232_28:                             ;   Parent Loop BB232_15 Depth=1
                                        ;     Parent Loop BB232_18 Depth=2
                                        ;       Parent Loop BB232_26 Depth=3
                                        ; =>      This Inner Loop Header: Depth=4
	scratch_load_dwordx4 v[10:13], off, s11
	v_mov_b32_e32 v14, s12
	ds_read_b128 v[14:17], v14
	s_add_i32 s13, s13, -1
	s_add_i32 s12, s12, -16
	s_add_i32 s11, s11, 16
	s_cmp_eq_u32 s13, 0
	s_waitcnt vmcnt(0) lgkmcnt(0)
	v_mul_f64 v[18:19], v[16:17], v[12:13]
	v_mul_f64 v[12:13], v[14:15], v[12:13]
	v_fma_f64 v[14:15], v[14:15], v[10:11], -v[18:19]
	v_fmac_f64_e32 v[12:13], v[16:17], v[10:11]
	v_add_f64 v[0:1], v[0:1], -v[14:15]
	v_add_f64 v[2:3], v[2:3], -v[12:13]
	scratch_store_dwordx4 off, v[0:3], s10
	s_cbranch_scc0 .LBB232_28
; %bb.29:                               ;   in Loop: Header=BB232_26 Depth=3
	s_sub_i32 s12, s8, s28
	s_ashr_i32 s13, s12, 31
	s_mov_b64 s[10:11], s[12:13]
	s_branch .LBB232_25
.LBB232_30:                             ;   in Loop: Header=BB232_26 Depth=3
                                        ; implicit-def: $vgpr0_vgpr1
                                        ; implicit-def: $sgpr12
                                        ; implicit-def: $sgpr10_sgpr11
	s_cbranch_execz .LBB232_25
; %bb.31:                               ;   in Loop: Header=BB232_26 Depth=3
	scratch_load_dwordx4 v[0:3], off, off
	s_mov_b64 s[10:11], s[8:9]
	s_mov_b32 s12, s8
	s_branch .LBB232_25
.LBB232_32:
	s_mov_b64 s[2:3], 0
.LBB232_33:
	s_and_b64 vcc, exec, s[2:3]
	s_cbranch_vccz .LBB232_54
; %bb.34:
	s_add_u32 s0, s16, s0
	s_addc_u32 s1, s17, s1
	v_lshl_add_u64 v[6:7], v[6:7], 4, s[0:1]
	s_mov_b32 s1, 0
	s_mov_b32 s2, s1
	;; [unrolled: 1-line block ×3, first 2 shown]
	s_branch .LBB232_36
.LBB232_35:                             ;   in Loop: Header=BB232_36 Depth=1
	s_cmp_ge_i32 s2, s24
	s_cselect_b64 s[10:11], -1, 0
	s_add_i32 s8, s8, 1
	s_cmp_eq_u32 s8, 3
	s_cselect_b64 s[12:13], -1, 0
	s_or_b64 s[10:11], s[10:11], s[12:13]
	s_and_b64 vcc, exec, s[10:11]
	s_cbranch_vccnz .LBB232_54
.LBB232_36:                             ; =>This Loop Header: Depth=1
                                        ;     Child Loop BB232_39 Depth 2
                                        ;       Child Loop BB232_40 Depth 3
                                        ;       Child Loop BB232_43 Depth 3
                                        ;         Child Loop BB232_44 Depth 4
                                        ;       Child Loop BB232_48 Depth 3
                                        ;         Child Loop BB232_50 Depth 4
	s_mov_b32 s9, s1
	s_lshl_b64 s[10:11], s[8:9], 2
	s_getpc_b64 s[12:13]
	s_add_u32 s12, s12, __const._ZL30rocblas_trsm_small_left_deviceILi28ELi28ELb1E19rocblas_complex_numIdES1_PKPKS1_PKPS1_Ev13rocblas_fill_18rocblas_operation_17rocblas_diagonal_iiT3_T4_lilT5_lili.step_sizes@rel32@lo+4
	s_addc_u32 s13, s13, __const._ZL30rocblas_trsm_small_left_deviceILi28ELi28ELb1E19rocblas_complex_numIdES1_PKPKS1_PKPS1_Ev13rocblas_fill_18rocblas_operation_17rocblas_diagonal_iiT3_T4_lilT5_lili.step_sizes@rel32@hi+12
	s_add_u32 s10, s12, s10
	s_addc_u32 s11, s13, s11
	s_load_dword s10, s[10:11], 0x0
	s_waitcnt lgkmcnt(0)
	s_add_i32 s9, s10, -1
	s_add_i32 s0, s9, s2
	s_cmp_ge_i32 s0, s24
	s_cbranch_scc1 .LBB232_35
; %bb.37:                               ;   in Loop: Header=BB232_36 Depth=1
	s_ashr_i32 s3, s2, 31
	s_ashr_i32 s11, s10, 31
	s_max_i32 s16, s10, 1
	v_lshl_add_u64 v[8:9], s[2:3], 4, v[6:7]
	s_lshl_b64 s[12:13], s[10:11], 4
	s_lshl_b32 s3, s2, 4
	s_lshl_b32 s11, s10, 4
	s_mul_i32 s17, s2, 0x1d0
	s_mul_i32 s18, s10, 0x1d0
	s_branch .LBB232_39
.LBB232_38:                             ;   in Loop: Header=BB232_39 Depth=2
	s_add_i32 s2, s2, s10
	s_add_i32 s0, s9, s2
	;; [unrolled: 1-line block ×4, first 2 shown]
	s_cmp_ge_i32 s0, s24
	v_lshl_add_u64 v[8:9], v[8:9], 0, s[12:13]
	s_cbranch_scc1 .LBB232_35
.LBB232_39:                             ;   Parent Loop BB232_36 Depth=1
                                        ; =>  This Loop Header: Depth=2
                                        ;       Child Loop BB232_40 Depth 3
                                        ;       Child Loop BB232_43 Depth 3
                                        ;         Child Loop BB232_44 Depth 4
                                        ;       Child Loop BB232_48 Depth 3
                                        ;         Child Loop BB232_50 Depth 4
	s_mov_b32 s0, 0
	v_mov_b64_e32 v[0:1], v[8:9]
	s_mov_b32 s14, s16
.LBB232_40:                             ;   Parent Loop BB232_36 Depth=1
                                        ;     Parent Loop BB232_39 Depth=2
                                        ; =>    This Inner Loop Header: Depth=3
	flat_load_dwordx4 v[10:13], v[0:1]
	s_add_i32 s14, s14, -1
	v_lshl_add_u64 v[0:1], v[0:1], 0, 16
	s_waitcnt vmcnt(0) lgkmcnt(0)
	v_mul_f64 v[2:3], s[6:7], v[12:13]
	v_mul_f64 v[14:15], s[4:5], v[12:13]
	v_fma_f64 v[12:13], s[4:5], v[10:11], -v[2:3]
	v_fmac_f64_e32 v[14:15], s[6:7], v[10:11]
	scratch_store_dwordx4 off, v[12:15], s0
	s_add_i32 s0, s0, 16
	s_cmp_eq_u32 s14, 0
	s_cbranch_scc0 .LBB232_40
; %bb.41:                               ;   in Loop: Header=BB232_39 Depth=2
	s_cmp_lt_i32 s2, 1
	s_cbranch_scc1 .LBB232_46
; %bb.42:                               ;   in Loop: Header=BB232_39 Depth=2
	s_mov_b32 s0, 0
	s_mov_b32 s14, s3
.LBB232_43:                             ;   Parent Loop BB232_36 Depth=1
                                        ;     Parent Loop BB232_39 Depth=2
                                        ; =>    This Loop Header: Depth=3
                                        ;         Child Loop BB232_44 Depth 4
	v_lshl_add_u64 v[0:1], s[0:1], 4, v[4:5]
	flat_load_dwordx4 v[0:3], v[0:1]
	s_mov_b32 s15, 0
	s_mov_b32 s19, s14
	;; [unrolled: 1-line block ×3, first 2 shown]
.LBB232_44:                             ;   Parent Loop BB232_36 Depth=1
                                        ;     Parent Loop BB232_39 Depth=2
                                        ;       Parent Loop BB232_43 Depth=3
                                        ; =>      This Inner Loop Header: Depth=4
	scratch_load_dwordx4 v[10:13], off, s15
	v_mov_b32_e32 v14, s19
	ds_read_b128 v[14:17], v14
	s_add_i32 s20, s20, -1
	s_add_i32 s19, s19, 16
	s_waitcnt vmcnt(0) lgkmcnt(0)
	v_mul_f64 v[18:19], v[2:3], v[16:17]
	v_mul_f64 v[16:17], v[0:1], v[16:17]
	v_fma_f64 v[18:19], v[0:1], v[14:15], -v[18:19]
	v_fmac_f64_e32 v[16:17], v[2:3], v[14:15]
	v_add_f64 v[10:11], v[10:11], -v[18:19]
	v_add_f64 v[12:13], v[12:13], -v[16:17]
	scratch_store_dwordx4 off, v[10:13], s15
	s_add_i32 s15, s15, 16
	s_cmp_eq_u32 s20, 0
	s_cbranch_scc0 .LBB232_44
; %bb.45:                               ;   in Loop: Header=BB232_43 Depth=3
	s_add_i32 s0, s0, 1
	s_addk_i32 s14, 0x1c0
	s_cmp_eq_u32 s0, s2
	s_cbranch_scc0 .LBB232_43
.LBB232_46:                             ;   in Loop: Header=BB232_39 Depth=2
	s_mov_b32 s0, 0
	s_mov_b32 s19, s17
	s_branch .LBB232_48
.LBB232_47:                             ;   in Loop: Header=BB232_48 Depth=3
	s_add_i32 s14, s0, s2
	s_mul_i32 s15, s14, 0x1d0
	v_mov_b32_e32 v10, s15
	ds_read_b128 v[10:13], v10
	s_lshl_b32 s15, s0, 4
	s_add_i32 s0, s0, 1
	s_add_i32 s19, s19, 16
	s_waitcnt vmcnt(0) lgkmcnt(0)
	v_mul_f64 v[14:15], v[12:13], v[2:3]
	v_mul_f64 v[16:17], v[10:11], v[2:3]
	v_fma_f64 v[14:15], v[10:11], v[0:1], -v[14:15]
	v_fmac_f64_e32 v[16:17], v[12:13], v[0:1]
	scratch_store_dwordx4 off, v[14:17], s15
	s_ashr_i32 s15, s14, 31
	v_lshl_add_u64 v[0:1], s[14:15], 4, v[4:5]
	s_cmp_eq_u32 s0, s16
	flat_store_dwordx4 v[0:1], v[14:17]
	s_cbranch_scc1 .LBB232_38
.LBB232_48:                             ;   Parent Loop BB232_36 Depth=1
                                        ;     Parent Loop BB232_39 Depth=2
                                        ; =>    This Loop Header: Depth=3
                                        ;         Child Loop BB232_50 Depth 4
	s_cmp_lg_u32 s0, 0
	s_cbranch_scc0 .LBB232_52
; %bb.49:                               ;   in Loop: Header=BB232_48 Depth=3
	s_lshl_b32 s14, s0, 4
	scratch_load_dwordx4 v[0:3], off, s14
	s_mov_b32 s15, 0
	s_mov_b32 s20, s19
	;; [unrolled: 1-line block ×3, first 2 shown]
.LBB232_50:                             ;   Parent Loop BB232_36 Depth=1
                                        ;     Parent Loop BB232_39 Depth=2
                                        ;       Parent Loop BB232_48 Depth=3
                                        ; =>      This Inner Loop Header: Depth=4
	scratch_load_dwordx4 v[10:13], off, s15
	v_mov_b32_e32 v14, s20
	ds_read_b128 v[14:17], v14
	s_add_i32 s21, s21, -1
	s_addk_i32 s20, 0x1c0
	s_add_i32 s15, s15, 16
	s_cmp_eq_u32 s21, 0
	s_waitcnt vmcnt(0) lgkmcnt(0)
	v_mul_f64 v[18:19], v[16:17], v[12:13]
	v_mul_f64 v[12:13], v[14:15], v[12:13]
	v_fma_f64 v[14:15], v[14:15], v[10:11], -v[18:19]
	v_fmac_f64_e32 v[12:13], v[16:17], v[10:11]
	v_add_f64 v[0:1], v[0:1], -v[14:15]
	v_add_f64 v[2:3], v[2:3], -v[12:13]
	scratch_store_dwordx4 off, v[0:3], s14
	s_cbranch_scc0 .LBB232_50
; %bb.51:                               ;   in Loop: Header=BB232_48 Depth=3
	s_branch .LBB232_47
.LBB232_52:                             ;   in Loop: Header=BB232_48 Depth=3
                                        ; implicit-def: $vgpr0_vgpr1
	s_cbranch_execz .LBB232_47
; %bb.53:                               ;   in Loop: Header=BB232_48 Depth=3
	scratch_load_dwordx4 v[0:3], off, off
	s_branch .LBB232_47
.LBB232_54:
	s_endpgm
	.section	.rodata,"a",@progbits
	.p2align	6, 0x0
	.amdhsa_kernel _ZL30rocblas_trsm_small_left_deviceILi28ELi28ELb1E19rocblas_complex_numIdES1_PKPKS1_PKPS1_Ev13rocblas_fill_18rocblas_operation_17rocblas_diagonal_iiT3_T4_lilT5_lili
		.amdhsa_group_segment_fixed_size 12544
		.amdhsa_private_segment_fixed_size 464
		.amdhsa_kernarg_size 368
		.amdhsa_user_sgpr_count 2
		.amdhsa_user_sgpr_dispatch_ptr 0
		.amdhsa_user_sgpr_queue_ptr 0
		.amdhsa_user_sgpr_kernarg_segment_ptr 1
		.amdhsa_user_sgpr_dispatch_id 0
		.amdhsa_user_sgpr_kernarg_preload_length 0
		.amdhsa_user_sgpr_kernarg_preload_offset 0
		.amdhsa_user_sgpr_private_segment_size 0
		.amdhsa_uses_dynamic_stack 0
		.amdhsa_enable_private_segment 1
		.amdhsa_system_sgpr_workgroup_id_x 1
		.amdhsa_system_sgpr_workgroup_id_y 0
		.amdhsa_system_sgpr_workgroup_id_z 1
		.amdhsa_system_sgpr_workgroup_info 0
		.amdhsa_system_vgpr_workitem_id 0
		.amdhsa_next_free_vgpr 97
		.amdhsa_next_free_sgpr 96
		.amdhsa_accum_offset 20
		.amdhsa_reserve_vcc 1
		.amdhsa_float_round_mode_32 0
		.amdhsa_float_round_mode_16_64 0
		.amdhsa_float_denorm_mode_32 3
		.amdhsa_float_denorm_mode_16_64 3
		.amdhsa_dx10_clamp 1
		.amdhsa_ieee_mode 1
		.amdhsa_fp16_overflow 0
		.amdhsa_tg_split 0
		.amdhsa_exception_fp_ieee_invalid_op 0
		.amdhsa_exception_fp_denorm_src 0
		.amdhsa_exception_fp_ieee_div_zero 0
		.amdhsa_exception_fp_ieee_overflow 0
		.amdhsa_exception_fp_ieee_underflow 0
		.amdhsa_exception_fp_ieee_inexact 0
		.amdhsa_exception_int_div_zero 0
	.end_amdhsa_kernel
	.section	.text._ZL30rocblas_trsm_small_left_deviceILi28ELi28ELb1E19rocblas_complex_numIdES1_PKPKS1_PKPS1_Ev13rocblas_fill_18rocblas_operation_17rocblas_diagonal_iiT3_T4_lilT5_lili,"axG",@progbits,_ZL30rocblas_trsm_small_left_deviceILi28ELi28ELb1E19rocblas_complex_numIdES1_PKPKS1_PKPS1_Ev13rocblas_fill_18rocblas_operation_17rocblas_diagonal_iiT3_T4_lilT5_lili,comdat
.Lfunc_end232:
	.size	_ZL30rocblas_trsm_small_left_deviceILi28ELi28ELb1E19rocblas_complex_numIdES1_PKPKS1_PKPS1_Ev13rocblas_fill_18rocblas_operation_17rocblas_diagonal_iiT3_T4_lilT5_lili, .Lfunc_end232-_ZL30rocblas_trsm_small_left_deviceILi28ELi28ELb1E19rocblas_complex_numIdES1_PKPKS1_PKPS1_Ev13rocblas_fill_18rocblas_operation_17rocblas_diagonal_iiT3_T4_lilT5_lili
                                        ; -- End function
	.set _ZL30rocblas_trsm_small_left_deviceILi28ELi28ELb1E19rocblas_complex_numIdES1_PKPKS1_PKPS1_Ev13rocblas_fill_18rocblas_operation_17rocblas_diagonal_iiT3_T4_lilT5_lili.num_vgpr, 20
	.set _ZL30rocblas_trsm_small_left_deviceILi28ELi28ELb1E19rocblas_complex_numIdES1_PKPKS1_PKPS1_Ev13rocblas_fill_18rocblas_operation_17rocblas_diagonal_iiT3_T4_lilT5_lili.num_agpr, 0
	.set _ZL30rocblas_trsm_small_left_deviceILi28ELi28ELb1E19rocblas_complex_numIdES1_PKPKS1_PKPS1_Ev13rocblas_fill_18rocblas_operation_17rocblas_diagonal_iiT3_T4_lilT5_lili.numbered_sgpr, 30
	.set _ZL30rocblas_trsm_small_left_deviceILi28ELi28ELb1E19rocblas_complex_numIdES1_PKPKS1_PKPS1_Ev13rocblas_fill_18rocblas_operation_17rocblas_diagonal_iiT3_T4_lilT5_lili.num_named_barrier, 0
	.set _ZL30rocblas_trsm_small_left_deviceILi28ELi28ELb1E19rocblas_complex_numIdES1_PKPKS1_PKPS1_Ev13rocblas_fill_18rocblas_operation_17rocblas_diagonal_iiT3_T4_lilT5_lili.private_seg_size, 464
	.set _ZL30rocblas_trsm_small_left_deviceILi28ELi28ELb1E19rocblas_complex_numIdES1_PKPKS1_PKPS1_Ev13rocblas_fill_18rocblas_operation_17rocblas_diagonal_iiT3_T4_lilT5_lili.uses_vcc, 1
	.set _ZL30rocblas_trsm_small_left_deviceILi28ELi28ELb1E19rocblas_complex_numIdES1_PKPKS1_PKPS1_Ev13rocblas_fill_18rocblas_operation_17rocblas_diagonal_iiT3_T4_lilT5_lili.uses_flat_scratch, 0
	.set _ZL30rocblas_trsm_small_left_deviceILi28ELi28ELb1E19rocblas_complex_numIdES1_PKPKS1_PKPS1_Ev13rocblas_fill_18rocblas_operation_17rocblas_diagonal_iiT3_T4_lilT5_lili.has_dyn_sized_stack, 0
	.set _ZL30rocblas_trsm_small_left_deviceILi28ELi28ELb1E19rocblas_complex_numIdES1_PKPKS1_PKPS1_Ev13rocblas_fill_18rocblas_operation_17rocblas_diagonal_iiT3_T4_lilT5_lili.has_recursion, 0
	.set _ZL30rocblas_trsm_small_left_deviceILi28ELi28ELb1E19rocblas_complex_numIdES1_PKPKS1_PKPS1_Ev13rocblas_fill_18rocblas_operation_17rocblas_diagonal_iiT3_T4_lilT5_lili.has_indirect_call, 0
	.section	.AMDGPU.csdata,"",@progbits
; Kernel info:
; codeLenInByte = 2256
; TotalNumSgprs: 36
; NumVgprs: 20
; NumAgprs: 0
; TotalNumVgprs: 20
; ScratchSize: 464
; MemoryBound: 0
; FloatMode: 240
; IeeeMode: 1
; LDSByteSize: 12544 bytes/workgroup (compile time only)
; SGPRBlocks: 12
; VGPRBlocks: 12
; NumSGPRsForWavesPerEU: 102
; NumVGPRsForWavesPerEU: 97
; AccumOffset: 20
; Occupancy: 4
; WaveLimiterHint : 1
; COMPUTE_PGM_RSRC2:SCRATCH_EN: 1
; COMPUTE_PGM_RSRC2:USER_SGPR: 2
; COMPUTE_PGM_RSRC2:TRAP_HANDLER: 0
; COMPUTE_PGM_RSRC2:TGID_X_EN: 1
; COMPUTE_PGM_RSRC2:TGID_Y_EN: 0
; COMPUTE_PGM_RSRC2:TGID_Z_EN: 1
; COMPUTE_PGM_RSRC2:TIDIG_COMP_CNT: 0
; COMPUTE_PGM_RSRC3_GFX90A:ACCUM_OFFSET: 4
; COMPUTE_PGM_RSRC3_GFX90A:TG_SPLIT: 0
	.section	.text._ZL31rocblas_trsm_small_right_deviceI19rocblas_complex_numIdES1_PKPKS1_PKPS1_Li28EEv13rocblas_fill_18rocblas_operation_17rocblas_diagonal_iiT0_T1_lilT2_lili,"axG",@progbits,_ZL31rocblas_trsm_small_right_deviceI19rocblas_complex_numIdES1_PKPKS1_PKPS1_Li28EEv13rocblas_fill_18rocblas_operation_17rocblas_diagonal_iiT0_T1_lilT2_lili,comdat
	.globl	_ZL31rocblas_trsm_small_right_deviceI19rocblas_complex_numIdES1_PKPKS1_PKPS1_Li28EEv13rocblas_fill_18rocblas_operation_17rocblas_diagonal_iiT0_T1_lilT2_lili ; -- Begin function _ZL31rocblas_trsm_small_right_deviceI19rocblas_complex_numIdES1_PKPKS1_PKPS1_Li28EEv13rocblas_fill_18rocblas_operation_17rocblas_diagonal_iiT0_T1_lilT2_lili
	.p2align	8
	.type	_ZL31rocblas_trsm_small_right_deviceI19rocblas_complex_numIdES1_PKPKS1_PKPS1_Li28EEv13rocblas_fill_18rocblas_operation_17rocblas_diagonal_iiT0_T1_lilT2_lili,@function
_ZL31rocblas_trsm_small_right_deviceI19rocblas_complex_numIdES1_PKPKS1_PKPS1_Li28EEv13rocblas_fill_18rocblas_operation_17rocblas_diagonal_iiT0_T1_lilT2_lili: ; @_ZL31rocblas_trsm_small_right_deviceI19rocblas_complex_numIdES1_PKPKS1_PKPS1_Li28EEv13rocblas_fill_18rocblas_operation_17rocblas_diagonal_iiT0_T1_lilT2_lili
; %bb.0:
	s_mov_b32 s20, s3
	s_load_dwordx4 s[16:19], s[0:1], 0x48
	s_load_dwordx4 s[12:15], s[0:1], 0x0
	s_load_dword s24, s[0:1], 0x10
	s_load_dwordx8 s[4:11], s[0:1], 0x18
	s_mov_b32 s21, 0
	s_lshl_b64 s[22:23], s[20:21], 3
	s_waitcnt lgkmcnt(0)
	s_add_u32 s16, s16, s22
	s_addc_u32 s17, s17, s23
	s_load_dwordx2 s[16:17], s[16:17], 0x0
	s_min_i32 s25, s24, 28
	v_cmp_gt_i32_e32 vcc, s25, v0
	s_and_saveexec_b64 s[20:21], vcc
	s_cbranch_execz .LBB233_5
; %bb.1:
	s_load_dword s26, s[0:1], 0x38
	v_lshlrev_b32_e32 v2, 4, v0
	v_mov_b32_e32 v3, 0
	v_mov_b32_e32 v1, v2
	s_mov_b32 s3, s25
	s_waitcnt lgkmcnt(0)
	s_ashr_i32 s27, s26, 31
	s_cmpk_eq_i32 s13, 0x71
	s_cselect_b64 vcc, -1, 0
	s_add_u32 s8, s8, s22
	s_addc_u32 s9, s9, s23
	s_load_dwordx2 s[8:9], s[8:9], 0x0
	s_lshl_b64 s[10:11], s[10:11], 4
	s_waitcnt lgkmcnt(0)
	s_add_u32 s10, s8, s10
	s_addc_u32 s11, s9, s11
	s_lshl_b64 s[8:9], s[26:27], 4
	v_lshl_add_u64 v[4:5], s[10:11], 0, v[2:3]
.LBB233_2:                              ; =>This Inner Loop Header: Depth=1
	flat_load_dwordx4 v[6:9], v[4:5]
	s_add_i32 s3, s3, -1
	v_lshl_add_u64 v[4:5], v[4:5], 0, s[8:9]
	s_cmp_eq_u32 s3, 0
	s_waitcnt vmcnt(0) lgkmcnt(0)
	v_xor_b32_e32 v3, 0x80000000, v9
	v_cndmask_b32_e32 v9, v9, v3, vcc
	ds_write_b128 v1, v[6:9]
	v_add_u32_e32 v1, 0x1c0, v1
	s_cbranch_scc0 .LBB233_2
; %bb.3:
	s_cmpk_eq_i32 s14, 0x84
	s_cbranch_scc0 .LBB233_5
; %bb.4:
	s_movk_i32 s3, 0x1c0
	v_mad_u32_u24 v1, v0, s3, v2
	v_mov_b32_e32 v2, 0
	v_mov_b32_e32 v3, 0x3ff00000
	;; [unrolled: 1-line block ×4, first 2 shown]
	ds_write_b128 v1, v[2:5]
.LBB233_5:
	s_or_b64 exec, exec, s[20:21]
	s_load_dword s3, s[0:1], 0x70
	s_load_dword s8, s[0:1], 0x58
	s_lshl_b64 s[0:1], s[18:19], 4
	s_waitcnt lgkmcnt(0)
	s_add_u32 s0, s16, s0
	s_mul_i32 s9, s2, 0xffffffe4
	s_addc_u32 s1, s17, s1
	s_add_i32 s3, s3, -1
	s_add_i32 s9, s15, s9
	s_cmp_ge_u32 s2, s3
	s_mul_hi_i32 s3, s2, 0x1c0
	s_mulk_i32 s2, 0x1c0
	s_cselect_b32 s9, s9, 28
	s_add_u32 s2, s0, s2
	s_addc_u32 s3, s1, s3
	v_cmp_gt_i32_e64 s[0:1], s9, v0
	s_and_saveexec_b64 s[10:11], s[0:1]
	s_cbranch_execz .LBB233_9
; %bb.6:
	s_cmp_lt_i32 s24, 1
	s_cbranch_scc1 .LBB233_9
; %bb.7:
	s_ashr_i32 s9, s8, 31
	v_lshlrev_b32_e32 v4, 4, v0
	v_mov_b32_e32 v5, 0
	v_lshl_add_u64 v[2:3], s[2:3], 0, v[4:5]
	s_lshl_b64 s[14:15], s[8:9], 4
	v_add_u32_e32 v1, 0x3100, v4
	s_mov_b32 s9, s24
.LBB233_8:                              ; =>This Inner Loop Header: Depth=1
	flat_load_dwordx4 v[4:7], v[2:3]
	s_add_i32 s9, s9, -1
	v_lshl_add_u64 v[2:3], v[2:3], 0, s[14:15]
	s_cmp_lg_u32 s9, 0
	s_waitcnt vmcnt(0) lgkmcnt(0)
	v_mul_f64 v[10:11], s[6:7], v[6:7]
	v_mul_f64 v[8:9], s[4:5], v[6:7]
	v_fma_f64 v[6:7], s[4:5], v[4:5], -v[10:11]
	v_fmac_f64_e32 v[8:9], s[6:7], v[4:5]
	ds_write_b128 v1, v[6:9]
	v_add_u32_e32 v1, 0x1c0, v1
	s_cbranch_scc1 .LBB233_8
.LBB233_9:
	s_or_b64 exec, exec, s[10:11]
	s_cmpk_eq_i32 s13, 0x6f
	s_cselect_b64 s[4:5], -1, 0
	s_cmpk_lg_i32 s12, 0x79
	s_cselect_b64 s[6:7], -1, 0
	s_cmpk_eq_i32 s12, 0x79
	s_cselect_b64 s[10:11], -1, 0
	s_and_b64 s[10:11], s[10:11], s[4:5]
	s_andn2_b64 vcc, exec, s[10:11]
	s_mov_b64 s[10:11], -1
	s_waitcnt lgkmcnt(0)
	; wave barrier
	s_cbranch_vccz .LBB233_110
; %bb.10:
	s_cmpk_lg_i32 s12, 0x7a
	s_cselect_b64 s[12:13], -1, 0
	s_xor_b64 s[4:5], s[4:5], -1
	s_add_i32 s9, s25, -1
	s_or_b64 s[12:13], s[12:13], s[4:5]
	v_mov_b32_e32 v1, 0x3100
	s_cmp_gt_i32 s24, 3
	v_lshl_add_u32 v1, v0, 4, v1
	s_cselect_b64 s[4:5], -1, 0
	s_and_b64 vcc, exec, s[12:13]
	s_cbranch_vccz .LBB233_77
; %bb.11:
	s_andn2_b64 vcc, exec, s[6:7]
	s_mov_b64 s[6:7], -1
	s_cbranch_vccnz .LBB233_44
; %bb.12:
	s_andn2_b64 vcc, exec, s[4:5]
	s_mov_b32 s12, 0
	s_cbranch_vccnz .LBB233_34
; %bb.13:
	v_mov_b32_e32 v2, 0x3100
	v_lshl_add_u32 v26, v0, 4, v2
	s_mov_b32 s10, 0
	s_mov_b32 s11, 0
.LBB233_14:                             ; =>This Loop Header: Depth=1
                                        ;     Child Loop BB233_15 Depth 2
	s_or_b32 s7, s11, 3
	s_mul_i32 s6, s11, 0x1c0
	v_add_u32_e32 v28, s6, v1
	s_mulk_i32 s7, 0x1c0
	ds_read_b128 v[18:21], v28
	ds_read_b128 v[14:17], v28 offset:448
	v_add_u32_e32 v27, s7, v1
	ds_read_b128 v[6:9], v28 offset:896
	ds_read_b128 v[2:5], v27
	s_cmp_eq_u32 s11, 0
	v_mov_b32_e32 v10, v26
	s_mov_b32 s7, s10
	s_mov_b32 s12, s11
	s_cbranch_scc1 .LBB233_16
.LBB233_15:                             ;   Parent Loop BB233_14 Depth=1
                                        ; =>  This Inner Loop Header: Depth=2
	v_mov_b32_e32 v11, s7
	ds_read_b128 v[22:25], v10
	ds_read_b128 v[30:33], v11
	ds_read_b128 v[34:37], v11 offset:16
	ds_read_b128 v[38:41], v11 offset:32
	;; [unrolled: 1-line block ×3, first 2 shown]
	s_add_i32 s12, s12, -1
	s_addk_i32 s7, 0x1c0
	v_add_u32_e32 v10, 0x1c0, v10
	s_waitcnt lgkmcnt(3)
	v_mul_f64 v[12:13], v[24:25], v[32:33]
	v_mul_f64 v[32:33], v[22:23], v[32:33]
	s_waitcnt lgkmcnt(2)
	v_mul_f64 v[46:47], v[24:25], v[36:37]
	v_mul_f64 v[36:37], v[22:23], v[36:37]
	;; [unrolled: 3-line block ×4, first 2 shown]
	v_fma_f64 v[12:13], v[22:23], v[30:31], -v[12:13]
	v_fmac_f64_e32 v[32:33], v[24:25], v[30:31]
	v_fma_f64 v[30:31], v[22:23], v[34:35], -v[46:47]
	v_fmac_f64_e32 v[36:37], v[24:25], v[34:35]
	;; [unrolled: 2-line block ×4, first 2 shown]
	s_cmp_eq_u32 s12, 0
	v_add_f64 v[18:19], v[18:19], -v[12:13]
	v_add_f64 v[20:21], v[20:21], -v[32:33]
	;; [unrolled: 1-line block ×8, first 2 shown]
	s_cbranch_scc0 .LBB233_15
.LBB233_16:                             ;   in Loop: Header=BB233_14 Depth=1
	s_lshl_b32 s12, s11, 4
	s_add_i32 s13, s12, s6
	v_mov_b32_e32 v10, s13
	ds_read_b128 v[22:25], v10
	s_mov_b64 s[6:7], -1
                                        ; implicit-def: $vgpr12_vgpr13
	s_waitcnt lgkmcnt(0)
	v_cmp_ngt_f64_e64 s[14:15], |v[22:23]|, |v[24:25]|
	s_and_b64 vcc, exec, s[14:15]
	s_cbranch_vccz .LBB233_18
; %bb.17:                               ;   in Loop: Header=BB233_14 Depth=1
	v_div_scale_f64 v[10:11], s[6:7], v[24:25], v[24:25], v[22:23]
	v_rcp_f64_e32 v[12:13], v[10:11]
	v_div_scale_f64 v[30:31], vcc, v[22:23], v[24:25], v[22:23]
	v_fma_f64 v[32:33], -v[10:11], v[12:13], 1.0
	v_fmac_f64_e32 v[12:13], v[12:13], v[32:33]
	v_fma_f64 v[32:33], -v[10:11], v[12:13], 1.0
	v_fmac_f64_e32 v[12:13], v[12:13], v[32:33]
	v_mul_f64 v[32:33], v[30:31], v[12:13]
	v_fma_f64 v[10:11], -v[10:11], v[32:33], v[30:31]
	v_div_fmas_f64 v[10:11], v[10:11], v[12:13], v[32:33]
	v_div_fixup_f64 v[12:13], v[10:11], v[24:25], v[22:23]
	v_fma_f64 v[10:11], v[22:23], v[12:13], v[24:25]
	v_div_scale_f64 v[30:31], s[6:7], v[10:11], v[10:11], 1.0
	v_rcp_f64_e32 v[32:33], v[30:31]
	s_mov_b64 s[6:7], 0
	v_fma_f64 v[34:35], -v[30:31], v[32:33], 1.0
	v_fmac_f64_e32 v[32:33], v[32:33], v[34:35]
	v_fma_f64 v[34:35], -v[30:31], v[32:33], 1.0
	v_fmac_f64_e32 v[32:33], v[32:33], v[34:35]
	v_div_scale_f64 v[34:35], vcc, 1.0, v[10:11], 1.0
	v_mul_f64 v[36:37], v[34:35], v[32:33]
	v_fma_f64 v[30:31], -v[30:31], v[36:37], v[34:35]
	s_nop 1
	v_div_fmas_f64 v[30:31], v[30:31], v[32:33], v[36:37]
	v_div_fixup_f64 v[30:31], v[30:31], v[10:11], 1.0
	v_fma_f64 v[10:11], v[18:19], v[12:13], v[20:21]
	v_fma_f64 v[12:13], v[20:21], v[12:13], -v[18:19]
	v_mul_f64 v[10:11], v[10:11], v[30:31]
	v_mul_f64 v[12:13], v[12:13], v[30:31]
.LBB233_18:                             ;   in Loop: Header=BB233_14 Depth=1
	s_andn2_b64 vcc, exec, s[6:7]
	s_cbranch_vccnz .LBB233_20
; %bb.19:                               ;   in Loop: Header=BB233_14 Depth=1
	v_div_scale_f64 v[10:11], s[6:7], v[22:23], v[22:23], v[24:25]
	v_rcp_f64_e32 v[12:13], v[10:11]
	v_div_scale_f64 v[30:31], vcc, v[24:25], v[22:23], v[24:25]
	v_fma_f64 v[32:33], -v[10:11], v[12:13], 1.0
	v_fmac_f64_e32 v[12:13], v[12:13], v[32:33]
	v_fma_f64 v[32:33], -v[10:11], v[12:13], 1.0
	v_fmac_f64_e32 v[12:13], v[12:13], v[32:33]
	v_mul_f64 v[32:33], v[30:31], v[12:13]
	v_fma_f64 v[10:11], -v[10:11], v[32:33], v[30:31]
	v_div_fmas_f64 v[10:11], v[10:11], v[12:13], v[32:33]
	v_div_fixup_f64 v[12:13], v[10:11], v[22:23], v[24:25]
	v_fmac_f64_e32 v[22:23], v[24:25], v[12:13]
	v_div_scale_f64 v[10:11], s[6:7], v[22:23], v[22:23], 1.0
	v_rcp_f64_e32 v[24:25], v[10:11]
	s_nop 0
	v_fma_f64 v[30:31], -v[10:11], v[24:25], 1.0
	v_fmac_f64_e32 v[24:25], v[24:25], v[30:31]
	v_fma_f64 v[30:31], -v[10:11], v[24:25], 1.0
	v_fmac_f64_e32 v[24:25], v[24:25], v[30:31]
	v_div_scale_f64 v[30:31], vcc, 1.0, v[22:23], 1.0
	v_mul_f64 v[32:33], v[30:31], v[24:25]
	v_fma_f64 v[10:11], -v[10:11], v[32:33], v[30:31]
	s_nop 1
	v_div_fmas_f64 v[10:11], v[10:11], v[24:25], v[32:33]
	v_div_fixup_f64 v[22:23], v[10:11], v[22:23], 1.0
	v_fma_f64 v[10:11], v[20:21], v[12:13], v[18:19]
	v_fma_f64 v[12:13], -v[18:19], v[12:13], v[20:21]
	v_mul_f64 v[10:11], v[10:11], v[22:23]
	v_mul_f64 v[12:13], v[12:13], v[22:23]
.LBB233_20:                             ;   in Loop: Header=BB233_14 Depth=1
	v_mov_b32_e32 v18, s13
	ds_read_b128 v[22:25], v18 offset:16
	ds_read_b128 v[18:21], v18 offset:464
	s_mov_b64 s[6:7], -1
	ds_write_b128 v28, v[10:13]
	s_waitcnt lgkmcnt(2)
	v_mul_f64 v[30:31], v[12:13], v[24:25]
	v_mul_f64 v[24:25], v[10:11], v[24:25]
	v_fma_f64 v[30:31], v[10:11], v[22:23], -v[30:31]
	v_fmac_f64_e32 v[24:25], v[12:13], v[22:23]
	s_waitcnt lgkmcnt(1)
	v_cmp_ngt_f64_e64 s[14:15], |v[18:19]|, |v[20:21]|
	v_add_f64 v[22:23], v[14:15], -v[30:31]
	v_add_f64 v[24:25], v[16:17], -v[24:25]
	s_and_b64 vcc, exec, s[14:15]
                                        ; implicit-def: $vgpr16_vgpr17
	s_cbranch_vccz .LBB233_22
; %bb.21:                               ;   in Loop: Header=BB233_14 Depth=1
	v_div_scale_f64 v[14:15], s[6:7], v[20:21], v[20:21], v[18:19]
	v_rcp_f64_e32 v[16:17], v[14:15]
	v_div_scale_f64 v[30:31], vcc, v[18:19], v[20:21], v[18:19]
	v_fma_f64 v[32:33], -v[14:15], v[16:17], 1.0
	v_fmac_f64_e32 v[16:17], v[16:17], v[32:33]
	v_fma_f64 v[32:33], -v[14:15], v[16:17], 1.0
	v_fmac_f64_e32 v[16:17], v[16:17], v[32:33]
	v_mul_f64 v[32:33], v[30:31], v[16:17]
	v_fma_f64 v[14:15], -v[14:15], v[32:33], v[30:31]
	v_div_fmas_f64 v[14:15], v[14:15], v[16:17], v[32:33]
	v_div_fixup_f64 v[16:17], v[14:15], v[20:21], v[18:19]
	v_fma_f64 v[14:15], v[18:19], v[16:17], v[20:21]
	v_div_scale_f64 v[30:31], s[6:7], v[14:15], v[14:15], 1.0
	v_rcp_f64_e32 v[32:33], v[30:31]
	s_mov_b64 s[6:7], 0
	v_fma_f64 v[34:35], -v[30:31], v[32:33], 1.0
	v_fmac_f64_e32 v[32:33], v[32:33], v[34:35]
	v_fma_f64 v[34:35], -v[30:31], v[32:33], 1.0
	v_fmac_f64_e32 v[32:33], v[32:33], v[34:35]
	v_div_scale_f64 v[34:35], vcc, 1.0, v[14:15], 1.0
	v_mul_f64 v[36:37], v[34:35], v[32:33]
	v_fma_f64 v[30:31], -v[30:31], v[36:37], v[34:35]
	s_nop 1
	v_div_fmas_f64 v[30:31], v[30:31], v[32:33], v[36:37]
	v_div_fixup_f64 v[30:31], v[30:31], v[14:15], 1.0
	v_fma_f64 v[14:15], v[16:17], v[22:23], v[24:25]
	v_fma_f64 v[16:17], v[16:17], v[24:25], -v[22:23]
	v_mul_f64 v[14:15], v[14:15], v[30:31]
	v_mul_f64 v[16:17], v[16:17], v[30:31]
.LBB233_22:                             ;   in Loop: Header=BB233_14 Depth=1
	s_andn2_b64 vcc, exec, s[6:7]
	s_cbranch_vccnz .LBB233_24
; %bb.23:                               ;   in Loop: Header=BB233_14 Depth=1
	v_div_scale_f64 v[14:15], s[6:7], v[18:19], v[18:19], v[20:21]
	v_rcp_f64_e32 v[16:17], v[14:15]
	v_div_scale_f64 v[30:31], vcc, v[20:21], v[18:19], v[20:21]
	v_fma_f64 v[32:33], -v[14:15], v[16:17], 1.0
	v_fmac_f64_e32 v[16:17], v[16:17], v[32:33]
	v_fma_f64 v[32:33], -v[14:15], v[16:17], 1.0
	v_fmac_f64_e32 v[16:17], v[16:17], v[32:33]
	v_mul_f64 v[32:33], v[30:31], v[16:17]
	v_fma_f64 v[14:15], -v[14:15], v[32:33], v[30:31]
	v_div_fmas_f64 v[14:15], v[14:15], v[16:17], v[32:33]
	v_div_fixup_f64 v[16:17], v[14:15], v[18:19], v[20:21]
	v_fmac_f64_e32 v[18:19], v[20:21], v[16:17]
	v_div_scale_f64 v[14:15], s[6:7], v[18:19], v[18:19], 1.0
	v_rcp_f64_e32 v[20:21], v[14:15]
	s_nop 0
	v_fma_f64 v[30:31], -v[14:15], v[20:21], 1.0
	v_fmac_f64_e32 v[20:21], v[20:21], v[30:31]
	v_fma_f64 v[30:31], -v[14:15], v[20:21], 1.0
	v_fmac_f64_e32 v[20:21], v[20:21], v[30:31]
	v_div_scale_f64 v[30:31], vcc, 1.0, v[18:19], 1.0
	v_mul_f64 v[32:33], v[30:31], v[20:21]
	v_fma_f64 v[14:15], -v[14:15], v[32:33], v[30:31]
	s_nop 1
	v_div_fmas_f64 v[14:15], v[14:15], v[20:21], v[32:33]
	v_div_fixup_f64 v[18:19], v[14:15], v[18:19], 1.0
	v_fma_f64 v[14:15], v[16:17], v[24:25], v[22:23]
	v_fma_f64 v[16:17], -v[16:17], v[22:23], v[24:25]
	v_mul_f64 v[14:15], v[14:15], v[18:19]
	v_mul_f64 v[16:17], v[16:17], v[18:19]
.LBB233_24:                             ;   in Loop: Header=BB233_14 Depth=1
	v_mov_b32_e32 v18, s13
	ds_read_b128 v[22:25], v18 offset:32
	s_add_i32 s15, s13, 0x1d0
	s_or_b32 s6, s12, 16
	s_sub_i32 s14, s15, s6
	s_add_i32 s14, s14, s12
	s_waitcnt lgkmcnt(0)
	v_mul_f64 v[30:31], v[12:13], v[24:25]
	v_mov_b32_e32 v29, s14
	ds_read_b128 v[18:21], v18 offset:928
	v_fma_f64 v[34:35], v[10:11], v[22:23], -v[30:31]
	ds_read_b128 v[30:33], v29 offset:32
	v_mul_f64 v[24:25], v[10:11], v[24:25]
	v_fmac_f64_e32 v[24:25], v[12:13], v[22:23]
	v_add_f64 v[8:9], v[8:9], -v[24:25]
	v_add_f64 v[6:7], v[6:7], -v[34:35]
	s_waitcnt lgkmcnt(0)
	v_mul_f64 v[22:23], v[16:17], v[32:33]
	v_mul_f64 v[24:25], v[14:15], v[32:33]
	v_fma_f64 v[22:23], v[14:15], v[30:31], -v[22:23]
	v_fmac_f64_e32 v[24:25], v[16:17], v[30:31]
	v_cmp_ngt_f64_e64 s[16:17], |v[18:19]|, |v[20:21]|
	v_add_f64 v[6:7], v[6:7], -v[22:23]
	v_add_f64 v[8:9], v[8:9], -v[24:25]
	s_mov_b64 s[6:7], -1
	s_and_b64 vcc, exec, s[16:17]
	ds_write_b128 v28, v[14:17] offset:448
                                        ; implicit-def: $vgpr24_vgpr25
	s_cbranch_vccz .LBB233_26
; %bb.25:                               ;   in Loop: Header=BB233_14 Depth=1
	v_div_scale_f64 v[22:23], s[6:7], v[20:21], v[20:21], v[18:19]
	v_rcp_f64_e32 v[24:25], v[22:23]
	v_div_scale_f64 v[30:31], vcc, v[18:19], v[20:21], v[18:19]
	v_fma_f64 v[32:33], -v[22:23], v[24:25], 1.0
	v_fmac_f64_e32 v[24:25], v[24:25], v[32:33]
	v_fma_f64 v[32:33], -v[22:23], v[24:25], 1.0
	v_fmac_f64_e32 v[24:25], v[24:25], v[32:33]
	v_mul_f64 v[32:33], v[30:31], v[24:25]
	v_fma_f64 v[22:23], -v[22:23], v[32:33], v[30:31]
	v_div_fmas_f64 v[22:23], v[22:23], v[24:25], v[32:33]
	v_div_fixup_f64 v[24:25], v[22:23], v[20:21], v[18:19]
	v_fma_f64 v[22:23], v[18:19], v[24:25], v[20:21]
	v_div_scale_f64 v[30:31], s[6:7], v[22:23], v[22:23], 1.0
	v_rcp_f64_e32 v[32:33], v[30:31]
	s_mov_b64 s[6:7], 0
	v_fma_f64 v[34:35], -v[30:31], v[32:33], 1.0
	v_fmac_f64_e32 v[32:33], v[32:33], v[34:35]
	v_fma_f64 v[34:35], -v[30:31], v[32:33], 1.0
	v_fmac_f64_e32 v[32:33], v[32:33], v[34:35]
	v_div_scale_f64 v[34:35], vcc, 1.0, v[22:23], 1.0
	v_mul_f64 v[36:37], v[34:35], v[32:33]
	v_fma_f64 v[30:31], -v[30:31], v[36:37], v[34:35]
	s_nop 1
	v_div_fmas_f64 v[30:31], v[30:31], v[32:33], v[36:37]
	v_div_fixup_f64 v[30:31], v[30:31], v[22:23], 1.0
	v_fma_f64 v[22:23], v[24:25], v[6:7], v[8:9]
	v_fma_f64 v[24:25], v[24:25], v[8:9], -v[6:7]
	v_mul_f64 v[22:23], v[22:23], v[30:31]
	v_mul_f64 v[24:25], v[24:25], v[30:31]
.LBB233_26:                             ;   in Loop: Header=BB233_14 Depth=1
	s_andn2_b64 vcc, exec, s[6:7]
	s_cbranch_vccnz .LBB233_28
; %bb.27:                               ;   in Loop: Header=BB233_14 Depth=1
	v_div_scale_f64 v[22:23], s[6:7], v[18:19], v[18:19], v[20:21]
	v_rcp_f64_e32 v[24:25], v[22:23]
	v_div_scale_f64 v[30:31], vcc, v[20:21], v[18:19], v[20:21]
	v_fma_f64 v[32:33], -v[22:23], v[24:25], 1.0
	v_fmac_f64_e32 v[24:25], v[24:25], v[32:33]
	v_fma_f64 v[32:33], -v[22:23], v[24:25], 1.0
	v_fmac_f64_e32 v[24:25], v[24:25], v[32:33]
	v_mul_f64 v[32:33], v[30:31], v[24:25]
	v_fma_f64 v[22:23], -v[22:23], v[32:33], v[30:31]
	v_div_fmas_f64 v[22:23], v[22:23], v[24:25], v[32:33]
	v_div_fixup_f64 v[24:25], v[22:23], v[18:19], v[20:21]
	v_fmac_f64_e32 v[18:19], v[20:21], v[24:25]
	v_div_scale_f64 v[20:21], s[6:7], v[18:19], v[18:19], 1.0
	v_rcp_f64_e32 v[22:23], v[20:21]
	s_nop 0
	v_fma_f64 v[30:31], -v[20:21], v[22:23], 1.0
	v_fmac_f64_e32 v[22:23], v[22:23], v[30:31]
	v_fma_f64 v[30:31], -v[20:21], v[22:23], 1.0
	v_fmac_f64_e32 v[22:23], v[22:23], v[30:31]
	v_div_scale_f64 v[30:31], vcc, 1.0, v[18:19], 1.0
	v_mul_f64 v[32:33], v[30:31], v[22:23]
	v_fma_f64 v[20:21], -v[20:21], v[32:33], v[30:31]
	s_nop 1
	v_div_fmas_f64 v[20:21], v[20:21], v[22:23], v[32:33]
	v_div_fixup_f64 v[18:19], v[20:21], v[18:19], 1.0
	v_fma_f64 v[20:21], v[24:25], v[8:9], v[6:7]
	v_fma_f64 v[6:7], -v[24:25], v[6:7], v[8:9]
	v_mul_f64 v[22:23], v[20:21], v[18:19]
	v_mul_f64 v[24:25], v[6:7], v[18:19]
.LBB233_28:                             ;   in Loop: Header=BB233_14 Depth=1
	v_mov_b32_e32 v6, s13
	ds_read_b128 v[18:21], v6 offset:48
	s_or_b32 s6, s12, 32
	ds_write_b128 v28, v[22:25] offset:896
	s_sub_i32 s6, s15, s6
	s_add_i32 s6, s6, s12
	s_waitcnt lgkmcnt(1)
	v_mul_f64 v[28:29], v[12:13], v[20:21]
	v_fma_f64 v[28:29], v[10:11], v[18:19], -v[28:29]
	v_mul_f64 v[20:21], v[10:11], v[20:21]
	v_fmac_f64_e32 v[20:21], v[12:13], v[18:19]
	v_add_f64 v[18:19], v[2:3], -v[28:29]
	v_mov_b32_e32 v2, s14
	ds_read_b128 v[6:9], v6 offset:1392
	ds_read_b128 v[10:13], v2 offset:48
	v_mov_b32_e32 v2, s6
	v_add_f64 v[20:21], v[4:5], -v[20:21]
	ds_read_b128 v[2:5], v2 offset:512
	s_waitcnt lgkmcnt(2)
	v_cmp_ngt_f64_e64 s[12:13], |v[6:7]|, |v[8:9]|
	s_waitcnt lgkmcnt(1)
	v_mul_f64 v[28:29], v[16:17], v[12:13]
	v_mul_f64 v[12:13], v[14:15], v[12:13]
	v_fma_f64 v[28:29], v[14:15], v[10:11], -v[28:29]
	v_fmac_f64_e32 v[12:13], v[16:17], v[10:11]
	s_waitcnt lgkmcnt(0)
	v_mul_f64 v[14:15], v[24:25], v[4:5]
	v_mul_f64 v[4:5], v[22:23], v[4:5]
	v_add_f64 v[10:11], v[18:19], -v[28:29]
	v_add_f64 v[12:13], v[20:21], -v[12:13]
	v_fma_f64 v[14:15], v[22:23], v[2:3], -v[14:15]
	v_fmac_f64_e32 v[4:5], v[24:25], v[2:3]
	v_add_f64 v[10:11], v[10:11], -v[14:15]
	v_add_f64 v[12:13], v[12:13], -v[4:5]
	s_mov_b64 s[6:7], -1
	s_and_b64 vcc, exec, s[12:13]
                                        ; implicit-def: $vgpr4_vgpr5
	s_cbranch_vccz .LBB233_30
; %bb.29:                               ;   in Loop: Header=BB233_14 Depth=1
	v_div_scale_f64 v[2:3], s[6:7], v[8:9], v[8:9], v[6:7]
	v_rcp_f64_e32 v[4:5], v[2:3]
	v_div_scale_f64 v[14:15], vcc, v[6:7], v[8:9], v[6:7]
	v_fma_f64 v[16:17], -v[2:3], v[4:5], 1.0
	v_fmac_f64_e32 v[4:5], v[4:5], v[16:17]
	v_fma_f64 v[16:17], -v[2:3], v[4:5], 1.0
	v_fmac_f64_e32 v[4:5], v[4:5], v[16:17]
	v_mul_f64 v[16:17], v[14:15], v[4:5]
	v_fma_f64 v[2:3], -v[2:3], v[16:17], v[14:15]
	v_div_fmas_f64 v[2:3], v[2:3], v[4:5], v[16:17]
	v_div_fixup_f64 v[4:5], v[2:3], v[8:9], v[6:7]
	v_fma_f64 v[2:3], v[6:7], v[4:5], v[8:9]
	v_div_scale_f64 v[14:15], s[6:7], v[2:3], v[2:3], 1.0
	v_rcp_f64_e32 v[16:17], v[14:15]
	s_mov_b64 s[6:7], 0
	v_fma_f64 v[18:19], -v[14:15], v[16:17], 1.0
	v_fmac_f64_e32 v[16:17], v[16:17], v[18:19]
	v_fma_f64 v[18:19], -v[14:15], v[16:17], 1.0
	v_fmac_f64_e32 v[16:17], v[16:17], v[18:19]
	v_div_scale_f64 v[18:19], vcc, 1.0, v[2:3], 1.0
	v_mul_f64 v[20:21], v[18:19], v[16:17]
	v_fma_f64 v[14:15], -v[14:15], v[20:21], v[18:19]
	s_nop 1
	v_div_fmas_f64 v[14:15], v[14:15], v[16:17], v[20:21]
	v_div_fixup_f64 v[14:15], v[14:15], v[2:3], 1.0
	v_fma_f64 v[2:3], v[4:5], v[10:11], v[12:13]
	v_fma_f64 v[4:5], v[4:5], v[12:13], -v[10:11]
	v_mul_f64 v[2:3], v[2:3], v[14:15]
	v_mul_f64 v[4:5], v[4:5], v[14:15]
.LBB233_30:                             ;   in Loop: Header=BB233_14 Depth=1
	s_andn2_b64 vcc, exec, s[6:7]
	s_cbranch_vccnz .LBB233_32
; %bb.31:                               ;   in Loop: Header=BB233_14 Depth=1
	v_div_scale_f64 v[2:3], s[6:7], v[6:7], v[6:7], v[8:9]
	v_rcp_f64_e32 v[4:5], v[2:3]
	v_div_scale_f64 v[14:15], vcc, v[8:9], v[6:7], v[8:9]
	v_fma_f64 v[16:17], -v[2:3], v[4:5], 1.0
	v_fmac_f64_e32 v[4:5], v[4:5], v[16:17]
	v_fma_f64 v[16:17], -v[2:3], v[4:5], 1.0
	v_fmac_f64_e32 v[4:5], v[4:5], v[16:17]
	v_mul_f64 v[16:17], v[14:15], v[4:5]
	v_fma_f64 v[2:3], -v[2:3], v[16:17], v[14:15]
	v_div_fmas_f64 v[2:3], v[2:3], v[4:5], v[16:17]
	v_div_fixup_f64 v[4:5], v[2:3], v[6:7], v[8:9]
	v_fmac_f64_e32 v[6:7], v[8:9], v[4:5]
	v_div_scale_f64 v[2:3], s[6:7], v[6:7], v[6:7], 1.0
	v_rcp_f64_e32 v[8:9], v[2:3]
	s_nop 0
	v_fma_f64 v[14:15], -v[2:3], v[8:9], 1.0
	v_fmac_f64_e32 v[8:9], v[8:9], v[14:15]
	v_fma_f64 v[14:15], -v[2:3], v[8:9], 1.0
	v_fmac_f64_e32 v[8:9], v[8:9], v[14:15]
	v_div_scale_f64 v[14:15], vcc, 1.0, v[6:7], 1.0
	v_mul_f64 v[16:17], v[14:15], v[8:9]
	v_fma_f64 v[2:3], -v[2:3], v[16:17], v[14:15]
	s_nop 1
	v_div_fmas_f64 v[2:3], v[2:3], v[8:9], v[16:17]
	v_div_fixup_f64 v[6:7], v[2:3], v[6:7], 1.0
	v_fma_f64 v[2:3], v[4:5], v[12:13], v[10:11]
	v_fma_f64 v[4:5], -v[4:5], v[10:11], v[12:13]
	v_mul_f64 v[2:3], v[2:3], v[6:7]
	v_mul_f64 v[4:5], v[4:5], v[6:7]
.LBB233_32:                             ;   in Loop: Header=BB233_14 Depth=1
	s_add_i32 s12, s11, 4
	s_add_i32 s6, s11, 7
	;; [unrolled: 1-line block ×3, first 2 shown]
	s_cmp_ge_i32 s6, s25
	ds_write_b128 v27, v[2:5]
	s_cbranch_scc1 .LBB233_34
; %bb.33:                               ;   in Loop: Header=BB233_14 Depth=1
	s_mov_b32 s11, s12
	s_branch .LBB233_14
.LBB233_34:
	s_cmp_ge_i32 s12, s25
	s_cbranch_scc1 .LBB233_43
; %bb.35:
	v_mov_b32_e32 v2, 0x3100
	s_lshl_b32 s10, s12, 4
	v_lshl_add_u32 v14, v0, 4, v2
	s_branch .LBB233_37
.LBB233_36:                             ;   in Loop: Header=BB233_37 Depth=1
	s_add_i32 s12, s12, 1
	s_add_i32 s10, s10, 16
	s_cmp_ge_i32 s12, s25
	ds_write_b128 v15, v[10:13]
	s_cbranch_scc1 .LBB233_43
.LBB233_37:                             ; =>This Loop Header: Depth=1
                                        ;     Child Loop BB233_38 Depth 2
	s_mul_i32 s6, s12, 0x1c0
	v_add_u32_e32 v15, s6, v1
	ds_read_b128 v[2:5], v15
	s_cmp_eq_u32 s12, 0
	v_mov_b32_e32 v6, v14
	s_mov_b32 s7, s10
	s_mov_b32 s11, s12
	s_cbranch_scc1 .LBB233_39
.LBB233_38:                             ;   Parent Loop BB233_37 Depth=1
                                        ; =>  This Inner Loop Header: Depth=2
	v_mov_b32_e32 v7, s7
	ds_read_b128 v[8:11], v6
	ds_read_b128 v[16:19], v7
	s_add_i32 s11, s11, -1
	s_addk_i32 s7, 0x1c0
	v_add_u32_e32 v6, 0x1c0, v6
	s_cmp_eq_u32 s11, 0
	s_waitcnt lgkmcnt(0)
	v_mul_f64 v[12:13], v[18:19], v[10:11]
	v_mul_f64 v[10:11], v[16:17], v[10:11]
	v_fma_f64 v[12:13], v[16:17], v[8:9], -v[12:13]
	v_fmac_f64_e32 v[10:11], v[18:19], v[8:9]
	v_add_f64 v[2:3], v[2:3], -v[12:13]
	v_add_f64 v[4:5], v[4:5], -v[10:11]
	s_cbranch_scc0 .LBB233_38
.LBB233_39:                             ;   in Loop: Header=BB233_37 Depth=1
	s_lshl_b32 s7, s12, 4
	s_add_i32 s6, s7, s6
	v_mov_b32_e32 v6, s6
	ds_read_b128 v[6:9], v6
	s_mov_b64 s[6:7], -1
                                        ; implicit-def: $vgpr10_vgpr11
	s_waitcnt lgkmcnt(0)
	v_cmp_ngt_f64_e64 s[14:15], |v[6:7]|, |v[8:9]|
	s_and_b64 vcc, exec, s[14:15]
	s_cbranch_vccz .LBB233_41
; %bb.40:                               ;   in Loop: Header=BB233_37 Depth=1
	v_div_scale_f64 v[10:11], s[6:7], v[8:9], v[8:9], v[6:7]
	v_rcp_f64_e32 v[12:13], v[10:11]
	v_div_scale_f64 v[16:17], vcc, v[6:7], v[8:9], v[6:7]
	v_fma_f64 v[18:19], -v[10:11], v[12:13], 1.0
	v_fmac_f64_e32 v[12:13], v[12:13], v[18:19]
	v_fma_f64 v[18:19], -v[10:11], v[12:13], 1.0
	v_fmac_f64_e32 v[12:13], v[12:13], v[18:19]
	v_mul_f64 v[18:19], v[16:17], v[12:13]
	v_fma_f64 v[10:11], -v[10:11], v[18:19], v[16:17]
	v_div_fmas_f64 v[10:11], v[10:11], v[12:13], v[18:19]
	v_div_fixup_f64 v[12:13], v[10:11], v[8:9], v[6:7]
	v_fma_f64 v[10:11], v[6:7], v[12:13], v[8:9]
	v_div_scale_f64 v[16:17], s[6:7], v[10:11], v[10:11], 1.0
	v_rcp_f64_e32 v[18:19], v[16:17]
	s_mov_b64 s[6:7], 0
	v_fma_f64 v[20:21], -v[16:17], v[18:19], 1.0
	v_fmac_f64_e32 v[18:19], v[18:19], v[20:21]
	v_fma_f64 v[20:21], -v[16:17], v[18:19], 1.0
	v_fmac_f64_e32 v[18:19], v[18:19], v[20:21]
	v_div_scale_f64 v[20:21], vcc, 1.0, v[10:11], 1.0
	v_mul_f64 v[22:23], v[20:21], v[18:19]
	v_fma_f64 v[16:17], -v[16:17], v[22:23], v[20:21]
	s_nop 1
	v_div_fmas_f64 v[16:17], v[16:17], v[18:19], v[22:23]
	v_div_fixup_f64 v[16:17], v[16:17], v[10:11], 1.0
	v_fma_f64 v[10:11], v[2:3], v[12:13], v[4:5]
	v_fma_f64 v[12:13], v[4:5], v[12:13], -v[2:3]
	v_mul_f64 v[10:11], v[10:11], v[16:17]
	v_mul_f64 v[12:13], v[12:13], v[16:17]
.LBB233_41:                             ;   in Loop: Header=BB233_37 Depth=1
	s_andn2_b64 vcc, exec, s[6:7]
	s_cbranch_vccnz .LBB233_36
; %bb.42:                               ;   in Loop: Header=BB233_37 Depth=1
	v_div_scale_f64 v[10:11], s[6:7], v[6:7], v[6:7], v[8:9]
	v_rcp_f64_e32 v[12:13], v[10:11]
	v_div_scale_f64 v[16:17], vcc, v[8:9], v[6:7], v[8:9]
	v_fma_f64 v[18:19], -v[10:11], v[12:13], 1.0
	v_fmac_f64_e32 v[12:13], v[12:13], v[18:19]
	v_fma_f64 v[18:19], -v[10:11], v[12:13], 1.0
	v_fmac_f64_e32 v[12:13], v[12:13], v[18:19]
	v_mul_f64 v[18:19], v[16:17], v[12:13]
	v_fma_f64 v[10:11], -v[10:11], v[18:19], v[16:17]
	v_div_fmas_f64 v[10:11], v[10:11], v[12:13], v[18:19]
	v_div_fixup_f64 v[12:13], v[10:11], v[6:7], v[8:9]
	v_fmac_f64_e32 v[6:7], v[8:9], v[12:13]
	v_div_scale_f64 v[8:9], s[6:7], v[6:7], v[6:7], 1.0
	v_rcp_f64_e32 v[10:11], v[8:9]
	s_nop 0
	v_fma_f64 v[16:17], -v[8:9], v[10:11], 1.0
	v_fmac_f64_e32 v[10:11], v[10:11], v[16:17]
	v_fma_f64 v[16:17], -v[8:9], v[10:11], 1.0
	v_fmac_f64_e32 v[10:11], v[10:11], v[16:17]
	v_div_scale_f64 v[16:17], vcc, 1.0, v[6:7], 1.0
	v_mul_f64 v[18:19], v[16:17], v[10:11]
	v_fma_f64 v[8:9], -v[8:9], v[18:19], v[16:17]
	s_nop 1
	v_div_fmas_f64 v[8:9], v[8:9], v[10:11], v[18:19]
	v_div_fixup_f64 v[6:7], v[8:9], v[6:7], 1.0
	v_fma_f64 v[8:9], v[4:5], v[12:13], v[2:3]
	v_fma_f64 v[2:3], -v[2:3], v[12:13], v[4:5]
	v_mul_f64 v[10:11], v[8:9], v[6:7]
	v_mul_f64 v[12:13], v[2:3], v[6:7]
	s_branch .LBB233_36
.LBB233_43:
	s_mov_b64 s[6:7], 0
.LBB233_44:
	s_and_b64 vcc, exec, s[6:7]
	s_cbranch_vccz .LBB233_76
; %bb.45:
	s_andn2_b64 vcc, exec, s[4:5]
	s_mov_b32 s12, s9
	s_cbranch_vccnz .LBB233_67
; %bb.46:
	s_mul_i32 s6, s25, 0x1d0
	s_add_i32 s10, s6, 0xfffffe00
	s_mul_i32 s6, s25, 0x1c0
	v_lshl_add_u32 v2, v0, 4, s6
	v_add_u32_e32 v26, 0x2f40, v2
	s_mov_b32 s11, s9
.LBB233_47:                             ; =>This Loop Header: Depth=1
                                        ;     Child Loop BB233_48 Depth 2
	s_mul_i32 s6, s11, 0x1c0
	v_add_u32_e32 v30, s6, v1
	v_add_u32_e32 v28, 0xfffffc80, v30
	s_add_i32 s7, s6, 0xfffffac0
	v_add_u32_e32 v29, 0xfffffe40, v30
	ds_read_b128 v[18:21], v30
	ds_read_b128 v[14:17], v29
	v_add_u32_e32 v27, s7, v1
	ds_read_b128 v[6:9], v28
	ds_read_b128 v[2:5], v27
	s_cmp_le_i32 s9, s11
	v_mov_b32_e32 v10, v26
	s_mov_b32 s7, s10
	s_mov_b32 s12, s9
	s_cbranch_scc1 .LBB233_49
.LBB233_48:                             ;   Parent Loop BB233_47 Depth=1
                                        ; =>  This Inner Loop Header: Depth=2
	v_mov_b32_e32 v11, s7
	ds_read_b128 v[22:25], v10
	ds_read_b128 v[32:35], v11 offset:48
	ds_read_b128 v[36:39], v11 offset:32
	ds_read_b128 v[40:43], v11
	ds_read_b128 v[44:47], v11 offset:16
	s_add_i32 s12, s12, -1
	s_addk_i32 s7, 0xfe40
	v_add_u32_e32 v10, 0xfffffe40, v10
	s_waitcnt lgkmcnt(3)
	v_mul_f64 v[12:13], v[24:25], v[34:35]
	v_mul_f64 v[34:35], v[22:23], v[34:35]
	s_waitcnt lgkmcnt(2)
	v_mul_f64 v[48:49], v[24:25], v[38:39]
	v_mul_f64 v[38:39], v[22:23], v[38:39]
	;; [unrolled: 3-line block ×3, first 2 shown]
	v_mul_f64 v[52:53], v[24:25], v[42:43]
	v_mul_f64 v[42:43], v[22:23], v[42:43]
	v_fma_f64 v[12:13], v[22:23], v[32:33], -v[12:13]
	v_fmac_f64_e32 v[34:35], v[24:25], v[32:33]
	v_fma_f64 v[32:33], v[22:23], v[36:37], -v[48:49]
	v_fmac_f64_e32 v[38:39], v[24:25], v[36:37]
	;; [unrolled: 2-line block ×4, first 2 shown]
	s_cmp_le_i32 s12, s11
	v_add_f64 v[18:19], v[18:19], -v[12:13]
	v_add_f64 v[20:21], v[20:21], -v[34:35]
	;; [unrolled: 1-line block ×8, first 2 shown]
	s_cbranch_scc0 .LBB233_48
.LBB233_49:                             ;   in Loop: Header=BB233_47 Depth=1
	s_lshl_b32 s13, s11, 4
	s_add_i32 s13, s13, s6
	v_mov_b32_e32 v10, s13
	ds_read_b128 v[22:25], v10
	s_add_i32 s12, s11, -3
	s_mov_b64 s[6:7], -1
                                        ; implicit-def: $vgpr12_vgpr13
	s_waitcnt lgkmcnt(0)
	v_cmp_ngt_f64_e64 s[14:15], |v[22:23]|, |v[24:25]|
	s_and_b64 vcc, exec, s[14:15]
	s_cbranch_vccz .LBB233_51
; %bb.50:                               ;   in Loop: Header=BB233_47 Depth=1
	v_div_scale_f64 v[10:11], s[6:7], v[24:25], v[24:25], v[22:23]
	v_rcp_f64_e32 v[12:13], v[10:11]
	v_div_scale_f64 v[32:33], vcc, v[22:23], v[24:25], v[22:23]
	v_fma_f64 v[34:35], -v[10:11], v[12:13], 1.0
	v_fmac_f64_e32 v[12:13], v[12:13], v[34:35]
	v_fma_f64 v[34:35], -v[10:11], v[12:13], 1.0
	v_fmac_f64_e32 v[12:13], v[12:13], v[34:35]
	v_mul_f64 v[34:35], v[32:33], v[12:13]
	v_fma_f64 v[10:11], -v[10:11], v[34:35], v[32:33]
	v_div_fmas_f64 v[10:11], v[10:11], v[12:13], v[34:35]
	v_div_fixup_f64 v[12:13], v[10:11], v[24:25], v[22:23]
	v_fma_f64 v[10:11], v[22:23], v[12:13], v[24:25]
	v_div_scale_f64 v[32:33], s[6:7], v[10:11], v[10:11], 1.0
	v_rcp_f64_e32 v[34:35], v[32:33]
	s_mov_b64 s[6:7], 0
	v_fma_f64 v[36:37], -v[32:33], v[34:35], 1.0
	v_fmac_f64_e32 v[34:35], v[34:35], v[36:37]
	v_fma_f64 v[36:37], -v[32:33], v[34:35], 1.0
	v_fmac_f64_e32 v[34:35], v[34:35], v[36:37]
	v_div_scale_f64 v[36:37], vcc, 1.0, v[10:11], 1.0
	v_mul_f64 v[38:39], v[36:37], v[34:35]
	v_fma_f64 v[32:33], -v[32:33], v[38:39], v[36:37]
	s_nop 1
	v_div_fmas_f64 v[32:33], v[32:33], v[34:35], v[38:39]
	v_div_fixup_f64 v[32:33], v[32:33], v[10:11], 1.0
	v_fma_f64 v[10:11], v[18:19], v[12:13], v[20:21]
	v_fma_f64 v[12:13], v[20:21], v[12:13], -v[18:19]
	v_mul_f64 v[10:11], v[10:11], v[32:33]
	v_mul_f64 v[12:13], v[12:13], v[32:33]
.LBB233_51:                             ;   in Loop: Header=BB233_47 Depth=1
	s_andn2_b64 vcc, exec, s[6:7]
	s_cbranch_vccnz .LBB233_53
; %bb.52:                               ;   in Loop: Header=BB233_47 Depth=1
	v_div_scale_f64 v[10:11], s[6:7], v[22:23], v[22:23], v[24:25]
	v_rcp_f64_e32 v[12:13], v[10:11]
	v_div_scale_f64 v[32:33], vcc, v[24:25], v[22:23], v[24:25]
	v_fma_f64 v[34:35], -v[10:11], v[12:13], 1.0
	v_fmac_f64_e32 v[12:13], v[12:13], v[34:35]
	v_fma_f64 v[34:35], -v[10:11], v[12:13], 1.0
	v_fmac_f64_e32 v[12:13], v[12:13], v[34:35]
	v_mul_f64 v[34:35], v[32:33], v[12:13]
	v_fma_f64 v[10:11], -v[10:11], v[34:35], v[32:33]
	v_div_fmas_f64 v[10:11], v[10:11], v[12:13], v[34:35]
	v_div_fixup_f64 v[12:13], v[10:11], v[22:23], v[24:25]
	v_fmac_f64_e32 v[22:23], v[24:25], v[12:13]
	v_div_scale_f64 v[10:11], s[6:7], v[22:23], v[22:23], 1.0
	v_rcp_f64_e32 v[24:25], v[10:11]
	s_nop 0
	v_fma_f64 v[32:33], -v[10:11], v[24:25], 1.0
	v_fmac_f64_e32 v[24:25], v[24:25], v[32:33]
	v_fma_f64 v[32:33], -v[10:11], v[24:25], 1.0
	v_fmac_f64_e32 v[24:25], v[24:25], v[32:33]
	v_div_scale_f64 v[32:33], vcc, 1.0, v[22:23], 1.0
	v_mul_f64 v[34:35], v[32:33], v[24:25]
	v_fma_f64 v[10:11], -v[10:11], v[34:35], v[32:33]
	s_nop 1
	v_div_fmas_f64 v[10:11], v[10:11], v[24:25], v[34:35]
	v_div_fixup_f64 v[22:23], v[10:11], v[22:23], 1.0
	v_fma_f64 v[10:11], v[20:21], v[12:13], v[18:19]
	v_fma_f64 v[12:13], -v[18:19], v[12:13], v[20:21]
	v_mul_f64 v[10:11], v[10:11], v[22:23]
	v_mul_f64 v[12:13], v[12:13], v[22:23]
.LBB233_53:                             ;   in Loop: Header=BB233_47 Depth=1
	s_add_i32 s6, s13, -16
	v_mov_b32_e32 v18, s6
	s_add_i32 s14, s13, 0xfffffe30
	ds_read_b128 v[22:25], v18
	v_mov_b32_e32 v18, s14
	ds_read_b128 v[18:21], v18
	ds_write_b128 v30, v[10:13]
	s_mov_b64 s[6:7], -1
	s_waitcnt lgkmcnt(2)
	v_mul_f64 v[30:31], v[12:13], v[24:25]
	v_mul_f64 v[24:25], v[10:11], v[24:25]
	v_fma_f64 v[30:31], v[10:11], v[22:23], -v[30:31]
	v_fmac_f64_e32 v[24:25], v[12:13], v[22:23]
	s_waitcnt lgkmcnt(1)
	v_cmp_ngt_f64_e64 s[16:17], |v[18:19]|, |v[20:21]|
	v_add_f64 v[22:23], v[14:15], -v[30:31]
	v_add_f64 v[24:25], v[16:17], -v[24:25]
	s_and_b64 vcc, exec, s[16:17]
                                        ; implicit-def: $vgpr16_vgpr17
	s_cbranch_vccz .LBB233_55
; %bb.54:                               ;   in Loop: Header=BB233_47 Depth=1
	v_div_scale_f64 v[14:15], s[6:7], v[20:21], v[20:21], v[18:19]
	v_rcp_f64_e32 v[16:17], v[14:15]
	v_div_scale_f64 v[30:31], vcc, v[18:19], v[20:21], v[18:19]
	v_fma_f64 v[32:33], -v[14:15], v[16:17], 1.0
	v_fmac_f64_e32 v[16:17], v[16:17], v[32:33]
	v_fma_f64 v[32:33], -v[14:15], v[16:17], 1.0
	v_fmac_f64_e32 v[16:17], v[16:17], v[32:33]
	v_mul_f64 v[32:33], v[30:31], v[16:17]
	v_fma_f64 v[14:15], -v[14:15], v[32:33], v[30:31]
	v_div_fmas_f64 v[14:15], v[14:15], v[16:17], v[32:33]
	v_div_fixup_f64 v[16:17], v[14:15], v[20:21], v[18:19]
	v_fma_f64 v[14:15], v[18:19], v[16:17], v[20:21]
	v_div_scale_f64 v[30:31], s[6:7], v[14:15], v[14:15], 1.0
	v_rcp_f64_e32 v[32:33], v[30:31]
	s_mov_b64 s[6:7], 0
	v_fma_f64 v[34:35], -v[30:31], v[32:33], 1.0
	v_fmac_f64_e32 v[32:33], v[32:33], v[34:35]
	v_fma_f64 v[34:35], -v[30:31], v[32:33], 1.0
	v_fmac_f64_e32 v[32:33], v[32:33], v[34:35]
	v_div_scale_f64 v[34:35], vcc, 1.0, v[14:15], 1.0
	v_mul_f64 v[36:37], v[34:35], v[32:33]
	v_fma_f64 v[30:31], -v[30:31], v[36:37], v[34:35]
	s_nop 1
	v_div_fmas_f64 v[30:31], v[30:31], v[32:33], v[36:37]
	v_div_fixup_f64 v[30:31], v[30:31], v[14:15], 1.0
	v_fma_f64 v[14:15], v[16:17], v[22:23], v[24:25]
	v_fma_f64 v[16:17], v[16:17], v[24:25], -v[22:23]
	v_mul_f64 v[14:15], v[14:15], v[30:31]
	v_mul_f64 v[16:17], v[16:17], v[30:31]
.LBB233_55:                             ;   in Loop: Header=BB233_47 Depth=1
	s_andn2_b64 vcc, exec, s[6:7]
	s_cbranch_vccnz .LBB233_57
; %bb.56:                               ;   in Loop: Header=BB233_47 Depth=1
	v_div_scale_f64 v[14:15], s[6:7], v[18:19], v[18:19], v[20:21]
	v_rcp_f64_e32 v[16:17], v[14:15]
	v_div_scale_f64 v[30:31], vcc, v[20:21], v[18:19], v[20:21]
	v_fma_f64 v[32:33], -v[14:15], v[16:17], 1.0
	v_fmac_f64_e32 v[16:17], v[16:17], v[32:33]
	v_fma_f64 v[32:33], -v[14:15], v[16:17], 1.0
	v_fmac_f64_e32 v[16:17], v[16:17], v[32:33]
	v_mul_f64 v[32:33], v[30:31], v[16:17]
	v_fma_f64 v[14:15], -v[14:15], v[32:33], v[30:31]
	v_div_fmas_f64 v[14:15], v[14:15], v[16:17], v[32:33]
	v_div_fixup_f64 v[16:17], v[14:15], v[18:19], v[20:21]
	v_fmac_f64_e32 v[18:19], v[20:21], v[16:17]
	v_div_scale_f64 v[14:15], s[6:7], v[18:19], v[18:19], 1.0
	v_rcp_f64_e32 v[20:21], v[14:15]
	s_nop 0
	v_fma_f64 v[30:31], -v[14:15], v[20:21], 1.0
	v_fmac_f64_e32 v[20:21], v[20:21], v[30:31]
	v_fma_f64 v[30:31], -v[14:15], v[20:21], 1.0
	v_fmac_f64_e32 v[20:21], v[20:21], v[30:31]
	v_div_scale_f64 v[30:31], vcc, 1.0, v[18:19], 1.0
	v_mul_f64 v[32:33], v[30:31], v[20:21]
	v_fma_f64 v[14:15], -v[14:15], v[32:33], v[30:31]
	s_nop 1
	v_div_fmas_f64 v[14:15], v[14:15], v[20:21], v[32:33]
	v_div_fixup_f64 v[18:19], v[14:15], v[18:19], 1.0
	v_fma_f64 v[14:15], v[16:17], v[24:25], v[22:23]
	v_fma_f64 v[16:17], -v[16:17], v[22:23], v[24:25]
	v_mul_f64 v[14:15], v[14:15], v[18:19]
	v_mul_f64 v[16:17], v[16:17], v[18:19]
.LBB233_57:                             ;   in Loop: Header=BB233_47 Depth=1
	s_add_i32 s6, s11, -1
	s_add_i32 s7, s11, -2
	s_sub_i32 s15, s13, 32
	s_lshl_b32 s6, s6, 4
	v_mov_b32_e32 v18, s15
	s_sub_i32 s16, s14, s6
	s_lshl_b32 s14, s7, 4
	ds_read_b128 v[18:21], v18
	s_add_i32 s6, s16, s14
	v_mov_b32_e32 v22, s6
	ds_read_b128 v[22:25], v22
	s_add_i32 s15, s13, 0xfffffc60
	s_waitcnt lgkmcnt(1)
	v_mul_f64 v[30:31], v[12:13], v[20:21]
	v_fma_f64 v[30:31], v[10:11], v[18:19], -v[30:31]
	v_mul_f64 v[20:21], v[10:11], v[20:21]
	v_fmac_f64_e32 v[20:21], v[12:13], v[18:19]
	v_add_f64 v[18:19], v[6:7], -v[30:31]
	s_waitcnt lgkmcnt(0)
	v_mul_f64 v[6:7], v[16:17], v[24:25]
	v_fma_f64 v[30:31], v[14:15], v[22:23], -v[6:7]
	v_mov_b32_e32 v6, s15
	v_add_f64 v[20:21], v[8:9], -v[20:21]
	ds_read_b128 v[6:9], v6
	v_mul_f64 v[24:25], v[14:15], v[24:25]
	v_fmac_f64_e32 v[24:25], v[16:17], v[22:23]
	v_add_f64 v[22:23], v[18:19], -v[30:31]
	v_add_f64 v[24:25], v[20:21], -v[24:25]
	s_waitcnt lgkmcnt(0)
	v_cmp_ngt_f64_e64 s[18:19], |v[6:7]|, |v[8:9]|
	s_mov_b64 s[6:7], -1
	s_and_b64 vcc, exec, s[18:19]
	ds_write_b128 v29, v[14:17]
                                        ; implicit-def: $vgpr20_vgpr21
	s_cbranch_vccz .LBB233_59
; %bb.58:                               ;   in Loop: Header=BB233_47 Depth=1
	v_div_scale_f64 v[18:19], s[6:7], v[8:9], v[8:9], v[6:7]
	v_rcp_f64_e32 v[20:21], v[18:19]
	v_div_scale_f64 v[30:31], vcc, v[6:7], v[8:9], v[6:7]
	v_fma_f64 v[32:33], -v[18:19], v[20:21], 1.0
	v_fmac_f64_e32 v[20:21], v[20:21], v[32:33]
	v_fma_f64 v[32:33], -v[18:19], v[20:21], 1.0
	v_fmac_f64_e32 v[20:21], v[20:21], v[32:33]
	v_mul_f64 v[32:33], v[30:31], v[20:21]
	v_fma_f64 v[18:19], -v[18:19], v[32:33], v[30:31]
	v_div_fmas_f64 v[18:19], v[18:19], v[20:21], v[32:33]
	v_div_fixup_f64 v[20:21], v[18:19], v[8:9], v[6:7]
	v_fma_f64 v[18:19], v[6:7], v[20:21], v[8:9]
	v_div_scale_f64 v[30:31], s[6:7], v[18:19], v[18:19], 1.0
	v_rcp_f64_e32 v[32:33], v[30:31]
	s_mov_b64 s[6:7], 0
	v_fma_f64 v[34:35], -v[30:31], v[32:33], 1.0
	v_fmac_f64_e32 v[32:33], v[32:33], v[34:35]
	v_fma_f64 v[34:35], -v[30:31], v[32:33], 1.0
	v_fmac_f64_e32 v[32:33], v[32:33], v[34:35]
	v_div_scale_f64 v[34:35], vcc, 1.0, v[18:19], 1.0
	v_mul_f64 v[36:37], v[34:35], v[32:33]
	v_fma_f64 v[30:31], -v[30:31], v[36:37], v[34:35]
	s_nop 1
	v_div_fmas_f64 v[30:31], v[30:31], v[32:33], v[36:37]
	v_div_fixup_f64 v[30:31], v[30:31], v[18:19], 1.0
	v_fma_f64 v[18:19], v[20:21], v[22:23], v[24:25]
	v_fma_f64 v[20:21], v[20:21], v[24:25], -v[22:23]
	v_mul_f64 v[18:19], v[18:19], v[30:31]
	v_mul_f64 v[20:21], v[20:21], v[30:31]
.LBB233_59:                             ;   in Loop: Header=BB233_47 Depth=1
	s_andn2_b64 vcc, exec, s[6:7]
	s_cbranch_vccnz .LBB233_61
; %bb.60:                               ;   in Loop: Header=BB233_47 Depth=1
	v_div_scale_f64 v[18:19], s[6:7], v[6:7], v[6:7], v[8:9]
	v_rcp_f64_e32 v[20:21], v[18:19]
	v_div_scale_f64 v[30:31], vcc, v[8:9], v[6:7], v[8:9]
	v_fma_f64 v[32:33], -v[18:19], v[20:21], 1.0
	v_fmac_f64_e32 v[20:21], v[20:21], v[32:33]
	v_fma_f64 v[32:33], -v[18:19], v[20:21], 1.0
	v_fmac_f64_e32 v[20:21], v[20:21], v[32:33]
	v_mul_f64 v[32:33], v[30:31], v[20:21]
	v_fma_f64 v[18:19], -v[18:19], v[32:33], v[30:31]
	v_div_fmas_f64 v[18:19], v[18:19], v[20:21], v[32:33]
	v_div_fixup_f64 v[20:21], v[18:19], v[6:7], v[8:9]
	v_fmac_f64_e32 v[6:7], v[8:9], v[20:21]
	v_div_scale_f64 v[8:9], s[6:7], v[6:7], v[6:7], 1.0
	v_rcp_f64_e32 v[18:19], v[8:9]
	s_nop 0
	v_fma_f64 v[30:31], -v[8:9], v[18:19], 1.0
	v_fmac_f64_e32 v[18:19], v[18:19], v[30:31]
	v_fma_f64 v[30:31], -v[8:9], v[18:19], 1.0
	v_fmac_f64_e32 v[18:19], v[18:19], v[30:31]
	v_div_scale_f64 v[30:31], vcc, 1.0, v[6:7], 1.0
	v_mul_f64 v[32:33], v[30:31], v[18:19]
	v_fma_f64 v[8:9], -v[8:9], v[32:33], v[30:31]
	s_nop 1
	v_div_fmas_f64 v[8:9], v[8:9], v[18:19], v[32:33]
	v_div_fixup_f64 v[6:7], v[8:9], v[6:7], 1.0
	v_fma_f64 v[8:9], v[20:21], v[24:25], v[22:23]
	v_mul_f64 v[18:19], v[8:9], v[6:7]
	v_fma_f64 v[8:9], -v[20:21], v[22:23], v[24:25]
	v_mul_f64 v[20:21], v[8:9], v[6:7]
.LBB233_61:                             ;   in Loop: Header=BB233_47 Depth=1
	s_sub_i32 s6, s13, 48
	v_mov_b32_e32 v6, s6
	s_lshl_b32 s6, s12, 4
	s_add_i32 s7, s16, s6
	ds_read_b128 v[6:9], v6
	v_mov_b32_e32 v22, s7
	ds_read_b128 v[22:25], v22
	ds_write_b128 v28, v[18:21]
	s_sub_i32 s7, s15, s14
	s_waitcnt lgkmcnt(2)
	v_mul_f64 v[28:29], v[12:13], v[8:9]
	v_mul_f64 v[8:9], v[10:11], v[8:9]
	v_fma_f64 v[28:29], v[10:11], v[6:7], -v[28:29]
	v_fmac_f64_e32 v[8:9], v[12:13], v[6:7]
	s_waitcnt lgkmcnt(1)
	v_mul_f64 v[6:7], v[16:17], v[24:25]
	v_add_f64 v[2:3], v[2:3], -v[28:29]
	v_fma_f64 v[6:7], v[14:15], v[22:23], -v[6:7]
	s_add_i32 s6, s7, s6
	v_mul_f64 v[10:11], v[14:15], v[24:25]
	v_add_f64 v[12:13], v[2:3], -v[6:7]
	v_mov_b32_e32 v2, s6
	s_add_i32 s6, s15, 0xfffffe30
	v_add_f64 v[4:5], v[4:5], -v[8:9]
	v_fmac_f64_e32 v[10:11], v[16:17], v[22:23]
	ds_read_b128 v[6:9], v2
	v_mov_b32_e32 v2, s6
	v_add_f64 v[14:15], v[4:5], -v[10:11]
	ds_read_b128 v[2:5], v2
	s_mov_b64 s[6:7], -1
	s_waitcnt lgkmcnt(1)
	v_mul_f64 v[10:11], v[20:21], v[8:9]
	v_mul_f64 v[8:9], v[18:19], v[8:9]
	v_fma_f64 v[10:11], v[18:19], v[6:7], -v[10:11]
	v_fmac_f64_e32 v[8:9], v[20:21], v[6:7]
	s_waitcnt lgkmcnt(0)
	v_cmp_ngt_f64_e64 s[12:13], |v[2:3]|, |v[4:5]|
	v_add_f64 v[10:11], v[12:13], -v[10:11]
	v_add_f64 v[12:13], v[14:15], -v[8:9]
	s_and_b64 vcc, exec, s[12:13]
                                        ; implicit-def: $vgpr8_vgpr9
	s_cbranch_vccz .LBB233_63
; %bb.62:                               ;   in Loop: Header=BB233_47 Depth=1
	v_div_scale_f64 v[6:7], s[6:7], v[4:5], v[4:5], v[2:3]
	v_rcp_f64_e32 v[8:9], v[6:7]
	v_div_scale_f64 v[14:15], vcc, v[2:3], v[4:5], v[2:3]
	v_fma_f64 v[16:17], -v[6:7], v[8:9], 1.0
	v_fmac_f64_e32 v[8:9], v[8:9], v[16:17]
	v_fma_f64 v[16:17], -v[6:7], v[8:9], 1.0
	v_fmac_f64_e32 v[8:9], v[8:9], v[16:17]
	v_mul_f64 v[16:17], v[14:15], v[8:9]
	v_fma_f64 v[6:7], -v[6:7], v[16:17], v[14:15]
	v_div_fmas_f64 v[6:7], v[6:7], v[8:9], v[16:17]
	v_div_fixup_f64 v[8:9], v[6:7], v[4:5], v[2:3]
	v_fma_f64 v[6:7], v[2:3], v[8:9], v[4:5]
	v_div_scale_f64 v[14:15], s[6:7], v[6:7], v[6:7], 1.0
	v_rcp_f64_e32 v[16:17], v[14:15]
	s_mov_b64 s[6:7], 0
	v_fma_f64 v[18:19], -v[14:15], v[16:17], 1.0
	v_fmac_f64_e32 v[16:17], v[16:17], v[18:19]
	v_fma_f64 v[18:19], -v[14:15], v[16:17], 1.0
	v_fmac_f64_e32 v[16:17], v[16:17], v[18:19]
	v_div_scale_f64 v[18:19], vcc, 1.0, v[6:7], 1.0
	v_mul_f64 v[20:21], v[18:19], v[16:17]
	v_fma_f64 v[14:15], -v[14:15], v[20:21], v[18:19]
	s_nop 1
	v_div_fmas_f64 v[14:15], v[14:15], v[16:17], v[20:21]
	v_div_fixup_f64 v[14:15], v[14:15], v[6:7], 1.0
	v_fma_f64 v[6:7], v[8:9], v[10:11], v[12:13]
	v_fma_f64 v[8:9], v[8:9], v[12:13], -v[10:11]
	v_mul_f64 v[6:7], v[6:7], v[14:15]
	v_mul_f64 v[8:9], v[8:9], v[14:15]
.LBB233_63:                             ;   in Loop: Header=BB233_47 Depth=1
	s_andn2_b64 vcc, exec, s[6:7]
	s_cbranch_vccnz .LBB233_65
; %bb.64:                               ;   in Loop: Header=BB233_47 Depth=1
	v_div_scale_f64 v[6:7], s[6:7], v[2:3], v[2:3], v[4:5]
	v_rcp_f64_e32 v[8:9], v[6:7]
	v_div_scale_f64 v[14:15], vcc, v[4:5], v[2:3], v[4:5]
	v_fma_f64 v[16:17], -v[6:7], v[8:9], 1.0
	v_fmac_f64_e32 v[8:9], v[8:9], v[16:17]
	v_fma_f64 v[16:17], -v[6:7], v[8:9], 1.0
	v_fmac_f64_e32 v[8:9], v[8:9], v[16:17]
	v_mul_f64 v[16:17], v[14:15], v[8:9]
	v_fma_f64 v[6:7], -v[6:7], v[16:17], v[14:15]
	v_div_fmas_f64 v[6:7], v[6:7], v[8:9], v[16:17]
	v_div_fixup_f64 v[8:9], v[6:7], v[2:3], v[4:5]
	v_fmac_f64_e32 v[2:3], v[4:5], v[8:9]
	v_div_scale_f64 v[4:5], s[6:7], v[2:3], v[2:3], 1.0
	v_rcp_f64_e32 v[6:7], v[4:5]
	s_nop 0
	v_fma_f64 v[14:15], -v[4:5], v[6:7], 1.0
	v_fmac_f64_e32 v[6:7], v[6:7], v[14:15]
	v_fma_f64 v[14:15], -v[4:5], v[6:7], 1.0
	v_fmac_f64_e32 v[6:7], v[6:7], v[14:15]
	v_div_scale_f64 v[14:15], vcc, 1.0, v[2:3], 1.0
	v_mul_f64 v[16:17], v[14:15], v[6:7]
	v_fma_f64 v[4:5], -v[4:5], v[16:17], v[14:15]
	s_nop 1
	v_div_fmas_f64 v[4:5], v[4:5], v[6:7], v[16:17]
	v_div_fixup_f64 v[2:3], v[4:5], v[2:3], 1.0
	v_fma_f64 v[4:5], v[8:9], v[12:13], v[10:11]
	v_mul_f64 v[6:7], v[4:5], v[2:3]
	v_fma_f64 v[4:5], -v[8:9], v[10:11], v[12:13]
	v_mul_f64 v[8:9], v[4:5], v[2:3]
.LBB233_65:                             ;   in Loop: Header=BB233_47 Depth=1
	s_add_i32 s12, s11, -4
	s_sub_i32 s10, s10, 64
	s_cmp_lt_i32 s11, 7
	ds_write_b128 v27, v[6:9]
	s_cbranch_scc1 .LBB233_67
; %bb.66:                               ;   in Loop: Header=BB233_47 Depth=1
	s_mov_b32 s11, s12
	s_branch .LBB233_47
.LBB233_67:
	s_cmp_lt_i32 s12, 0
	s_cbranch_scc1 .LBB233_76
; %bb.68:
	s_mul_i32 s6, s25, 0x1c0
	s_lshl_b32 s7, s12, 4
	s_add_i32 s7, s6, s7
	v_lshl_add_u32 v2, v0, 4, s6
	s_add_i32 s10, s7, 0xfffffe40
	v_add_u32_e32 v14, 0x2f40, v2
	s_branch .LBB233_70
.LBB233_69:                             ;   in Loop: Header=BB233_70 Depth=1
	v_sub_co_u32_e64 v2, s[6:7], s12, 1
	s_nop 0
	v_readfirstlane_b32 s12, v2
	s_add_i32 s10, s10, -16
	s_and_b64 vcc, exec, s[6:7]
	ds_write_b128 v15, v[10:13]
	s_cbranch_vccnz .LBB233_76
.LBB233_70:                             ; =>This Loop Header: Depth=1
                                        ;     Child Loop BB233_71 Depth 2
	s_mul_i32 s6, s12, 0x1c0
	v_add_u32_e32 v15, s6, v1
	ds_read_b128 v[2:5], v15
	s_cmp_le_i32 s9, s12
	v_mov_b32_e32 v6, v14
	s_mov_b32 s7, s10
	s_mov_b32 s11, s9
	s_cbranch_scc1 .LBB233_72
.LBB233_71:                             ;   Parent Loop BB233_70 Depth=1
                                        ; =>  This Inner Loop Header: Depth=2
	v_mov_b32_e32 v7, s7
	ds_read_b128 v[8:11], v6
	ds_read_b128 v[16:19], v7
	s_add_i32 s11, s11, -1
	s_addk_i32 s7, 0xfe40
	v_add_u32_e32 v6, 0xfffffe40, v6
	s_cmp_le_u32 s11, s12
	s_waitcnt lgkmcnt(0)
	v_mul_f64 v[12:13], v[18:19], v[10:11]
	v_mul_f64 v[10:11], v[16:17], v[10:11]
	v_fma_f64 v[12:13], v[16:17], v[8:9], -v[12:13]
	v_fmac_f64_e32 v[10:11], v[18:19], v[8:9]
	v_add_f64 v[2:3], v[2:3], -v[12:13]
	v_add_f64 v[4:5], v[4:5], -v[10:11]
	s_cbranch_scc0 .LBB233_71
.LBB233_72:                             ;   in Loop: Header=BB233_70 Depth=1
	s_lshl_b32 s7, s12, 4
	s_add_i32 s6, s7, s6
	v_mov_b32_e32 v6, s6
	ds_read_b128 v[6:9], v6
	s_mov_b64 s[6:7], -1
                                        ; implicit-def: $vgpr10_vgpr11
	s_waitcnt lgkmcnt(0)
	v_cmp_ngt_f64_e64 s[14:15], |v[6:7]|, |v[8:9]|
	s_and_b64 vcc, exec, s[14:15]
	s_cbranch_vccz .LBB233_74
; %bb.73:                               ;   in Loop: Header=BB233_70 Depth=1
	v_div_scale_f64 v[10:11], s[6:7], v[8:9], v[8:9], v[6:7]
	v_rcp_f64_e32 v[12:13], v[10:11]
	v_div_scale_f64 v[16:17], vcc, v[6:7], v[8:9], v[6:7]
	v_fma_f64 v[18:19], -v[10:11], v[12:13], 1.0
	v_fmac_f64_e32 v[12:13], v[12:13], v[18:19]
	v_fma_f64 v[18:19], -v[10:11], v[12:13], 1.0
	v_fmac_f64_e32 v[12:13], v[12:13], v[18:19]
	v_mul_f64 v[18:19], v[16:17], v[12:13]
	v_fma_f64 v[10:11], -v[10:11], v[18:19], v[16:17]
	v_div_fmas_f64 v[10:11], v[10:11], v[12:13], v[18:19]
	v_div_fixup_f64 v[12:13], v[10:11], v[8:9], v[6:7]
	v_fma_f64 v[10:11], v[6:7], v[12:13], v[8:9]
	v_div_scale_f64 v[16:17], s[6:7], v[10:11], v[10:11], 1.0
	v_rcp_f64_e32 v[18:19], v[16:17]
	s_mov_b64 s[6:7], 0
	v_fma_f64 v[20:21], -v[16:17], v[18:19], 1.0
	v_fmac_f64_e32 v[18:19], v[18:19], v[20:21]
	v_fma_f64 v[20:21], -v[16:17], v[18:19], 1.0
	v_fmac_f64_e32 v[18:19], v[18:19], v[20:21]
	v_div_scale_f64 v[20:21], vcc, 1.0, v[10:11], 1.0
	v_mul_f64 v[22:23], v[20:21], v[18:19]
	v_fma_f64 v[16:17], -v[16:17], v[22:23], v[20:21]
	s_nop 1
	v_div_fmas_f64 v[16:17], v[16:17], v[18:19], v[22:23]
	v_div_fixup_f64 v[16:17], v[16:17], v[10:11], 1.0
	v_fma_f64 v[10:11], v[2:3], v[12:13], v[4:5]
	v_fma_f64 v[12:13], v[4:5], v[12:13], -v[2:3]
	v_mul_f64 v[10:11], v[10:11], v[16:17]
	v_mul_f64 v[12:13], v[12:13], v[16:17]
.LBB233_74:                             ;   in Loop: Header=BB233_70 Depth=1
	s_andn2_b64 vcc, exec, s[6:7]
	s_cbranch_vccnz .LBB233_69
; %bb.75:                               ;   in Loop: Header=BB233_70 Depth=1
	v_div_scale_f64 v[10:11], s[6:7], v[6:7], v[6:7], v[8:9]
	v_rcp_f64_e32 v[12:13], v[10:11]
	v_div_scale_f64 v[16:17], vcc, v[8:9], v[6:7], v[8:9]
	v_fma_f64 v[18:19], -v[10:11], v[12:13], 1.0
	v_fmac_f64_e32 v[12:13], v[12:13], v[18:19]
	v_fma_f64 v[18:19], -v[10:11], v[12:13], 1.0
	v_fmac_f64_e32 v[12:13], v[12:13], v[18:19]
	v_mul_f64 v[18:19], v[16:17], v[12:13]
	v_fma_f64 v[10:11], -v[10:11], v[18:19], v[16:17]
	v_div_fmas_f64 v[10:11], v[10:11], v[12:13], v[18:19]
	v_div_fixup_f64 v[12:13], v[10:11], v[6:7], v[8:9]
	v_fmac_f64_e32 v[6:7], v[8:9], v[12:13]
	v_div_scale_f64 v[8:9], s[6:7], v[6:7], v[6:7], 1.0
	v_rcp_f64_e32 v[10:11], v[8:9]
	s_nop 0
	v_fma_f64 v[16:17], -v[8:9], v[10:11], 1.0
	v_fmac_f64_e32 v[10:11], v[10:11], v[16:17]
	v_fma_f64 v[16:17], -v[8:9], v[10:11], 1.0
	v_fmac_f64_e32 v[10:11], v[10:11], v[16:17]
	v_div_scale_f64 v[16:17], vcc, 1.0, v[6:7], 1.0
	v_mul_f64 v[18:19], v[16:17], v[10:11]
	v_fma_f64 v[8:9], -v[8:9], v[18:19], v[16:17]
	s_nop 1
	v_div_fmas_f64 v[8:9], v[8:9], v[10:11], v[18:19]
	v_div_fixup_f64 v[6:7], v[8:9], v[6:7], 1.0
	v_fma_f64 v[8:9], v[4:5], v[12:13], v[2:3]
	v_fma_f64 v[2:3], -v[2:3], v[12:13], v[4:5]
	v_mul_f64 v[10:11], v[8:9], v[6:7]
	v_mul_f64 v[12:13], v[2:3], v[6:7]
	s_branch .LBB233_69
.LBB233_76:
	s_mov_b64 s[10:11], 0
.LBB233_77:
	s_andn2_b64 vcc, exec, s[10:11]
	s_cbranch_vccnz .LBB233_109
; %bb.78:
	s_andn2_b64 vcc, exec, s[4:5]
	s_mul_i32 s6, s25, 0x1c0
	s_mov_b32 s11, s9
	s_cbranch_vccnz .LBB233_100
; %bb.79:
	v_lshl_add_u32 v2, v0, 4, s6
	s_mul_i32 s4, s25, 0x1d0
	v_add_u32_e32 v26, 0x2f40, v2
	s_add_i32 s7, s4, 0xfffff8f0
	s_mov_b32 s10, s9
.LBB233_80:                             ; =>This Loop Header: Depth=1
                                        ;     Child Loop BB233_81 Depth 2
	s_mul_i32 s11, s10, 28
	v_lshl_add_u32 v30, s11, 4, v1
	v_add_u32_e32 v28, 0xfffffc80, v30
	v_add_u32_e32 v29, 0xfffffe40, v30
	ds_read_b128 v[18:21], v30
	ds_read_b128 v[14:17], v29
	v_add_u32_e32 v27, 0xfffffac0, v30
	ds_read_b128 v[6:9], v28
	ds_read_b128 v[2:5], v27
	s_cmp_le_i32 s9, s10
	s_mov_b32 s4, s7
	v_mov_b32_e32 v10, v26
	s_mov_b32 s5, s9
	s_cbranch_scc1 .LBB233_82
.LBB233_81:                             ;   Parent Loop BB233_80 Depth=1
                                        ; =>  This Inner Loop Header: Depth=2
	v_mov_b32_e32 v11, s4
	ds_read_b128 v[22:25], v10
	ds_read_b128 v[32:35], v11 offset:1344
	ds_read_b128 v[36:39], v11 offset:896
	;; [unrolled: 1-line block ×3, first 2 shown]
	ds_read_b128 v[44:47], v11
	s_add_i32 s5, s5, -1
	s_add_i32 s4, s4, -16
	v_add_u32_e32 v10, 0xfffffe40, v10
	s_waitcnt lgkmcnt(3)
	v_mul_f64 v[12:13], v[24:25], v[34:35]
	v_mul_f64 v[34:35], v[22:23], v[34:35]
	s_waitcnt lgkmcnt(2)
	v_mul_f64 v[48:49], v[24:25], v[38:39]
	v_mul_f64 v[38:39], v[22:23], v[38:39]
	;; [unrolled: 3-line block ×4, first 2 shown]
	v_fma_f64 v[12:13], v[22:23], v[32:33], -v[12:13]
	v_fmac_f64_e32 v[34:35], v[24:25], v[32:33]
	v_fma_f64 v[32:33], v[22:23], v[36:37], -v[48:49]
	v_fmac_f64_e32 v[38:39], v[24:25], v[36:37]
	;; [unrolled: 2-line block ×4, first 2 shown]
	s_cmp_le_i32 s5, s10
	v_add_f64 v[18:19], v[18:19], -v[12:13]
	v_add_f64 v[20:21], v[20:21], -v[34:35]
	;; [unrolled: 1-line block ×8, first 2 shown]
	s_cbranch_scc0 .LBB233_81
.LBB233_82:                             ;   in Loop: Header=BB233_80 Depth=1
	s_mul_i32 s4, s10, 0x1d0
	v_mov_b32_e32 v10, s4
	ds_read_b128 v[22:25], v10
	s_mov_b64 s[4:5], -1
                                        ; implicit-def: $vgpr12_vgpr13
	s_waitcnt lgkmcnt(0)
	v_cmp_ngt_f64_e64 s[12:13], |v[22:23]|, |v[24:25]|
	s_and_b64 vcc, exec, s[12:13]
	s_cbranch_vccz .LBB233_84
; %bb.83:                               ;   in Loop: Header=BB233_80 Depth=1
	v_div_scale_f64 v[10:11], s[4:5], v[24:25], v[24:25], v[22:23]
	v_rcp_f64_e32 v[12:13], v[10:11]
	v_div_scale_f64 v[32:33], vcc, v[22:23], v[24:25], v[22:23]
	v_fma_f64 v[34:35], -v[10:11], v[12:13], 1.0
	v_fmac_f64_e32 v[12:13], v[12:13], v[34:35]
	v_fma_f64 v[34:35], -v[10:11], v[12:13], 1.0
	v_fmac_f64_e32 v[12:13], v[12:13], v[34:35]
	v_mul_f64 v[34:35], v[32:33], v[12:13]
	v_fma_f64 v[10:11], -v[10:11], v[34:35], v[32:33]
	v_div_fmas_f64 v[10:11], v[10:11], v[12:13], v[34:35]
	v_div_fixup_f64 v[12:13], v[10:11], v[24:25], v[22:23]
	v_fma_f64 v[10:11], v[22:23], v[12:13], v[24:25]
	v_div_scale_f64 v[32:33], s[4:5], v[10:11], v[10:11], 1.0
	v_rcp_f64_e32 v[34:35], v[32:33]
	s_mov_b64 s[4:5], 0
	v_fma_f64 v[36:37], -v[32:33], v[34:35], 1.0
	v_fmac_f64_e32 v[34:35], v[34:35], v[36:37]
	v_fma_f64 v[36:37], -v[32:33], v[34:35], 1.0
	v_fmac_f64_e32 v[34:35], v[34:35], v[36:37]
	v_div_scale_f64 v[36:37], vcc, 1.0, v[10:11], 1.0
	v_mul_f64 v[38:39], v[36:37], v[34:35]
	v_fma_f64 v[32:33], -v[32:33], v[38:39], v[36:37]
	s_nop 1
	v_div_fmas_f64 v[32:33], v[32:33], v[34:35], v[38:39]
	v_div_fixup_f64 v[32:33], v[32:33], v[10:11], 1.0
	v_fma_f64 v[10:11], v[18:19], v[12:13], v[20:21]
	v_fma_f64 v[12:13], v[20:21], v[12:13], -v[18:19]
	v_mul_f64 v[10:11], v[10:11], v[32:33]
	v_mul_f64 v[12:13], v[12:13], v[32:33]
.LBB233_84:                             ;   in Loop: Header=BB233_80 Depth=1
	s_andn2_b64 vcc, exec, s[4:5]
	s_cbranch_vccnz .LBB233_86
; %bb.85:                               ;   in Loop: Header=BB233_80 Depth=1
	v_div_scale_f64 v[10:11], s[4:5], v[22:23], v[22:23], v[24:25]
	v_rcp_f64_e32 v[12:13], v[10:11]
	v_div_scale_f64 v[32:33], vcc, v[24:25], v[22:23], v[24:25]
	v_fma_f64 v[34:35], -v[10:11], v[12:13], 1.0
	v_fmac_f64_e32 v[12:13], v[12:13], v[34:35]
	v_fma_f64 v[34:35], -v[10:11], v[12:13], 1.0
	v_fmac_f64_e32 v[12:13], v[12:13], v[34:35]
	v_mul_f64 v[34:35], v[32:33], v[12:13]
	v_fma_f64 v[10:11], -v[10:11], v[34:35], v[32:33]
	v_div_fmas_f64 v[10:11], v[10:11], v[12:13], v[34:35]
	v_div_fixup_f64 v[12:13], v[10:11], v[22:23], v[24:25]
	v_fmac_f64_e32 v[22:23], v[24:25], v[12:13]
	v_div_scale_f64 v[10:11], s[4:5], v[22:23], v[22:23], 1.0
	v_rcp_f64_e32 v[24:25], v[10:11]
	s_nop 0
	v_fma_f64 v[32:33], -v[10:11], v[24:25], 1.0
	v_fmac_f64_e32 v[24:25], v[24:25], v[32:33]
	v_fma_f64 v[32:33], -v[10:11], v[24:25], 1.0
	v_fmac_f64_e32 v[24:25], v[24:25], v[32:33]
	v_div_scale_f64 v[32:33], vcc, 1.0, v[22:23], 1.0
	v_mul_f64 v[34:35], v[32:33], v[24:25]
	v_fma_f64 v[10:11], -v[10:11], v[34:35], v[32:33]
	s_nop 1
	v_div_fmas_f64 v[10:11], v[10:11], v[24:25], v[34:35]
	v_div_fixup_f64 v[22:23], v[10:11], v[22:23], 1.0
	v_fma_f64 v[10:11], v[20:21], v[12:13], v[18:19]
	v_fma_f64 v[12:13], -v[18:19], v[12:13], v[20:21]
	v_mul_f64 v[10:11], v[10:11], v[22:23]
	v_mul_f64 v[12:13], v[12:13], v[22:23]
.LBB233_86:                             ;   in Loop: Header=BB233_80 Depth=1
	s_lshl_b32 s11, s11, 4
	s_addk_i32 s11, 0xfe40
	s_lshl_b32 s12, s10, 4
	s_add_i32 s4, s11, s12
	v_mov_b32_e32 v18, s4
	s_add_i32 s4, s4, -16
	ds_read_b128 v[22:25], v18
	v_mov_b32_e32 v18, s4
	ds_read_b128 v[18:21], v18
	ds_write_b128 v30, v[10:13]
	s_mov_b64 s[4:5], -1
	s_waitcnt lgkmcnt(2)
	v_mul_f64 v[30:31], v[12:13], v[24:25]
	v_mul_f64 v[24:25], v[10:11], v[24:25]
	v_fma_f64 v[30:31], v[10:11], v[22:23], -v[30:31]
	v_fmac_f64_e32 v[24:25], v[12:13], v[22:23]
	s_waitcnt lgkmcnt(1)
	v_cmp_ngt_f64_e64 s[14:15], |v[18:19]|, |v[20:21]|
	v_add_f64 v[22:23], v[14:15], -v[30:31]
	v_add_f64 v[24:25], v[16:17], -v[24:25]
	s_and_b64 vcc, exec, s[14:15]
                                        ; implicit-def: $vgpr16_vgpr17
	s_cbranch_vccz .LBB233_88
; %bb.87:                               ;   in Loop: Header=BB233_80 Depth=1
	v_div_scale_f64 v[14:15], s[4:5], v[20:21], v[20:21], v[18:19]
	v_rcp_f64_e32 v[16:17], v[14:15]
	v_div_scale_f64 v[30:31], vcc, v[18:19], v[20:21], v[18:19]
	v_fma_f64 v[32:33], -v[14:15], v[16:17], 1.0
	v_fmac_f64_e32 v[16:17], v[16:17], v[32:33]
	v_fma_f64 v[32:33], -v[14:15], v[16:17], 1.0
	v_fmac_f64_e32 v[16:17], v[16:17], v[32:33]
	v_mul_f64 v[32:33], v[30:31], v[16:17]
	v_fma_f64 v[14:15], -v[14:15], v[32:33], v[30:31]
	v_div_fmas_f64 v[14:15], v[14:15], v[16:17], v[32:33]
	v_div_fixup_f64 v[16:17], v[14:15], v[20:21], v[18:19]
	v_fma_f64 v[14:15], v[18:19], v[16:17], v[20:21]
	v_div_scale_f64 v[30:31], s[4:5], v[14:15], v[14:15], 1.0
	v_rcp_f64_e32 v[32:33], v[30:31]
	s_mov_b64 s[4:5], 0
	v_fma_f64 v[34:35], -v[30:31], v[32:33], 1.0
	v_fmac_f64_e32 v[32:33], v[32:33], v[34:35]
	v_fma_f64 v[34:35], -v[30:31], v[32:33], 1.0
	v_fmac_f64_e32 v[32:33], v[32:33], v[34:35]
	v_div_scale_f64 v[34:35], vcc, 1.0, v[14:15], 1.0
	v_mul_f64 v[36:37], v[34:35], v[32:33]
	v_fma_f64 v[30:31], -v[30:31], v[36:37], v[34:35]
	s_nop 1
	v_div_fmas_f64 v[30:31], v[30:31], v[32:33], v[36:37]
	v_div_fixup_f64 v[30:31], v[30:31], v[14:15], 1.0
	v_fma_f64 v[14:15], v[16:17], v[22:23], v[24:25]
	v_fma_f64 v[16:17], v[16:17], v[24:25], -v[22:23]
	v_mul_f64 v[14:15], v[14:15], v[30:31]
	v_mul_f64 v[16:17], v[16:17], v[30:31]
.LBB233_88:                             ;   in Loop: Header=BB233_80 Depth=1
	s_andn2_b64 vcc, exec, s[4:5]
	s_cbranch_vccnz .LBB233_90
; %bb.89:                               ;   in Loop: Header=BB233_80 Depth=1
	v_div_scale_f64 v[14:15], s[4:5], v[18:19], v[18:19], v[20:21]
	v_rcp_f64_e32 v[16:17], v[14:15]
	v_div_scale_f64 v[30:31], vcc, v[20:21], v[18:19], v[20:21]
	v_fma_f64 v[32:33], -v[14:15], v[16:17], 1.0
	v_fmac_f64_e32 v[16:17], v[16:17], v[32:33]
	v_fma_f64 v[32:33], -v[14:15], v[16:17], 1.0
	v_fmac_f64_e32 v[16:17], v[16:17], v[32:33]
	v_mul_f64 v[32:33], v[30:31], v[16:17]
	v_fma_f64 v[14:15], -v[14:15], v[32:33], v[30:31]
	v_div_fmas_f64 v[14:15], v[14:15], v[16:17], v[32:33]
	v_div_fixup_f64 v[16:17], v[14:15], v[18:19], v[20:21]
	v_fmac_f64_e32 v[18:19], v[20:21], v[16:17]
	v_div_scale_f64 v[14:15], s[4:5], v[18:19], v[18:19], 1.0
	v_rcp_f64_e32 v[20:21], v[14:15]
	s_nop 0
	v_fma_f64 v[30:31], -v[14:15], v[20:21], 1.0
	v_fmac_f64_e32 v[20:21], v[20:21], v[30:31]
	v_fma_f64 v[30:31], -v[14:15], v[20:21], 1.0
	v_fmac_f64_e32 v[20:21], v[20:21], v[30:31]
	v_div_scale_f64 v[30:31], vcc, 1.0, v[18:19], 1.0
	v_mul_f64 v[32:33], v[30:31], v[20:21]
	v_fma_f64 v[14:15], -v[14:15], v[32:33], v[30:31]
	s_nop 1
	v_div_fmas_f64 v[14:15], v[14:15], v[20:21], v[32:33]
	v_div_fixup_f64 v[18:19], v[14:15], v[18:19], 1.0
	v_fma_f64 v[14:15], v[16:17], v[24:25], v[22:23]
	v_fma_f64 v[16:17], -v[16:17], v[22:23], v[24:25]
	v_mul_f64 v[14:15], v[14:15], v[18:19]
	v_mul_f64 v[16:17], v[16:17], v[18:19]
.LBB233_90:                             ;   in Loop: Header=BB233_80 Depth=1
	s_addk_i32 s11, 0xfe40
	s_add_i32 s11, s11, s12
	v_mov_b32_e32 v18, s11
	ds_read_b128 v[18:21], v18
	s_add_i32 s4, s11, -16
	v_mov_b32_e32 v22, s4
	ds_read_b128 v[22:25], v22
	s_sub_i32 s4, s11, 32
	s_waitcnt lgkmcnt(1)
	v_mul_f64 v[30:31], v[12:13], v[20:21]
	v_fma_f64 v[30:31], v[10:11], v[18:19], -v[30:31]
	v_mul_f64 v[20:21], v[10:11], v[20:21]
	v_fmac_f64_e32 v[20:21], v[12:13], v[18:19]
	v_add_f64 v[18:19], v[6:7], -v[30:31]
	s_waitcnt lgkmcnt(0)
	v_mul_f64 v[6:7], v[16:17], v[24:25]
	v_fma_f64 v[30:31], v[14:15], v[22:23], -v[6:7]
	v_mov_b32_e32 v6, s4
	v_add_f64 v[20:21], v[8:9], -v[20:21]
	ds_read_b128 v[6:9], v6
	v_mul_f64 v[24:25], v[14:15], v[24:25]
	v_fmac_f64_e32 v[24:25], v[16:17], v[22:23]
	v_add_f64 v[22:23], v[18:19], -v[30:31]
	v_add_f64 v[24:25], v[20:21], -v[24:25]
	s_waitcnt lgkmcnt(0)
	v_cmp_ngt_f64_e64 s[12:13], |v[6:7]|, |v[8:9]|
	s_mov_b64 s[4:5], -1
	s_and_b64 vcc, exec, s[12:13]
	ds_write_b128 v29, v[14:17]
                                        ; implicit-def: $vgpr20_vgpr21
	s_cbranch_vccz .LBB233_92
; %bb.91:                               ;   in Loop: Header=BB233_80 Depth=1
	v_div_scale_f64 v[18:19], s[4:5], v[8:9], v[8:9], v[6:7]
	v_rcp_f64_e32 v[20:21], v[18:19]
	v_div_scale_f64 v[30:31], vcc, v[6:7], v[8:9], v[6:7]
	v_fma_f64 v[32:33], -v[18:19], v[20:21], 1.0
	v_fmac_f64_e32 v[20:21], v[20:21], v[32:33]
	v_fma_f64 v[32:33], -v[18:19], v[20:21], 1.0
	v_fmac_f64_e32 v[20:21], v[20:21], v[32:33]
	v_mul_f64 v[32:33], v[30:31], v[20:21]
	v_fma_f64 v[18:19], -v[18:19], v[32:33], v[30:31]
	v_div_fmas_f64 v[18:19], v[18:19], v[20:21], v[32:33]
	v_div_fixup_f64 v[20:21], v[18:19], v[8:9], v[6:7]
	v_fma_f64 v[18:19], v[6:7], v[20:21], v[8:9]
	v_div_scale_f64 v[30:31], s[4:5], v[18:19], v[18:19], 1.0
	v_rcp_f64_e32 v[32:33], v[30:31]
	s_mov_b64 s[4:5], 0
	v_fma_f64 v[34:35], -v[30:31], v[32:33], 1.0
	v_fmac_f64_e32 v[32:33], v[32:33], v[34:35]
	v_fma_f64 v[34:35], -v[30:31], v[32:33], 1.0
	v_fmac_f64_e32 v[32:33], v[32:33], v[34:35]
	v_div_scale_f64 v[34:35], vcc, 1.0, v[18:19], 1.0
	v_mul_f64 v[36:37], v[34:35], v[32:33]
	v_fma_f64 v[30:31], -v[30:31], v[36:37], v[34:35]
	s_nop 1
	v_div_fmas_f64 v[30:31], v[30:31], v[32:33], v[36:37]
	v_div_fixup_f64 v[30:31], v[30:31], v[18:19], 1.0
	v_fma_f64 v[18:19], v[20:21], v[22:23], v[24:25]
	v_fma_f64 v[20:21], v[20:21], v[24:25], -v[22:23]
	v_mul_f64 v[18:19], v[18:19], v[30:31]
	v_mul_f64 v[20:21], v[20:21], v[30:31]
.LBB233_92:                             ;   in Loop: Header=BB233_80 Depth=1
	s_andn2_b64 vcc, exec, s[4:5]
	s_cbranch_vccnz .LBB233_94
; %bb.93:                               ;   in Loop: Header=BB233_80 Depth=1
	v_div_scale_f64 v[18:19], s[4:5], v[6:7], v[6:7], v[8:9]
	v_rcp_f64_e32 v[20:21], v[18:19]
	v_div_scale_f64 v[30:31], vcc, v[8:9], v[6:7], v[8:9]
	v_fma_f64 v[32:33], -v[18:19], v[20:21], 1.0
	v_fmac_f64_e32 v[20:21], v[20:21], v[32:33]
	v_fma_f64 v[32:33], -v[18:19], v[20:21], 1.0
	v_fmac_f64_e32 v[20:21], v[20:21], v[32:33]
	v_mul_f64 v[32:33], v[30:31], v[20:21]
	v_fma_f64 v[18:19], -v[18:19], v[32:33], v[30:31]
	v_div_fmas_f64 v[18:19], v[18:19], v[20:21], v[32:33]
	v_div_fixup_f64 v[20:21], v[18:19], v[6:7], v[8:9]
	v_fmac_f64_e32 v[6:7], v[8:9], v[20:21]
	v_div_scale_f64 v[8:9], s[4:5], v[6:7], v[6:7], 1.0
	v_rcp_f64_e32 v[18:19], v[8:9]
	s_nop 0
	v_fma_f64 v[30:31], -v[8:9], v[18:19], 1.0
	v_fmac_f64_e32 v[18:19], v[18:19], v[30:31]
	v_fma_f64 v[30:31], -v[8:9], v[18:19], 1.0
	v_fmac_f64_e32 v[18:19], v[18:19], v[30:31]
	v_div_scale_f64 v[30:31], vcc, 1.0, v[6:7], 1.0
	v_mul_f64 v[32:33], v[30:31], v[18:19]
	v_fma_f64 v[8:9], -v[8:9], v[32:33], v[30:31]
	s_nop 1
	v_div_fmas_f64 v[8:9], v[8:9], v[18:19], v[32:33]
	v_div_fixup_f64 v[6:7], v[8:9], v[6:7], 1.0
	v_fma_f64 v[8:9], v[20:21], v[24:25], v[22:23]
	v_mul_f64 v[18:19], v[8:9], v[6:7]
	v_fma_f64 v[8:9], -v[20:21], v[22:23], v[24:25]
	v_mul_f64 v[20:21], v[8:9], v[6:7]
.LBB233_94:                             ;   in Loop: Header=BB233_80 Depth=1
	s_add_i32 s4, s11, 0xfffffe40
	v_mov_b32_e32 v6, s4
	s_add_i32 s4, s11, 0xfffffe30
	ds_read_b128 v[6:9], v6
	v_mov_b32_e32 v22, s4
	ds_read_b128 v[22:25], v22
	ds_write_b128 v28, v[18:21]
	s_add_i32 s4, s11, 0xfffffe20
	s_waitcnt lgkmcnt(2)
	v_mul_f64 v[28:29], v[12:13], v[8:9]
	v_mul_f64 v[8:9], v[10:11], v[8:9]
	v_fma_f64 v[28:29], v[10:11], v[6:7], -v[28:29]
	v_fmac_f64_e32 v[8:9], v[12:13], v[6:7]
	s_waitcnt lgkmcnt(1)
	v_mul_f64 v[6:7], v[16:17], v[24:25]
	v_add_f64 v[2:3], v[2:3], -v[28:29]
	v_fma_f64 v[6:7], v[14:15], v[22:23], -v[6:7]
	v_mul_f64 v[10:11], v[14:15], v[24:25]
	v_add_f64 v[12:13], v[2:3], -v[6:7]
	v_mov_b32_e32 v2, s4
	s_add_i32 s4, s11, 0xfffffe10
	v_add_f64 v[4:5], v[4:5], -v[8:9]
	v_fmac_f64_e32 v[10:11], v[16:17], v[22:23]
	ds_read_b128 v[6:9], v2
	v_mov_b32_e32 v2, s4
	v_add_f64 v[14:15], v[4:5], -v[10:11]
	ds_read_b128 v[2:5], v2
	s_mov_b64 s[4:5], -1
	s_waitcnt lgkmcnt(1)
	v_mul_f64 v[10:11], v[20:21], v[8:9]
	v_mul_f64 v[8:9], v[18:19], v[8:9]
	v_fma_f64 v[10:11], v[18:19], v[6:7], -v[10:11]
	v_fmac_f64_e32 v[8:9], v[20:21], v[6:7]
	s_waitcnt lgkmcnt(0)
	v_cmp_ngt_f64_e64 s[12:13], |v[2:3]|, |v[4:5]|
	v_add_f64 v[10:11], v[12:13], -v[10:11]
	v_add_f64 v[12:13], v[14:15], -v[8:9]
	s_and_b64 vcc, exec, s[12:13]
                                        ; implicit-def: $vgpr8_vgpr9
	s_cbranch_vccz .LBB233_96
; %bb.95:                               ;   in Loop: Header=BB233_80 Depth=1
	v_div_scale_f64 v[6:7], s[4:5], v[4:5], v[4:5], v[2:3]
	v_rcp_f64_e32 v[8:9], v[6:7]
	v_div_scale_f64 v[14:15], vcc, v[2:3], v[4:5], v[2:3]
	v_fma_f64 v[16:17], -v[6:7], v[8:9], 1.0
	v_fmac_f64_e32 v[8:9], v[8:9], v[16:17]
	v_fma_f64 v[16:17], -v[6:7], v[8:9], 1.0
	v_fmac_f64_e32 v[8:9], v[8:9], v[16:17]
	v_mul_f64 v[16:17], v[14:15], v[8:9]
	v_fma_f64 v[6:7], -v[6:7], v[16:17], v[14:15]
	v_div_fmas_f64 v[6:7], v[6:7], v[8:9], v[16:17]
	v_div_fixup_f64 v[8:9], v[6:7], v[4:5], v[2:3]
	v_fma_f64 v[6:7], v[2:3], v[8:9], v[4:5]
	v_div_scale_f64 v[14:15], s[4:5], v[6:7], v[6:7], 1.0
	v_rcp_f64_e32 v[16:17], v[14:15]
	s_mov_b64 s[4:5], 0
	v_fma_f64 v[18:19], -v[14:15], v[16:17], 1.0
	v_fmac_f64_e32 v[16:17], v[16:17], v[18:19]
	v_fma_f64 v[18:19], -v[14:15], v[16:17], 1.0
	v_fmac_f64_e32 v[16:17], v[16:17], v[18:19]
	v_div_scale_f64 v[18:19], vcc, 1.0, v[6:7], 1.0
	v_mul_f64 v[20:21], v[18:19], v[16:17]
	v_fma_f64 v[14:15], -v[14:15], v[20:21], v[18:19]
	s_nop 1
	v_div_fmas_f64 v[14:15], v[14:15], v[16:17], v[20:21]
	v_div_fixup_f64 v[14:15], v[14:15], v[6:7], 1.0
	v_fma_f64 v[6:7], v[8:9], v[10:11], v[12:13]
	v_fma_f64 v[8:9], v[8:9], v[12:13], -v[10:11]
	v_mul_f64 v[6:7], v[6:7], v[14:15]
	v_mul_f64 v[8:9], v[8:9], v[14:15]
.LBB233_96:                             ;   in Loop: Header=BB233_80 Depth=1
	s_andn2_b64 vcc, exec, s[4:5]
	s_cbranch_vccnz .LBB233_98
; %bb.97:                               ;   in Loop: Header=BB233_80 Depth=1
	v_div_scale_f64 v[6:7], s[4:5], v[2:3], v[2:3], v[4:5]
	v_rcp_f64_e32 v[8:9], v[6:7]
	v_div_scale_f64 v[14:15], vcc, v[4:5], v[2:3], v[4:5]
	v_fma_f64 v[16:17], -v[6:7], v[8:9], 1.0
	v_fmac_f64_e32 v[8:9], v[8:9], v[16:17]
	v_fma_f64 v[16:17], -v[6:7], v[8:9], 1.0
	v_fmac_f64_e32 v[8:9], v[8:9], v[16:17]
	v_mul_f64 v[16:17], v[14:15], v[8:9]
	v_fma_f64 v[6:7], -v[6:7], v[16:17], v[14:15]
	v_div_fmas_f64 v[6:7], v[6:7], v[8:9], v[16:17]
	v_div_fixup_f64 v[8:9], v[6:7], v[2:3], v[4:5]
	v_fmac_f64_e32 v[2:3], v[4:5], v[8:9]
	v_div_scale_f64 v[4:5], s[4:5], v[2:3], v[2:3], 1.0
	v_rcp_f64_e32 v[6:7], v[4:5]
	s_nop 0
	v_fma_f64 v[14:15], -v[4:5], v[6:7], 1.0
	v_fmac_f64_e32 v[6:7], v[6:7], v[14:15]
	v_fma_f64 v[14:15], -v[4:5], v[6:7], 1.0
	v_fmac_f64_e32 v[6:7], v[6:7], v[14:15]
	v_div_scale_f64 v[14:15], vcc, 1.0, v[2:3], 1.0
	v_mul_f64 v[16:17], v[14:15], v[6:7]
	v_fma_f64 v[4:5], -v[4:5], v[16:17], v[14:15]
	s_nop 1
	v_div_fmas_f64 v[4:5], v[4:5], v[6:7], v[16:17]
	v_div_fixup_f64 v[2:3], v[4:5], v[2:3], 1.0
	v_fma_f64 v[4:5], v[8:9], v[12:13], v[10:11]
	v_mul_f64 v[6:7], v[4:5], v[2:3]
	v_fma_f64 v[4:5], -v[8:9], v[10:11], v[12:13]
	v_mul_f64 v[8:9], v[4:5], v[2:3]
.LBB233_98:                             ;   in Loop: Header=BB233_80 Depth=1
	s_add_i32 s11, s10, -4
	s_addk_i32 s7, 0xf900
	s_cmp_lt_i32 s10, 7
	ds_write_b128 v27, v[6:9]
	s_cbranch_scc1 .LBB233_100
; %bb.99:                               ;   in Loop: Header=BB233_80 Depth=1
	s_mov_b32 s10, s11
	s_branch .LBB233_80
.LBB233_100:
	s_cmp_lt_i32 s11, 0
	s_cbranch_scc1 .LBB233_109
; %bb.101:
	s_mul_i32 s4, s11, 0x1c0
	s_lshl_b32 s5, s25, 4
	v_lshl_add_u32 v2, v0, 4, s6
	s_add_i32 s4, s4, s5
	v_add_u32_e32 v14, 0x2f40, v2
	s_add_i32 s6, s4, -16
	s_branch .LBB233_103
.LBB233_102:                            ;   in Loop: Header=BB233_103 Depth=1
	v_sub_co_u32_e64 v2, s[4:5], s11, 1
	s_nop 0
	v_readfirstlane_b32 s11, v2
	s_addk_i32 s6, 0xfe40
	s_and_b64 vcc, exec, s[4:5]
	ds_write_b128 v15, v[10:13]
	s_cbranch_vccnz .LBB233_109
.LBB233_103:                            ; =>This Loop Header: Depth=1
                                        ;     Child Loop BB233_104 Depth 2
	s_mul_i32 s4, s11, 0x1c0
	v_add_u32_e32 v15, s4, v1
	ds_read_b128 v[2:5], v15
	s_cmp_le_i32 s9, s11
	s_mov_b32 s4, s6
	v_mov_b32_e32 v6, v14
	s_mov_b32 s5, s9
	s_cbranch_scc1 .LBB233_105
.LBB233_104:                            ;   Parent Loop BB233_103 Depth=1
                                        ; =>  This Inner Loop Header: Depth=2
	v_mov_b32_e32 v7, s4
	ds_read_b128 v[8:11], v6
	ds_read_b128 v[16:19], v7
	s_add_i32 s5, s5, -1
	s_add_i32 s4, s4, -16
	v_add_u32_e32 v6, 0xfffffe40, v6
	s_cmp_le_u32 s5, s11
	s_waitcnt lgkmcnt(0)
	v_mul_f64 v[12:13], v[18:19], v[10:11]
	v_mul_f64 v[10:11], v[16:17], v[10:11]
	v_fma_f64 v[12:13], v[16:17], v[8:9], -v[12:13]
	v_fmac_f64_e32 v[10:11], v[18:19], v[8:9]
	v_add_f64 v[2:3], v[2:3], -v[12:13]
	v_add_f64 v[4:5], v[4:5], -v[10:11]
	s_cbranch_scc0 .LBB233_104
.LBB233_105:                            ;   in Loop: Header=BB233_103 Depth=1
	s_mul_i32 s4, s11, 0x1d0
	v_mov_b32_e32 v6, s4
	ds_read_b128 v[6:9], v6
	s_mov_b64 s[4:5], -1
                                        ; implicit-def: $vgpr10_vgpr11
	s_waitcnt lgkmcnt(0)
	v_cmp_ngt_f64_e64 s[12:13], |v[6:7]|, |v[8:9]|
	s_and_b64 vcc, exec, s[12:13]
	s_cbranch_vccz .LBB233_107
; %bb.106:                              ;   in Loop: Header=BB233_103 Depth=1
	v_div_scale_f64 v[10:11], s[4:5], v[8:9], v[8:9], v[6:7]
	v_rcp_f64_e32 v[12:13], v[10:11]
	v_div_scale_f64 v[16:17], vcc, v[6:7], v[8:9], v[6:7]
	v_fma_f64 v[18:19], -v[10:11], v[12:13], 1.0
	v_fmac_f64_e32 v[12:13], v[12:13], v[18:19]
	v_fma_f64 v[18:19], -v[10:11], v[12:13], 1.0
	v_fmac_f64_e32 v[12:13], v[12:13], v[18:19]
	v_mul_f64 v[18:19], v[16:17], v[12:13]
	v_fma_f64 v[10:11], -v[10:11], v[18:19], v[16:17]
	v_div_fmas_f64 v[10:11], v[10:11], v[12:13], v[18:19]
	v_div_fixup_f64 v[12:13], v[10:11], v[8:9], v[6:7]
	v_fma_f64 v[10:11], v[6:7], v[12:13], v[8:9]
	v_div_scale_f64 v[16:17], s[4:5], v[10:11], v[10:11], 1.0
	v_rcp_f64_e32 v[18:19], v[16:17]
	s_mov_b64 s[4:5], 0
	v_fma_f64 v[20:21], -v[16:17], v[18:19], 1.0
	v_fmac_f64_e32 v[18:19], v[18:19], v[20:21]
	v_fma_f64 v[20:21], -v[16:17], v[18:19], 1.0
	v_fmac_f64_e32 v[18:19], v[18:19], v[20:21]
	v_div_scale_f64 v[20:21], vcc, 1.0, v[10:11], 1.0
	v_mul_f64 v[22:23], v[20:21], v[18:19]
	v_fma_f64 v[16:17], -v[16:17], v[22:23], v[20:21]
	s_nop 1
	v_div_fmas_f64 v[16:17], v[16:17], v[18:19], v[22:23]
	v_div_fixup_f64 v[16:17], v[16:17], v[10:11], 1.0
	v_fma_f64 v[10:11], v[2:3], v[12:13], v[4:5]
	v_fma_f64 v[12:13], v[4:5], v[12:13], -v[2:3]
	v_mul_f64 v[10:11], v[10:11], v[16:17]
	v_mul_f64 v[12:13], v[12:13], v[16:17]
.LBB233_107:                            ;   in Loop: Header=BB233_103 Depth=1
	s_andn2_b64 vcc, exec, s[4:5]
	s_cbranch_vccnz .LBB233_102
; %bb.108:                              ;   in Loop: Header=BB233_103 Depth=1
	v_div_scale_f64 v[10:11], s[4:5], v[6:7], v[6:7], v[8:9]
	v_rcp_f64_e32 v[12:13], v[10:11]
	v_div_scale_f64 v[16:17], vcc, v[8:9], v[6:7], v[8:9]
	v_fma_f64 v[18:19], -v[10:11], v[12:13], 1.0
	v_fmac_f64_e32 v[12:13], v[12:13], v[18:19]
	v_fma_f64 v[18:19], -v[10:11], v[12:13], 1.0
	v_fmac_f64_e32 v[12:13], v[12:13], v[18:19]
	v_mul_f64 v[18:19], v[16:17], v[12:13]
	v_fma_f64 v[10:11], -v[10:11], v[18:19], v[16:17]
	v_div_fmas_f64 v[10:11], v[10:11], v[12:13], v[18:19]
	v_div_fixup_f64 v[12:13], v[10:11], v[6:7], v[8:9]
	v_fmac_f64_e32 v[6:7], v[8:9], v[12:13]
	v_div_scale_f64 v[8:9], s[4:5], v[6:7], v[6:7], 1.0
	v_rcp_f64_e32 v[10:11], v[8:9]
	s_nop 0
	v_fma_f64 v[16:17], -v[8:9], v[10:11], 1.0
	v_fmac_f64_e32 v[10:11], v[10:11], v[16:17]
	v_fma_f64 v[16:17], -v[8:9], v[10:11], 1.0
	v_fmac_f64_e32 v[10:11], v[10:11], v[16:17]
	v_div_scale_f64 v[16:17], vcc, 1.0, v[6:7], 1.0
	v_mul_f64 v[18:19], v[16:17], v[10:11]
	v_fma_f64 v[8:9], -v[8:9], v[18:19], v[16:17]
	s_nop 1
	v_div_fmas_f64 v[8:9], v[8:9], v[10:11], v[18:19]
	v_div_fixup_f64 v[6:7], v[8:9], v[6:7], 1.0
	v_fma_f64 v[8:9], v[4:5], v[12:13], v[2:3]
	v_fma_f64 v[2:3], -v[2:3], v[12:13], v[4:5]
	v_mul_f64 v[10:11], v[8:9], v[6:7]
	v_mul_f64 v[12:13], v[2:3], v[6:7]
	s_branch .LBB233_102
.LBB233_109:
	s_mov_b64 s[10:11], 0
.LBB233_110:
	s_andn2_b64 vcc, exec, s[10:11]
	s_cbranch_vccnz .LBB233_142
; %bb.111:
	v_mov_b32_e32 v1, 0x3100
	v_lshl_add_u32 v1, v0, 4, v1
	s_cmp_lt_i32 s24, 4
	s_mov_b32 s9, 0
	s_cbranch_scc1 .LBB233_133
; %bb.112:
	s_mov_b32 s6, 0
	s_mov_b32 s7, 0
.LBB233_113:                            ; =>This Loop Header: Depth=1
                                        ;     Child Loop BB233_114 Depth 2
	s_mul_i32 s9, s7, 28
	v_lshl_add_u32 v26, s9, 4, v1
	ds_read_b128 v[18:21], v26
	ds_read_b128 v[14:17], v26 offset:448
	ds_read_b128 v[6:9], v26 offset:896
	;; [unrolled: 1-line block ×3, first 2 shown]
	s_cmp_eq_u32 s7, 0
	s_mov_b32 s4, s6
	v_mov_b32_e32 v10, v1
	s_mov_b32 s5, s7
	s_cbranch_scc1 .LBB233_115
.LBB233_114:                            ;   Parent Loop BB233_113 Depth=1
                                        ; =>  This Inner Loop Header: Depth=2
	v_mov_b32_e32 v11, s4
	ds_read_b128 v[22:25], v10
	ds_read_b128 v[28:31], v11
	ds_read_b128 v[32:35], v11 offset:448
	ds_read_b128 v[36:39], v11 offset:896
	;; [unrolled: 1-line block ×3, first 2 shown]
	s_add_i32 s5, s5, -1
	s_add_i32 s4, s4, 16
	v_add_u32_e32 v10, 0x1c0, v10
	s_waitcnt lgkmcnt(3)
	v_mul_f64 v[12:13], v[24:25], v[30:31]
	v_mul_f64 v[30:31], v[22:23], v[30:31]
	s_waitcnt lgkmcnt(2)
	v_mul_f64 v[44:45], v[24:25], v[34:35]
	v_mul_f64 v[34:35], v[22:23], v[34:35]
	;; [unrolled: 3-line block ×4, first 2 shown]
	v_fma_f64 v[12:13], v[22:23], v[28:29], -v[12:13]
	v_fmac_f64_e32 v[30:31], v[24:25], v[28:29]
	v_fma_f64 v[28:29], v[22:23], v[32:33], -v[44:45]
	v_fmac_f64_e32 v[34:35], v[24:25], v[32:33]
	;; [unrolled: 2-line block ×4, first 2 shown]
	s_cmp_eq_u32 s5, 0
	v_add_f64 v[18:19], v[18:19], -v[12:13]
	v_add_f64 v[20:21], v[20:21], -v[30:31]
	;; [unrolled: 1-line block ×8, first 2 shown]
	s_cbranch_scc0 .LBB233_114
.LBB233_115:                            ;   in Loop: Header=BB233_113 Depth=1
	s_mul_i32 s4, s7, 0x1d0
	v_mov_b32_e32 v10, s4
	ds_read_b128 v[22:25], v10
	s_mov_b64 s[4:5], -1
                                        ; implicit-def: $vgpr12_vgpr13
	s_waitcnt lgkmcnt(0)
	v_cmp_ngt_f64_e64 s[10:11], |v[22:23]|, |v[24:25]|
	s_and_b64 vcc, exec, s[10:11]
	s_cbranch_vccz .LBB233_117
; %bb.116:                              ;   in Loop: Header=BB233_113 Depth=1
	v_div_scale_f64 v[10:11], s[4:5], v[24:25], v[24:25], v[22:23]
	v_rcp_f64_e32 v[12:13], v[10:11]
	v_div_scale_f64 v[28:29], vcc, v[22:23], v[24:25], v[22:23]
	v_fma_f64 v[30:31], -v[10:11], v[12:13], 1.0
	v_fmac_f64_e32 v[12:13], v[12:13], v[30:31]
	v_fma_f64 v[30:31], -v[10:11], v[12:13], 1.0
	v_fmac_f64_e32 v[12:13], v[12:13], v[30:31]
	v_mul_f64 v[30:31], v[28:29], v[12:13]
	v_fma_f64 v[10:11], -v[10:11], v[30:31], v[28:29]
	v_div_fmas_f64 v[10:11], v[10:11], v[12:13], v[30:31]
	v_div_fixup_f64 v[12:13], v[10:11], v[24:25], v[22:23]
	v_fma_f64 v[10:11], v[22:23], v[12:13], v[24:25]
	v_div_scale_f64 v[28:29], s[4:5], v[10:11], v[10:11], 1.0
	v_rcp_f64_e32 v[30:31], v[28:29]
	s_mov_b64 s[4:5], 0
	v_fma_f64 v[32:33], -v[28:29], v[30:31], 1.0
	v_fmac_f64_e32 v[30:31], v[30:31], v[32:33]
	v_fma_f64 v[32:33], -v[28:29], v[30:31], 1.0
	v_fmac_f64_e32 v[30:31], v[30:31], v[32:33]
	v_div_scale_f64 v[32:33], vcc, 1.0, v[10:11], 1.0
	v_mul_f64 v[34:35], v[32:33], v[30:31]
	v_fma_f64 v[28:29], -v[28:29], v[34:35], v[32:33]
	s_nop 1
	v_div_fmas_f64 v[28:29], v[28:29], v[30:31], v[34:35]
	v_div_fixup_f64 v[28:29], v[28:29], v[10:11], 1.0
	v_fma_f64 v[10:11], v[18:19], v[12:13], v[20:21]
	v_fma_f64 v[12:13], v[20:21], v[12:13], -v[18:19]
	v_mul_f64 v[10:11], v[10:11], v[28:29]
	v_mul_f64 v[12:13], v[12:13], v[28:29]
.LBB233_117:                            ;   in Loop: Header=BB233_113 Depth=1
	s_andn2_b64 vcc, exec, s[4:5]
	s_cbranch_vccnz .LBB233_119
; %bb.118:                              ;   in Loop: Header=BB233_113 Depth=1
	v_div_scale_f64 v[10:11], s[4:5], v[22:23], v[22:23], v[24:25]
	v_rcp_f64_e32 v[12:13], v[10:11]
	v_div_scale_f64 v[28:29], vcc, v[24:25], v[22:23], v[24:25]
	v_fma_f64 v[30:31], -v[10:11], v[12:13], 1.0
	v_fmac_f64_e32 v[12:13], v[12:13], v[30:31]
	v_fma_f64 v[30:31], -v[10:11], v[12:13], 1.0
	v_fmac_f64_e32 v[12:13], v[12:13], v[30:31]
	v_mul_f64 v[30:31], v[28:29], v[12:13]
	v_fma_f64 v[10:11], -v[10:11], v[30:31], v[28:29]
	v_div_fmas_f64 v[10:11], v[10:11], v[12:13], v[30:31]
	v_div_fixup_f64 v[12:13], v[10:11], v[22:23], v[24:25]
	v_fmac_f64_e32 v[22:23], v[24:25], v[12:13]
	v_div_scale_f64 v[10:11], s[4:5], v[22:23], v[22:23], 1.0
	v_rcp_f64_e32 v[24:25], v[10:11]
	s_nop 0
	v_fma_f64 v[28:29], -v[10:11], v[24:25], 1.0
	v_fmac_f64_e32 v[24:25], v[24:25], v[28:29]
	v_fma_f64 v[28:29], -v[10:11], v[24:25], 1.0
	v_fmac_f64_e32 v[24:25], v[24:25], v[28:29]
	v_div_scale_f64 v[28:29], vcc, 1.0, v[22:23], 1.0
	v_mul_f64 v[30:31], v[28:29], v[24:25]
	v_fma_f64 v[10:11], -v[10:11], v[30:31], v[28:29]
	s_nop 1
	v_div_fmas_f64 v[10:11], v[10:11], v[24:25], v[30:31]
	v_div_fixup_f64 v[22:23], v[10:11], v[22:23], 1.0
	v_fma_f64 v[10:11], v[20:21], v[12:13], v[18:19]
	v_fma_f64 v[12:13], -v[18:19], v[12:13], v[20:21]
	v_mul_f64 v[10:11], v[10:11], v[22:23]
	v_mul_f64 v[12:13], v[12:13], v[22:23]
.LBB233_119:                            ;   in Loop: Header=BB233_113 Depth=1
	s_lshl_b32 s9, s9, 4
	s_addk_i32 s9, 0x1c0
	s_lshl_b32 s10, s7, 4
	s_add_i32 s4, s9, s10
	v_mov_b32_e32 v18, s4
	ds_read_b128 v[22:25], v18
	ds_read_b128 v[18:21], v18 offset:16
	s_mov_b64 s[4:5], -1
	ds_write_b128 v26, v[10:13]
	s_waitcnt lgkmcnt(2)
	v_mul_f64 v[28:29], v[12:13], v[24:25]
	v_mul_f64 v[24:25], v[10:11], v[24:25]
	v_fma_f64 v[28:29], v[10:11], v[22:23], -v[28:29]
	v_fmac_f64_e32 v[24:25], v[12:13], v[22:23]
	s_waitcnt lgkmcnt(1)
	v_cmp_ngt_f64_e64 s[12:13], |v[18:19]|, |v[20:21]|
	v_add_f64 v[22:23], v[14:15], -v[28:29]
	v_add_f64 v[24:25], v[16:17], -v[24:25]
	s_and_b64 vcc, exec, s[12:13]
                                        ; implicit-def: $vgpr16_vgpr17
	s_cbranch_vccz .LBB233_121
; %bb.120:                              ;   in Loop: Header=BB233_113 Depth=1
	v_div_scale_f64 v[14:15], s[4:5], v[20:21], v[20:21], v[18:19]
	v_rcp_f64_e32 v[16:17], v[14:15]
	v_div_scale_f64 v[28:29], vcc, v[18:19], v[20:21], v[18:19]
	v_fma_f64 v[30:31], -v[14:15], v[16:17], 1.0
	v_fmac_f64_e32 v[16:17], v[16:17], v[30:31]
	v_fma_f64 v[30:31], -v[14:15], v[16:17], 1.0
	v_fmac_f64_e32 v[16:17], v[16:17], v[30:31]
	v_mul_f64 v[30:31], v[28:29], v[16:17]
	v_fma_f64 v[14:15], -v[14:15], v[30:31], v[28:29]
	v_div_fmas_f64 v[14:15], v[14:15], v[16:17], v[30:31]
	v_div_fixup_f64 v[16:17], v[14:15], v[20:21], v[18:19]
	v_fma_f64 v[14:15], v[18:19], v[16:17], v[20:21]
	v_div_scale_f64 v[28:29], s[4:5], v[14:15], v[14:15], 1.0
	v_rcp_f64_e32 v[30:31], v[28:29]
	s_mov_b64 s[4:5], 0
	v_fma_f64 v[32:33], -v[28:29], v[30:31], 1.0
	v_fmac_f64_e32 v[30:31], v[30:31], v[32:33]
	v_fma_f64 v[32:33], -v[28:29], v[30:31], 1.0
	v_fmac_f64_e32 v[30:31], v[30:31], v[32:33]
	v_div_scale_f64 v[32:33], vcc, 1.0, v[14:15], 1.0
	v_mul_f64 v[34:35], v[32:33], v[30:31]
	v_fma_f64 v[28:29], -v[28:29], v[34:35], v[32:33]
	s_nop 1
	v_div_fmas_f64 v[28:29], v[28:29], v[30:31], v[34:35]
	v_div_fixup_f64 v[28:29], v[28:29], v[14:15], 1.0
	v_fma_f64 v[14:15], v[16:17], v[22:23], v[24:25]
	v_fma_f64 v[16:17], v[16:17], v[24:25], -v[22:23]
	v_mul_f64 v[14:15], v[14:15], v[28:29]
	v_mul_f64 v[16:17], v[16:17], v[28:29]
.LBB233_121:                            ;   in Loop: Header=BB233_113 Depth=1
	s_andn2_b64 vcc, exec, s[4:5]
	s_cbranch_vccnz .LBB233_123
; %bb.122:                              ;   in Loop: Header=BB233_113 Depth=1
	v_div_scale_f64 v[14:15], s[4:5], v[18:19], v[18:19], v[20:21]
	v_rcp_f64_e32 v[16:17], v[14:15]
	v_div_scale_f64 v[28:29], vcc, v[20:21], v[18:19], v[20:21]
	v_fma_f64 v[30:31], -v[14:15], v[16:17], 1.0
	v_fmac_f64_e32 v[16:17], v[16:17], v[30:31]
	v_fma_f64 v[30:31], -v[14:15], v[16:17], 1.0
	v_fmac_f64_e32 v[16:17], v[16:17], v[30:31]
	v_mul_f64 v[30:31], v[28:29], v[16:17]
	v_fma_f64 v[14:15], -v[14:15], v[30:31], v[28:29]
	v_div_fmas_f64 v[14:15], v[14:15], v[16:17], v[30:31]
	v_div_fixup_f64 v[16:17], v[14:15], v[18:19], v[20:21]
	v_fmac_f64_e32 v[18:19], v[20:21], v[16:17]
	v_div_scale_f64 v[14:15], s[4:5], v[18:19], v[18:19], 1.0
	v_rcp_f64_e32 v[20:21], v[14:15]
	s_nop 0
	v_fma_f64 v[28:29], -v[14:15], v[20:21], 1.0
	v_fmac_f64_e32 v[20:21], v[20:21], v[28:29]
	v_fma_f64 v[28:29], -v[14:15], v[20:21], 1.0
	v_fmac_f64_e32 v[20:21], v[20:21], v[28:29]
	v_div_scale_f64 v[28:29], vcc, 1.0, v[18:19], 1.0
	v_mul_f64 v[30:31], v[28:29], v[20:21]
	v_fma_f64 v[14:15], -v[14:15], v[30:31], v[28:29]
	s_nop 1
	v_div_fmas_f64 v[14:15], v[14:15], v[20:21], v[30:31]
	v_div_fixup_f64 v[18:19], v[14:15], v[18:19], 1.0
	v_fma_f64 v[14:15], v[16:17], v[24:25], v[22:23]
	v_fma_f64 v[16:17], -v[16:17], v[22:23], v[24:25]
	v_mul_f64 v[14:15], v[14:15], v[18:19]
	v_mul_f64 v[16:17], v[16:17], v[18:19]
.LBB233_123:                            ;   in Loop: Header=BB233_113 Depth=1
	s_addk_i32 s9, 0x1c0
	s_add_i32 s9, s9, s10
	v_mov_b32_e32 v18, s9
	ds_read_b128 v[22:25], v18
	ds_write_b128 v26, v[14:17] offset:448
	ds_read_b128 v[28:31], v18 offset:16
	ds_read_b128 v[18:21], v18 offset:32
	s_mov_b64 s[4:5], -1
	s_waitcnt lgkmcnt(3)
	v_mul_f64 v[32:33], v[12:13], v[24:25]
	v_mul_f64 v[24:25], v[10:11], v[24:25]
	v_fmac_f64_e32 v[24:25], v[12:13], v[22:23]
	v_fma_f64 v[32:33], v[10:11], v[22:23], -v[32:33]
	v_add_f64 v[8:9], v[8:9], -v[24:25]
	s_waitcnt lgkmcnt(1)
	v_mul_f64 v[22:23], v[16:17], v[30:31]
	v_mul_f64 v[24:25], v[14:15], v[30:31]
	v_add_f64 v[6:7], v[6:7], -v[32:33]
	v_fma_f64 v[22:23], v[14:15], v[28:29], -v[22:23]
	v_fmac_f64_e32 v[24:25], v[16:17], v[28:29]
	s_waitcnt lgkmcnt(0)
	v_cmp_ngt_f64_e64 s[10:11], |v[18:19]|, |v[20:21]|
	v_add_f64 v[6:7], v[6:7], -v[22:23]
	v_add_f64 v[8:9], v[8:9], -v[24:25]
	s_and_b64 vcc, exec, s[10:11]
                                        ; implicit-def: $vgpr24_vgpr25
	s_cbranch_vccz .LBB233_125
; %bb.124:                              ;   in Loop: Header=BB233_113 Depth=1
	v_div_scale_f64 v[22:23], s[4:5], v[20:21], v[20:21], v[18:19]
	v_rcp_f64_e32 v[24:25], v[22:23]
	v_div_scale_f64 v[28:29], vcc, v[18:19], v[20:21], v[18:19]
	v_fma_f64 v[30:31], -v[22:23], v[24:25], 1.0
	v_fmac_f64_e32 v[24:25], v[24:25], v[30:31]
	v_fma_f64 v[30:31], -v[22:23], v[24:25], 1.0
	v_fmac_f64_e32 v[24:25], v[24:25], v[30:31]
	v_mul_f64 v[30:31], v[28:29], v[24:25]
	v_fma_f64 v[22:23], -v[22:23], v[30:31], v[28:29]
	v_div_fmas_f64 v[22:23], v[22:23], v[24:25], v[30:31]
	v_div_fixup_f64 v[24:25], v[22:23], v[20:21], v[18:19]
	v_fma_f64 v[22:23], v[18:19], v[24:25], v[20:21]
	v_div_scale_f64 v[28:29], s[4:5], v[22:23], v[22:23], 1.0
	v_rcp_f64_e32 v[30:31], v[28:29]
	s_mov_b64 s[4:5], 0
	v_fma_f64 v[32:33], -v[28:29], v[30:31], 1.0
	v_fmac_f64_e32 v[30:31], v[30:31], v[32:33]
	v_fma_f64 v[32:33], -v[28:29], v[30:31], 1.0
	v_fmac_f64_e32 v[30:31], v[30:31], v[32:33]
	v_div_scale_f64 v[32:33], vcc, 1.0, v[22:23], 1.0
	v_mul_f64 v[34:35], v[32:33], v[30:31]
	v_fma_f64 v[28:29], -v[28:29], v[34:35], v[32:33]
	s_nop 1
	v_div_fmas_f64 v[28:29], v[28:29], v[30:31], v[34:35]
	v_div_fixup_f64 v[28:29], v[28:29], v[22:23], 1.0
	v_fma_f64 v[22:23], v[24:25], v[6:7], v[8:9]
	v_fma_f64 v[24:25], v[24:25], v[8:9], -v[6:7]
	v_mul_f64 v[22:23], v[22:23], v[28:29]
	v_mul_f64 v[24:25], v[24:25], v[28:29]
.LBB233_125:                            ;   in Loop: Header=BB233_113 Depth=1
	s_andn2_b64 vcc, exec, s[4:5]
	s_cbranch_vccnz .LBB233_127
; %bb.126:                              ;   in Loop: Header=BB233_113 Depth=1
	v_div_scale_f64 v[22:23], s[4:5], v[18:19], v[18:19], v[20:21]
	v_rcp_f64_e32 v[24:25], v[22:23]
	v_div_scale_f64 v[28:29], vcc, v[20:21], v[18:19], v[20:21]
	v_fma_f64 v[30:31], -v[22:23], v[24:25], 1.0
	v_fmac_f64_e32 v[24:25], v[24:25], v[30:31]
	v_fma_f64 v[30:31], -v[22:23], v[24:25], 1.0
	v_fmac_f64_e32 v[24:25], v[24:25], v[30:31]
	v_mul_f64 v[30:31], v[28:29], v[24:25]
	v_fma_f64 v[22:23], -v[22:23], v[30:31], v[28:29]
	v_div_fmas_f64 v[22:23], v[22:23], v[24:25], v[30:31]
	v_div_fixup_f64 v[24:25], v[22:23], v[18:19], v[20:21]
	v_fmac_f64_e32 v[18:19], v[20:21], v[24:25]
	v_div_scale_f64 v[20:21], s[4:5], v[18:19], v[18:19], 1.0
	v_rcp_f64_e32 v[22:23], v[20:21]
	s_nop 0
	v_fma_f64 v[28:29], -v[20:21], v[22:23], 1.0
	v_fmac_f64_e32 v[22:23], v[22:23], v[28:29]
	v_fma_f64 v[28:29], -v[20:21], v[22:23], 1.0
	v_fmac_f64_e32 v[22:23], v[22:23], v[28:29]
	v_div_scale_f64 v[28:29], vcc, 1.0, v[18:19], 1.0
	v_mul_f64 v[30:31], v[28:29], v[22:23]
	v_fma_f64 v[20:21], -v[20:21], v[30:31], v[28:29]
	s_nop 1
	v_div_fmas_f64 v[20:21], v[20:21], v[22:23], v[30:31]
	v_div_fixup_f64 v[18:19], v[20:21], v[18:19], 1.0
	v_fma_f64 v[20:21], v[24:25], v[8:9], v[6:7]
	v_fma_f64 v[6:7], -v[24:25], v[6:7], v[8:9]
	v_mul_f64 v[22:23], v[20:21], v[18:19]
	v_mul_f64 v[24:25], v[6:7], v[18:19]
.LBB233_127:                            ;   in Loop: Header=BB233_113 Depth=1
	v_mov_b32_e32 v6, s9
	ds_read_b128 v[18:21], v6 offset:448
	ds_write_b128 v26, v[22:25] offset:896
	ds_read_b128 v[28:31], v6 offset:464
	ds_read_b128 v[32:35], v6 offset:480
	;; [unrolled: 1-line block ×3, first 2 shown]
	s_mov_b64 s[4:5], -1
	s_waitcnt lgkmcnt(4)
	v_mul_f64 v[36:37], v[12:13], v[20:21]
	v_fma_f64 v[36:37], v[10:11], v[18:19], -v[36:37]
	v_mul_f64 v[10:11], v[10:11], v[20:21]
	v_fmac_f64_e32 v[10:11], v[12:13], v[18:19]
	v_add_f64 v[4:5], v[4:5], -v[10:11]
	s_waitcnt lgkmcnt(2)
	v_mul_f64 v[10:11], v[16:17], v[30:31]
	v_mul_f64 v[12:13], v[14:15], v[30:31]
	v_add_f64 v[2:3], v[2:3], -v[36:37]
	v_fma_f64 v[10:11], v[14:15], v[28:29], -v[10:11]
	v_fmac_f64_e32 v[12:13], v[16:17], v[28:29]
	v_add_f64 v[2:3], v[2:3], -v[10:11]
	v_add_f64 v[4:5], v[4:5], -v[12:13]
	s_waitcnt lgkmcnt(1)
	v_mul_f64 v[10:11], v[24:25], v[34:35]
	v_mul_f64 v[12:13], v[22:23], v[34:35]
	v_fma_f64 v[10:11], v[22:23], v[32:33], -v[10:11]
	v_fmac_f64_e32 v[12:13], v[24:25], v[32:33]
	s_waitcnt lgkmcnt(0)
	v_cmp_ngt_f64_e64 s[10:11], |v[6:7]|, |v[8:9]|
	v_add_f64 v[10:11], v[2:3], -v[10:11]
	v_add_f64 v[12:13], v[4:5], -v[12:13]
	s_and_b64 vcc, exec, s[10:11]
                                        ; implicit-def: $vgpr4_vgpr5
	s_cbranch_vccz .LBB233_129
; %bb.128:                              ;   in Loop: Header=BB233_113 Depth=1
	v_div_scale_f64 v[2:3], s[4:5], v[8:9], v[8:9], v[6:7]
	v_rcp_f64_e32 v[4:5], v[2:3]
	v_div_scale_f64 v[14:15], vcc, v[6:7], v[8:9], v[6:7]
	v_fma_f64 v[16:17], -v[2:3], v[4:5], 1.0
	v_fmac_f64_e32 v[4:5], v[4:5], v[16:17]
	v_fma_f64 v[16:17], -v[2:3], v[4:5], 1.0
	v_fmac_f64_e32 v[4:5], v[4:5], v[16:17]
	v_mul_f64 v[16:17], v[14:15], v[4:5]
	v_fma_f64 v[2:3], -v[2:3], v[16:17], v[14:15]
	v_div_fmas_f64 v[2:3], v[2:3], v[4:5], v[16:17]
	v_div_fixup_f64 v[4:5], v[2:3], v[8:9], v[6:7]
	v_fma_f64 v[2:3], v[6:7], v[4:5], v[8:9]
	v_div_scale_f64 v[14:15], s[4:5], v[2:3], v[2:3], 1.0
	v_rcp_f64_e32 v[16:17], v[14:15]
	s_mov_b64 s[4:5], 0
	v_fma_f64 v[18:19], -v[14:15], v[16:17], 1.0
	v_fmac_f64_e32 v[16:17], v[16:17], v[18:19]
	v_fma_f64 v[18:19], -v[14:15], v[16:17], 1.0
	v_fmac_f64_e32 v[16:17], v[16:17], v[18:19]
	v_div_scale_f64 v[18:19], vcc, 1.0, v[2:3], 1.0
	v_mul_f64 v[20:21], v[18:19], v[16:17]
	v_fma_f64 v[14:15], -v[14:15], v[20:21], v[18:19]
	s_nop 1
	v_div_fmas_f64 v[14:15], v[14:15], v[16:17], v[20:21]
	v_div_fixup_f64 v[14:15], v[14:15], v[2:3], 1.0
	v_fma_f64 v[2:3], v[4:5], v[10:11], v[12:13]
	v_fma_f64 v[4:5], v[4:5], v[12:13], -v[10:11]
	v_mul_f64 v[2:3], v[2:3], v[14:15]
	v_mul_f64 v[4:5], v[4:5], v[14:15]
.LBB233_129:                            ;   in Loop: Header=BB233_113 Depth=1
	s_andn2_b64 vcc, exec, s[4:5]
	s_cbranch_vccnz .LBB233_131
; %bb.130:                              ;   in Loop: Header=BB233_113 Depth=1
	v_div_scale_f64 v[2:3], s[4:5], v[6:7], v[6:7], v[8:9]
	v_rcp_f64_e32 v[4:5], v[2:3]
	v_div_scale_f64 v[14:15], vcc, v[8:9], v[6:7], v[8:9]
	v_fma_f64 v[16:17], -v[2:3], v[4:5], 1.0
	v_fmac_f64_e32 v[4:5], v[4:5], v[16:17]
	v_fma_f64 v[16:17], -v[2:3], v[4:5], 1.0
	v_fmac_f64_e32 v[4:5], v[4:5], v[16:17]
	v_mul_f64 v[16:17], v[14:15], v[4:5]
	v_fma_f64 v[2:3], -v[2:3], v[16:17], v[14:15]
	v_div_fmas_f64 v[2:3], v[2:3], v[4:5], v[16:17]
	v_div_fixup_f64 v[4:5], v[2:3], v[6:7], v[8:9]
	v_fmac_f64_e32 v[6:7], v[8:9], v[4:5]
	v_div_scale_f64 v[2:3], s[4:5], v[6:7], v[6:7], 1.0
	v_rcp_f64_e32 v[8:9], v[2:3]
	s_nop 0
	v_fma_f64 v[14:15], -v[2:3], v[8:9], 1.0
	v_fmac_f64_e32 v[8:9], v[8:9], v[14:15]
	v_fma_f64 v[14:15], -v[2:3], v[8:9], 1.0
	v_fmac_f64_e32 v[8:9], v[8:9], v[14:15]
	v_div_scale_f64 v[14:15], vcc, 1.0, v[6:7], 1.0
	v_mul_f64 v[16:17], v[14:15], v[8:9]
	v_fma_f64 v[2:3], -v[2:3], v[16:17], v[14:15]
	s_nop 1
	v_div_fmas_f64 v[2:3], v[2:3], v[8:9], v[16:17]
	v_div_fixup_f64 v[6:7], v[2:3], v[6:7], 1.0
	v_fma_f64 v[2:3], v[4:5], v[12:13], v[10:11]
	v_fma_f64 v[4:5], -v[4:5], v[10:11], v[12:13]
	v_mul_f64 v[2:3], v[2:3], v[6:7]
	v_mul_f64 v[4:5], v[4:5], v[6:7]
.LBB233_131:                            ;   in Loop: Header=BB233_113 Depth=1
	s_add_i32 s9, s7, 4
	s_add_i32 s4, s7, 7
	s_addk_i32 s6, 0x700
	s_cmp_ge_i32 s4, s25
	ds_write_b128 v26, v[2:5] offset:1344
	s_cbranch_scc1 .LBB233_133
; %bb.132:                              ;   in Loop: Header=BB233_113 Depth=1
	s_mov_b32 s7, s9
	s_branch .LBB233_113
.LBB233_133:
	s_cmp_ge_i32 s9, s25
	s_cbranch_scc1 .LBB233_142
; %bb.134:
	v_mov_b32_e32 v2, 0x3100
	v_lshl_add_u32 v14, v0, 4, v2
	s_mul_i32 s6, s9, 0x1c0
	s_branch .LBB233_136
.LBB233_135:                            ;   in Loop: Header=BB233_136 Depth=1
	s_add_i32 s9, s9, 1
	s_addk_i32 s6, 0x1c0
	s_cmp_ge_i32 s9, s25
	ds_write_b128 v15, v[10:13]
	s_cbranch_scc1 .LBB233_142
.LBB233_136:                            ; =>This Loop Header: Depth=1
                                        ;     Child Loop BB233_137 Depth 2
	s_mul_i32 s4, s9, 0x1c0
	v_add_u32_e32 v15, s4, v1
	ds_read_b128 v[2:5], v15
	s_cmp_eq_u32 s9, 0
	s_mov_b32 s4, s6
	v_mov_b32_e32 v6, v14
	s_mov_b32 s5, s9
	s_cbranch_scc1 .LBB233_138
.LBB233_137:                            ;   Parent Loop BB233_136 Depth=1
                                        ; =>  This Inner Loop Header: Depth=2
	v_mov_b32_e32 v7, s4
	ds_read_b128 v[8:11], v6
	ds_read_b128 v[16:19], v7
	s_add_i32 s5, s5, -1
	s_add_i32 s4, s4, 16
	v_add_u32_e32 v6, 0x1c0, v6
	s_cmp_eq_u32 s5, 0
	s_waitcnt lgkmcnt(0)
	v_mul_f64 v[12:13], v[18:19], v[10:11]
	v_mul_f64 v[10:11], v[16:17], v[10:11]
	v_fma_f64 v[12:13], v[16:17], v[8:9], -v[12:13]
	v_fmac_f64_e32 v[10:11], v[18:19], v[8:9]
	v_add_f64 v[2:3], v[2:3], -v[12:13]
	v_add_f64 v[4:5], v[4:5], -v[10:11]
	s_cbranch_scc0 .LBB233_137
.LBB233_138:                            ;   in Loop: Header=BB233_136 Depth=1
	s_mul_i32 s4, s9, 0x1d0
	v_mov_b32_e32 v6, s4
	ds_read_b128 v[6:9], v6
	s_mov_b64 s[4:5], -1
                                        ; implicit-def: $vgpr10_vgpr11
	s_waitcnt lgkmcnt(0)
	v_cmp_ngt_f64_e64 s[10:11], |v[6:7]|, |v[8:9]|
	s_and_b64 vcc, exec, s[10:11]
	s_cbranch_vccz .LBB233_140
; %bb.139:                              ;   in Loop: Header=BB233_136 Depth=1
	v_div_scale_f64 v[10:11], s[4:5], v[8:9], v[8:9], v[6:7]
	v_rcp_f64_e32 v[12:13], v[10:11]
	v_div_scale_f64 v[16:17], vcc, v[6:7], v[8:9], v[6:7]
	v_fma_f64 v[18:19], -v[10:11], v[12:13], 1.0
	v_fmac_f64_e32 v[12:13], v[12:13], v[18:19]
	v_fma_f64 v[18:19], -v[10:11], v[12:13], 1.0
	v_fmac_f64_e32 v[12:13], v[12:13], v[18:19]
	v_mul_f64 v[18:19], v[16:17], v[12:13]
	v_fma_f64 v[10:11], -v[10:11], v[18:19], v[16:17]
	v_div_fmas_f64 v[10:11], v[10:11], v[12:13], v[18:19]
	v_div_fixup_f64 v[12:13], v[10:11], v[8:9], v[6:7]
	v_fma_f64 v[10:11], v[6:7], v[12:13], v[8:9]
	v_div_scale_f64 v[16:17], s[4:5], v[10:11], v[10:11], 1.0
	v_rcp_f64_e32 v[18:19], v[16:17]
	s_mov_b64 s[4:5], 0
	v_fma_f64 v[20:21], -v[16:17], v[18:19], 1.0
	v_fmac_f64_e32 v[18:19], v[18:19], v[20:21]
	v_fma_f64 v[20:21], -v[16:17], v[18:19], 1.0
	v_fmac_f64_e32 v[18:19], v[18:19], v[20:21]
	v_div_scale_f64 v[20:21], vcc, 1.0, v[10:11], 1.0
	v_mul_f64 v[22:23], v[20:21], v[18:19]
	v_fma_f64 v[16:17], -v[16:17], v[22:23], v[20:21]
	s_nop 1
	v_div_fmas_f64 v[16:17], v[16:17], v[18:19], v[22:23]
	v_div_fixup_f64 v[16:17], v[16:17], v[10:11], 1.0
	v_fma_f64 v[10:11], v[2:3], v[12:13], v[4:5]
	v_fma_f64 v[12:13], v[4:5], v[12:13], -v[2:3]
	v_mul_f64 v[10:11], v[10:11], v[16:17]
	v_mul_f64 v[12:13], v[12:13], v[16:17]
.LBB233_140:                            ;   in Loop: Header=BB233_136 Depth=1
	s_andn2_b64 vcc, exec, s[4:5]
	s_cbranch_vccnz .LBB233_135
; %bb.141:                              ;   in Loop: Header=BB233_136 Depth=1
	v_div_scale_f64 v[10:11], s[4:5], v[6:7], v[6:7], v[8:9]
	v_rcp_f64_e32 v[12:13], v[10:11]
	v_div_scale_f64 v[16:17], vcc, v[8:9], v[6:7], v[8:9]
	v_fma_f64 v[18:19], -v[10:11], v[12:13], 1.0
	v_fmac_f64_e32 v[12:13], v[12:13], v[18:19]
	v_fma_f64 v[18:19], -v[10:11], v[12:13], 1.0
	v_fmac_f64_e32 v[12:13], v[12:13], v[18:19]
	v_mul_f64 v[18:19], v[16:17], v[12:13]
	v_fma_f64 v[10:11], -v[10:11], v[18:19], v[16:17]
	v_div_fmas_f64 v[10:11], v[10:11], v[12:13], v[18:19]
	v_div_fixup_f64 v[12:13], v[10:11], v[6:7], v[8:9]
	v_fmac_f64_e32 v[6:7], v[8:9], v[12:13]
	v_div_scale_f64 v[8:9], s[4:5], v[6:7], v[6:7], 1.0
	v_rcp_f64_e32 v[10:11], v[8:9]
	s_nop 0
	v_fma_f64 v[16:17], -v[8:9], v[10:11], 1.0
	v_fmac_f64_e32 v[10:11], v[10:11], v[16:17]
	v_fma_f64 v[16:17], -v[8:9], v[10:11], 1.0
	v_fmac_f64_e32 v[10:11], v[10:11], v[16:17]
	v_div_scale_f64 v[16:17], vcc, 1.0, v[6:7], 1.0
	v_mul_f64 v[18:19], v[16:17], v[10:11]
	v_fma_f64 v[8:9], -v[8:9], v[18:19], v[16:17]
	s_nop 1
	v_div_fmas_f64 v[8:9], v[8:9], v[10:11], v[18:19]
	v_div_fixup_f64 v[6:7], v[8:9], v[6:7], 1.0
	v_fma_f64 v[8:9], v[4:5], v[12:13], v[2:3]
	v_fma_f64 v[2:3], -v[2:3], v[12:13], v[4:5]
	v_mul_f64 v[10:11], v[8:9], v[6:7]
	v_mul_f64 v[12:13], v[2:3], v[6:7]
	s_branch .LBB233_135
.LBB233_142:
	s_and_saveexec_b64 s[4:5], s[0:1]
	s_cbranch_execz .LBB233_146
; %bb.143:
	s_cmp_lt_i32 s24, 1
	s_cbranch_scc1 .LBB233_146
; %bb.144:
	s_ashr_i32 s9, s8, 31
	v_lshlrev_b32_e32 v2, 4, v0
	v_mov_b32_e32 v3, 0
	v_lshl_add_u64 v[0:1], s[2:3], 0, v[2:3]
	s_lshl_b64 s[0:1], s[8:9], 4
	v_add_u32_e32 v2, 0x3100, v2
.LBB233_145:                            ; =>This Inner Loop Header: Depth=1
	ds_read2_b64 v[4:7], v2 offset1:1
	s_add_i32 s24, s24, -1
	v_add_u32_e32 v2, 0x1c0, v2
	s_cmp_lg_u32 s24, 0
	s_waitcnt lgkmcnt(0)
	flat_store_dwordx4 v[0:1], v[4:7]
	v_lshl_add_u64 v[0:1], v[0:1], 0, s[0:1]
	s_cbranch_scc1 .LBB233_145
.LBB233_146:
	s_endpgm
	.section	.rodata,"a",@progbits
	.p2align	6, 0x0
	.amdhsa_kernel _ZL31rocblas_trsm_small_right_deviceI19rocblas_complex_numIdES1_PKPKS1_PKPS1_Li28EEv13rocblas_fill_18rocblas_operation_17rocblas_diagonal_iiT0_T1_lilT2_lili
		.amdhsa_group_segment_fixed_size 25088
		.amdhsa_private_segment_fixed_size 0
		.amdhsa_kernarg_size 368
		.amdhsa_user_sgpr_count 2
		.amdhsa_user_sgpr_dispatch_ptr 0
		.amdhsa_user_sgpr_queue_ptr 0
		.amdhsa_user_sgpr_kernarg_segment_ptr 1
		.amdhsa_user_sgpr_dispatch_id 0
		.amdhsa_user_sgpr_kernarg_preload_length 0
		.amdhsa_user_sgpr_kernarg_preload_offset 0
		.amdhsa_user_sgpr_private_segment_size 0
		.amdhsa_uses_dynamic_stack 0
		.amdhsa_enable_private_segment 0
		.amdhsa_system_sgpr_workgroup_id_x 1
		.amdhsa_system_sgpr_workgroup_id_y 0
		.amdhsa_system_sgpr_workgroup_id_z 1
		.amdhsa_system_sgpr_workgroup_info 0
		.amdhsa_system_vgpr_workitem_id 0
		.amdhsa_next_free_vgpr 169
		.amdhsa_next_free_sgpr 96
		.amdhsa_accum_offset 56
		.amdhsa_reserve_vcc 1
		.amdhsa_float_round_mode_32 0
		.amdhsa_float_round_mode_16_64 0
		.amdhsa_float_denorm_mode_32 3
		.amdhsa_float_denorm_mode_16_64 3
		.amdhsa_dx10_clamp 1
		.amdhsa_ieee_mode 1
		.amdhsa_fp16_overflow 0
		.amdhsa_tg_split 0
		.amdhsa_exception_fp_ieee_invalid_op 0
		.amdhsa_exception_fp_denorm_src 0
		.amdhsa_exception_fp_ieee_div_zero 0
		.amdhsa_exception_fp_ieee_overflow 0
		.amdhsa_exception_fp_ieee_underflow 0
		.amdhsa_exception_fp_ieee_inexact 0
		.amdhsa_exception_int_div_zero 0
	.end_amdhsa_kernel
	.section	.text._ZL31rocblas_trsm_small_right_deviceI19rocblas_complex_numIdES1_PKPKS1_PKPS1_Li28EEv13rocblas_fill_18rocblas_operation_17rocblas_diagonal_iiT0_T1_lilT2_lili,"axG",@progbits,_ZL31rocblas_trsm_small_right_deviceI19rocblas_complex_numIdES1_PKPKS1_PKPS1_Li28EEv13rocblas_fill_18rocblas_operation_17rocblas_diagonal_iiT0_T1_lilT2_lili,comdat
.Lfunc_end233:
	.size	_ZL31rocblas_trsm_small_right_deviceI19rocblas_complex_numIdES1_PKPKS1_PKPS1_Li28EEv13rocblas_fill_18rocblas_operation_17rocblas_diagonal_iiT0_T1_lilT2_lili, .Lfunc_end233-_ZL31rocblas_trsm_small_right_deviceI19rocblas_complex_numIdES1_PKPKS1_PKPS1_Li28EEv13rocblas_fill_18rocblas_operation_17rocblas_diagonal_iiT0_T1_lilT2_lili
                                        ; -- End function
	.set _ZL31rocblas_trsm_small_right_deviceI19rocblas_complex_numIdES1_PKPKS1_PKPS1_Li28EEv13rocblas_fill_18rocblas_operation_17rocblas_diagonal_iiT0_T1_lilT2_lili.num_vgpr, 54
	.set _ZL31rocblas_trsm_small_right_deviceI19rocblas_complex_numIdES1_PKPKS1_PKPS1_Li28EEv13rocblas_fill_18rocblas_operation_17rocblas_diagonal_iiT0_T1_lilT2_lili.num_agpr, 0
	.set _ZL31rocblas_trsm_small_right_deviceI19rocblas_complex_numIdES1_PKPKS1_PKPS1_Li28EEv13rocblas_fill_18rocblas_operation_17rocblas_diagonal_iiT0_T1_lilT2_lili.numbered_sgpr, 28
	.set _ZL31rocblas_trsm_small_right_deviceI19rocblas_complex_numIdES1_PKPKS1_PKPS1_Li28EEv13rocblas_fill_18rocblas_operation_17rocblas_diagonal_iiT0_T1_lilT2_lili.num_named_barrier, 0
	.set _ZL31rocblas_trsm_small_right_deviceI19rocblas_complex_numIdES1_PKPKS1_PKPS1_Li28EEv13rocblas_fill_18rocblas_operation_17rocblas_diagonal_iiT0_T1_lilT2_lili.private_seg_size, 0
	.set _ZL31rocblas_trsm_small_right_deviceI19rocblas_complex_numIdES1_PKPKS1_PKPS1_Li28EEv13rocblas_fill_18rocblas_operation_17rocblas_diagonal_iiT0_T1_lilT2_lili.uses_vcc, 1
	.set _ZL31rocblas_trsm_small_right_deviceI19rocblas_complex_numIdES1_PKPKS1_PKPS1_Li28EEv13rocblas_fill_18rocblas_operation_17rocblas_diagonal_iiT0_T1_lilT2_lili.uses_flat_scratch, 0
	.set _ZL31rocblas_trsm_small_right_deviceI19rocblas_complex_numIdES1_PKPKS1_PKPS1_Li28EEv13rocblas_fill_18rocblas_operation_17rocblas_diagonal_iiT0_T1_lilT2_lili.has_dyn_sized_stack, 0
	.set _ZL31rocblas_trsm_small_right_deviceI19rocblas_complex_numIdES1_PKPKS1_PKPS1_Li28EEv13rocblas_fill_18rocblas_operation_17rocblas_diagonal_iiT0_T1_lilT2_lili.has_recursion, 0
	.set _ZL31rocblas_trsm_small_right_deviceI19rocblas_complex_numIdES1_PKPKS1_PKPS1_Li28EEv13rocblas_fill_18rocblas_operation_17rocblas_diagonal_iiT0_T1_lilT2_lili.has_indirect_call, 0
	.section	.AMDGPU.csdata,"",@progbits
; Kernel info:
; codeLenInByte = 13808
; TotalNumSgprs: 34
; NumVgprs: 54
; NumAgprs: 0
; TotalNumVgprs: 54
; ScratchSize: 0
; MemoryBound: 0
; FloatMode: 240
; IeeeMode: 1
; LDSByteSize: 25088 bytes/workgroup (compile time only)
; SGPRBlocks: 12
; VGPRBlocks: 21
; NumSGPRsForWavesPerEU: 102
; NumVGPRsForWavesPerEU: 169
; AccumOffset: 56
; Occupancy: 2
; WaveLimiterHint : 0
; COMPUTE_PGM_RSRC2:SCRATCH_EN: 0
; COMPUTE_PGM_RSRC2:USER_SGPR: 2
; COMPUTE_PGM_RSRC2:TRAP_HANDLER: 0
; COMPUTE_PGM_RSRC2:TGID_X_EN: 1
; COMPUTE_PGM_RSRC2:TGID_Y_EN: 0
; COMPUTE_PGM_RSRC2:TGID_Z_EN: 1
; COMPUTE_PGM_RSRC2:TIDIG_COMP_CNT: 0
; COMPUTE_PGM_RSRC3_GFX90A:ACCUM_OFFSET: 13
; COMPUTE_PGM_RSRC3_GFX90A:TG_SPLIT: 0
	.section	.text._ZL38rocblas_trsm_small_left_device_sharedBILi32ELi32ELb0E19rocblas_complex_numIdES1_PKPKS1_PKPS1_Ev13rocblas_fill_18rocblas_operation_17rocblas_diagonal_iiT3_T4_lilT5_lili,"axG",@progbits,_ZL38rocblas_trsm_small_left_device_sharedBILi32ELi32ELb0E19rocblas_complex_numIdES1_PKPKS1_PKPS1_Ev13rocblas_fill_18rocblas_operation_17rocblas_diagonal_iiT3_T4_lilT5_lili,comdat
	.globl	_ZL38rocblas_trsm_small_left_device_sharedBILi32ELi32ELb0E19rocblas_complex_numIdES1_PKPKS1_PKPS1_Ev13rocblas_fill_18rocblas_operation_17rocblas_diagonal_iiT3_T4_lilT5_lili ; -- Begin function _ZL38rocblas_trsm_small_left_device_sharedBILi32ELi32ELb0E19rocblas_complex_numIdES1_PKPKS1_PKPS1_Ev13rocblas_fill_18rocblas_operation_17rocblas_diagonal_iiT3_T4_lilT5_lili
	.p2align	8
	.type	_ZL38rocblas_trsm_small_left_device_sharedBILi32ELi32ELb0E19rocblas_complex_numIdES1_PKPKS1_PKPS1_Ev13rocblas_fill_18rocblas_operation_17rocblas_diagonal_iiT3_T4_lilT5_lili,@function
_ZL38rocblas_trsm_small_left_device_sharedBILi32ELi32ELb0E19rocblas_complex_numIdES1_PKPKS1_PKPS1_Ev13rocblas_fill_18rocblas_operation_17rocblas_diagonal_iiT3_T4_lilT5_lili: ; @_ZL38rocblas_trsm_small_left_device_sharedBILi32ELi32ELb0E19rocblas_complex_numIdES1_PKPKS1_PKPS1_Ev13rocblas_fill_18rocblas_operation_17rocblas_diagonal_iiT3_T4_lilT5_lili
; %bb.0:
	s_load_dwordx4 s[12:15], s[0:1], 0x4
	s_load_dwordx4 s[16:19], s[0:1], 0x48
	s_load_dwordx8 s[4:11], s[0:1], 0x18
	s_mov_b32 s20, s3
	s_mov_b32 s21, 0
	s_lshl_b64 s[22:23], s[20:21], 3
	s_waitcnt lgkmcnt(0)
	s_add_u32 s16, s16, s22
	s_addc_u32 s17, s17, s23
	s_load_dword s3, s[0:1], 0x70
	s_min_i32 s24, s14, 32
	s_load_dwordx2 s[16:17], s[16:17], 0x0
	v_cmp_gt_i32_e32 vcc, s24, v0
	s_and_saveexec_b64 s[20:21], vcc
	s_cbranch_execz .LBB234_11
; %bb.1:
	s_load_dword s26, s[0:1], 0x38
	v_lshlrev_b32_e32 v2, 4, v0
	v_mov_b32_e32 v3, 0
	v_mov_b32_e32 v1, v2
	s_waitcnt lgkmcnt(0)
	s_ashr_i32 s27, s26, 31
	s_cmpk_eq_i32 s12, 0x71
	s_cselect_b64 vcc, -1, 0
	s_add_u32 s8, s8, s22
	s_addc_u32 s9, s9, s23
	s_load_dwordx2 s[8:9], s[8:9], 0x0
	s_lshl_b64 s[10:11], s[10:11], 4
	s_waitcnt lgkmcnt(0)
	s_add_u32 s10, s8, s10
	s_addc_u32 s11, s9, s11
	s_lshl_b64 s[8:9], s[26:27], 4
	v_lshl_add_u64 v[4:5], s[10:11], 0, v[2:3]
	s_mov_b32 s10, s24
.LBB234_2:                              ; =>This Inner Loop Header: Depth=1
	flat_load_dwordx4 v[6:9], v[4:5]
	s_add_i32 s10, s10, -1
	v_lshl_add_u64 v[4:5], v[4:5], 0, s[8:9]
	s_cmp_eq_u32 s10, 0
	s_waitcnt vmcnt(0) lgkmcnt(0)
	v_xor_b32_e32 v3, 0x80000000, v9
	v_cndmask_b32_e32 v9, v9, v3, vcc
	ds_write_b128 v1, v[6:9]
	v_add_u32_e32 v1, 0x200, v1
	s_cbranch_scc0 .LBB234_2
; %bb.3:
	v_lshlrev_b32_e32 v1, 9, v0
	s_cmpk_lg_i32 s13, 0x84
	v_add_u32_e32 v1, v2, v1
	s_cbranch_scc0 .LBB234_9
; %bb.4:
	ds_read_b128 v[2:5], v1
                                        ; implicit-def: $vgpr8_vgpr9
	s_waitcnt lgkmcnt(0)
	v_cmp_ngt_f64_e64 s[8:9], |v[2:3]|, |v[4:5]|
	s_and_saveexec_b64 s[10:11], s[8:9]
	s_xor_b64 s[8:9], exec, s[10:11]
	s_cbranch_execz .LBB234_6
; %bb.5:
	v_div_scale_f64 v[6:7], s[10:11], v[4:5], v[4:5], v[2:3]
	v_rcp_f64_e32 v[8:9], v[6:7]
	v_div_scale_f64 v[10:11], vcc, v[2:3], v[4:5], v[2:3]
	v_fma_f64 v[12:13], -v[6:7], v[8:9], 1.0
	v_fmac_f64_e32 v[8:9], v[8:9], v[12:13]
	v_fma_f64 v[12:13], -v[6:7], v[8:9], 1.0
	v_fmac_f64_e32 v[8:9], v[8:9], v[12:13]
	v_mul_f64 v[12:13], v[10:11], v[8:9]
	v_fma_f64 v[6:7], -v[6:7], v[12:13], v[10:11]
	v_div_fmas_f64 v[6:7], v[6:7], v[8:9], v[12:13]
	v_div_fixup_f64 v[8:9], v[6:7], v[4:5], v[2:3]
	v_fmac_f64_e32 v[4:5], v[2:3], v[8:9]
	v_div_scale_f64 v[2:3], s[10:11], v[4:5], v[4:5], 1.0
	v_rcp_f64_e32 v[6:7], v[2:3]
	s_nop 0
	v_fma_f64 v[10:11], -v[2:3], v[6:7], 1.0
	v_fmac_f64_e32 v[6:7], v[6:7], v[10:11]
	v_fma_f64 v[10:11], -v[2:3], v[6:7], 1.0
	v_fmac_f64_e32 v[6:7], v[6:7], v[10:11]
	v_div_scale_f64 v[10:11], vcc, 1.0, v[4:5], 1.0
	v_mul_f64 v[12:13], v[10:11], v[6:7]
	v_fma_f64 v[2:3], -v[2:3], v[12:13], v[10:11]
	s_nop 1
	v_div_fmas_f64 v[2:3], v[2:3], v[6:7], v[12:13]
	v_div_fixup_f64 v[2:3], v[2:3], v[4:5], 1.0
	v_add_f64 v[4:5], v[8:9], 0
	v_mul_f64 v[6:7], v[4:5], v[2:3]
	v_fma_f64 v[4:5], v[8:9], 0, -1.0
	v_mul_f64 v[8:9], v[4:5], v[2:3]
                                        ; implicit-def: $vgpr2_vgpr3
.LBB234_6:
	s_andn2_saveexec_b64 s[8:9], s[8:9]
	s_cbranch_execz .LBB234_8
; %bb.7:
	v_div_scale_f64 v[6:7], s[10:11], v[2:3], v[2:3], v[4:5]
	v_rcp_f64_e32 v[8:9], v[6:7]
	v_div_scale_f64 v[10:11], vcc, v[4:5], v[2:3], v[4:5]
	v_fma_f64 v[12:13], -v[6:7], v[8:9], 1.0
	v_fmac_f64_e32 v[8:9], v[8:9], v[12:13]
	v_fma_f64 v[12:13], -v[6:7], v[8:9], 1.0
	v_fmac_f64_e32 v[8:9], v[8:9], v[12:13]
	v_mul_f64 v[12:13], v[10:11], v[8:9]
	v_fma_f64 v[6:7], -v[6:7], v[12:13], v[10:11]
	v_div_fmas_f64 v[6:7], v[6:7], v[8:9], v[12:13]
	v_div_fixup_f64 v[8:9], v[6:7], v[2:3], v[4:5]
	v_fmac_f64_e32 v[2:3], v[4:5], v[8:9]
	v_div_scale_f64 v[4:5], s[10:11], v[2:3], v[2:3], 1.0
	v_rcp_f64_e32 v[6:7], v[4:5]
	s_nop 0
	v_fma_f64 v[10:11], -v[4:5], v[6:7], 1.0
	v_fmac_f64_e32 v[6:7], v[6:7], v[10:11]
	v_fma_f64 v[10:11], -v[4:5], v[6:7], 1.0
	v_fmac_f64_e32 v[6:7], v[6:7], v[10:11]
	v_div_scale_f64 v[10:11], vcc, 1.0, v[2:3], 1.0
	v_mul_f64 v[12:13], v[10:11], v[6:7]
	v_fma_f64 v[4:5], -v[4:5], v[12:13], v[10:11]
	s_nop 1
	v_div_fmas_f64 v[4:5], v[4:5], v[6:7], v[12:13]
	v_div_fixup_f64 v[2:3], v[4:5], v[2:3], 1.0
	v_fma_f64 v[4:5], v[8:9], 0, 1.0
	v_mul_f64 v[6:7], v[4:5], v[2:3]
	v_add_f64 v[4:5], -v[8:9], 0
	v_mul_f64 v[8:9], v[4:5], v[2:3]
.LBB234_8:
	s_or_b64 exec, exec, s[8:9]
	s_branch .LBB234_10
.LBB234_9:
	v_mov_b64_e32 v[8:9], 0
	v_mov_b64_e32 v[6:7], 1.0
.LBB234_10:
	ds_write_b128 v1, v[6:9]
.LBB234_11:
	s_or_b64 exec, exec, s[20:21]
	s_load_dword s13, s[0:1], 0x58
	s_lshl_b64 s[0:1], s[18:19], 4
	s_waitcnt lgkmcnt(0)
	s_add_u32 s8, s16, s0
	s_addc_u32 s9, s17, s1
	s_lshl_b32 s0, s2, 5
	s_add_i32 s3, s3, -1
	s_sub_i32 s1, s15, s0
	s_cmp_ge_u32 s2, s3
	s_cselect_b32 s10, s1, 32
	s_mul_hi_i32 s1, s13, s0
	s_mul_i32 s0, s13, s0
	s_lshl_b64 s[0:1], s[0:1], 4
	s_add_u32 s2, s8, s0
	s_addc_u32 s3, s9, s1
	s_cmp_gt_i32 s14, 0
	v_cmp_gt_i32_e64 s[0:1], s10, v0
	s_cselect_b64 s[8:9], -1, 0
	s_and_b64 s[16:17], s[0:1], s[8:9]
	s_and_saveexec_b64 s[10:11], s[16:17]
	s_cbranch_execz .LBB234_14
; %bb.12:
	v_mad_i64_i32 v[2:3], s[16:17], s13, v0, 0
	v_mov_b32_e32 v1, 0x4000
	v_lshl_add_u64 v[2:3], v[2:3], 4, s[2:3]
	v_lshl_or_b32 v1, v0, 4, v1
	s_mov_b32 s15, s24
.LBB234_13:                             ; =>This Inner Loop Header: Depth=1
	flat_load_dwordx4 v[4:7], v[2:3]
	s_add_i32 s15, s15, -1
	v_lshl_add_u64 v[2:3], v[2:3], 0, 16
	s_cmp_lg_u32 s15, 0
	s_waitcnt vmcnt(0) lgkmcnt(0)
	v_mul_f64 v[10:11], s[6:7], v[6:7]
	v_mul_f64 v[8:9], s[4:5], v[6:7]
	v_fma_f64 v[6:7], s[4:5], v[4:5], -v[10:11]
	v_fmac_f64_e32 v[8:9], s[6:7], v[4:5]
	ds_write_b128 v1, v[6:9]
	v_add_u32_e32 v1, 0x200, v1
	s_cbranch_scc1 .LBB234_13
.LBB234_14:
	s_or_b64 exec, exec, s[10:11]
	v_mov_b32_e32 v1, 0x4000
	s_cmpk_eq_i32 s12, 0x6f
	v_lshl_or_b32 v1, v0, 4, v1
	s_mov_b64 s[4:5], -1
	s_waitcnt lgkmcnt(0)
	; wave barrier
	s_cbranch_scc1 .LBB234_29
; %bb.15:
	s_cmp_gt_i32 s14, 31
	s_cselect_b64 s[4:5], -1, 0
	s_mov_b32 s10, 0
	s_and_b64 vcc, exec, s[4:5]
	s_cbranch_vccz .LBB234_17
; %bb.16:
	v_mov_b32_e32 v130, 0
	ds_read_b128 v[10:13], v1
	ds_read_b128 v[14:17], v1 offset:512
	ds_read_b128 v[132:135], v1 offset:1024
	;; [unrolled: 1-line block ×27, first 2 shown]
	ds_read_b128 v[136:139], v130
	ds_read_b128 v[66:69], v1 offset:14336
	ds_read_b128 v[54:57], v1 offset:14848
	;; [unrolled: 1-line block ×5, first 2 shown]
	s_waitcnt lgkmcnt(5)
	v_mul_f64 v[8:9], v[136:137], v[12:13]
	v_mul_f64 v[6:7], v[138:139], v[12:13]
	v_fmac_f64_e32 v[8:9], v[138:139], v[10:11]
	v_fma_f64 v[6:7], v[136:137], v[10:11], -v[6:7]
	s_waitcnt lgkmcnt(0)
	v_mul_f64 v[10:11], v[142:143], v[8:9]
	v_mul_f64 v[12:13], v[140:141], v[8:9]
	ds_read_b128 v[136:139], v130 offset:528
	v_fma_f64 v[10:11], v[140:141], v[6:7], -v[10:11]
	v_fmac_f64_e32 v[12:13], v[142:143], v[6:7]
	v_add_f64 v[140:141], v[14:15], -v[10:11]
	v_add_f64 v[12:13], v[16:17], -v[12:13]
	ds_read_b128 v[14:17], v130 offset:1024
	s_waitcnt lgkmcnt(1)
	v_mul_f64 v[10:11], v[138:139], v[12:13]
	v_fma_f64 v[10:11], v[136:137], v[140:141], -v[10:11]
	v_mul_f64 v[12:13], v[136:137], v[12:13]
	v_fmac_f64_e32 v[12:13], v[138:139], v[140:141]
	s_waitcnt lgkmcnt(0)
	v_mul_f64 v[136:137], v[16:17], v[8:9]
	v_fma_f64 v[140:141], v[14:15], v[6:7], -v[136:137]
	ds_read_b128 v[136:139], v130 offset:1040
	v_mul_f64 v[14:15], v[14:15], v[8:9]
	v_fmac_f64_e32 v[14:15], v[16:17], v[6:7]
	v_add_f64 v[16:17], v[132:133], -v[140:141]
	v_add_f64 v[14:15], v[134:135], -v[14:15]
	ds_read_b128 v[132:135], v130 offset:1056
	s_waitcnt lgkmcnt(1)
	v_mul_f64 v[140:141], v[138:139], v[12:13]
	v_fma_f64 v[140:141], v[136:137], v[10:11], -v[140:141]
	v_mul_f64 v[136:137], v[136:137], v[12:13]
	v_fmac_f64_e32 v[136:137], v[138:139], v[10:11]
	v_add_f64 v[140:141], v[16:17], -v[140:141]
	v_add_f64 v[16:17], v[14:15], -v[136:137]
	ds_read_b128 v[136:139], v130 offset:1536
	s_waitcnt lgkmcnt(1)
	v_mul_f64 v[14:15], v[134:135], v[16:17]
	v_mul_f64 v[16:17], v[132:133], v[16:17]
	v_fma_f64 v[14:15], v[132:133], v[140:141], -v[14:15]
	v_fmac_f64_e32 v[16:17], v[134:135], v[140:141]
	ds_read_b128 v[132:135], v130 offset:1552
	s_waitcnt lgkmcnt(1)
	v_mul_f64 v[140:141], v[138:139], v[8:9]
	v_fma_f64 v[140:141], v[136:137], v[6:7], -v[140:141]
	v_mul_f64 v[136:137], v[136:137], v[8:9]
	v_fmac_f64_e32 v[136:137], v[138:139], v[6:7]
	v_add_f64 v[138:139], v[18:19], -v[140:141]
	s_waitcnt lgkmcnt(0)
	v_mul_f64 v[18:19], v[134:135], v[12:13]
	v_add_f64 v[136:137], v[20:21], -v[136:137]
	v_fma_f64 v[140:141], v[132:133], v[10:11], -v[18:19]
	ds_read_b128 v[18:21], v130 offset:1568
	v_mul_f64 v[132:133], v[132:133], v[12:13]
	v_fmac_f64_e32 v[132:133], v[134:135], v[10:11]
	v_add_f64 v[136:137], v[136:137], -v[132:133]
	ds_read_b128 v[132:135], v130 offset:1584
	v_add_f64 v[138:139], v[138:139], -v[140:141]
	s_waitcnt lgkmcnt(1)
	v_mul_f64 v[140:141], v[20:21], v[16:17]
	v_fma_f64 v[140:141], v[18:19], v[14:15], -v[140:141]
	v_mul_f64 v[18:19], v[18:19], v[16:17]
	v_fmac_f64_e32 v[18:19], v[20:21], v[14:15]
	v_add_f64 v[140:141], v[138:139], -v[140:141]
	v_add_f64 v[20:21], v[136:137], -v[18:19]
	ds_read_b128 v[136:139], v130 offset:2048
	s_waitcnt lgkmcnt(1)
	v_mul_f64 v[18:19], v[134:135], v[20:21]
	v_mul_f64 v[20:21], v[132:133], v[20:21]
	v_fma_f64 v[18:19], v[132:133], v[140:141], -v[18:19]
	v_fmac_f64_e32 v[20:21], v[134:135], v[140:141]
	ds_read_b128 v[132:135], v130 offset:2064
	s_waitcnt lgkmcnt(1)
	v_mul_f64 v[140:141], v[138:139], v[8:9]
	v_fma_f64 v[140:141], v[136:137], v[6:7], -v[140:141]
	v_mul_f64 v[136:137], v[136:137], v[8:9]
	v_fmac_f64_e32 v[136:137], v[138:139], v[6:7]
	v_add_f64 v[138:139], v[22:23], -v[140:141]
	s_waitcnt lgkmcnt(0)
	v_mul_f64 v[22:23], v[134:135], v[12:13]
	v_add_f64 v[136:137], v[24:25], -v[136:137]
	v_fma_f64 v[140:141], v[132:133], v[10:11], -v[22:23]
	ds_read_b128 v[22:25], v130 offset:2080
	v_mul_f64 v[132:133], v[132:133], v[12:13]
	v_fmac_f64_e32 v[132:133], v[134:135], v[10:11]
	v_add_f64 v[136:137], v[136:137], -v[132:133]
	ds_read_b128 v[132:135], v130 offset:2096
	v_add_f64 v[138:139], v[138:139], -v[140:141]
	s_waitcnt lgkmcnt(1)
	v_mul_f64 v[140:141], v[24:25], v[16:17]
	v_fma_f64 v[140:141], v[22:23], v[14:15], -v[140:141]
	v_mul_f64 v[22:23], v[22:23], v[16:17]
	v_fmac_f64_e32 v[22:23], v[24:25], v[14:15]
	v_add_f64 v[22:23], v[136:137], -v[22:23]
	s_waitcnt lgkmcnt(0)
	v_mul_f64 v[136:137], v[134:135], v[20:21]
	v_add_f64 v[24:25], v[138:139], -v[140:141]
	v_fma_f64 v[140:141], v[132:133], v[18:19], -v[136:137]
	ds_read_b128 v[136:139], v130 offset:2112
	v_mul_f64 v[132:133], v[132:133], v[20:21]
	v_fmac_f64_e32 v[132:133], v[134:135], v[18:19]
	v_add_f64 v[140:141], v[24:25], -v[140:141]
	v_add_f64 v[24:25], v[22:23], -v[132:133]
	ds_read_b128 v[132:135], v130 offset:2560
	s_waitcnt lgkmcnt(1)
	v_mul_f64 v[22:23], v[138:139], v[24:25]
	v_mul_f64 v[24:25], v[136:137], v[24:25]
	v_fma_f64 v[22:23], v[136:137], v[140:141], -v[22:23]
	v_fmac_f64_e32 v[24:25], v[138:139], v[140:141]
	ds_write_b128 v1, v[6:9]
	ds_write_b128 v1, v[10:13] offset:512
	ds_write_b128 v1, v[14:17] offset:1024
	;; [unrolled: 1-line block ×4, first 2 shown]
	ds_read_b128 v[136:139], v130 offset:2576
	ds_read_b128 v[140:143], v130 offset:2592
	;; [unrolled: 1-line block ×3, first 2 shown]
	s_waitcnt lgkmcnt(8)
	v_mul_f64 v[148:149], v[134:135], v[8:9]
	v_fma_f64 v[148:149], v[132:133], v[6:7], -v[148:149]
	v_mul_f64 v[132:133], v[132:133], v[8:9]
	v_fmac_f64_e32 v[132:133], v[134:135], v[6:7]
	v_add_f64 v[28:29], v[28:29], -v[132:133]
	s_waitcnt lgkmcnt(2)
	v_mul_f64 v[132:133], v[138:139], v[12:13]
	v_mul_f64 v[134:135], v[136:137], v[12:13]
	v_add_f64 v[26:27], v[26:27], -v[148:149]
	v_fma_f64 v[132:133], v[136:137], v[10:11], -v[132:133]
	v_fmac_f64_e32 v[134:135], v[138:139], v[10:11]
	v_add_f64 v[26:27], v[26:27], -v[132:133]
	v_add_f64 v[28:29], v[28:29], -v[134:135]
	s_waitcnt lgkmcnt(1)
	v_mul_f64 v[132:133], v[142:143], v[16:17]
	v_mul_f64 v[134:135], v[140:141], v[16:17]
	v_fma_f64 v[132:133], v[140:141], v[14:15], -v[132:133]
	v_fmac_f64_e32 v[134:135], v[142:143], v[14:15]
	v_add_f64 v[132:133], v[26:27], -v[132:133]
	v_add_f64 v[134:135], v[28:29], -v[134:135]
	ds_read_b128 v[26:29], v130 offset:2624
	s_waitcnt lgkmcnt(1)
	v_mul_f64 v[136:137], v[146:147], v[20:21]
	v_fma_f64 v[136:137], v[144:145], v[18:19], -v[136:137]
	v_mul_f64 v[138:139], v[144:145], v[20:21]
	v_add_f64 v[136:137], v[132:133], -v[136:137]
	s_waitcnt lgkmcnt(0)
	v_mul_f64 v[132:133], v[28:29], v[24:25]
	v_fmac_f64_e32 v[138:139], v[146:147], v[18:19]
	v_fma_f64 v[140:141], v[26:27], v[22:23], -v[132:133]
	v_mul_f64 v[26:27], v[26:27], v[24:25]
	v_add_f64 v[138:139], v[134:135], -v[138:139]
	ds_read_b128 v[132:135], v130 offset:2640
	v_fmac_f64_e32 v[26:27], v[28:29], v[22:23]
	v_add_f64 v[140:141], v[136:137], -v[140:141]
	v_add_f64 v[28:29], v[138:139], -v[26:27]
	ds_read_b128 v[136:139], v130 offset:3072
	s_waitcnt lgkmcnt(1)
	v_mul_f64 v[26:27], v[134:135], v[28:29]
	v_fma_f64 v[26:27], v[132:133], v[140:141], -v[26:27]
	v_mul_f64 v[28:29], v[132:133], v[28:29]
	v_fmac_f64_e32 v[28:29], v[134:135], v[140:141]
	s_waitcnt lgkmcnt(0)
	v_mul_f64 v[132:133], v[138:139], v[8:9]
	v_fma_f64 v[140:141], v[136:137], v[6:7], -v[132:133]
	ds_read_b128 v[132:135], v130 offset:3088
	v_mul_f64 v[136:137], v[136:137], v[8:9]
	v_fmac_f64_e32 v[136:137], v[138:139], v[6:7]
	v_add_f64 v[138:139], v[30:31], -v[140:141]
	v_add_f64 v[136:137], v[32:33], -v[136:137]
	ds_read_b128 v[30:33], v130 offset:3104
	s_waitcnt lgkmcnt(1)
	v_mul_f64 v[140:141], v[134:135], v[12:13]
	v_fma_f64 v[140:141], v[132:133], v[10:11], -v[140:141]
	v_mul_f64 v[132:133], v[132:133], v[12:13]
	v_fmac_f64_e32 v[132:133], v[134:135], v[10:11]
	v_add_f64 v[136:137], v[136:137], -v[132:133]
	s_waitcnt lgkmcnt(0)
	v_mul_f64 v[132:133], v[32:33], v[16:17]
	v_add_f64 v[138:139], v[138:139], -v[140:141]
	v_fma_f64 v[140:141], v[30:31], v[14:15], -v[132:133]
	ds_read_b128 v[132:135], v130 offset:3120
	v_mul_f64 v[30:31], v[30:31], v[16:17]
	v_fmac_f64_e32 v[30:31], v[32:33], v[14:15]
	v_add_f64 v[136:137], v[136:137], -v[30:31]
	ds_read_b128 v[30:33], v130 offset:3136
	v_add_f64 v[138:139], v[138:139], -v[140:141]
	s_waitcnt lgkmcnt(1)
	v_mul_f64 v[140:141], v[134:135], v[20:21]
	v_fma_f64 v[140:141], v[132:133], v[18:19], -v[140:141]
	v_mul_f64 v[132:133], v[132:133], v[20:21]
	v_fmac_f64_e32 v[132:133], v[134:135], v[18:19]
	v_add_f64 v[136:137], v[136:137], -v[132:133]
	s_waitcnt lgkmcnt(0)
	v_mul_f64 v[132:133], v[32:33], v[24:25]
	v_add_f64 v[138:139], v[138:139], -v[140:141]
	v_fma_f64 v[140:141], v[30:31], v[22:23], -v[132:133]
	ds_read_b128 v[132:135], v130 offset:3152
	v_mul_f64 v[30:31], v[30:31], v[24:25]
	v_fmac_f64_e32 v[30:31], v[32:33], v[22:23]
	v_add_f64 v[32:33], v[138:139], -v[140:141]
	v_add_f64 v[30:31], v[136:137], -v[30:31]
	ds_read_b128 v[136:139], v130 offset:3168
	s_waitcnt lgkmcnt(1)
	v_mul_f64 v[140:141], v[134:135], v[28:29]
	v_fma_f64 v[140:141], v[132:133], v[26:27], -v[140:141]
	v_mul_f64 v[132:133], v[132:133], v[28:29]
	v_fmac_f64_e32 v[132:133], v[134:135], v[26:27]
	v_add_f64 v[140:141], v[32:33], -v[140:141]
	v_add_f64 v[32:33], v[30:31], -v[132:133]
	ds_read_b128 v[132:135], v130 offset:3584
	s_waitcnt lgkmcnt(1)
	v_mul_f64 v[30:31], v[138:139], v[32:33]
	v_mul_f64 v[32:33], v[136:137], v[32:33]
	v_fma_f64 v[30:31], v[136:137], v[140:141], -v[30:31]
	v_fmac_f64_e32 v[32:33], v[138:139], v[140:141]
	ds_read_b128 v[136:139], v130 offset:3600
	s_waitcnt lgkmcnt(1)
	v_mul_f64 v[140:141], v[134:135], v[8:9]
	v_fma_f64 v[140:141], v[132:133], v[6:7], -v[140:141]
	v_mul_f64 v[132:133], v[132:133], v[8:9]
	v_fmac_f64_e32 v[132:133], v[134:135], v[6:7]
	v_add_f64 v[134:135], v[34:35], -v[140:141]
	s_waitcnt lgkmcnt(0)
	v_mul_f64 v[34:35], v[138:139], v[12:13]
	v_add_f64 v[132:133], v[36:37], -v[132:133]
	v_fma_f64 v[140:141], v[136:137], v[10:11], -v[34:35]
	ds_read_b128 v[34:37], v130 offset:3616
	v_mul_f64 v[136:137], v[136:137], v[12:13]
	v_fmac_f64_e32 v[136:137], v[138:139], v[10:11]
	v_add_f64 v[138:139], v[134:135], -v[140:141]
	v_add_f64 v[136:137], v[132:133], -v[136:137]
	ds_read_b128 v[132:135], v130 offset:3632
	s_waitcnt lgkmcnt(1)
	v_mul_f64 v[140:141], v[36:37], v[16:17]
	v_fma_f64 v[140:141], v[34:35], v[14:15], -v[140:141]
	v_mul_f64 v[34:35], v[34:35], v[16:17]
	v_fmac_f64_e32 v[34:35], v[36:37], v[14:15]
	v_add_f64 v[136:137], v[136:137], -v[34:35]
	s_waitcnt lgkmcnt(0)
	v_mul_f64 v[34:35], v[134:135], v[20:21]
	v_add_f64 v[138:139], v[138:139], -v[140:141]
	v_fma_f64 v[140:141], v[132:133], v[18:19], -v[34:35]
	ds_read_b128 v[34:37], v130 offset:3648
	v_mul_f64 v[132:133], v[132:133], v[20:21]
	v_fmac_f64_e32 v[132:133], v[134:135], v[18:19]
	v_add_f64 v[136:137], v[136:137], -v[132:133]
	ds_read_b128 v[132:135], v130 offset:3664
	v_add_f64 v[138:139], v[138:139], -v[140:141]
	s_waitcnt lgkmcnt(1)
	v_mul_f64 v[140:141], v[36:37], v[24:25]
	v_fma_f64 v[140:141], v[34:35], v[22:23], -v[140:141]
	v_mul_f64 v[34:35], v[34:35], v[24:25]
	v_fmac_f64_e32 v[34:35], v[36:37], v[22:23]
	v_add_f64 v[136:137], v[136:137], -v[34:35]
	s_waitcnt lgkmcnt(0)
	v_mul_f64 v[34:35], v[134:135], v[28:29]
	v_add_f64 v[138:139], v[138:139], -v[140:141]
	v_fma_f64 v[140:141], v[132:133], v[26:27], -v[34:35]
	ds_read_b128 v[34:37], v130 offset:3680
	v_mul_f64 v[132:133], v[132:133], v[28:29]
	v_fmac_f64_e32 v[132:133], v[134:135], v[26:27]
	v_add_f64 v[136:137], v[136:137], -v[132:133]
	ds_read_b128 v[132:135], v130 offset:3696
	v_add_f64 v[138:139], v[138:139], -v[140:141]
	s_waitcnt lgkmcnt(1)
	v_mul_f64 v[140:141], v[36:37], v[32:33]
	v_fma_f64 v[140:141], v[34:35], v[30:31], -v[140:141]
	v_mul_f64 v[34:35], v[34:35], v[32:33]
	v_fmac_f64_e32 v[34:35], v[36:37], v[30:31]
	v_add_f64 v[36:37], v[136:137], -v[34:35]
	v_add_f64 v[138:139], v[138:139], -v[140:141]
	s_waitcnt lgkmcnt(0)
	v_mul_f64 v[34:35], v[134:135], v[36:37]
	v_mul_f64 v[36:37], v[132:133], v[36:37]
	v_fma_f64 v[34:35], v[132:133], v[138:139], -v[34:35]
	v_fmac_f64_e32 v[36:37], v[134:135], v[138:139]
	ds_read_b128 v[132:135], v130 offset:4096
	ds_write_b128 v1, v[26:29] offset:2560
	ds_write_b128 v1, v[30:33] offset:3072
	;; [unrolled: 1-line block ×3, first 2 shown]
	ds_read_b128 v[136:139], v130 offset:4112
	ds_read_b128 v[140:143], v130 offset:4128
	;; [unrolled: 1-line block ×3, first 2 shown]
	s_waitcnt lgkmcnt(6)
	v_mul_f64 v[148:149], v[134:135], v[8:9]
	v_fma_f64 v[148:149], v[132:133], v[6:7], -v[148:149]
	v_mul_f64 v[132:133], v[132:133], v[8:9]
	v_fmac_f64_e32 v[132:133], v[134:135], v[6:7]
	v_add_f64 v[44:45], v[44:45], -v[132:133]
	s_waitcnt lgkmcnt(2)
	v_mul_f64 v[132:133], v[138:139], v[12:13]
	v_add_f64 v[42:43], v[42:43], -v[148:149]
	v_fma_f64 v[132:133], v[136:137], v[10:11], -v[132:133]
	v_mul_f64 v[134:135], v[136:137], v[12:13]
	v_fmac_f64_e32 v[134:135], v[138:139], v[10:11]
	v_add_f64 v[42:43], v[42:43], -v[132:133]
	s_waitcnt lgkmcnt(1)
	v_mul_f64 v[132:133], v[142:143], v[16:17]
	v_add_f64 v[44:45], v[44:45], -v[134:135]
	;; [unrolled: 7-line block ×3, first 2 shown]
	v_fma_f64 v[136:137], v[144:145], v[18:19], -v[42:43]
	ds_read_b128 v[42:45], v130 offset:4160
	v_mul_f64 v[138:139], v[144:145], v[20:21]
	v_fmac_f64_e32 v[138:139], v[146:147], v[18:19]
	v_add_f64 v[136:137], v[132:133], -v[136:137]
	v_add_f64 v[138:139], v[134:135], -v[138:139]
	ds_read_b128 v[132:135], v130 offset:4176
	s_waitcnt lgkmcnt(1)
	v_mul_f64 v[140:141], v[44:45], v[24:25]
	v_fma_f64 v[140:141], v[42:43], v[22:23], -v[140:141]
	v_mul_f64 v[42:43], v[42:43], v[24:25]
	v_fmac_f64_e32 v[42:43], v[44:45], v[22:23]
	v_add_f64 v[138:139], v[138:139], -v[42:43]
	s_waitcnt lgkmcnt(0)
	v_mul_f64 v[42:43], v[134:135], v[28:29]
	v_add_f64 v[136:137], v[136:137], -v[140:141]
	v_fma_f64 v[140:141], v[132:133], v[26:27], -v[42:43]
	v_mul_f64 v[132:133], v[132:133], v[28:29]
	ds_read_b128 v[42:45], v130 offset:4192
	v_fmac_f64_e32 v[132:133], v[134:135], v[26:27]
	v_add_f64 v[138:139], v[138:139], -v[132:133]
	ds_read_b128 v[132:135], v130 offset:4208
	v_add_f64 v[136:137], v[136:137], -v[140:141]
	s_waitcnt lgkmcnt(1)
	v_mul_f64 v[140:141], v[44:45], v[32:33]
	v_fma_f64 v[140:141], v[42:43], v[30:31], -v[140:141]
	v_mul_f64 v[42:43], v[42:43], v[32:33]
	v_fmac_f64_e32 v[42:43], v[44:45], v[30:31]
	v_add_f64 v[44:45], v[136:137], -v[140:141]
	s_waitcnt lgkmcnt(0)
	v_mul_f64 v[136:137], v[134:135], v[36:37]
	v_fma_f64 v[140:141], v[132:133], v[34:35], -v[136:137]
	v_mul_f64 v[132:133], v[132:133], v[36:37]
	v_add_f64 v[42:43], v[138:139], -v[42:43]
	ds_read_b128 v[136:139], v130 offset:4224
	v_fmac_f64_e32 v[132:133], v[134:135], v[34:35]
	v_add_f64 v[140:141], v[44:45], -v[140:141]
	v_add_f64 v[44:45], v[42:43], -v[132:133]
	ds_read_b128 v[132:135], v130 offset:4608
	s_waitcnt lgkmcnt(1)
	v_mul_f64 v[42:43], v[138:139], v[44:45]
	v_fma_f64 v[42:43], v[136:137], v[140:141], -v[42:43]
	v_mul_f64 v[44:45], v[136:137], v[44:45]
	v_fmac_f64_e32 v[44:45], v[138:139], v[140:141]
	s_waitcnt lgkmcnt(0)
	v_mul_f64 v[136:137], v[134:135], v[8:9]
	v_fma_f64 v[140:141], v[132:133], v[6:7], -v[136:137]
	ds_read_b128 v[136:139], v130 offset:4624
	v_mul_f64 v[132:133], v[132:133], v[8:9]
	v_fmac_f64_e32 v[132:133], v[134:135], v[6:7]
	v_add_f64 v[134:135], v[46:47], -v[140:141]
	v_add_f64 v[132:133], v[48:49], -v[132:133]
	ds_read_b128 v[46:49], v130 offset:4640
	s_waitcnt lgkmcnt(1)
	v_mul_f64 v[140:141], v[138:139], v[12:13]
	v_fma_f64 v[140:141], v[136:137], v[10:11], -v[140:141]
	v_mul_f64 v[136:137], v[136:137], v[12:13]
	v_fmac_f64_e32 v[136:137], v[138:139], v[10:11]
	v_add_f64 v[136:137], v[132:133], -v[136:137]
	s_waitcnt lgkmcnt(0)
	v_mul_f64 v[132:133], v[48:49], v[16:17]
	v_add_f64 v[138:139], v[134:135], -v[140:141]
	v_fma_f64 v[140:141], v[46:47], v[14:15], -v[132:133]
	ds_read_b128 v[132:135], v130 offset:4656
	v_mul_f64 v[46:47], v[46:47], v[16:17]
	v_fmac_f64_e32 v[46:47], v[48:49], v[14:15]
	v_add_f64 v[136:137], v[136:137], -v[46:47]
	ds_read_b128 v[46:49], v130 offset:4672
	v_add_f64 v[138:139], v[138:139], -v[140:141]
	s_waitcnt lgkmcnt(1)
	v_mul_f64 v[140:141], v[134:135], v[20:21]
	v_fma_f64 v[140:141], v[132:133], v[18:19], -v[140:141]
	v_mul_f64 v[132:133], v[132:133], v[20:21]
	v_fmac_f64_e32 v[132:133], v[134:135], v[18:19]
	v_add_f64 v[136:137], v[136:137], -v[132:133]
	s_waitcnt lgkmcnt(0)
	v_mul_f64 v[132:133], v[48:49], v[24:25]
	v_add_f64 v[138:139], v[138:139], -v[140:141]
	v_fma_f64 v[140:141], v[46:47], v[22:23], -v[132:133]
	ds_read_b128 v[132:135], v130 offset:4688
	v_mul_f64 v[46:47], v[46:47], v[24:25]
	v_fmac_f64_e32 v[46:47], v[48:49], v[22:23]
	v_add_f64 v[136:137], v[136:137], -v[46:47]
	ds_read_b128 v[46:49], v130 offset:4704
	v_add_f64 v[138:139], v[138:139], -v[140:141]
	;; [unrolled: 16-line block ×3, first 2 shown]
	s_waitcnt lgkmcnt(1)
	v_mul_f64 v[140:141], v[134:135], v[36:37]
	v_fma_f64 v[140:141], v[132:133], v[34:35], -v[140:141]
	v_mul_f64 v[132:133], v[132:133], v[36:37]
	v_fmac_f64_e32 v[132:133], v[134:135], v[34:35]
	v_add_f64 v[136:137], v[136:137], -v[132:133]
	s_waitcnt lgkmcnt(0)
	v_mul_f64 v[132:133], v[48:49], v[44:45]
	v_add_f64 v[138:139], v[138:139], -v[140:141]
	v_fma_f64 v[140:141], v[46:47], v[42:43], -v[132:133]
	ds_read_b128 v[132:135], v130 offset:4752
	v_mul_f64 v[46:47], v[46:47], v[44:45]
	v_fmac_f64_e32 v[46:47], v[48:49], v[42:43]
	v_add_f64 v[140:141], v[138:139], -v[140:141]
	v_add_f64 v[48:49], v[136:137], -v[46:47]
	ds_read_b128 v[136:139], v130 offset:5120
	s_waitcnt lgkmcnt(1)
	v_mul_f64 v[46:47], v[134:135], v[48:49]
	v_mul_f64 v[48:49], v[132:133], v[48:49]
	v_fma_f64 v[46:47], v[132:133], v[140:141], -v[46:47]
	v_fmac_f64_e32 v[48:49], v[134:135], v[140:141]
	ds_write_b128 v1, v[42:45] offset:4096
	ds_write_b128 v1, v[46:49] offset:4608
	ds_read_b128 v[132:135], v130 offset:5136
	ds_read_b128 v[140:143], v130 offset:5152
	;; [unrolled: 1-line block ×3, first 2 shown]
	s_waitcnt lgkmcnt(5)
	v_mul_f64 v[148:149], v[138:139], v[8:9]
	v_fma_f64 v[148:149], v[136:137], v[6:7], -v[148:149]
	v_mul_f64 v[136:137], v[136:137], v[8:9]
	v_fmac_f64_e32 v[136:137], v[138:139], v[6:7]
	v_add_f64 v[52:53], v[52:53], -v[136:137]
	s_waitcnt lgkmcnt(2)
	v_mul_f64 v[136:137], v[134:135], v[12:13]
	v_fma_f64 v[136:137], v[132:133], v[10:11], -v[136:137]
	v_mul_f64 v[132:133], v[132:133], v[12:13]
	v_fmac_f64_e32 v[132:133], v[134:135], v[10:11]
	v_add_f64 v[50:51], v[50:51], -v[148:149]
	v_add_f64 v[52:53], v[52:53], -v[132:133]
	s_waitcnt lgkmcnt(1)
	v_mul_f64 v[132:133], v[142:143], v[16:17]
	v_mul_f64 v[134:135], v[140:141], v[16:17]
	v_add_f64 v[50:51], v[50:51], -v[136:137]
	v_fma_f64 v[132:133], v[140:141], v[14:15], -v[132:133]
	v_fmac_f64_e32 v[134:135], v[142:143], v[14:15]
	v_add_f64 v[132:133], v[50:51], -v[132:133]
	v_add_f64 v[134:135], v[52:53], -v[134:135]
	ds_read_b128 v[50:53], v130 offset:5184
	s_waitcnt lgkmcnt(1)
	v_mul_f64 v[136:137], v[146:147], v[20:21]
	v_fma_f64 v[136:137], v[144:145], v[18:19], -v[136:137]
	v_mul_f64 v[138:139], v[144:145], v[20:21]
	v_fmac_f64_e32 v[138:139], v[146:147], v[18:19]
	v_add_f64 v[136:137], v[132:133], -v[136:137]
	s_waitcnt lgkmcnt(0)
	v_mul_f64 v[132:133], v[52:53], v[24:25]
	v_add_f64 v[138:139], v[134:135], -v[138:139]
	v_fma_f64 v[140:141], v[50:51], v[22:23], -v[132:133]
	ds_read_b128 v[132:135], v130 offset:5200
	v_mul_f64 v[50:51], v[50:51], v[24:25]
	v_fmac_f64_e32 v[50:51], v[52:53], v[22:23]
	v_add_f64 v[138:139], v[138:139], -v[50:51]
	ds_read_b128 v[50:53], v130 offset:5216
	v_add_f64 v[136:137], v[136:137], -v[140:141]
	s_waitcnt lgkmcnt(1)
	v_mul_f64 v[140:141], v[134:135], v[28:29]
	v_fma_f64 v[140:141], v[132:133], v[26:27], -v[140:141]
	v_mul_f64 v[132:133], v[132:133], v[28:29]
	v_fmac_f64_e32 v[132:133], v[134:135], v[26:27]
	v_add_f64 v[138:139], v[138:139], -v[132:133]
	s_waitcnt lgkmcnt(0)
	v_mul_f64 v[132:133], v[52:53], v[32:33]
	v_add_f64 v[136:137], v[136:137], -v[140:141]
	v_fma_f64 v[140:141], v[50:51], v[30:31], -v[132:133]
	ds_read_b128 v[132:135], v130 offset:5232
	v_mul_f64 v[50:51], v[50:51], v[32:33]
	v_fmac_f64_e32 v[50:51], v[52:53], v[30:31]
	v_add_f64 v[138:139], v[138:139], -v[50:51]
	ds_read_b128 v[50:53], v130 offset:5248
	v_add_f64 v[136:137], v[136:137], -v[140:141]
	s_waitcnt lgkmcnt(1)
	v_mul_f64 v[140:141], v[134:135], v[36:37]
	v_fma_f64 v[140:141], v[132:133], v[34:35], -v[140:141]
	v_mul_f64 v[132:133], v[132:133], v[36:37]
	v_fmac_f64_e32 v[132:133], v[134:135], v[34:35]
	v_add_f64 v[138:139], v[138:139], -v[132:133]
	s_waitcnt lgkmcnt(0)
	v_mul_f64 v[132:133], v[52:53], v[44:45]
	v_add_f64 v[136:137], v[136:137], -v[140:141]
	v_fma_f64 v[140:141], v[50:51], v[42:43], -v[132:133]
	ds_read_b128 v[132:135], v130 offset:5264
	v_mul_f64 v[50:51], v[50:51], v[44:45]
	v_fmac_f64_e32 v[50:51], v[52:53], v[42:43]
	v_add_f64 v[52:53], v[136:137], -v[140:141]
	v_add_f64 v[50:51], v[138:139], -v[50:51]
	ds_read_b128 v[136:139], v130 offset:5280
	s_waitcnt lgkmcnt(1)
	v_mul_f64 v[140:141], v[134:135], v[48:49]
	v_fma_f64 v[140:141], v[132:133], v[46:47], -v[140:141]
	v_mul_f64 v[132:133], v[132:133], v[48:49]
	v_fmac_f64_e32 v[132:133], v[134:135], v[46:47]
	v_add_f64 v[140:141], v[52:53], -v[140:141]
	v_add_f64 v[52:53], v[50:51], -v[132:133]
	ds_read_b128 v[132:135], v130 offset:5632
	s_waitcnt lgkmcnt(1)
	v_mul_f64 v[50:51], v[138:139], v[52:53]
	v_mul_f64 v[52:53], v[136:137], v[52:53]
	v_fma_f64 v[50:51], v[136:137], v[140:141], -v[50:51]
	v_fmac_f64_e32 v[52:53], v[138:139], v[140:141]
	ds_read_b128 v[136:139], v130 offset:5648
	s_waitcnt lgkmcnt(1)
	v_mul_f64 v[140:141], v[134:135], v[8:9]
	v_fma_f64 v[140:141], v[132:133], v[6:7], -v[140:141]
	v_mul_f64 v[132:133], v[132:133], v[8:9]
	v_fmac_f64_e32 v[132:133], v[134:135], v[6:7]
	v_add_f64 v[134:135], v[58:59], -v[140:141]
	s_waitcnt lgkmcnt(0)
	v_mul_f64 v[58:59], v[138:139], v[12:13]
	v_add_f64 v[132:133], v[60:61], -v[132:133]
	v_fma_f64 v[140:141], v[136:137], v[10:11], -v[58:59]
	ds_read_b128 v[58:61], v130 offset:5664
	v_mul_f64 v[136:137], v[136:137], v[12:13]
	v_fmac_f64_e32 v[136:137], v[138:139], v[10:11]
	v_add_f64 v[138:139], v[134:135], -v[140:141]
	v_add_f64 v[136:137], v[132:133], -v[136:137]
	ds_read_b128 v[132:135], v130 offset:5680
	s_waitcnt lgkmcnt(1)
	v_mul_f64 v[140:141], v[60:61], v[16:17]
	v_fma_f64 v[140:141], v[58:59], v[14:15], -v[140:141]
	v_mul_f64 v[58:59], v[58:59], v[16:17]
	v_fmac_f64_e32 v[58:59], v[60:61], v[14:15]
	v_add_f64 v[136:137], v[136:137], -v[58:59]
	s_waitcnt lgkmcnt(0)
	v_mul_f64 v[58:59], v[134:135], v[20:21]
	v_add_f64 v[138:139], v[138:139], -v[140:141]
	v_fma_f64 v[140:141], v[132:133], v[18:19], -v[58:59]
	ds_read_b128 v[58:61], v130 offset:5696
	v_mul_f64 v[132:133], v[132:133], v[20:21]
	v_fmac_f64_e32 v[132:133], v[134:135], v[18:19]
	v_add_f64 v[136:137], v[136:137], -v[132:133]
	ds_read_b128 v[132:135], v130 offset:5712
	v_add_f64 v[138:139], v[138:139], -v[140:141]
	s_waitcnt lgkmcnt(1)
	v_mul_f64 v[140:141], v[60:61], v[24:25]
	v_fma_f64 v[140:141], v[58:59], v[22:23], -v[140:141]
	v_mul_f64 v[58:59], v[58:59], v[24:25]
	v_fmac_f64_e32 v[58:59], v[60:61], v[22:23]
	v_add_f64 v[136:137], v[136:137], -v[58:59]
	s_waitcnt lgkmcnt(0)
	v_mul_f64 v[58:59], v[134:135], v[28:29]
	v_add_f64 v[138:139], v[138:139], -v[140:141]
	v_fma_f64 v[140:141], v[132:133], v[26:27], -v[58:59]
	ds_read_b128 v[58:61], v130 offset:5728
	v_mul_f64 v[132:133], v[132:133], v[28:29]
	v_fmac_f64_e32 v[132:133], v[134:135], v[26:27]
	v_add_f64 v[136:137], v[136:137], -v[132:133]
	ds_read_b128 v[132:135], v130 offset:5744
	v_add_f64 v[138:139], v[138:139], -v[140:141]
	;; [unrolled: 16-line block ×4, first 2 shown]
	s_waitcnt lgkmcnt(1)
	v_mul_f64 v[140:141], v[60:61], v[52:53]
	v_fma_f64 v[140:141], v[58:59], v[50:51], -v[140:141]
	v_mul_f64 v[58:59], v[58:59], v[52:53]
	v_fmac_f64_e32 v[58:59], v[60:61], v[50:51]
	v_add_f64 v[60:61], v[136:137], -v[58:59]
	v_add_f64 v[138:139], v[138:139], -v[140:141]
	s_waitcnt lgkmcnt(0)
	v_mul_f64 v[58:59], v[134:135], v[60:61]
	v_mul_f64 v[60:61], v[132:133], v[60:61]
	v_fma_f64 v[58:59], v[132:133], v[138:139], -v[58:59]
	v_fmac_f64_e32 v[60:61], v[134:135], v[138:139]
	ds_read_b128 v[132:135], v130 offset:6144
	ds_write_b128 v1, v[50:53] offset:5120
	ds_write_b128 v1, v[58:61] offset:5632
	ds_read_b128 v[136:139], v130 offset:6160
	ds_read_b128 v[140:143], v130 offset:6176
	;; [unrolled: 1-line block ×3, first 2 shown]
	s_mov_b32 s10, 32
	s_waitcnt lgkmcnt(5)
	v_mul_f64 v[148:149], v[134:135], v[8:9]
	v_fma_f64 v[148:149], v[132:133], v[6:7], -v[148:149]
	v_mul_f64 v[132:133], v[132:133], v[8:9]
	v_fmac_f64_e32 v[132:133], v[134:135], v[6:7]
	v_add_f64 v[64:65], v[64:65], -v[132:133]
	s_waitcnt lgkmcnt(2)
	v_mul_f64 v[132:133], v[138:139], v[12:13]
	v_add_f64 v[62:63], v[62:63], -v[148:149]
	v_fma_f64 v[132:133], v[136:137], v[10:11], -v[132:133]
	v_mul_f64 v[134:135], v[136:137], v[12:13]
	v_fmac_f64_e32 v[134:135], v[138:139], v[10:11]
	v_add_f64 v[62:63], v[62:63], -v[132:133]
	s_waitcnt lgkmcnt(1)
	v_mul_f64 v[132:133], v[142:143], v[16:17]
	v_add_f64 v[64:65], v[64:65], -v[134:135]
	;; [unrolled: 7-line block ×3, first 2 shown]
	v_fma_f64 v[136:137], v[144:145], v[18:19], -v[62:63]
	ds_read_b128 v[62:65], v130 offset:6208
	v_mul_f64 v[138:139], v[144:145], v[20:21]
	v_fmac_f64_e32 v[138:139], v[146:147], v[18:19]
	v_add_f64 v[136:137], v[132:133], -v[136:137]
	v_add_f64 v[138:139], v[134:135], -v[138:139]
	ds_read_b128 v[132:135], v130 offset:6224
	s_waitcnt lgkmcnt(1)
	v_mul_f64 v[140:141], v[64:65], v[24:25]
	v_fma_f64 v[140:141], v[62:63], v[22:23], -v[140:141]
	v_mul_f64 v[62:63], v[62:63], v[24:25]
	v_fmac_f64_e32 v[62:63], v[64:65], v[22:23]
	v_add_f64 v[138:139], v[138:139], -v[62:63]
	s_waitcnt lgkmcnt(0)
	v_mul_f64 v[62:63], v[134:135], v[28:29]
	v_add_f64 v[136:137], v[136:137], -v[140:141]
	v_fma_f64 v[140:141], v[132:133], v[26:27], -v[62:63]
	ds_read_b128 v[62:65], v130 offset:6240
	v_mul_f64 v[132:133], v[132:133], v[28:29]
	v_fmac_f64_e32 v[132:133], v[134:135], v[26:27]
	v_add_f64 v[138:139], v[138:139], -v[132:133]
	ds_read_b128 v[132:135], v130 offset:6256
	v_add_f64 v[136:137], v[136:137], -v[140:141]
	s_waitcnt lgkmcnt(1)
	v_mul_f64 v[140:141], v[64:65], v[32:33]
	v_fma_f64 v[140:141], v[62:63], v[30:31], -v[140:141]
	v_mul_f64 v[62:63], v[62:63], v[32:33]
	v_fmac_f64_e32 v[62:63], v[64:65], v[30:31]
	v_add_f64 v[138:139], v[138:139], -v[62:63]
	s_waitcnt lgkmcnt(0)
	v_mul_f64 v[62:63], v[134:135], v[36:37]
	v_add_f64 v[136:137], v[136:137], -v[140:141]
	v_fma_f64 v[140:141], v[132:133], v[34:35], -v[62:63]
	ds_read_b128 v[62:65], v130 offset:6272
	v_mul_f64 v[132:133], v[132:133], v[36:37]
	v_fmac_f64_e32 v[132:133], v[134:135], v[34:35]
	v_add_f64 v[138:139], v[138:139], -v[132:133]
	ds_read_b128 v[132:135], v130 offset:6288
	v_add_f64 v[136:137], v[136:137], -v[140:141]
	s_waitcnt lgkmcnt(1)
	v_mul_f64 v[140:141], v[64:65], v[44:45]
	v_fma_f64 v[140:141], v[62:63], v[42:43], -v[140:141]
	v_mul_f64 v[62:63], v[62:63], v[44:45]
	v_fmac_f64_e32 v[62:63], v[64:65], v[42:43]
	v_add_f64 v[138:139], v[138:139], -v[62:63]
	s_waitcnt lgkmcnt(0)
	v_mul_f64 v[62:63], v[134:135], v[48:49]
	v_add_f64 v[136:137], v[136:137], -v[140:141]
	v_fma_f64 v[140:141], v[132:133], v[46:47], -v[62:63]
	v_mul_f64 v[132:133], v[132:133], v[48:49]
	ds_read_b128 v[62:65], v130 offset:6304
	v_fmac_f64_e32 v[132:133], v[134:135], v[46:47]
	v_add_f64 v[138:139], v[138:139], -v[132:133]
	ds_read_b128 v[132:135], v130 offset:6320
	v_add_f64 v[136:137], v[136:137], -v[140:141]
	s_waitcnt lgkmcnt(1)
	v_mul_f64 v[140:141], v[64:65], v[52:53]
	v_fma_f64 v[140:141], v[62:63], v[50:51], -v[140:141]
	v_mul_f64 v[62:63], v[62:63], v[52:53]
	v_fmac_f64_e32 v[62:63], v[64:65], v[50:51]
	v_add_f64 v[64:65], v[136:137], -v[140:141]
	s_waitcnt lgkmcnt(0)
	v_mul_f64 v[136:137], v[134:135], v[60:61]
	v_fma_f64 v[140:141], v[132:133], v[58:59], -v[136:137]
	v_mul_f64 v[132:133], v[132:133], v[60:61]
	v_add_f64 v[62:63], v[138:139], -v[62:63]
	ds_read_b128 v[136:139], v130 offset:6336
	v_fmac_f64_e32 v[132:133], v[134:135], v[58:59]
	v_add_f64 v[140:141], v[64:65], -v[140:141]
	v_add_f64 v[64:65], v[62:63], -v[132:133]
	ds_read_b128 v[132:135], v130 offset:6656
	s_waitcnt lgkmcnt(1)
	v_mul_f64 v[62:63], v[138:139], v[64:65]
	v_fma_f64 v[62:63], v[136:137], v[140:141], -v[62:63]
	v_mul_f64 v[64:65], v[136:137], v[64:65]
	v_fmac_f64_e32 v[64:65], v[138:139], v[140:141]
	s_waitcnt lgkmcnt(0)
	v_mul_f64 v[136:137], v[134:135], v[8:9]
	v_fma_f64 v[140:141], v[132:133], v[6:7], -v[136:137]
	ds_read_b128 v[136:139], v130 offset:6672
	v_mul_f64 v[132:133], v[132:133], v[8:9]
	v_fmac_f64_e32 v[132:133], v[134:135], v[6:7]
	v_add_f64 v[134:135], v[70:71], -v[140:141]
	v_add_f64 v[132:133], v[72:73], -v[132:133]
	ds_read_b128 v[70:73], v130 offset:6688
	s_waitcnt lgkmcnt(1)
	v_mul_f64 v[140:141], v[138:139], v[12:13]
	v_fma_f64 v[140:141], v[136:137], v[10:11], -v[140:141]
	v_mul_f64 v[136:137], v[136:137], v[12:13]
	v_fmac_f64_e32 v[136:137], v[138:139], v[10:11]
	v_add_f64 v[136:137], v[132:133], -v[136:137]
	s_waitcnt lgkmcnt(0)
	v_mul_f64 v[132:133], v[72:73], v[16:17]
	v_add_f64 v[138:139], v[134:135], -v[140:141]
	v_fma_f64 v[140:141], v[70:71], v[14:15], -v[132:133]
	ds_read_b128 v[132:135], v130 offset:6704
	v_mul_f64 v[70:71], v[70:71], v[16:17]
	v_fmac_f64_e32 v[70:71], v[72:73], v[14:15]
	v_add_f64 v[136:137], v[136:137], -v[70:71]
	ds_read_b128 v[70:73], v130 offset:6720
	v_add_f64 v[138:139], v[138:139], -v[140:141]
	s_waitcnt lgkmcnt(1)
	v_mul_f64 v[140:141], v[134:135], v[20:21]
	v_fma_f64 v[140:141], v[132:133], v[18:19], -v[140:141]
	v_mul_f64 v[132:133], v[132:133], v[20:21]
	v_fmac_f64_e32 v[132:133], v[134:135], v[18:19]
	v_add_f64 v[136:137], v[136:137], -v[132:133]
	s_waitcnt lgkmcnt(0)
	v_mul_f64 v[132:133], v[72:73], v[24:25]
	v_add_f64 v[138:139], v[138:139], -v[140:141]
	v_fma_f64 v[140:141], v[70:71], v[22:23], -v[132:133]
	ds_read_b128 v[132:135], v130 offset:6736
	v_mul_f64 v[70:71], v[70:71], v[24:25]
	v_fmac_f64_e32 v[70:71], v[72:73], v[22:23]
	v_add_f64 v[136:137], v[136:137], -v[70:71]
	ds_read_b128 v[70:73], v130 offset:6752
	v_add_f64 v[138:139], v[138:139], -v[140:141]
	;; [unrolled: 16-line block ×5, first 2 shown]
	s_waitcnt lgkmcnt(1)
	v_mul_f64 v[140:141], v[134:135], v[60:61]
	v_fma_f64 v[140:141], v[132:133], v[58:59], -v[140:141]
	v_mul_f64 v[132:133], v[132:133], v[60:61]
	v_fmac_f64_e32 v[132:133], v[134:135], v[58:59]
	v_add_f64 v[136:137], v[136:137], -v[132:133]
	s_waitcnt lgkmcnt(0)
	v_mul_f64 v[132:133], v[72:73], v[64:65]
	v_add_f64 v[138:139], v[138:139], -v[140:141]
	v_fma_f64 v[140:141], v[70:71], v[62:63], -v[132:133]
	ds_read_b128 v[132:135], v130 offset:6864
	v_mul_f64 v[70:71], v[70:71], v[64:65]
	v_fmac_f64_e32 v[70:71], v[72:73], v[62:63]
	v_add_f64 v[140:141], v[138:139], -v[140:141]
	v_add_f64 v[72:73], v[136:137], -v[70:71]
	ds_read_b128 v[136:139], v130 offset:7168
	s_waitcnt lgkmcnt(1)
	v_mul_f64 v[70:71], v[134:135], v[72:73]
	v_mul_f64 v[72:73], v[132:133], v[72:73]
	v_fma_f64 v[70:71], v[132:133], v[140:141], -v[70:71]
	v_fmac_f64_e32 v[72:73], v[134:135], v[140:141]
	ds_write_b128 v1, v[62:65] offset:6144
	ds_write_b128 v1, v[70:73] offset:6656
	ds_read_b128 v[132:135], v130 offset:7184
	ds_read_b128 v[140:143], v130 offset:7200
	;; [unrolled: 1-line block ×3, first 2 shown]
	s_waitcnt lgkmcnt(5)
	v_mul_f64 v[148:149], v[138:139], v[8:9]
	v_fma_f64 v[148:149], v[136:137], v[6:7], -v[148:149]
	v_mul_f64 v[136:137], v[136:137], v[8:9]
	v_fmac_f64_e32 v[136:137], v[138:139], v[6:7]
	v_add_f64 v[76:77], v[76:77], -v[136:137]
	s_waitcnt lgkmcnt(2)
	v_mul_f64 v[136:137], v[134:135], v[12:13]
	v_fma_f64 v[136:137], v[132:133], v[10:11], -v[136:137]
	v_mul_f64 v[132:133], v[132:133], v[12:13]
	v_fmac_f64_e32 v[132:133], v[134:135], v[10:11]
	v_add_f64 v[74:75], v[74:75], -v[148:149]
	v_add_f64 v[76:77], v[76:77], -v[132:133]
	s_waitcnt lgkmcnt(1)
	v_mul_f64 v[132:133], v[142:143], v[16:17]
	v_mul_f64 v[134:135], v[140:141], v[16:17]
	v_add_f64 v[74:75], v[74:75], -v[136:137]
	v_fma_f64 v[132:133], v[140:141], v[14:15], -v[132:133]
	v_fmac_f64_e32 v[134:135], v[142:143], v[14:15]
	v_add_f64 v[132:133], v[74:75], -v[132:133]
	v_add_f64 v[134:135], v[76:77], -v[134:135]
	ds_read_b128 v[74:77], v130 offset:7232
	s_waitcnt lgkmcnt(1)
	v_mul_f64 v[136:137], v[146:147], v[20:21]
	v_fma_f64 v[136:137], v[144:145], v[18:19], -v[136:137]
	v_mul_f64 v[138:139], v[144:145], v[20:21]
	v_fmac_f64_e32 v[138:139], v[146:147], v[18:19]
	v_add_f64 v[136:137], v[132:133], -v[136:137]
	s_waitcnt lgkmcnt(0)
	v_mul_f64 v[132:133], v[76:77], v[24:25]
	v_add_f64 v[138:139], v[134:135], -v[138:139]
	v_fma_f64 v[140:141], v[74:75], v[22:23], -v[132:133]
	ds_read_b128 v[132:135], v130 offset:7248
	v_mul_f64 v[74:75], v[74:75], v[24:25]
	v_fmac_f64_e32 v[74:75], v[76:77], v[22:23]
	v_add_f64 v[138:139], v[138:139], -v[74:75]
	ds_read_b128 v[74:77], v130 offset:7264
	v_add_f64 v[136:137], v[136:137], -v[140:141]
	s_waitcnt lgkmcnt(1)
	v_mul_f64 v[140:141], v[134:135], v[28:29]
	v_fma_f64 v[140:141], v[132:133], v[26:27], -v[140:141]
	v_mul_f64 v[132:133], v[132:133], v[28:29]
	v_fmac_f64_e32 v[132:133], v[134:135], v[26:27]
	v_add_f64 v[138:139], v[138:139], -v[132:133]
	s_waitcnt lgkmcnt(0)
	v_mul_f64 v[132:133], v[76:77], v[32:33]
	v_add_f64 v[136:137], v[136:137], -v[140:141]
	v_fma_f64 v[140:141], v[74:75], v[30:31], -v[132:133]
	ds_read_b128 v[132:135], v130 offset:7280
	v_mul_f64 v[74:75], v[74:75], v[32:33]
	v_fmac_f64_e32 v[74:75], v[76:77], v[30:31]
	v_add_f64 v[138:139], v[138:139], -v[74:75]
	ds_read_b128 v[74:77], v130 offset:7296
	v_add_f64 v[136:137], v[136:137], -v[140:141]
	;; [unrolled: 16-line block ×4, first 2 shown]
	s_waitcnt lgkmcnt(1)
	v_mul_f64 v[140:141], v[134:135], v[60:61]
	v_fma_f64 v[140:141], v[132:133], v[58:59], -v[140:141]
	v_mul_f64 v[132:133], v[132:133], v[60:61]
	v_fmac_f64_e32 v[132:133], v[134:135], v[58:59]
	v_add_f64 v[138:139], v[138:139], -v[132:133]
	s_waitcnt lgkmcnt(0)
	v_mul_f64 v[132:133], v[76:77], v[64:65]
	v_add_f64 v[136:137], v[136:137], -v[140:141]
	v_fma_f64 v[140:141], v[74:75], v[62:63], -v[132:133]
	ds_read_b128 v[132:135], v130 offset:7376
	v_mul_f64 v[74:75], v[74:75], v[64:65]
	v_fmac_f64_e32 v[74:75], v[76:77], v[62:63]
	v_add_f64 v[76:77], v[136:137], -v[140:141]
	v_add_f64 v[74:75], v[138:139], -v[74:75]
	ds_read_b128 v[136:139], v130 offset:7392
	s_waitcnt lgkmcnt(1)
	v_mul_f64 v[140:141], v[134:135], v[72:73]
	v_fma_f64 v[140:141], v[132:133], v[70:71], -v[140:141]
	v_mul_f64 v[132:133], v[132:133], v[72:73]
	v_fmac_f64_e32 v[132:133], v[134:135], v[70:71]
	v_add_f64 v[134:135], v[76:77], -v[140:141]
	v_add_f64 v[76:77], v[74:75], -v[132:133]
	s_waitcnt lgkmcnt(0)
	v_mul_f64 v[74:75], v[138:139], v[76:77]
	v_mul_f64 v[76:77], v[136:137], v[76:77]
	v_fma_f64 v[74:75], v[136:137], v[134:135], -v[74:75]
	v_fmac_f64_e32 v[76:77], v[138:139], v[134:135]
	ds_read_b128 v[132:135], v130 offset:7680
	ds_write_b128 v1, v[74:77] offset:7168
	ds_read_b128 v[136:139], v130 offset:7696
	ds_read_b128 v[140:143], v130 offset:7712
	;; [unrolled: 1-line block ×3, first 2 shown]
	s_waitcnt lgkmcnt(4)
	v_mul_f64 v[148:149], v[134:135], v[8:9]
	v_fma_f64 v[148:149], v[132:133], v[6:7], -v[148:149]
	v_mul_f64 v[132:133], v[132:133], v[8:9]
	v_fmac_f64_e32 v[132:133], v[134:135], v[6:7]
	v_add_f64 v[84:85], v[84:85], -v[132:133]
	s_waitcnt lgkmcnt(2)
	v_mul_f64 v[132:133], v[138:139], v[12:13]
	v_add_f64 v[82:83], v[82:83], -v[148:149]
	v_fma_f64 v[132:133], v[136:137], v[10:11], -v[132:133]
	v_mul_f64 v[134:135], v[136:137], v[12:13]
	v_fmac_f64_e32 v[134:135], v[138:139], v[10:11]
	v_add_f64 v[82:83], v[82:83], -v[132:133]
	s_waitcnt lgkmcnt(1)
	v_mul_f64 v[132:133], v[142:143], v[16:17]
	v_add_f64 v[84:85], v[84:85], -v[134:135]
	;; [unrolled: 7-line block ×3, first 2 shown]
	v_fma_f64 v[136:137], v[144:145], v[18:19], -v[82:83]
	ds_read_b128 v[82:85], v130 offset:7744
	v_mul_f64 v[138:139], v[144:145], v[20:21]
	v_fmac_f64_e32 v[138:139], v[146:147], v[18:19]
	v_add_f64 v[136:137], v[132:133], -v[136:137]
	v_add_f64 v[138:139], v[134:135], -v[138:139]
	ds_read_b128 v[132:135], v130 offset:7760
	s_waitcnt lgkmcnt(1)
	v_mul_f64 v[140:141], v[84:85], v[24:25]
	v_fma_f64 v[140:141], v[82:83], v[22:23], -v[140:141]
	v_mul_f64 v[82:83], v[82:83], v[24:25]
	v_fmac_f64_e32 v[82:83], v[84:85], v[22:23]
	v_add_f64 v[138:139], v[138:139], -v[82:83]
	s_waitcnt lgkmcnt(0)
	v_mul_f64 v[82:83], v[134:135], v[28:29]
	v_add_f64 v[136:137], v[136:137], -v[140:141]
	v_fma_f64 v[140:141], v[132:133], v[26:27], -v[82:83]
	ds_read_b128 v[82:85], v130 offset:7776
	v_mul_f64 v[132:133], v[132:133], v[28:29]
	v_fmac_f64_e32 v[132:133], v[134:135], v[26:27]
	v_add_f64 v[138:139], v[138:139], -v[132:133]
	ds_read_b128 v[132:135], v130 offset:7792
	v_add_f64 v[136:137], v[136:137], -v[140:141]
	s_waitcnt lgkmcnt(1)
	v_mul_f64 v[140:141], v[84:85], v[32:33]
	v_fma_f64 v[140:141], v[82:83], v[30:31], -v[140:141]
	v_mul_f64 v[82:83], v[82:83], v[32:33]
	v_fmac_f64_e32 v[82:83], v[84:85], v[30:31]
	v_add_f64 v[138:139], v[138:139], -v[82:83]
	s_waitcnt lgkmcnt(0)
	v_mul_f64 v[82:83], v[134:135], v[36:37]
	v_add_f64 v[136:137], v[136:137], -v[140:141]
	v_fma_f64 v[140:141], v[132:133], v[34:35], -v[82:83]
	ds_read_b128 v[82:85], v130 offset:7808
	v_mul_f64 v[132:133], v[132:133], v[36:37]
	v_fmac_f64_e32 v[132:133], v[134:135], v[34:35]
	v_add_f64 v[138:139], v[138:139], -v[132:133]
	ds_read_b128 v[132:135], v130 offset:7824
	v_add_f64 v[136:137], v[136:137], -v[140:141]
	;; [unrolled: 16-line block ×5, first 2 shown]
	s_waitcnt lgkmcnt(1)
	v_mul_f64 v[140:141], v[84:85], v[76:77]
	v_fma_f64 v[140:141], v[82:83], v[74:75], -v[140:141]
	v_mul_f64 v[82:83], v[82:83], v[76:77]
	v_fmac_f64_e32 v[82:83], v[84:85], v[74:75]
	v_add_f64 v[84:85], v[138:139], -v[82:83]
	v_add_f64 v[136:137], v[136:137], -v[140:141]
	s_waitcnt lgkmcnt(0)
	v_mul_f64 v[82:83], v[134:135], v[84:85]
	v_mul_f64 v[84:85], v[132:133], v[84:85]
	v_fma_f64 v[82:83], v[132:133], v[136:137], -v[82:83]
	v_fmac_f64_e32 v[84:85], v[134:135], v[136:137]
	ds_read_b128 v[132:135], v130 offset:8192
	ds_write_b128 v1, v[82:85] offset:7680
	ds_read_b128 v[136:139], v130 offset:8208
	ds_read_b128 v[140:143], v130 offset:8224
	ds_read_b128 v[144:147], v130 offset:8240
	s_waitcnt lgkmcnt(4)
	v_mul_f64 v[148:149], v[134:135], v[8:9]
	v_fma_f64 v[148:149], v[132:133], v[6:7], -v[148:149]
	v_mul_f64 v[132:133], v[132:133], v[8:9]
	v_fmac_f64_e32 v[132:133], v[134:135], v[6:7]
	v_add_f64 v[88:89], v[88:89], -v[132:133]
	s_waitcnt lgkmcnt(2)
	v_mul_f64 v[132:133], v[138:139], v[12:13]
	v_add_f64 v[86:87], v[86:87], -v[148:149]
	v_fma_f64 v[132:133], v[136:137], v[10:11], -v[132:133]
	v_mul_f64 v[134:135], v[136:137], v[12:13]
	v_fmac_f64_e32 v[134:135], v[138:139], v[10:11]
	v_add_f64 v[86:87], v[86:87], -v[132:133]
	s_waitcnt lgkmcnt(1)
	v_mul_f64 v[132:133], v[142:143], v[16:17]
	v_add_f64 v[88:89], v[88:89], -v[134:135]
	;; [unrolled: 7-line block ×3, first 2 shown]
	v_fma_f64 v[136:137], v[144:145], v[18:19], -v[86:87]
	ds_read_b128 v[86:89], v130 offset:8256
	v_mul_f64 v[138:139], v[144:145], v[20:21]
	v_fmac_f64_e32 v[138:139], v[146:147], v[18:19]
	v_add_f64 v[136:137], v[132:133], -v[136:137]
	v_add_f64 v[138:139], v[134:135], -v[138:139]
	ds_read_b128 v[132:135], v130 offset:8272
	s_waitcnt lgkmcnt(1)
	v_mul_f64 v[140:141], v[88:89], v[24:25]
	v_fma_f64 v[140:141], v[86:87], v[22:23], -v[140:141]
	v_mul_f64 v[86:87], v[86:87], v[24:25]
	v_fmac_f64_e32 v[86:87], v[88:89], v[22:23]
	v_add_f64 v[138:139], v[138:139], -v[86:87]
	s_waitcnt lgkmcnt(0)
	v_mul_f64 v[86:87], v[134:135], v[28:29]
	v_add_f64 v[136:137], v[136:137], -v[140:141]
	v_fma_f64 v[140:141], v[132:133], v[26:27], -v[86:87]
	ds_read_b128 v[86:89], v130 offset:8288
	v_mul_f64 v[132:133], v[132:133], v[28:29]
	v_fmac_f64_e32 v[132:133], v[134:135], v[26:27]
	v_add_f64 v[138:139], v[138:139], -v[132:133]
	ds_read_b128 v[132:135], v130 offset:8304
	v_add_f64 v[136:137], v[136:137], -v[140:141]
	s_waitcnt lgkmcnt(1)
	v_mul_f64 v[140:141], v[88:89], v[32:33]
	v_fma_f64 v[140:141], v[86:87], v[30:31], -v[140:141]
	v_mul_f64 v[86:87], v[86:87], v[32:33]
	v_fmac_f64_e32 v[86:87], v[88:89], v[30:31]
	v_add_f64 v[138:139], v[138:139], -v[86:87]
	s_waitcnt lgkmcnt(0)
	v_mul_f64 v[86:87], v[134:135], v[36:37]
	v_add_f64 v[136:137], v[136:137], -v[140:141]
	v_fma_f64 v[140:141], v[132:133], v[34:35], -v[86:87]
	ds_read_b128 v[86:89], v130 offset:8320
	v_mul_f64 v[132:133], v[132:133], v[36:37]
	v_fmac_f64_e32 v[132:133], v[134:135], v[34:35]
	v_add_f64 v[138:139], v[138:139], -v[132:133]
	ds_read_b128 v[132:135], v130 offset:8336
	v_add_f64 v[136:137], v[136:137], -v[140:141]
	;; [unrolled: 16-line block ×4, first 2 shown]
	s_waitcnt lgkmcnt(1)
	v_mul_f64 v[140:141], v[88:89], v[64:65]
	v_fma_f64 v[140:141], v[86:87], v[62:63], -v[140:141]
	v_mul_f64 v[86:87], v[86:87], v[64:65]
	v_fmac_f64_e32 v[86:87], v[88:89], v[62:63]
	v_add_f64 v[138:139], v[138:139], -v[86:87]
	s_waitcnt lgkmcnt(0)
	v_mul_f64 v[86:87], v[134:135], v[72:73]
	v_add_f64 v[136:137], v[136:137], -v[140:141]
	v_fma_f64 v[140:141], v[132:133], v[70:71], -v[86:87]
	v_mul_f64 v[132:133], v[132:133], v[72:73]
	ds_read_b128 v[86:89], v130 offset:8416
	v_fmac_f64_e32 v[132:133], v[134:135], v[70:71]
	v_add_f64 v[138:139], v[138:139], -v[132:133]
	ds_read_b128 v[132:135], v130 offset:8432
	v_add_f64 v[136:137], v[136:137], -v[140:141]
	s_waitcnt lgkmcnt(1)
	v_mul_f64 v[140:141], v[88:89], v[76:77]
	v_fma_f64 v[140:141], v[86:87], v[74:75], -v[140:141]
	v_mul_f64 v[86:87], v[86:87], v[76:77]
	v_fmac_f64_e32 v[86:87], v[88:89], v[74:75]
	v_add_f64 v[88:89], v[136:137], -v[140:141]
	s_waitcnt lgkmcnt(0)
	v_mul_f64 v[136:137], v[134:135], v[84:85]
	v_add_f64 v[86:87], v[138:139], -v[86:87]
	v_fma_f64 v[140:141], v[132:133], v[82:83], -v[136:137]
	ds_read_b128 v[136:139], v130 offset:8448
	v_mul_f64 v[132:133], v[132:133], v[84:85]
	v_fmac_f64_e32 v[132:133], v[134:135], v[82:83]
	v_add_f64 v[140:141], v[88:89], -v[140:141]
	v_add_f64 v[88:89], v[86:87], -v[132:133]
	ds_read_b128 v[132:135], v130 offset:8704
	s_waitcnt lgkmcnt(1)
	v_mul_f64 v[86:87], v[138:139], v[88:89]
	v_mul_f64 v[88:89], v[136:137], v[88:89]
	v_fma_f64 v[86:87], v[136:137], v[140:141], -v[86:87]
	v_fmac_f64_e32 v[88:89], v[138:139], v[140:141]
	ds_write_b128 v1, v[86:89] offset:8192
	ds_read_b128 v[136:139], v130 offset:8720
	ds_read_b128 v[140:143], v130 offset:8736
	;; [unrolled: 1-line block ×3, first 2 shown]
	s_waitcnt lgkmcnt(4)
	v_mul_f64 v[148:149], v[134:135], v[8:9]
	v_fma_f64 v[148:149], v[132:133], v[6:7], -v[148:149]
	v_mul_f64 v[132:133], v[132:133], v[8:9]
	v_fmac_f64_e32 v[132:133], v[134:135], v[6:7]
	v_add_f64 v[96:97], v[96:97], -v[132:133]
	s_waitcnt lgkmcnt(2)
	v_mul_f64 v[132:133], v[138:139], v[12:13]
	v_mul_f64 v[134:135], v[136:137], v[12:13]
	v_add_f64 v[94:95], v[94:95], -v[148:149]
	v_fma_f64 v[132:133], v[136:137], v[10:11], -v[132:133]
	v_fmac_f64_e32 v[134:135], v[138:139], v[10:11]
	v_add_f64 v[94:95], v[94:95], -v[132:133]
	v_add_f64 v[96:97], v[96:97], -v[134:135]
	s_waitcnt lgkmcnt(1)
	v_mul_f64 v[132:133], v[142:143], v[16:17]
	v_mul_f64 v[134:135], v[140:141], v[16:17]
	v_fma_f64 v[132:133], v[140:141], v[14:15], -v[132:133]
	v_fmac_f64_e32 v[134:135], v[142:143], v[14:15]
	v_add_f64 v[132:133], v[94:95], -v[132:133]
	v_add_f64 v[134:135], v[96:97], -v[134:135]
	ds_read_b128 v[94:97], v130 offset:8768
	s_waitcnt lgkmcnt(1)
	v_mul_f64 v[136:137], v[146:147], v[20:21]
	v_fma_f64 v[136:137], v[144:145], v[18:19], -v[136:137]
	v_mul_f64 v[138:139], v[144:145], v[20:21]
	v_fmac_f64_e32 v[138:139], v[146:147], v[18:19]
	v_add_f64 v[136:137], v[132:133], -v[136:137]
	s_waitcnt lgkmcnt(0)
	v_mul_f64 v[132:133], v[96:97], v[24:25]
	v_add_f64 v[138:139], v[134:135], -v[138:139]
	v_fma_f64 v[140:141], v[94:95], v[22:23], -v[132:133]
	ds_read_b128 v[132:135], v130 offset:8784
	v_mul_f64 v[94:95], v[94:95], v[24:25]
	v_fmac_f64_e32 v[94:95], v[96:97], v[22:23]
	v_add_f64 v[138:139], v[138:139], -v[94:95]
	ds_read_b128 v[94:97], v130 offset:8800
	v_add_f64 v[136:137], v[136:137], -v[140:141]
	s_waitcnt lgkmcnt(1)
	v_mul_f64 v[140:141], v[134:135], v[28:29]
	v_fma_f64 v[140:141], v[132:133], v[26:27], -v[140:141]
	v_mul_f64 v[132:133], v[132:133], v[28:29]
	v_fmac_f64_e32 v[132:133], v[134:135], v[26:27]
	v_add_f64 v[138:139], v[138:139], -v[132:133]
	s_waitcnt lgkmcnt(0)
	v_mul_f64 v[132:133], v[96:97], v[32:33]
	v_add_f64 v[136:137], v[136:137], -v[140:141]
	v_fma_f64 v[140:141], v[94:95], v[30:31], -v[132:133]
	ds_read_b128 v[132:135], v130 offset:8816
	v_mul_f64 v[94:95], v[94:95], v[32:33]
	v_fmac_f64_e32 v[94:95], v[96:97], v[30:31]
	v_add_f64 v[138:139], v[138:139], -v[94:95]
	ds_read_b128 v[94:97], v130 offset:8832
	v_add_f64 v[136:137], v[136:137], -v[140:141]
	;; [unrolled: 16-line block ×6, first 2 shown]
	s_waitcnt lgkmcnt(1)
	v_mul_f64 v[140:141], v[134:135], v[84:85]
	v_fma_f64 v[140:141], v[132:133], v[82:83], -v[140:141]
	v_mul_f64 v[132:133], v[132:133], v[84:85]
	v_fmac_f64_e32 v[132:133], v[134:135], v[82:83]
	v_add_f64 v[138:139], v[138:139], -v[132:133]
	s_waitcnt lgkmcnt(0)
	v_mul_f64 v[132:133], v[96:97], v[88:89]
	v_add_f64 v[136:137], v[136:137], -v[140:141]
	v_fma_f64 v[140:141], v[94:95], v[86:87], -v[132:133]
	ds_read_b128 v[132:135], v130 offset:8976
	v_mul_f64 v[94:95], v[94:95], v[88:89]
	v_fmac_f64_e32 v[94:95], v[96:97], v[86:87]
	v_add_f64 v[140:141], v[136:137], -v[140:141]
	v_add_f64 v[96:97], v[138:139], -v[94:95]
	ds_read_b128 v[136:139], v130 offset:9216
	s_waitcnt lgkmcnt(1)
	v_mul_f64 v[94:95], v[134:135], v[96:97]
	v_mul_f64 v[96:97], v[132:133], v[96:97]
	v_fma_f64 v[94:95], v[132:133], v[140:141], -v[94:95]
	v_fmac_f64_e32 v[96:97], v[134:135], v[140:141]
	ds_write_b128 v1, v[94:97] offset:8704
	ds_read_b128 v[132:135], v130 offset:9232
	ds_read_b128 v[140:143], v130 offset:9248
	;; [unrolled: 1-line block ×3, first 2 shown]
	s_waitcnt lgkmcnt(4)
	v_mul_f64 v[148:149], v[138:139], v[8:9]
	v_fma_f64 v[148:149], v[136:137], v[6:7], -v[148:149]
	v_mul_f64 v[136:137], v[136:137], v[8:9]
	v_fmac_f64_e32 v[136:137], v[138:139], v[6:7]
	v_add_f64 v[104:105], v[104:105], -v[136:137]
	s_waitcnt lgkmcnt(2)
	v_mul_f64 v[136:137], v[134:135], v[12:13]
	v_fma_f64 v[136:137], v[132:133], v[10:11], -v[136:137]
	v_mul_f64 v[132:133], v[132:133], v[12:13]
	v_fmac_f64_e32 v[132:133], v[134:135], v[10:11]
	v_add_f64 v[102:103], v[102:103], -v[148:149]
	v_add_f64 v[104:105], v[104:105], -v[132:133]
	s_waitcnt lgkmcnt(1)
	v_mul_f64 v[132:133], v[142:143], v[16:17]
	v_mul_f64 v[134:135], v[140:141], v[16:17]
	v_add_f64 v[102:103], v[102:103], -v[136:137]
	v_fma_f64 v[132:133], v[140:141], v[14:15], -v[132:133]
	v_fmac_f64_e32 v[134:135], v[142:143], v[14:15]
	v_add_f64 v[132:133], v[102:103], -v[132:133]
	v_add_f64 v[134:135], v[104:105], -v[134:135]
	ds_read_b128 v[102:105], v130 offset:9280
	s_waitcnt lgkmcnt(1)
	v_mul_f64 v[136:137], v[146:147], v[20:21]
	v_fma_f64 v[136:137], v[144:145], v[18:19], -v[136:137]
	v_mul_f64 v[138:139], v[144:145], v[20:21]
	v_fmac_f64_e32 v[138:139], v[146:147], v[18:19]
	v_add_f64 v[136:137], v[132:133], -v[136:137]
	s_waitcnt lgkmcnt(0)
	v_mul_f64 v[132:133], v[104:105], v[24:25]
	v_add_f64 v[138:139], v[134:135], -v[138:139]
	v_fma_f64 v[140:141], v[102:103], v[22:23], -v[132:133]
	ds_read_b128 v[132:135], v130 offset:9296
	v_mul_f64 v[102:103], v[102:103], v[24:25]
	v_fmac_f64_e32 v[102:103], v[104:105], v[22:23]
	v_add_f64 v[138:139], v[138:139], -v[102:103]
	ds_read_b128 v[102:105], v130 offset:9312
	v_add_f64 v[136:137], v[136:137], -v[140:141]
	s_waitcnt lgkmcnt(1)
	v_mul_f64 v[140:141], v[134:135], v[28:29]
	v_fma_f64 v[140:141], v[132:133], v[26:27], -v[140:141]
	v_mul_f64 v[132:133], v[132:133], v[28:29]
	v_fmac_f64_e32 v[132:133], v[134:135], v[26:27]
	v_add_f64 v[138:139], v[138:139], -v[132:133]
	s_waitcnt lgkmcnt(0)
	v_mul_f64 v[132:133], v[104:105], v[32:33]
	v_add_f64 v[136:137], v[136:137], -v[140:141]
	v_fma_f64 v[140:141], v[102:103], v[30:31], -v[132:133]
	ds_read_b128 v[132:135], v130 offset:9328
	v_mul_f64 v[102:103], v[102:103], v[32:33]
	v_fmac_f64_e32 v[102:103], v[104:105], v[30:31]
	v_add_f64 v[138:139], v[138:139], -v[102:103]
	ds_read_b128 v[102:105], v130 offset:9344
	v_add_f64 v[136:137], v[136:137], -v[140:141]
	;; [unrolled: 16-line block ×6, first 2 shown]
	s_waitcnt lgkmcnt(1)
	v_mul_f64 v[140:141], v[134:135], v[84:85]
	v_fma_f64 v[140:141], v[132:133], v[82:83], -v[140:141]
	v_mul_f64 v[132:133], v[132:133], v[84:85]
	v_fmac_f64_e32 v[132:133], v[134:135], v[82:83]
	v_add_f64 v[138:139], v[138:139], -v[132:133]
	s_waitcnt lgkmcnt(0)
	v_mul_f64 v[132:133], v[104:105], v[88:89]
	v_add_f64 v[136:137], v[136:137], -v[140:141]
	v_fma_f64 v[140:141], v[102:103], v[86:87], -v[132:133]
	ds_read_b128 v[132:135], v130 offset:9488
	v_mul_f64 v[102:103], v[102:103], v[88:89]
	v_fmac_f64_e32 v[102:103], v[104:105], v[86:87]
	v_add_f64 v[104:105], v[136:137], -v[140:141]
	v_add_f64 v[102:103], v[138:139], -v[102:103]
	ds_read_b128 v[136:139], v130 offset:9504
	s_waitcnt lgkmcnt(1)
	v_mul_f64 v[140:141], v[134:135], v[96:97]
	v_fma_f64 v[140:141], v[132:133], v[94:95], -v[140:141]
	v_mul_f64 v[132:133], v[132:133], v[96:97]
	v_fmac_f64_e32 v[132:133], v[134:135], v[94:95]
	v_add_f64 v[134:135], v[104:105], -v[140:141]
	v_add_f64 v[104:105], v[102:103], -v[132:133]
	s_waitcnt lgkmcnt(0)
	v_mul_f64 v[102:103], v[138:139], v[104:105]
	v_mul_f64 v[104:105], v[136:137], v[104:105]
	v_fma_f64 v[102:103], v[136:137], v[134:135], -v[102:103]
	v_fmac_f64_e32 v[104:105], v[138:139], v[134:135]
	ds_read_b128 v[132:135], v130 offset:9728
	ds_write_b128 v1, v[102:105] offset:9216
	ds_read_b128 v[136:139], v130 offset:9744
	ds_read_b128 v[140:143], v130 offset:9760
	;; [unrolled: 1-line block ×3, first 2 shown]
	s_waitcnt lgkmcnt(4)
	v_mul_f64 v[148:149], v[134:135], v[8:9]
	v_fma_f64 v[148:149], v[132:133], v[6:7], -v[148:149]
	v_mul_f64 v[132:133], v[132:133], v[8:9]
	v_fmac_f64_e32 v[132:133], v[134:135], v[6:7]
	v_add_f64 v[108:109], v[108:109], -v[132:133]
	s_waitcnt lgkmcnt(2)
	v_mul_f64 v[132:133], v[138:139], v[12:13]
	v_add_f64 v[106:107], v[106:107], -v[148:149]
	v_fma_f64 v[132:133], v[136:137], v[10:11], -v[132:133]
	v_mul_f64 v[134:135], v[136:137], v[12:13]
	v_fmac_f64_e32 v[134:135], v[138:139], v[10:11]
	v_add_f64 v[106:107], v[106:107], -v[132:133]
	s_waitcnt lgkmcnt(1)
	v_mul_f64 v[132:133], v[142:143], v[16:17]
	v_add_f64 v[108:109], v[108:109], -v[134:135]
	;; [unrolled: 7-line block ×3, first 2 shown]
	v_fma_f64 v[136:137], v[144:145], v[18:19], -v[106:107]
	ds_read_b128 v[106:109], v130 offset:9792
	v_mul_f64 v[138:139], v[144:145], v[20:21]
	v_fmac_f64_e32 v[138:139], v[146:147], v[18:19]
	v_add_f64 v[136:137], v[132:133], -v[136:137]
	v_add_f64 v[138:139], v[134:135], -v[138:139]
	ds_read_b128 v[132:135], v130 offset:9808
	s_waitcnt lgkmcnt(1)
	v_mul_f64 v[140:141], v[108:109], v[24:25]
	v_fma_f64 v[140:141], v[106:107], v[22:23], -v[140:141]
	v_mul_f64 v[106:107], v[106:107], v[24:25]
	v_fmac_f64_e32 v[106:107], v[108:109], v[22:23]
	v_add_f64 v[138:139], v[138:139], -v[106:107]
	s_waitcnt lgkmcnt(0)
	v_mul_f64 v[106:107], v[134:135], v[28:29]
	v_add_f64 v[136:137], v[136:137], -v[140:141]
	v_fma_f64 v[140:141], v[132:133], v[26:27], -v[106:107]
	ds_read_b128 v[106:109], v130 offset:9824
	v_mul_f64 v[132:133], v[132:133], v[28:29]
	v_fmac_f64_e32 v[132:133], v[134:135], v[26:27]
	v_add_f64 v[138:139], v[138:139], -v[132:133]
	ds_read_b128 v[132:135], v130 offset:9840
	v_add_f64 v[136:137], v[136:137], -v[140:141]
	s_waitcnt lgkmcnt(1)
	v_mul_f64 v[140:141], v[108:109], v[32:33]
	v_fma_f64 v[140:141], v[106:107], v[30:31], -v[140:141]
	v_mul_f64 v[106:107], v[106:107], v[32:33]
	v_fmac_f64_e32 v[106:107], v[108:109], v[30:31]
	v_add_f64 v[138:139], v[138:139], -v[106:107]
	s_waitcnt lgkmcnt(0)
	v_mul_f64 v[106:107], v[134:135], v[36:37]
	v_add_f64 v[136:137], v[136:137], -v[140:141]
	v_fma_f64 v[140:141], v[132:133], v[34:35], -v[106:107]
	ds_read_b128 v[106:109], v130 offset:9856
	v_mul_f64 v[132:133], v[132:133], v[36:37]
	v_fmac_f64_e32 v[132:133], v[134:135], v[34:35]
	v_add_f64 v[138:139], v[138:139], -v[132:133]
	ds_read_b128 v[132:135], v130 offset:9872
	v_add_f64 v[136:137], v[136:137], -v[140:141]
	;; [unrolled: 16-line block ×7, first 2 shown]
	s_waitcnt lgkmcnt(1)
	v_mul_f64 v[140:141], v[108:109], v[104:105]
	v_fma_f64 v[140:141], v[106:107], v[102:103], -v[140:141]
	v_mul_f64 v[106:107], v[106:107], v[104:105]
	v_fmac_f64_e32 v[106:107], v[108:109], v[102:103]
	v_add_f64 v[108:109], v[138:139], -v[106:107]
	v_add_f64 v[136:137], v[136:137], -v[140:141]
	s_waitcnt lgkmcnt(0)
	v_mul_f64 v[106:107], v[134:135], v[108:109]
	v_mul_f64 v[108:109], v[132:133], v[108:109]
	v_fma_f64 v[106:107], v[132:133], v[136:137], -v[106:107]
	v_fmac_f64_e32 v[108:109], v[134:135], v[136:137]
	ds_read_b128 v[132:135], v130 offset:10240
	ds_write_b128 v1, v[106:109] offset:9728
	ds_read_b128 v[136:139], v130 offset:10256
	ds_read_b128 v[140:143], v130 offset:10272
	;; [unrolled: 1-line block ×3, first 2 shown]
	s_waitcnt lgkmcnt(4)
	v_mul_f64 v[148:149], v[134:135], v[8:9]
	v_fma_f64 v[148:149], v[132:133], v[6:7], -v[148:149]
	v_mul_f64 v[132:133], v[132:133], v[8:9]
	v_fmac_f64_e32 v[132:133], v[134:135], v[6:7]
	v_add_f64 v[116:117], v[116:117], -v[132:133]
	s_waitcnt lgkmcnt(2)
	v_mul_f64 v[132:133], v[138:139], v[12:13]
	v_add_f64 v[114:115], v[114:115], -v[148:149]
	v_fma_f64 v[132:133], v[136:137], v[10:11], -v[132:133]
	v_mul_f64 v[134:135], v[136:137], v[12:13]
	v_fmac_f64_e32 v[134:135], v[138:139], v[10:11]
	v_add_f64 v[114:115], v[114:115], -v[132:133]
	s_waitcnt lgkmcnt(1)
	v_mul_f64 v[132:133], v[142:143], v[16:17]
	v_add_f64 v[116:117], v[116:117], -v[134:135]
	;; [unrolled: 7-line block ×3, first 2 shown]
	v_fma_f64 v[136:137], v[144:145], v[18:19], -v[114:115]
	ds_read_b128 v[114:117], v130 offset:10304
	v_mul_f64 v[138:139], v[144:145], v[20:21]
	v_fmac_f64_e32 v[138:139], v[146:147], v[18:19]
	v_add_f64 v[136:137], v[132:133], -v[136:137]
	v_add_f64 v[138:139], v[134:135], -v[138:139]
	ds_read_b128 v[132:135], v130 offset:10320
	s_waitcnt lgkmcnt(1)
	v_mul_f64 v[140:141], v[116:117], v[24:25]
	v_fma_f64 v[140:141], v[114:115], v[22:23], -v[140:141]
	v_mul_f64 v[114:115], v[114:115], v[24:25]
	v_fmac_f64_e32 v[114:115], v[116:117], v[22:23]
	v_add_f64 v[138:139], v[138:139], -v[114:115]
	s_waitcnt lgkmcnt(0)
	v_mul_f64 v[114:115], v[134:135], v[28:29]
	v_add_f64 v[136:137], v[136:137], -v[140:141]
	v_fma_f64 v[140:141], v[132:133], v[26:27], -v[114:115]
	ds_read_b128 v[114:117], v130 offset:10336
	v_mul_f64 v[132:133], v[132:133], v[28:29]
	v_fmac_f64_e32 v[132:133], v[134:135], v[26:27]
	v_add_f64 v[138:139], v[138:139], -v[132:133]
	ds_read_b128 v[132:135], v130 offset:10352
	v_add_f64 v[136:137], v[136:137], -v[140:141]
	s_waitcnt lgkmcnt(1)
	v_mul_f64 v[140:141], v[116:117], v[32:33]
	v_fma_f64 v[140:141], v[114:115], v[30:31], -v[140:141]
	v_mul_f64 v[114:115], v[114:115], v[32:33]
	v_fmac_f64_e32 v[114:115], v[116:117], v[30:31]
	v_add_f64 v[138:139], v[138:139], -v[114:115]
	s_waitcnt lgkmcnt(0)
	v_mul_f64 v[114:115], v[134:135], v[36:37]
	v_add_f64 v[136:137], v[136:137], -v[140:141]
	v_fma_f64 v[140:141], v[132:133], v[34:35], -v[114:115]
	ds_read_b128 v[114:117], v130 offset:10368
	v_mul_f64 v[132:133], v[132:133], v[36:37]
	v_fmac_f64_e32 v[132:133], v[134:135], v[34:35]
	v_add_f64 v[138:139], v[138:139], -v[132:133]
	ds_read_b128 v[132:135], v130 offset:10384
	v_add_f64 v[136:137], v[136:137], -v[140:141]
	s_waitcnt lgkmcnt(1)
	v_mul_f64 v[140:141], v[116:117], v[44:45]
	v_fma_f64 v[140:141], v[114:115], v[42:43], -v[140:141]
	v_mul_f64 v[114:115], v[114:115], v[44:45]
	v_fmac_f64_e32 v[114:115], v[116:117], v[42:43]
	v_add_f64 v[138:139], v[138:139], -v[114:115]
	s_waitcnt lgkmcnt(0)
	v_mul_f64 v[114:115], v[134:135], v[48:49]
	v_add_f64 v[136:137], v[136:137], -v[140:141]
	v_fma_f64 v[140:141], v[132:133], v[46:47], -v[114:115]
	ds_read_b128 v[114:117], v130 offset:10400
	v_mul_f64 v[132:133], v[132:133], v[48:49]
	v_fmac_f64_e32 v[132:133], v[134:135], v[46:47]
	v_add_f64 v[138:139], v[138:139], -v[132:133]
	ds_read_b128 v[132:135], v130 offset:10416
	v_add_f64 v[136:137], v[136:137], -v[140:141]
	s_waitcnt lgkmcnt(1)
	v_mul_f64 v[140:141], v[116:117], v[52:53]
	v_fma_f64 v[140:141], v[114:115], v[50:51], -v[140:141]
	v_mul_f64 v[114:115], v[114:115], v[52:53]
	v_fmac_f64_e32 v[114:115], v[116:117], v[50:51]
	v_add_f64 v[138:139], v[138:139], -v[114:115]
	s_waitcnt lgkmcnt(0)
	v_mul_f64 v[114:115], v[134:135], v[60:61]
	v_add_f64 v[136:137], v[136:137], -v[140:141]
	v_fma_f64 v[140:141], v[132:133], v[58:59], -v[114:115]
	ds_read_b128 v[114:117], v130 offset:10432
	v_mul_f64 v[132:133], v[132:133], v[60:61]
	v_fmac_f64_e32 v[132:133], v[134:135], v[58:59]
	v_add_f64 v[138:139], v[138:139], -v[132:133]
	ds_read_b128 v[132:135], v130 offset:10448
	v_add_f64 v[136:137], v[136:137], -v[140:141]
	s_waitcnt lgkmcnt(1)
	v_mul_f64 v[140:141], v[116:117], v[64:65]
	v_fma_f64 v[140:141], v[114:115], v[62:63], -v[140:141]
	v_mul_f64 v[114:115], v[114:115], v[64:65]
	v_fmac_f64_e32 v[114:115], v[116:117], v[62:63]
	v_add_f64 v[138:139], v[138:139], -v[114:115]
	s_waitcnt lgkmcnt(0)
	v_mul_f64 v[114:115], v[134:135], v[72:73]
	v_add_f64 v[136:137], v[136:137], -v[140:141]
	v_fma_f64 v[140:141], v[132:133], v[70:71], -v[114:115]
	ds_read_b128 v[114:117], v130 offset:10464
	v_mul_f64 v[132:133], v[132:133], v[72:73]
	v_fmac_f64_e32 v[132:133], v[134:135], v[70:71]
	v_add_f64 v[138:139], v[138:139], -v[132:133]
	ds_read_b128 v[132:135], v130 offset:10480
	v_add_f64 v[136:137], v[136:137], -v[140:141]
	s_waitcnt lgkmcnt(1)
	v_mul_f64 v[140:141], v[116:117], v[76:77]
	v_fma_f64 v[140:141], v[114:115], v[74:75], -v[140:141]
	v_mul_f64 v[114:115], v[114:115], v[76:77]
	v_fmac_f64_e32 v[114:115], v[116:117], v[74:75]
	v_add_f64 v[138:139], v[138:139], -v[114:115]
	s_waitcnt lgkmcnt(0)
	v_mul_f64 v[114:115], v[134:135], v[84:85]
	v_add_f64 v[136:137], v[136:137], -v[140:141]
	v_fma_f64 v[140:141], v[132:133], v[82:83], -v[114:115]
	ds_read_b128 v[114:117], v130 offset:10496
	v_mul_f64 v[132:133], v[132:133], v[84:85]
	v_fmac_f64_e32 v[132:133], v[134:135], v[82:83]
	v_add_f64 v[138:139], v[138:139], -v[132:133]
	ds_read_b128 v[132:135], v130 offset:10512
	v_add_f64 v[136:137], v[136:137], -v[140:141]
	s_waitcnt lgkmcnt(1)
	v_mul_f64 v[140:141], v[116:117], v[88:89]
	v_fma_f64 v[140:141], v[114:115], v[86:87], -v[140:141]
	v_mul_f64 v[114:115], v[114:115], v[88:89]
	v_fmac_f64_e32 v[114:115], v[116:117], v[86:87]
	v_add_f64 v[138:139], v[138:139], -v[114:115]
	s_waitcnt lgkmcnt(0)
	v_mul_f64 v[114:115], v[134:135], v[96:97]
	v_add_f64 v[136:137], v[136:137], -v[140:141]
	v_fma_f64 v[140:141], v[132:133], v[94:95], -v[114:115]
	v_mul_f64 v[132:133], v[132:133], v[96:97]
	ds_read_b128 v[114:117], v130 offset:10528
	v_fmac_f64_e32 v[132:133], v[134:135], v[94:95]
	v_add_f64 v[138:139], v[138:139], -v[132:133]
	ds_read_b128 v[132:135], v130 offset:10544
	v_add_f64 v[136:137], v[136:137], -v[140:141]
	s_waitcnt lgkmcnt(1)
	v_mul_f64 v[140:141], v[116:117], v[104:105]
	v_fma_f64 v[140:141], v[114:115], v[102:103], -v[140:141]
	v_mul_f64 v[114:115], v[114:115], v[104:105]
	v_fmac_f64_e32 v[114:115], v[116:117], v[102:103]
	v_add_f64 v[116:117], v[136:137], -v[140:141]
	s_waitcnt lgkmcnt(0)
	v_mul_f64 v[136:137], v[134:135], v[108:109]
	v_add_f64 v[114:115], v[138:139], -v[114:115]
	v_fma_f64 v[140:141], v[132:133], v[106:107], -v[136:137]
	ds_read_b128 v[136:139], v130 offset:10560
	v_mul_f64 v[132:133], v[132:133], v[108:109]
	v_fmac_f64_e32 v[132:133], v[134:135], v[106:107]
	v_add_f64 v[140:141], v[116:117], -v[140:141]
	v_add_f64 v[116:117], v[114:115], -v[132:133]
	ds_read_b128 v[132:135], v130 offset:10752
	s_waitcnt lgkmcnt(1)
	v_mul_f64 v[114:115], v[138:139], v[116:117]
	v_mul_f64 v[116:117], v[136:137], v[116:117]
	v_fma_f64 v[114:115], v[136:137], v[140:141], -v[114:115]
	v_fmac_f64_e32 v[116:117], v[138:139], v[140:141]
	ds_write_b128 v1, v[114:117] offset:10240
	ds_read_b128 v[136:139], v130 offset:10768
	ds_read_b128 v[140:143], v130 offset:10784
	;; [unrolled: 1-line block ×3, first 2 shown]
	s_waitcnt lgkmcnt(4)
	v_mul_f64 v[148:149], v[134:135], v[8:9]
	v_fma_f64 v[148:149], v[132:133], v[6:7], -v[148:149]
	v_mul_f64 v[132:133], v[132:133], v[8:9]
	v_fmac_f64_e32 v[132:133], v[134:135], v[6:7]
	v_add_f64 v[124:125], v[124:125], -v[132:133]
	s_waitcnt lgkmcnt(2)
	v_mul_f64 v[132:133], v[138:139], v[12:13]
	v_mul_f64 v[134:135], v[136:137], v[12:13]
	v_add_f64 v[122:123], v[122:123], -v[148:149]
	v_fma_f64 v[132:133], v[136:137], v[10:11], -v[132:133]
	v_fmac_f64_e32 v[134:135], v[138:139], v[10:11]
	v_add_f64 v[122:123], v[122:123], -v[132:133]
	v_add_f64 v[124:125], v[124:125], -v[134:135]
	s_waitcnt lgkmcnt(1)
	v_mul_f64 v[132:133], v[142:143], v[16:17]
	v_mul_f64 v[134:135], v[140:141], v[16:17]
	v_fma_f64 v[132:133], v[140:141], v[14:15], -v[132:133]
	v_fmac_f64_e32 v[134:135], v[142:143], v[14:15]
	v_add_f64 v[132:133], v[122:123], -v[132:133]
	v_add_f64 v[134:135], v[124:125], -v[134:135]
	ds_read_b128 v[122:125], v130 offset:10816
	s_waitcnt lgkmcnt(1)
	v_mul_f64 v[136:137], v[146:147], v[20:21]
	v_fma_f64 v[136:137], v[144:145], v[18:19], -v[136:137]
	v_mul_f64 v[138:139], v[144:145], v[20:21]
	v_fmac_f64_e32 v[138:139], v[146:147], v[18:19]
	v_add_f64 v[136:137], v[132:133], -v[136:137]
	s_waitcnt lgkmcnt(0)
	v_mul_f64 v[132:133], v[124:125], v[24:25]
	v_add_f64 v[138:139], v[134:135], -v[138:139]
	v_fma_f64 v[140:141], v[122:123], v[22:23], -v[132:133]
	ds_read_b128 v[132:135], v130 offset:10832
	v_mul_f64 v[122:123], v[122:123], v[24:25]
	v_fmac_f64_e32 v[122:123], v[124:125], v[22:23]
	v_add_f64 v[138:139], v[138:139], -v[122:123]
	ds_read_b128 v[122:125], v130 offset:10848
	v_add_f64 v[136:137], v[136:137], -v[140:141]
	s_waitcnt lgkmcnt(1)
	v_mul_f64 v[140:141], v[134:135], v[28:29]
	v_fma_f64 v[140:141], v[132:133], v[26:27], -v[140:141]
	v_mul_f64 v[132:133], v[132:133], v[28:29]
	v_fmac_f64_e32 v[132:133], v[134:135], v[26:27]
	v_add_f64 v[138:139], v[138:139], -v[132:133]
	s_waitcnt lgkmcnt(0)
	v_mul_f64 v[132:133], v[124:125], v[32:33]
	v_add_f64 v[136:137], v[136:137], -v[140:141]
	v_fma_f64 v[140:141], v[122:123], v[30:31], -v[132:133]
	ds_read_b128 v[132:135], v130 offset:10864
	v_mul_f64 v[122:123], v[122:123], v[32:33]
	v_fmac_f64_e32 v[122:123], v[124:125], v[30:31]
	v_add_f64 v[138:139], v[138:139], -v[122:123]
	ds_read_b128 v[122:125], v130 offset:10880
	v_add_f64 v[136:137], v[136:137], -v[140:141]
	;; [unrolled: 16-line block ×8, first 2 shown]
	s_waitcnt lgkmcnt(1)
	v_mul_f64 v[140:141], v[134:135], v[108:109]
	v_fma_f64 v[140:141], v[132:133], v[106:107], -v[140:141]
	v_mul_f64 v[132:133], v[132:133], v[108:109]
	v_fmac_f64_e32 v[132:133], v[134:135], v[106:107]
	v_add_f64 v[138:139], v[138:139], -v[132:133]
	s_waitcnt lgkmcnt(0)
	v_mul_f64 v[132:133], v[124:125], v[116:117]
	v_add_f64 v[136:137], v[136:137], -v[140:141]
	v_fma_f64 v[140:141], v[122:123], v[114:115], -v[132:133]
	ds_read_b128 v[132:135], v130 offset:11088
	v_mul_f64 v[122:123], v[122:123], v[116:117]
	v_fmac_f64_e32 v[122:123], v[124:125], v[114:115]
	v_add_f64 v[140:141], v[136:137], -v[140:141]
	v_add_f64 v[124:125], v[138:139], -v[122:123]
	ds_read_b128 v[136:139], v130 offset:11264
	s_waitcnt lgkmcnt(1)
	v_mul_f64 v[122:123], v[134:135], v[124:125]
	v_mul_f64 v[124:125], v[132:133], v[124:125]
	v_fma_f64 v[122:123], v[132:133], v[140:141], -v[122:123]
	v_fmac_f64_e32 v[124:125], v[134:135], v[140:141]
	ds_write_b128 v1, v[122:125] offset:10752
	ds_read_b128 v[132:135], v130 offset:11280
	ds_read_b128 v[140:143], v130 offset:11296
	;; [unrolled: 1-line block ×3, first 2 shown]
	s_waitcnt lgkmcnt(4)
	v_mul_f64 v[148:149], v[138:139], v[8:9]
	v_fma_f64 v[148:149], v[136:137], v[6:7], -v[148:149]
	v_mul_f64 v[136:137], v[136:137], v[8:9]
	v_fmac_f64_e32 v[136:137], v[138:139], v[6:7]
	v_add_f64 v[128:129], v[128:129], -v[136:137]
	s_waitcnt lgkmcnt(2)
	v_mul_f64 v[136:137], v[134:135], v[12:13]
	v_fma_f64 v[136:137], v[132:133], v[10:11], -v[136:137]
	v_mul_f64 v[132:133], v[132:133], v[12:13]
	v_fmac_f64_e32 v[132:133], v[134:135], v[10:11]
	v_add_f64 v[126:127], v[126:127], -v[148:149]
	v_add_f64 v[128:129], v[128:129], -v[132:133]
	s_waitcnt lgkmcnt(1)
	v_mul_f64 v[132:133], v[142:143], v[16:17]
	v_mul_f64 v[134:135], v[140:141], v[16:17]
	v_add_f64 v[126:127], v[126:127], -v[136:137]
	v_fma_f64 v[132:133], v[140:141], v[14:15], -v[132:133]
	v_fmac_f64_e32 v[134:135], v[142:143], v[14:15]
	v_add_f64 v[132:133], v[126:127], -v[132:133]
	v_add_f64 v[134:135], v[128:129], -v[134:135]
	ds_read_b128 v[126:129], v130 offset:11328
	s_waitcnt lgkmcnt(1)
	v_mul_f64 v[136:137], v[146:147], v[20:21]
	v_fma_f64 v[136:137], v[144:145], v[18:19], -v[136:137]
	v_mul_f64 v[138:139], v[144:145], v[20:21]
	v_fmac_f64_e32 v[138:139], v[146:147], v[18:19]
	v_add_f64 v[136:137], v[132:133], -v[136:137]
	s_waitcnt lgkmcnt(0)
	v_mul_f64 v[132:133], v[128:129], v[24:25]
	v_add_f64 v[138:139], v[134:135], -v[138:139]
	v_fma_f64 v[140:141], v[126:127], v[22:23], -v[132:133]
	ds_read_b128 v[132:135], v130 offset:11344
	v_mul_f64 v[126:127], v[126:127], v[24:25]
	v_fmac_f64_e32 v[126:127], v[128:129], v[22:23]
	v_add_f64 v[138:139], v[138:139], -v[126:127]
	ds_read_b128 v[126:129], v130 offset:11360
	v_add_f64 v[136:137], v[136:137], -v[140:141]
	s_waitcnt lgkmcnt(1)
	v_mul_f64 v[140:141], v[134:135], v[28:29]
	v_fma_f64 v[140:141], v[132:133], v[26:27], -v[140:141]
	v_mul_f64 v[132:133], v[132:133], v[28:29]
	v_fmac_f64_e32 v[132:133], v[134:135], v[26:27]
	v_add_f64 v[138:139], v[138:139], -v[132:133]
	s_waitcnt lgkmcnt(0)
	v_mul_f64 v[132:133], v[128:129], v[32:33]
	v_add_f64 v[136:137], v[136:137], -v[140:141]
	v_fma_f64 v[140:141], v[126:127], v[30:31], -v[132:133]
	ds_read_b128 v[132:135], v130 offset:11376
	v_mul_f64 v[126:127], v[126:127], v[32:33]
	v_fmac_f64_e32 v[126:127], v[128:129], v[30:31]
	v_add_f64 v[138:139], v[138:139], -v[126:127]
	ds_read_b128 v[126:129], v130 offset:11392
	v_add_f64 v[136:137], v[136:137], -v[140:141]
	;; [unrolled: 16-line block ×8, first 2 shown]
	s_waitcnt lgkmcnt(1)
	v_mul_f64 v[140:141], v[134:135], v[108:109]
	v_fma_f64 v[140:141], v[132:133], v[106:107], -v[140:141]
	v_mul_f64 v[132:133], v[132:133], v[108:109]
	v_fmac_f64_e32 v[132:133], v[134:135], v[106:107]
	v_add_f64 v[138:139], v[138:139], -v[132:133]
	s_waitcnt lgkmcnt(0)
	v_mul_f64 v[132:133], v[128:129], v[116:117]
	v_add_f64 v[136:137], v[136:137], -v[140:141]
	v_fma_f64 v[140:141], v[126:127], v[114:115], -v[132:133]
	ds_read_b128 v[132:135], v130 offset:11600
	v_mul_f64 v[126:127], v[126:127], v[116:117]
	v_fmac_f64_e32 v[126:127], v[128:129], v[114:115]
	v_add_f64 v[128:129], v[136:137], -v[140:141]
	v_add_f64 v[126:127], v[138:139], -v[126:127]
	ds_read_b128 v[136:139], v130 offset:11616
	s_waitcnt lgkmcnt(1)
	v_mul_f64 v[140:141], v[134:135], v[124:125]
	v_fma_f64 v[140:141], v[132:133], v[122:123], -v[140:141]
	v_mul_f64 v[132:133], v[132:133], v[124:125]
	v_fmac_f64_e32 v[132:133], v[134:135], v[122:123]
	v_add_f64 v[134:135], v[128:129], -v[140:141]
	v_add_f64 v[128:129], v[126:127], -v[132:133]
	s_waitcnt lgkmcnt(0)
	v_mul_f64 v[126:127], v[138:139], v[128:129]
	v_mul_f64 v[128:129], v[136:137], v[128:129]
	v_fma_f64 v[126:127], v[136:137], v[134:135], -v[126:127]
	v_fmac_f64_e32 v[128:129], v[138:139], v[134:135]
	ds_read_b128 v[132:135], v130 offset:11776
	ds_write_b128 v1, v[126:129] offset:11264
	ds_read_b128 v[136:139], v130 offset:11792
	ds_read_b128 v[140:143], v130 offset:11808
	;; [unrolled: 1-line block ×3, first 2 shown]
	s_waitcnt lgkmcnt(4)
	v_mul_f64 v[148:149], v[134:135], v[8:9]
	v_fma_f64 v[148:149], v[132:133], v[6:7], -v[148:149]
	v_mul_f64 v[132:133], v[132:133], v[8:9]
	v_fmac_f64_e32 v[132:133], v[134:135], v[6:7]
	v_add_f64 v[120:121], v[120:121], -v[132:133]
	s_waitcnt lgkmcnt(2)
	v_mul_f64 v[132:133], v[138:139], v[12:13]
	v_add_f64 v[118:119], v[118:119], -v[148:149]
	v_fma_f64 v[132:133], v[136:137], v[10:11], -v[132:133]
	v_mul_f64 v[134:135], v[136:137], v[12:13]
	v_fmac_f64_e32 v[134:135], v[138:139], v[10:11]
	v_add_f64 v[118:119], v[118:119], -v[132:133]
	s_waitcnt lgkmcnt(1)
	v_mul_f64 v[132:133], v[142:143], v[16:17]
	v_add_f64 v[120:121], v[120:121], -v[134:135]
	;; [unrolled: 7-line block ×3, first 2 shown]
	v_fma_f64 v[136:137], v[144:145], v[18:19], -v[118:119]
	ds_read_b128 v[118:121], v130 offset:11840
	v_mul_f64 v[138:139], v[144:145], v[20:21]
	v_fmac_f64_e32 v[138:139], v[146:147], v[18:19]
	v_add_f64 v[136:137], v[132:133], -v[136:137]
	v_add_f64 v[138:139], v[134:135], -v[138:139]
	ds_read_b128 v[132:135], v130 offset:11856
	s_waitcnt lgkmcnt(1)
	v_mul_f64 v[140:141], v[120:121], v[24:25]
	v_fma_f64 v[140:141], v[118:119], v[22:23], -v[140:141]
	v_mul_f64 v[118:119], v[118:119], v[24:25]
	v_fmac_f64_e32 v[118:119], v[120:121], v[22:23]
	v_add_f64 v[138:139], v[138:139], -v[118:119]
	s_waitcnt lgkmcnt(0)
	v_mul_f64 v[118:119], v[134:135], v[28:29]
	v_add_f64 v[136:137], v[136:137], -v[140:141]
	v_fma_f64 v[140:141], v[132:133], v[26:27], -v[118:119]
	ds_read_b128 v[118:121], v130 offset:11872
	v_mul_f64 v[132:133], v[132:133], v[28:29]
	v_fmac_f64_e32 v[132:133], v[134:135], v[26:27]
	v_add_f64 v[138:139], v[138:139], -v[132:133]
	ds_read_b128 v[132:135], v130 offset:11888
	v_add_f64 v[136:137], v[136:137], -v[140:141]
	s_waitcnt lgkmcnt(1)
	v_mul_f64 v[140:141], v[120:121], v[32:33]
	v_fma_f64 v[140:141], v[118:119], v[30:31], -v[140:141]
	v_mul_f64 v[118:119], v[118:119], v[32:33]
	v_fmac_f64_e32 v[118:119], v[120:121], v[30:31]
	v_add_f64 v[138:139], v[138:139], -v[118:119]
	s_waitcnt lgkmcnt(0)
	v_mul_f64 v[118:119], v[134:135], v[36:37]
	v_add_f64 v[136:137], v[136:137], -v[140:141]
	v_fma_f64 v[140:141], v[132:133], v[34:35], -v[118:119]
	ds_read_b128 v[118:121], v130 offset:11904
	v_mul_f64 v[132:133], v[132:133], v[36:37]
	v_fmac_f64_e32 v[132:133], v[134:135], v[34:35]
	v_add_f64 v[138:139], v[138:139], -v[132:133]
	ds_read_b128 v[132:135], v130 offset:11920
	v_add_f64 v[136:137], v[136:137], -v[140:141]
	;; [unrolled: 16-line block ×9, first 2 shown]
	s_waitcnt lgkmcnt(1)
	v_mul_f64 v[140:141], v[120:121], v[128:129]
	v_fma_f64 v[140:141], v[118:119], v[126:127], -v[140:141]
	v_mul_f64 v[118:119], v[118:119], v[128:129]
	v_fmac_f64_e32 v[118:119], v[120:121], v[126:127]
	v_add_f64 v[120:121], v[138:139], -v[118:119]
	v_add_f64 v[136:137], v[136:137], -v[140:141]
	s_waitcnt lgkmcnt(0)
	v_mul_f64 v[118:119], v[134:135], v[120:121]
	v_mul_f64 v[120:121], v[132:133], v[120:121]
	v_fma_f64 v[118:119], v[132:133], v[136:137], -v[118:119]
	v_fmac_f64_e32 v[120:121], v[134:135], v[136:137]
	ds_read_b128 v[132:135], v130 offset:12288
	ds_write_b128 v1, v[118:121] offset:11776
	ds_read_b128 v[136:139], v130 offset:12304
	ds_read_b128 v[140:143], v130 offset:12320
	;; [unrolled: 1-line block ×3, first 2 shown]
	s_waitcnt lgkmcnt(4)
	v_mul_f64 v[148:149], v[134:135], v[8:9]
	v_fma_f64 v[148:149], v[132:133], v[6:7], -v[148:149]
	v_mul_f64 v[132:133], v[132:133], v[8:9]
	v_fmac_f64_e32 v[132:133], v[134:135], v[6:7]
	v_add_f64 v[112:113], v[112:113], -v[132:133]
	s_waitcnt lgkmcnt(2)
	v_mul_f64 v[132:133], v[138:139], v[12:13]
	v_add_f64 v[110:111], v[110:111], -v[148:149]
	v_fma_f64 v[132:133], v[136:137], v[10:11], -v[132:133]
	v_mul_f64 v[134:135], v[136:137], v[12:13]
	v_fmac_f64_e32 v[134:135], v[138:139], v[10:11]
	v_add_f64 v[110:111], v[110:111], -v[132:133]
	s_waitcnt lgkmcnt(1)
	v_mul_f64 v[132:133], v[142:143], v[16:17]
	v_add_f64 v[112:113], v[112:113], -v[134:135]
	;; [unrolled: 7-line block ×3, first 2 shown]
	v_fma_f64 v[136:137], v[144:145], v[18:19], -v[110:111]
	ds_read_b128 v[110:113], v130 offset:12352
	v_mul_f64 v[138:139], v[144:145], v[20:21]
	v_fmac_f64_e32 v[138:139], v[146:147], v[18:19]
	v_add_f64 v[136:137], v[132:133], -v[136:137]
	v_add_f64 v[138:139], v[134:135], -v[138:139]
	ds_read_b128 v[132:135], v130 offset:12368
	s_waitcnt lgkmcnt(1)
	v_mul_f64 v[140:141], v[112:113], v[24:25]
	v_fma_f64 v[140:141], v[110:111], v[22:23], -v[140:141]
	v_mul_f64 v[110:111], v[110:111], v[24:25]
	v_fmac_f64_e32 v[110:111], v[112:113], v[22:23]
	v_add_f64 v[138:139], v[138:139], -v[110:111]
	s_waitcnt lgkmcnt(0)
	v_mul_f64 v[110:111], v[134:135], v[28:29]
	v_add_f64 v[136:137], v[136:137], -v[140:141]
	v_fma_f64 v[140:141], v[132:133], v[26:27], -v[110:111]
	ds_read_b128 v[110:113], v130 offset:12384
	v_mul_f64 v[132:133], v[132:133], v[28:29]
	v_fmac_f64_e32 v[132:133], v[134:135], v[26:27]
	v_add_f64 v[138:139], v[138:139], -v[132:133]
	ds_read_b128 v[132:135], v130 offset:12400
	v_add_f64 v[136:137], v[136:137], -v[140:141]
	s_waitcnt lgkmcnt(1)
	v_mul_f64 v[140:141], v[112:113], v[32:33]
	v_fma_f64 v[140:141], v[110:111], v[30:31], -v[140:141]
	v_mul_f64 v[110:111], v[110:111], v[32:33]
	v_fmac_f64_e32 v[110:111], v[112:113], v[30:31]
	v_add_f64 v[138:139], v[138:139], -v[110:111]
	s_waitcnt lgkmcnt(0)
	v_mul_f64 v[110:111], v[134:135], v[36:37]
	v_add_f64 v[136:137], v[136:137], -v[140:141]
	v_fma_f64 v[140:141], v[132:133], v[34:35], -v[110:111]
	ds_read_b128 v[110:113], v130 offset:12416
	v_mul_f64 v[132:133], v[132:133], v[36:37]
	v_fmac_f64_e32 v[132:133], v[134:135], v[34:35]
	v_add_f64 v[138:139], v[138:139], -v[132:133]
	ds_read_b128 v[132:135], v130 offset:12432
	v_add_f64 v[136:137], v[136:137], -v[140:141]
	s_waitcnt lgkmcnt(1)
	v_mul_f64 v[140:141], v[112:113], v[44:45]
	v_fma_f64 v[140:141], v[110:111], v[42:43], -v[140:141]
	v_mul_f64 v[110:111], v[110:111], v[44:45]
	v_fmac_f64_e32 v[110:111], v[112:113], v[42:43]
	v_add_f64 v[138:139], v[138:139], -v[110:111]
	s_waitcnt lgkmcnt(0)
	v_mul_f64 v[110:111], v[134:135], v[48:49]
	v_add_f64 v[136:137], v[136:137], -v[140:141]
	v_fma_f64 v[140:141], v[132:133], v[46:47], -v[110:111]
	ds_read_b128 v[110:113], v130 offset:12448
	v_mul_f64 v[132:133], v[132:133], v[48:49]
	v_fmac_f64_e32 v[132:133], v[134:135], v[46:47]
	v_add_f64 v[138:139], v[138:139], -v[132:133]
	ds_read_b128 v[132:135], v130 offset:12464
	v_add_f64 v[136:137], v[136:137], -v[140:141]
	s_waitcnt lgkmcnt(1)
	v_mul_f64 v[140:141], v[112:113], v[52:53]
	v_fma_f64 v[140:141], v[110:111], v[50:51], -v[140:141]
	v_mul_f64 v[110:111], v[110:111], v[52:53]
	v_fmac_f64_e32 v[110:111], v[112:113], v[50:51]
	v_add_f64 v[138:139], v[138:139], -v[110:111]
	s_waitcnt lgkmcnt(0)
	v_mul_f64 v[110:111], v[134:135], v[60:61]
	v_add_f64 v[136:137], v[136:137], -v[140:141]
	v_fma_f64 v[140:141], v[132:133], v[58:59], -v[110:111]
	ds_read_b128 v[110:113], v130 offset:12480
	v_mul_f64 v[132:133], v[132:133], v[60:61]
	v_fmac_f64_e32 v[132:133], v[134:135], v[58:59]
	v_add_f64 v[138:139], v[138:139], -v[132:133]
	ds_read_b128 v[132:135], v130 offset:12496
	v_add_f64 v[136:137], v[136:137], -v[140:141]
	s_waitcnt lgkmcnt(1)
	v_mul_f64 v[140:141], v[112:113], v[64:65]
	v_fma_f64 v[140:141], v[110:111], v[62:63], -v[140:141]
	v_mul_f64 v[110:111], v[110:111], v[64:65]
	v_fmac_f64_e32 v[110:111], v[112:113], v[62:63]
	v_add_f64 v[138:139], v[138:139], -v[110:111]
	s_waitcnt lgkmcnt(0)
	v_mul_f64 v[110:111], v[134:135], v[72:73]
	v_add_f64 v[136:137], v[136:137], -v[140:141]
	v_fma_f64 v[140:141], v[132:133], v[70:71], -v[110:111]
	ds_read_b128 v[110:113], v130 offset:12512
	v_mul_f64 v[132:133], v[132:133], v[72:73]
	v_fmac_f64_e32 v[132:133], v[134:135], v[70:71]
	v_add_f64 v[138:139], v[138:139], -v[132:133]
	ds_read_b128 v[132:135], v130 offset:12528
	v_add_f64 v[136:137], v[136:137], -v[140:141]
	s_waitcnt lgkmcnt(1)
	v_mul_f64 v[140:141], v[112:113], v[76:77]
	v_fma_f64 v[140:141], v[110:111], v[74:75], -v[140:141]
	v_mul_f64 v[110:111], v[110:111], v[76:77]
	v_fmac_f64_e32 v[110:111], v[112:113], v[74:75]
	v_add_f64 v[138:139], v[138:139], -v[110:111]
	s_waitcnt lgkmcnt(0)
	v_mul_f64 v[110:111], v[134:135], v[84:85]
	v_add_f64 v[136:137], v[136:137], -v[140:141]
	v_fma_f64 v[140:141], v[132:133], v[82:83], -v[110:111]
	ds_read_b128 v[110:113], v130 offset:12544
	v_mul_f64 v[132:133], v[132:133], v[84:85]
	v_fmac_f64_e32 v[132:133], v[134:135], v[82:83]
	v_add_f64 v[138:139], v[138:139], -v[132:133]
	ds_read_b128 v[132:135], v130 offset:12560
	v_add_f64 v[136:137], v[136:137], -v[140:141]
	s_waitcnt lgkmcnt(1)
	v_mul_f64 v[140:141], v[112:113], v[88:89]
	v_fma_f64 v[140:141], v[110:111], v[86:87], -v[140:141]
	v_mul_f64 v[110:111], v[110:111], v[88:89]
	v_fmac_f64_e32 v[110:111], v[112:113], v[86:87]
	v_add_f64 v[138:139], v[138:139], -v[110:111]
	s_waitcnt lgkmcnt(0)
	v_mul_f64 v[110:111], v[134:135], v[96:97]
	v_add_f64 v[136:137], v[136:137], -v[140:141]
	v_fma_f64 v[140:141], v[132:133], v[94:95], -v[110:111]
	ds_read_b128 v[110:113], v130 offset:12576
	v_mul_f64 v[132:133], v[132:133], v[96:97]
	v_fmac_f64_e32 v[132:133], v[134:135], v[94:95]
	v_add_f64 v[138:139], v[138:139], -v[132:133]
	ds_read_b128 v[132:135], v130 offset:12592
	v_add_f64 v[136:137], v[136:137], -v[140:141]
	s_waitcnt lgkmcnt(1)
	v_mul_f64 v[140:141], v[112:113], v[104:105]
	v_fma_f64 v[140:141], v[110:111], v[102:103], -v[140:141]
	v_mul_f64 v[110:111], v[110:111], v[104:105]
	v_fmac_f64_e32 v[110:111], v[112:113], v[102:103]
	v_add_f64 v[138:139], v[138:139], -v[110:111]
	s_waitcnt lgkmcnt(0)
	v_mul_f64 v[110:111], v[134:135], v[108:109]
	v_add_f64 v[136:137], v[136:137], -v[140:141]
	v_fma_f64 v[140:141], v[132:133], v[106:107], -v[110:111]
	ds_read_b128 v[110:113], v130 offset:12608
	v_mul_f64 v[132:133], v[132:133], v[108:109]
	v_fmac_f64_e32 v[132:133], v[134:135], v[106:107]
	v_add_f64 v[138:139], v[138:139], -v[132:133]
	ds_read_b128 v[132:135], v130 offset:12624
	v_add_f64 v[136:137], v[136:137], -v[140:141]
	s_waitcnt lgkmcnt(1)
	v_mul_f64 v[140:141], v[112:113], v[116:117]
	v_fma_f64 v[140:141], v[110:111], v[114:115], -v[140:141]
	v_mul_f64 v[110:111], v[110:111], v[116:117]
	v_fmac_f64_e32 v[110:111], v[112:113], v[114:115]
	v_add_f64 v[138:139], v[138:139], -v[110:111]
	s_waitcnt lgkmcnt(0)
	v_mul_f64 v[110:111], v[134:135], v[124:125]
	v_add_f64 v[136:137], v[136:137], -v[140:141]
	v_fma_f64 v[140:141], v[132:133], v[122:123], -v[110:111]
	v_mul_f64 v[132:133], v[132:133], v[124:125]
	ds_read_b128 v[110:113], v130 offset:12640
	v_fmac_f64_e32 v[132:133], v[134:135], v[122:123]
	v_add_f64 v[138:139], v[138:139], -v[132:133]
	ds_read_b128 v[132:135], v130 offset:12656
	v_add_f64 v[136:137], v[136:137], -v[140:141]
	s_waitcnt lgkmcnt(1)
	v_mul_f64 v[140:141], v[112:113], v[128:129]
	v_fma_f64 v[140:141], v[110:111], v[126:127], -v[140:141]
	v_mul_f64 v[110:111], v[110:111], v[128:129]
	v_fmac_f64_e32 v[110:111], v[112:113], v[126:127]
	v_add_f64 v[112:113], v[136:137], -v[140:141]
	s_waitcnt lgkmcnt(0)
	v_mul_f64 v[136:137], v[134:135], v[120:121]
	v_add_f64 v[110:111], v[138:139], -v[110:111]
	v_fma_f64 v[140:141], v[132:133], v[118:119], -v[136:137]
	ds_read_b128 v[136:139], v130 offset:12672
	v_mul_f64 v[132:133], v[132:133], v[120:121]
	v_fmac_f64_e32 v[132:133], v[134:135], v[118:119]
	v_add_f64 v[140:141], v[112:113], -v[140:141]
	v_add_f64 v[112:113], v[110:111], -v[132:133]
	ds_read_b128 v[132:135], v130 offset:12800
	s_waitcnt lgkmcnt(1)
	v_mul_f64 v[110:111], v[138:139], v[112:113]
	v_mul_f64 v[112:113], v[136:137], v[112:113]
	v_fma_f64 v[110:111], v[136:137], v[140:141], -v[110:111]
	v_fmac_f64_e32 v[112:113], v[138:139], v[140:141]
	ds_write_b128 v1, v[110:113] offset:12288
	ds_read_b128 v[136:139], v130 offset:12816
	ds_read_b128 v[140:143], v130 offset:12832
	;; [unrolled: 1-line block ×3, first 2 shown]
	s_waitcnt lgkmcnt(4)
	v_mul_f64 v[148:149], v[134:135], v[8:9]
	v_fma_f64 v[148:149], v[132:133], v[6:7], -v[148:149]
	v_mul_f64 v[132:133], v[132:133], v[8:9]
	v_fmac_f64_e32 v[132:133], v[134:135], v[6:7]
	v_add_f64 v[100:101], v[100:101], -v[132:133]
	s_waitcnt lgkmcnt(2)
	v_mul_f64 v[132:133], v[138:139], v[12:13]
	v_mul_f64 v[134:135], v[136:137], v[12:13]
	v_add_f64 v[98:99], v[98:99], -v[148:149]
	v_fma_f64 v[132:133], v[136:137], v[10:11], -v[132:133]
	v_fmac_f64_e32 v[134:135], v[138:139], v[10:11]
	v_add_f64 v[98:99], v[98:99], -v[132:133]
	v_add_f64 v[100:101], v[100:101], -v[134:135]
	s_waitcnt lgkmcnt(1)
	v_mul_f64 v[132:133], v[142:143], v[16:17]
	v_mul_f64 v[134:135], v[140:141], v[16:17]
	v_fma_f64 v[132:133], v[140:141], v[14:15], -v[132:133]
	v_fmac_f64_e32 v[134:135], v[142:143], v[14:15]
	v_add_f64 v[132:133], v[98:99], -v[132:133]
	v_add_f64 v[134:135], v[100:101], -v[134:135]
	ds_read_b128 v[98:101], v130 offset:12864
	s_waitcnt lgkmcnt(1)
	v_mul_f64 v[136:137], v[146:147], v[20:21]
	v_fma_f64 v[136:137], v[144:145], v[18:19], -v[136:137]
	v_mul_f64 v[138:139], v[144:145], v[20:21]
	v_fmac_f64_e32 v[138:139], v[146:147], v[18:19]
	v_add_f64 v[136:137], v[132:133], -v[136:137]
	s_waitcnt lgkmcnt(0)
	v_mul_f64 v[132:133], v[100:101], v[24:25]
	v_add_f64 v[138:139], v[134:135], -v[138:139]
	v_fma_f64 v[140:141], v[98:99], v[22:23], -v[132:133]
	ds_read_b128 v[132:135], v130 offset:12880
	v_mul_f64 v[98:99], v[98:99], v[24:25]
	v_fmac_f64_e32 v[98:99], v[100:101], v[22:23]
	v_add_f64 v[138:139], v[138:139], -v[98:99]
	ds_read_b128 v[98:101], v130 offset:12896
	v_add_f64 v[136:137], v[136:137], -v[140:141]
	s_waitcnt lgkmcnt(1)
	v_mul_f64 v[140:141], v[134:135], v[28:29]
	v_fma_f64 v[140:141], v[132:133], v[26:27], -v[140:141]
	v_mul_f64 v[132:133], v[132:133], v[28:29]
	v_fmac_f64_e32 v[132:133], v[134:135], v[26:27]
	v_add_f64 v[138:139], v[138:139], -v[132:133]
	s_waitcnt lgkmcnt(0)
	v_mul_f64 v[132:133], v[100:101], v[32:33]
	v_add_f64 v[136:137], v[136:137], -v[140:141]
	v_fma_f64 v[140:141], v[98:99], v[30:31], -v[132:133]
	ds_read_b128 v[132:135], v130 offset:12912
	v_mul_f64 v[98:99], v[98:99], v[32:33]
	v_fmac_f64_e32 v[98:99], v[100:101], v[30:31]
	v_add_f64 v[138:139], v[138:139], -v[98:99]
	ds_read_b128 v[98:101], v130 offset:12928
	v_add_f64 v[136:137], v[136:137], -v[140:141]
	;; [unrolled: 16-line block ×10, first 2 shown]
	s_waitcnt lgkmcnt(1)
	v_mul_f64 v[140:141], v[134:135], v[120:121]
	v_fma_f64 v[140:141], v[132:133], v[118:119], -v[140:141]
	v_mul_f64 v[132:133], v[132:133], v[120:121]
	v_fmac_f64_e32 v[132:133], v[134:135], v[118:119]
	v_add_f64 v[138:139], v[138:139], -v[132:133]
	s_waitcnt lgkmcnt(0)
	v_mul_f64 v[132:133], v[100:101], v[112:113]
	v_add_f64 v[136:137], v[136:137], -v[140:141]
	v_fma_f64 v[140:141], v[98:99], v[110:111], -v[132:133]
	ds_read_b128 v[132:135], v130 offset:13200
	v_mul_f64 v[98:99], v[98:99], v[112:113]
	v_fmac_f64_e32 v[98:99], v[100:101], v[110:111]
	v_add_f64 v[140:141], v[136:137], -v[140:141]
	v_add_f64 v[100:101], v[138:139], -v[98:99]
	ds_read_b128 v[136:139], v130 offset:13312
	s_waitcnt lgkmcnt(1)
	v_mul_f64 v[98:99], v[134:135], v[100:101]
	v_mul_f64 v[100:101], v[132:133], v[100:101]
	v_fma_f64 v[98:99], v[132:133], v[140:141], -v[98:99]
	v_fmac_f64_e32 v[100:101], v[134:135], v[140:141]
	ds_write_b128 v1, v[98:101] offset:12800
	ds_read_b128 v[132:135], v130 offset:13328
	ds_read_b128 v[140:143], v130 offset:13344
	;; [unrolled: 1-line block ×3, first 2 shown]
	s_waitcnt lgkmcnt(4)
	v_mul_f64 v[148:149], v[138:139], v[8:9]
	v_fma_f64 v[148:149], v[136:137], v[6:7], -v[148:149]
	v_mul_f64 v[136:137], v[136:137], v[8:9]
	v_fmac_f64_e32 v[136:137], v[138:139], v[6:7]
	v_add_f64 v[92:93], v[92:93], -v[136:137]
	s_waitcnt lgkmcnt(2)
	v_mul_f64 v[136:137], v[134:135], v[12:13]
	v_fma_f64 v[136:137], v[132:133], v[10:11], -v[136:137]
	v_mul_f64 v[132:133], v[132:133], v[12:13]
	v_fmac_f64_e32 v[132:133], v[134:135], v[10:11]
	v_add_f64 v[90:91], v[90:91], -v[148:149]
	v_add_f64 v[92:93], v[92:93], -v[132:133]
	s_waitcnt lgkmcnt(1)
	v_mul_f64 v[132:133], v[142:143], v[16:17]
	v_mul_f64 v[134:135], v[140:141], v[16:17]
	v_add_f64 v[90:91], v[90:91], -v[136:137]
	v_fma_f64 v[132:133], v[140:141], v[14:15], -v[132:133]
	v_fmac_f64_e32 v[134:135], v[142:143], v[14:15]
	v_add_f64 v[132:133], v[90:91], -v[132:133]
	v_add_f64 v[134:135], v[92:93], -v[134:135]
	ds_read_b128 v[90:93], v130 offset:13376
	s_waitcnt lgkmcnt(1)
	v_mul_f64 v[136:137], v[146:147], v[20:21]
	v_fma_f64 v[136:137], v[144:145], v[18:19], -v[136:137]
	v_mul_f64 v[138:139], v[144:145], v[20:21]
	v_fmac_f64_e32 v[138:139], v[146:147], v[18:19]
	v_add_f64 v[136:137], v[132:133], -v[136:137]
	s_waitcnt lgkmcnt(0)
	v_mul_f64 v[132:133], v[92:93], v[24:25]
	v_add_f64 v[138:139], v[134:135], -v[138:139]
	v_fma_f64 v[140:141], v[90:91], v[22:23], -v[132:133]
	ds_read_b128 v[132:135], v130 offset:13392
	v_mul_f64 v[90:91], v[90:91], v[24:25]
	v_fmac_f64_e32 v[90:91], v[92:93], v[22:23]
	v_add_f64 v[138:139], v[138:139], -v[90:91]
	ds_read_b128 v[90:93], v130 offset:13408
	v_add_f64 v[136:137], v[136:137], -v[140:141]
	s_waitcnt lgkmcnt(1)
	v_mul_f64 v[140:141], v[134:135], v[28:29]
	v_fma_f64 v[140:141], v[132:133], v[26:27], -v[140:141]
	v_mul_f64 v[132:133], v[132:133], v[28:29]
	v_fmac_f64_e32 v[132:133], v[134:135], v[26:27]
	v_add_f64 v[138:139], v[138:139], -v[132:133]
	s_waitcnt lgkmcnt(0)
	v_mul_f64 v[132:133], v[92:93], v[32:33]
	v_add_f64 v[136:137], v[136:137], -v[140:141]
	v_fma_f64 v[140:141], v[90:91], v[30:31], -v[132:133]
	ds_read_b128 v[132:135], v130 offset:13424
	v_mul_f64 v[90:91], v[90:91], v[32:33]
	v_fmac_f64_e32 v[90:91], v[92:93], v[30:31]
	v_add_f64 v[138:139], v[138:139], -v[90:91]
	ds_read_b128 v[90:93], v130 offset:13440
	v_add_f64 v[136:137], v[136:137], -v[140:141]
	s_waitcnt lgkmcnt(1)
	v_mul_f64 v[140:141], v[134:135], v[36:37]
	v_fma_f64 v[140:141], v[132:133], v[34:35], -v[140:141]
	v_mul_f64 v[132:133], v[132:133], v[36:37]
	v_fmac_f64_e32 v[132:133], v[134:135], v[34:35]
	v_add_f64 v[138:139], v[138:139], -v[132:133]
	s_waitcnt lgkmcnt(0)
	v_mul_f64 v[132:133], v[92:93], v[44:45]
	v_add_f64 v[136:137], v[136:137], -v[140:141]
	v_fma_f64 v[140:141], v[90:91], v[42:43], -v[132:133]
	ds_read_b128 v[132:135], v130 offset:13456
	v_mul_f64 v[90:91], v[90:91], v[44:45]
	v_fmac_f64_e32 v[90:91], v[92:93], v[42:43]
	v_add_f64 v[138:139], v[138:139], -v[90:91]
	ds_read_b128 v[90:93], v130 offset:13472
	v_add_f64 v[136:137], v[136:137], -v[140:141]
	s_waitcnt lgkmcnt(1)
	v_mul_f64 v[140:141], v[134:135], v[48:49]
	v_fma_f64 v[140:141], v[132:133], v[46:47], -v[140:141]
	v_mul_f64 v[132:133], v[132:133], v[48:49]
	v_fmac_f64_e32 v[132:133], v[134:135], v[46:47]
	v_add_f64 v[138:139], v[138:139], -v[132:133]
	s_waitcnt lgkmcnt(0)
	v_mul_f64 v[132:133], v[92:93], v[52:53]
	v_add_f64 v[136:137], v[136:137], -v[140:141]
	v_fma_f64 v[140:141], v[90:91], v[50:51], -v[132:133]
	ds_read_b128 v[132:135], v130 offset:13488
	v_mul_f64 v[90:91], v[90:91], v[52:53]
	v_fmac_f64_e32 v[90:91], v[92:93], v[50:51]
	v_add_f64 v[138:139], v[138:139], -v[90:91]
	ds_read_b128 v[90:93], v130 offset:13504
	v_add_f64 v[136:137], v[136:137], -v[140:141]
	s_waitcnt lgkmcnt(1)
	v_mul_f64 v[140:141], v[134:135], v[60:61]
	v_fma_f64 v[140:141], v[132:133], v[58:59], -v[140:141]
	v_mul_f64 v[132:133], v[132:133], v[60:61]
	v_fmac_f64_e32 v[132:133], v[134:135], v[58:59]
	v_add_f64 v[138:139], v[138:139], -v[132:133]
	s_waitcnt lgkmcnt(0)
	v_mul_f64 v[132:133], v[92:93], v[64:65]
	v_add_f64 v[136:137], v[136:137], -v[140:141]
	v_fma_f64 v[140:141], v[90:91], v[62:63], -v[132:133]
	ds_read_b128 v[132:135], v130 offset:13520
	v_mul_f64 v[90:91], v[90:91], v[64:65]
	v_fmac_f64_e32 v[90:91], v[92:93], v[62:63]
	v_add_f64 v[138:139], v[138:139], -v[90:91]
	ds_read_b128 v[90:93], v130 offset:13536
	v_add_f64 v[136:137], v[136:137], -v[140:141]
	s_waitcnt lgkmcnt(1)
	v_mul_f64 v[140:141], v[134:135], v[72:73]
	v_fma_f64 v[140:141], v[132:133], v[70:71], -v[140:141]
	v_mul_f64 v[132:133], v[132:133], v[72:73]
	v_fmac_f64_e32 v[132:133], v[134:135], v[70:71]
	v_add_f64 v[138:139], v[138:139], -v[132:133]
	s_waitcnt lgkmcnt(0)
	v_mul_f64 v[132:133], v[92:93], v[76:77]
	v_add_f64 v[136:137], v[136:137], -v[140:141]
	v_fma_f64 v[140:141], v[90:91], v[74:75], -v[132:133]
	ds_read_b128 v[132:135], v130 offset:13552
	v_mul_f64 v[90:91], v[90:91], v[76:77]
	v_fmac_f64_e32 v[90:91], v[92:93], v[74:75]
	v_add_f64 v[138:139], v[138:139], -v[90:91]
	ds_read_b128 v[90:93], v130 offset:13568
	v_add_f64 v[136:137], v[136:137], -v[140:141]
	s_waitcnt lgkmcnt(1)
	v_mul_f64 v[140:141], v[134:135], v[84:85]
	v_fma_f64 v[140:141], v[132:133], v[82:83], -v[140:141]
	v_mul_f64 v[132:133], v[132:133], v[84:85]
	v_fmac_f64_e32 v[132:133], v[134:135], v[82:83]
	v_add_f64 v[138:139], v[138:139], -v[132:133]
	s_waitcnt lgkmcnt(0)
	v_mul_f64 v[132:133], v[92:93], v[88:89]
	v_add_f64 v[136:137], v[136:137], -v[140:141]
	v_fma_f64 v[140:141], v[90:91], v[86:87], -v[132:133]
	ds_read_b128 v[132:135], v130 offset:13584
	v_mul_f64 v[90:91], v[90:91], v[88:89]
	v_fmac_f64_e32 v[90:91], v[92:93], v[86:87]
	v_add_f64 v[138:139], v[138:139], -v[90:91]
	ds_read_b128 v[90:93], v130 offset:13600
	v_add_f64 v[136:137], v[136:137], -v[140:141]
	s_waitcnt lgkmcnt(1)
	v_mul_f64 v[140:141], v[134:135], v[96:97]
	v_fma_f64 v[140:141], v[132:133], v[94:95], -v[140:141]
	v_mul_f64 v[132:133], v[132:133], v[96:97]
	v_fmac_f64_e32 v[132:133], v[134:135], v[94:95]
	v_add_f64 v[138:139], v[138:139], -v[132:133]
	s_waitcnt lgkmcnt(0)
	v_mul_f64 v[132:133], v[92:93], v[104:105]
	v_add_f64 v[136:137], v[136:137], -v[140:141]
	v_fma_f64 v[140:141], v[90:91], v[102:103], -v[132:133]
	ds_read_b128 v[132:135], v130 offset:13616
	v_mul_f64 v[90:91], v[90:91], v[104:105]
	v_fmac_f64_e32 v[90:91], v[92:93], v[102:103]
	v_add_f64 v[138:139], v[138:139], -v[90:91]
	ds_read_b128 v[90:93], v130 offset:13632
	v_add_f64 v[136:137], v[136:137], -v[140:141]
	s_waitcnt lgkmcnt(1)
	v_mul_f64 v[140:141], v[134:135], v[108:109]
	v_fma_f64 v[140:141], v[132:133], v[106:107], -v[140:141]
	v_mul_f64 v[132:133], v[132:133], v[108:109]
	v_fmac_f64_e32 v[132:133], v[134:135], v[106:107]
	v_add_f64 v[138:139], v[138:139], -v[132:133]
	s_waitcnt lgkmcnt(0)
	v_mul_f64 v[132:133], v[92:93], v[116:117]
	v_add_f64 v[136:137], v[136:137], -v[140:141]
	v_fma_f64 v[140:141], v[90:91], v[114:115], -v[132:133]
	ds_read_b128 v[132:135], v130 offset:13648
	v_mul_f64 v[90:91], v[90:91], v[116:117]
	v_fmac_f64_e32 v[90:91], v[92:93], v[114:115]
	v_add_f64 v[138:139], v[138:139], -v[90:91]
	ds_read_b128 v[90:93], v130 offset:13664
	v_add_f64 v[136:137], v[136:137], -v[140:141]
	s_waitcnt lgkmcnt(1)
	v_mul_f64 v[140:141], v[134:135], v[124:125]
	v_fma_f64 v[140:141], v[132:133], v[122:123], -v[140:141]
	v_mul_f64 v[132:133], v[132:133], v[124:125]
	v_fmac_f64_e32 v[132:133], v[134:135], v[122:123]
	v_add_f64 v[138:139], v[138:139], -v[132:133]
	s_waitcnt lgkmcnt(0)
	v_mul_f64 v[132:133], v[92:93], v[128:129]
	v_add_f64 v[136:137], v[136:137], -v[140:141]
	v_fma_f64 v[140:141], v[90:91], v[126:127], -v[132:133]
	ds_read_b128 v[132:135], v130 offset:13680
	v_mul_f64 v[90:91], v[90:91], v[128:129]
	v_fmac_f64_e32 v[90:91], v[92:93], v[126:127]
	v_add_f64 v[138:139], v[138:139], -v[90:91]
	ds_read_b128 v[90:93], v130 offset:13696
	v_add_f64 v[136:137], v[136:137], -v[140:141]
	s_waitcnt lgkmcnt(1)
	v_mul_f64 v[140:141], v[134:135], v[120:121]
	v_fma_f64 v[140:141], v[132:133], v[118:119], -v[140:141]
	v_mul_f64 v[132:133], v[132:133], v[120:121]
	v_fmac_f64_e32 v[132:133], v[134:135], v[118:119]
	v_add_f64 v[138:139], v[138:139], -v[132:133]
	s_waitcnt lgkmcnt(0)
	v_mul_f64 v[132:133], v[92:93], v[112:113]
	v_add_f64 v[136:137], v[136:137], -v[140:141]
	v_fma_f64 v[140:141], v[90:91], v[110:111], -v[132:133]
	ds_read_b128 v[132:135], v130 offset:13712
	v_mul_f64 v[90:91], v[90:91], v[112:113]
	v_fmac_f64_e32 v[90:91], v[92:93], v[110:111]
	v_add_f64 v[92:93], v[136:137], -v[140:141]
	v_add_f64 v[90:91], v[138:139], -v[90:91]
	ds_read_b128 v[136:139], v130 offset:13728
	s_waitcnt lgkmcnt(1)
	v_mul_f64 v[140:141], v[134:135], v[100:101]
	v_fma_f64 v[140:141], v[132:133], v[98:99], -v[140:141]
	v_mul_f64 v[132:133], v[132:133], v[100:101]
	v_fmac_f64_e32 v[132:133], v[134:135], v[98:99]
	v_add_f64 v[134:135], v[92:93], -v[140:141]
	v_add_f64 v[92:93], v[90:91], -v[132:133]
	s_waitcnt lgkmcnt(0)
	v_mul_f64 v[90:91], v[138:139], v[92:93]
	v_mul_f64 v[92:93], v[136:137], v[92:93]
	v_fma_f64 v[90:91], v[136:137], v[134:135], -v[90:91]
	v_fmac_f64_e32 v[92:93], v[138:139], v[134:135]
	ds_read_b128 v[132:135], v130 offset:13824
	ds_write_b128 v1, v[90:93] offset:13312
	ds_read_b128 v[136:139], v130 offset:13840
	ds_read_b128 v[140:143], v130 offset:13856
	;; [unrolled: 1-line block ×3, first 2 shown]
	s_waitcnt lgkmcnt(4)
	v_mul_f64 v[148:149], v[134:135], v[8:9]
	v_fma_f64 v[148:149], v[132:133], v[6:7], -v[148:149]
	v_mul_f64 v[132:133], v[132:133], v[8:9]
	v_fmac_f64_e32 v[132:133], v[134:135], v[6:7]
	v_add_f64 v[80:81], v[80:81], -v[132:133]
	s_waitcnt lgkmcnt(2)
	v_mul_f64 v[132:133], v[138:139], v[12:13]
	v_add_f64 v[78:79], v[78:79], -v[148:149]
	v_fma_f64 v[132:133], v[136:137], v[10:11], -v[132:133]
	v_mul_f64 v[134:135], v[136:137], v[12:13]
	v_fmac_f64_e32 v[134:135], v[138:139], v[10:11]
	v_add_f64 v[78:79], v[78:79], -v[132:133]
	s_waitcnt lgkmcnt(1)
	v_mul_f64 v[132:133], v[142:143], v[16:17]
	v_add_f64 v[80:81], v[80:81], -v[134:135]
	;; [unrolled: 7-line block ×3, first 2 shown]
	v_fma_f64 v[136:137], v[144:145], v[18:19], -v[78:79]
	ds_read_b128 v[78:81], v130 offset:13888
	v_mul_f64 v[138:139], v[144:145], v[20:21]
	v_fmac_f64_e32 v[138:139], v[146:147], v[18:19]
	v_add_f64 v[136:137], v[132:133], -v[136:137]
	v_add_f64 v[138:139], v[134:135], -v[138:139]
	ds_read_b128 v[132:135], v130 offset:13904
	s_waitcnt lgkmcnt(1)
	v_mul_f64 v[140:141], v[80:81], v[24:25]
	v_fma_f64 v[140:141], v[78:79], v[22:23], -v[140:141]
	v_mul_f64 v[78:79], v[78:79], v[24:25]
	v_fmac_f64_e32 v[78:79], v[80:81], v[22:23]
	v_add_f64 v[138:139], v[138:139], -v[78:79]
	s_waitcnt lgkmcnt(0)
	v_mul_f64 v[78:79], v[134:135], v[28:29]
	v_add_f64 v[136:137], v[136:137], -v[140:141]
	v_fma_f64 v[140:141], v[132:133], v[26:27], -v[78:79]
	ds_read_b128 v[78:81], v130 offset:13920
	v_mul_f64 v[132:133], v[132:133], v[28:29]
	v_fmac_f64_e32 v[132:133], v[134:135], v[26:27]
	v_add_f64 v[138:139], v[138:139], -v[132:133]
	ds_read_b128 v[132:135], v130 offset:13936
	v_add_f64 v[136:137], v[136:137], -v[140:141]
	s_waitcnt lgkmcnt(1)
	v_mul_f64 v[140:141], v[80:81], v[32:33]
	v_fma_f64 v[140:141], v[78:79], v[30:31], -v[140:141]
	v_mul_f64 v[78:79], v[78:79], v[32:33]
	v_fmac_f64_e32 v[78:79], v[80:81], v[30:31]
	v_add_f64 v[138:139], v[138:139], -v[78:79]
	s_waitcnt lgkmcnt(0)
	v_mul_f64 v[78:79], v[134:135], v[36:37]
	v_add_f64 v[136:137], v[136:137], -v[140:141]
	v_fma_f64 v[140:141], v[132:133], v[34:35], -v[78:79]
	ds_read_b128 v[78:81], v130 offset:13952
	v_mul_f64 v[132:133], v[132:133], v[36:37]
	v_fmac_f64_e32 v[132:133], v[134:135], v[34:35]
	v_add_f64 v[138:139], v[138:139], -v[132:133]
	ds_read_b128 v[132:135], v130 offset:13968
	v_add_f64 v[136:137], v[136:137], -v[140:141]
	s_waitcnt lgkmcnt(1)
	v_mul_f64 v[140:141], v[80:81], v[44:45]
	v_fma_f64 v[140:141], v[78:79], v[42:43], -v[140:141]
	v_mul_f64 v[78:79], v[78:79], v[44:45]
	v_fmac_f64_e32 v[78:79], v[80:81], v[42:43]
	v_add_f64 v[138:139], v[138:139], -v[78:79]
	s_waitcnt lgkmcnt(0)
	v_mul_f64 v[78:79], v[134:135], v[48:49]
	v_add_f64 v[136:137], v[136:137], -v[140:141]
	v_fma_f64 v[140:141], v[132:133], v[46:47], -v[78:79]
	ds_read_b128 v[78:81], v130 offset:13984
	v_mul_f64 v[132:133], v[132:133], v[48:49]
	v_fmac_f64_e32 v[132:133], v[134:135], v[46:47]
	v_add_f64 v[138:139], v[138:139], -v[132:133]
	ds_read_b128 v[132:135], v130 offset:14000
	v_add_f64 v[136:137], v[136:137], -v[140:141]
	s_waitcnt lgkmcnt(1)
	v_mul_f64 v[140:141], v[80:81], v[52:53]
	v_fma_f64 v[140:141], v[78:79], v[50:51], -v[140:141]
	v_mul_f64 v[78:79], v[78:79], v[52:53]
	v_fmac_f64_e32 v[78:79], v[80:81], v[50:51]
	v_add_f64 v[138:139], v[138:139], -v[78:79]
	s_waitcnt lgkmcnt(0)
	v_mul_f64 v[78:79], v[134:135], v[60:61]
	v_add_f64 v[136:137], v[136:137], -v[140:141]
	v_fma_f64 v[140:141], v[132:133], v[58:59], -v[78:79]
	ds_read_b128 v[78:81], v130 offset:14016
	v_mul_f64 v[132:133], v[132:133], v[60:61]
	v_fmac_f64_e32 v[132:133], v[134:135], v[58:59]
	v_add_f64 v[138:139], v[138:139], -v[132:133]
	ds_read_b128 v[132:135], v130 offset:14032
	v_add_f64 v[136:137], v[136:137], -v[140:141]
	s_waitcnt lgkmcnt(1)
	v_mul_f64 v[140:141], v[80:81], v[64:65]
	v_fma_f64 v[140:141], v[78:79], v[62:63], -v[140:141]
	v_mul_f64 v[78:79], v[78:79], v[64:65]
	v_fmac_f64_e32 v[78:79], v[80:81], v[62:63]
	v_add_f64 v[138:139], v[138:139], -v[78:79]
	s_waitcnt lgkmcnt(0)
	v_mul_f64 v[78:79], v[134:135], v[72:73]
	v_add_f64 v[136:137], v[136:137], -v[140:141]
	v_fma_f64 v[140:141], v[132:133], v[70:71], -v[78:79]
	ds_read_b128 v[78:81], v130 offset:14048
	v_mul_f64 v[132:133], v[132:133], v[72:73]
	v_fmac_f64_e32 v[132:133], v[134:135], v[70:71]
	v_add_f64 v[138:139], v[138:139], -v[132:133]
	ds_read_b128 v[132:135], v130 offset:14064
	v_add_f64 v[136:137], v[136:137], -v[140:141]
	s_waitcnt lgkmcnt(1)
	v_mul_f64 v[140:141], v[80:81], v[76:77]
	v_fma_f64 v[140:141], v[78:79], v[74:75], -v[140:141]
	v_mul_f64 v[78:79], v[78:79], v[76:77]
	v_fmac_f64_e32 v[78:79], v[80:81], v[74:75]
	v_add_f64 v[138:139], v[138:139], -v[78:79]
	s_waitcnt lgkmcnt(0)
	v_mul_f64 v[78:79], v[134:135], v[84:85]
	v_add_f64 v[136:137], v[136:137], -v[140:141]
	v_fma_f64 v[140:141], v[132:133], v[82:83], -v[78:79]
	ds_read_b128 v[78:81], v130 offset:14080
	v_mul_f64 v[132:133], v[132:133], v[84:85]
	v_fmac_f64_e32 v[132:133], v[134:135], v[82:83]
	v_add_f64 v[138:139], v[138:139], -v[132:133]
	ds_read_b128 v[132:135], v130 offset:14096
	v_add_f64 v[136:137], v[136:137], -v[140:141]
	s_waitcnt lgkmcnt(1)
	v_mul_f64 v[140:141], v[80:81], v[88:89]
	v_fma_f64 v[140:141], v[78:79], v[86:87], -v[140:141]
	v_mul_f64 v[78:79], v[78:79], v[88:89]
	v_fmac_f64_e32 v[78:79], v[80:81], v[86:87]
	v_add_f64 v[138:139], v[138:139], -v[78:79]
	s_waitcnt lgkmcnt(0)
	v_mul_f64 v[78:79], v[134:135], v[96:97]
	v_add_f64 v[136:137], v[136:137], -v[140:141]
	v_fma_f64 v[140:141], v[132:133], v[94:95], -v[78:79]
	ds_read_b128 v[78:81], v130 offset:14112
	v_mul_f64 v[132:133], v[132:133], v[96:97]
	v_fmac_f64_e32 v[132:133], v[134:135], v[94:95]
	v_add_f64 v[138:139], v[138:139], -v[132:133]
	ds_read_b128 v[132:135], v130 offset:14128
	v_add_f64 v[136:137], v[136:137], -v[140:141]
	s_waitcnt lgkmcnt(1)
	v_mul_f64 v[140:141], v[80:81], v[104:105]
	v_fma_f64 v[140:141], v[78:79], v[102:103], -v[140:141]
	v_mul_f64 v[78:79], v[78:79], v[104:105]
	v_fmac_f64_e32 v[78:79], v[80:81], v[102:103]
	v_add_f64 v[138:139], v[138:139], -v[78:79]
	s_waitcnt lgkmcnt(0)
	v_mul_f64 v[78:79], v[134:135], v[108:109]
	v_add_f64 v[136:137], v[136:137], -v[140:141]
	v_fma_f64 v[140:141], v[132:133], v[106:107], -v[78:79]
	ds_read_b128 v[78:81], v130 offset:14144
	v_mul_f64 v[132:133], v[132:133], v[108:109]
	v_fmac_f64_e32 v[132:133], v[134:135], v[106:107]
	v_add_f64 v[138:139], v[138:139], -v[132:133]
	ds_read_b128 v[132:135], v130 offset:14160
	v_add_f64 v[136:137], v[136:137], -v[140:141]
	s_waitcnt lgkmcnt(1)
	v_mul_f64 v[140:141], v[80:81], v[116:117]
	v_fma_f64 v[140:141], v[78:79], v[114:115], -v[140:141]
	v_mul_f64 v[78:79], v[78:79], v[116:117]
	v_fmac_f64_e32 v[78:79], v[80:81], v[114:115]
	v_add_f64 v[138:139], v[138:139], -v[78:79]
	s_waitcnt lgkmcnt(0)
	v_mul_f64 v[78:79], v[134:135], v[124:125]
	v_add_f64 v[136:137], v[136:137], -v[140:141]
	v_fma_f64 v[140:141], v[132:133], v[122:123], -v[78:79]
	ds_read_b128 v[78:81], v130 offset:14176
	v_mul_f64 v[132:133], v[132:133], v[124:125]
	v_fmac_f64_e32 v[132:133], v[134:135], v[122:123]
	v_add_f64 v[138:139], v[138:139], -v[132:133]
	ds_read_b128 v[132:135], v130 offset:14192
	v_add_f64 v[136:137], v[136:137], -v[140:141]
	s_waitcnt lgkmcnt(1)
	v_mul_f64 v[140:141], v[80:81], v[128:129]
	v_fma_f64 v[140:141], v[78:79], v[126:127], -v[140:141]
	v_mul_f64 v[78:79], v[78:79], v[128:129]
	v_fmac_f64_e32 v[78:79], v[80:81], v[126:127]
	v_add_f64 v[138:139], v[138:139], -v[78:79]
	s_waitcnt lgkmcnt(0)
	v_mul_f64 v[78:79], v[134:135], v[120:121]
	v_add_f64 v[136:137], v[136:137], -v[140:141]
	v_fma_f64 v[140:141], v[132:133], v[118:119], -v[78:79]
	ds_read_b128 v[78:81], v130 offset:14208
	v_mul_f64 v[132:133], v[132:133], v[120:121]
	v_fmac_f64_e32 v[132:133], v[134:135], v[118:119]
	v_add_f64 v[138:139], v[138:139], -v[132:133]
	ds_read_b128 v[132:135], v130 offset:14224
	v_add_f64 v[136:137], v[136:137], -v[140:141]
	s_waitcnt lgkmcnt(1)
	v_mul_f64 v[140:141], v[80:81], v[112:113]
	v_fma_f64 v[140:141], v[78:79], v[110:111], -v[140:141]
	v_mul_f64 v[78:79], v[78:79], v[112:113]
	v_fmac_f64_e32 v[78:79], v[80:81], v[110:111]
	v_add_f64 v[138:139], v[138:139], -v[78:79]
	s_waitcnt lgkmcnt(0)
	v_mul_f64 v[78:79], v[134:135], v[100:101]
	v_add_f64 v[136:137], v[136:137], -v[140:141]
	v_fma_f64 v[140:141], v[132:133], v[98:99], -v[78:79]
	ds_read_b128 v[78:81], v130 offset:14240
	v_mul_f64 v[132:133], v[132:133], v[100:101]
	v_fmac_f64_e32 v[132:133], v[134:135], v[98:99]
	v_add_f64 v[138:139], v[138:139], -v[132:133]
	ds_read_b128 v[132:135], v130 offset:14256
	v_add_f64 v[136:137], v[136:137], -v[140:141]
	s_waitcnt lgkmcnt(1)
	v_mul_f64 v[140:141], v[80:81], v[92:93]
	v_fma_f64 v[140:141], v[78:79], v[90:91], -v[140:141]
	v_mul_f64 v[78:79], v[78:79], v[92:93]
	v_fmac_f64_e32 v[78:79], v[80:81], v[90:91]
	v_add_f64 v[80:81], v[138:139], -v[78:79]
	v_add_f64 v[136:137], v[136:137], -v[140:141]
	s_waitcnt lgkmcnt(0)
	v_mul_f64 v[78:79], v[134:135], v[80:81]
	v_mul_f64 v[80:81], v[132:133], v[80:81]
	v_fma_f64 v[78:79], v[132:133], v[136:137], -v[78:79]
	v_fmac_f64_e32 v[80:81], v[134:135], v[136:137]
	ds_read_b128 v[132:135], v130 offset:14336
	ds_write_b128 v1, v[78:81] offset:13824
	ds_read_b128 v[136:139], v130 offset:14352
	ds_read_b128 v[140:143], v130 offset:14368
	;; [unrolled: 1-line block ×3, first 2 shown]
	s_waitcnt lgkmcnt(4)
	v_mul_f64 v[148:149], v[134:135], v[8:9]
	v_fma_f64 v[148:149], v[132:133], v[6:7], -v[148:149]
	v_mul_f64 v[132:133], v[132:133], v[8:9]
	v_fmac_f64_e32 v[132:133], v[134:135], v[6:7]
	v_add_f64 v[68:69], v[68:69], -v[132:133]
	s_waitcnt lgkmcnt(2)
	v_mul_f64 v[132:133], v[138:139], v[12:13]
	v_add_f64 v[66:67], v[66:67], -v[148:149]
	v_fma_f64 v[132:133], v[136:137], v[10:11], -v[132:133]
	v_mul_f64 v[134:135], v[136:137], v[12:13]
	v_fmac_f64_e32 v[134:135], v[138:139], v[10:11]
	v_add_f64 v[66:67], v[66:67], -v[132:133]
	s_waitcnt lgkmcnt(1)
	v_mul_f64 v[132:133], v[142:143], v[16:17]
	v_add_f64 v[68:69], v[68:69], -v[134:135]
	;; [unrolled: 7-line block ×3, first 2 shown]
	v_fma_f64 v[136:137], v[144:145], v[18:19], -v[66:67]
	ds_read_b128 v[66:69], v130 offset:14400
	v_mul_f64 v[138:139], v[144:145], v[20:21]
	v_fmac_f64_e32 v[138:139], v[146:147], v[18:19]
	v_add_f64 v[136:137], v[132:133], -v[136:137]
	v_add_f64 v[138:139], v[134:135], -v[138:139]
	ds_read_b128 v[132:135], v130 offset:14416
	s_waitcnt lgkmcnt(1)
	v_mul_f64 v[140:141], v[68:69], v[24:25]
	v_fma_f64 v[140:141], v[66:67], v[22:23], -v[140:141]
	v_mul_f64 v[66:67], v[66:67], v[24:25]
	v_fmac_f64_e32 v[66:67], v[68:69], v[22:23]
	v_add_f64 v[138:139], v[138:139], -v[66:67]
	s_waitcnt lgkmcnt(0)
	v_mul_f64 v[66:67], v[134:135], v[28:29]
	v_add_f64 v[136:137], v[136:137], -v[140:141]
	v_fma_f64 v[140:141], v[132:133], v[26:27], -v[66:67]
	ds_read_b128 v[66:69], v130 offset:14432
	v_mul_f64 v[132:133], v[132:133], v[28:29]
	v_fmac_f64_e32 v[132:133], v[134:135], v[26:27]
	v_add_f64 v[138:139], v[138:139], -v[132:133]
	ds_read_b128 v[132:135], v130 offset:14448
	v_add_f64 v[136:137], v[136:137], -v[140:141]
	s_waitcnt lgkmcnt(1)
	v_mul_f64 v[140:141], v[68:69], v[32:33]
	v_fma_f64 v[140:141], v[66:67], v[30:31], -v[140:141]
	v_mul_f64 v[66:67], v[66:67], v[32:33]
	v_fmac_f64_e32 v[66:67], v[68:69], v[30:31]
	v_add_f64 v[138:139], v[138:139], -v[66:67]
	s_waitcnt lgkmcnt(0)
	v_mul_f64 v[66:67], v[134:135], v[36:37]
	v_add_f64 v[136:137], v[136:137], -v[140:141]
	v_fma_f64 v[140:141], v[132:133], v[34:35], -v[66:67]
	ds_read_b128 v[66:69], v130 offset:14464
	v_mul_f64 v[132:133], v[132:133], v[36:37]
	v_fmac_f64_e32 v[132:133], v[134:135], v[34:35]
	v_add_f64 v[138:139], v[138:139], -v[132:133]
	ds_read_b128 v[132:135], v130 offset:14480
	v_add_f64 v[136:137], v[136:137], -v[140:141]
	;; [unrolled: 16-line block ×10, first 2 shown]
	s_waitcnt lgkmcnt(1)
	v_mul_f64 v[140:141], v[68:69], v[112:113]
	v_fma_f64 v[140:141], v[66:67], v[110:111], -v[140:141]
	v_mul_f64 v[66:67], v[66:67], v[112:113]
	v_fmac_f64_e32 v[66:67], v[68:69], v[110:111]
	v_add_f64 v[138:139], v[138:139], -v[66:67]
	s_waitcnt lgkmcnt(0)
	v_mul_f64 v[66:67], v[134:135], v[100:101]
	v_add_f64 v[136:137], v[136:137], -v[140:141]
	v_fma_f64 v[140:141], v[132:133], v[98:99], -v[66:67]
	v_mul_f64 v[132:133], v[132:133], v[100:101]
	ds_read_b128 v[66:69], v130 offset:14752
	v_fmac_f64_e32 v[132:133], v[134:135], v[98:99]
	v_add_f64 v[138:139], v[138:139], -v[132:133]
	ds_read_b128 v[132:135], v130 offset:14768
	v_add_f64 v[136:137], v[136:137], -v[140:141]
	s_waitcnt lgkmcnt(1)
	v_mul_f64 v[140:141], v[68:69], v[92:93]
	v_fma_f64 v[140:141], v[66:67], v[90:91], -v[140:141]
	v_mul_f64 v[66:67], v[66:67], v[92:93]
	v_fmac_f64_e32 v[66:67], v[68:69], v[90:91]
	v_add_f64 v[68:69], v[136:137], -v[140:141]
	s_waitcnt lgkmcnt(0)
	v_mul_f64 v[136:137], v[134:135], v[80:81]
	v_add_f64 v[66:67], v[138:139], -v[66:67]
	v_fma_f64 v[140:141], v[132:133], v[78:79], -v[136:137]
	ds_read_b128 v[136:139], v130 offset:14784
	v_mul_f64 v[132:133], v[132:133], v[80:81]
	v_fmac_f64_e32 v[132:133], v[134:135], v[78:79]
	v_add_f64 v[140:141], v[68:69], -v[140:141]
	v_add_f64 v[68:69], v[66:67], -v[132:133]
	ds_read_b128 v[132:135], v130 offset:14848
	s_waitcnt lgkmcnt(1)
	v_mul_f64 v[66:67], v[138:139], v[68:69]
	v_mul_f64 v[68:69], v[136:137], v[68:69]
	v_fma_f64 v[66:67], v[136:137], v[140:141], -v[66:67]
	v_fmac_f64_e32 v[68:69], v[138:139], v[140:141]
	ds_write_b128 v1, v[66:69] offset:14336
	ds_read_b128 v[136:139], v130 offset:14864
	ds_read_b128 v[140:143], v130 offset:14880
	;; [unrolled: 1-line block ×3, first 2 shown]
	s_waitcnt lgkmcnt(4)
	v_mul_f64 v[148:149], v[134:135], v[8:9]
	v_fma_f64 v[148:149], v[132:133], v[6:7], -v[148:149]
	v_mul_f64 v[132:133], v[132:133], v[8:9]
	v_fmac_f64_e32 v[132:133], v[134:135], v[6:7]
	v_add_f64 v[56:57], v[56:57], -v[132:133]
	s_waitcnt lgkmcnt(2)
	v_mul_f64 v[132:133], v[138:139], v[12:13]
	v_mul_f64 v[134:135], v[136:137], v[12:13]
	v_add_f64 v[54:55], v[54:55], -v[148:149]
	v_fma_f64 v[132:133], v[136:137], v[10:11], -v[132:133]
	v_fmac_f64_e32 v[134:135], v[138:139], v[10:11]
	v_add_f64 v[54:55], v[54:55], -v[132:133]
	v_add_f64 v[56:57], v[56:57], -v[134:135]
	s_waitcnt lgkmcnt(1)
	v_mul_f64 v[132:133], v[142:143], v[16:17]
	v_mul_f64 v[134:135], v[140:141], v[16:17]
	v_fma_f64 v[132:133], v[140:141], v[14:15], -v[132:133]
	v_fmac_f64_e32 v[134:135], v[142:143], v[14:15]
	v_add_f64 v[132:133], v[54:55], -v[132:133]
	v_add_f64 v[134:135], v[56:57], -v[134:135]
	ds_read_b128 v[54:57], v130 offset:14912
	s_waitcnt lgkmcnt(1)
	v_mul_f64 v[136:137], v[146:147], v[20:21]
	v_fma_f64 v[136:137], v[144:145], v[18:19], -v[136:137]
	v_mul_f64 v[138:139], v[144:145], v[20:21]
	v_fmac_f64_e32 v[138:139], v[146:147], v[18:19]
	v_add_f64 v[136:137], v[132:133], -v[136:137]
	s_waitcnt lgkmcnt(0)
	v_mul_f64 v[132:133], v[56:57], v[24:25]
	v_add_f64 v[138:139], v[134:135], -v[138:139]
	v_fma_f64 v[140:141], v[54:55], v[22:23], -v[132:133]
	ds_read_b128 v[132:135], v130 offset:14928
	v_mul_f64 v[54:55], v[54:55], v[24:25]
	v_fmac_f64_e32 v[54:55], v[56:57], v[22:23]
	v_add_f64 v[138:139], v[138:139], -v[54:55]
	ds_read_b128 v[54:57], v130 offset:14944
	v_add_f64 v[136:137], v[136:137], -v[140:141]
	s_waitcnt lgkmcnt(1)
	v_mul_f64 v[140:141], v[134:135], v[28:29]
	v_fma_f64 v[140:141], v[132:133], v[26:27], -v[140:141]
	v_mul_f64 v[132:133], v[132:133], v[28:29]
	v_fmac_f64_e32 v[132:133], v[134:135], v[26:27]
	v_add_f64 v[138:139], v[138:139], -v[132:133]
	s_waitcnt lgkmcnt(0)
	v_mul_f64 v[132:133], v[56:57], v[32:33]
	v_add_f64 v[136:137], v[136:137], -v[140:141]
	v_fma_f64 v[140:141], v[54:55], v[30:31], -v[132:133]
	ds_read_b128 v[132:135], v130 offset:14960
	v_mul_f64 v[54:55], v[54:55], v[32:33]
	v_fmac_f64_e32 v[54:55], v[56:57], v[30:31]
	v_add_f64 v[138:139], v[138:139], -v[54:55]
	ds_read_b128 v[54:57], v130 offset:14976
	v_add_f64 v[136:137], v[136:137], -v[140:141]
	;; [unrolled: 16-line block ×12, first 2 shown]
	s_waitcnt lgkmcnt(1)
	v_mul_f64 v[140:141], v[134:135], v[80:81]
	v_fma_f64 v[140:141], v[132:133], v[78:79], -v[140:141]
	v_mul_f64 v[132:133], v[132:133], v[80:81]
	v_fmac_f64_e32 v[132:133], v[134:135], v[78:79]
	v_add_f64 v[138:139], v[138:139], -v[132:133]
	s_waitcnt lgkmcnt(0)
	v_mul_f64 v[132:133], v[56:57], v[68:69]
	v_add_f64 v[136:137], v[136:137], -v[140:141]
	v_fma_f64 v[140:141], v[54:55], v[66:67], -v[132:133]
	ds_read_b128 v[132:135], v130 offset:15312
	v_mul_f64 v[54:55], v[54:55], v[68:69]
	v_fmac_f64_e32 v[54:55], v[56:57], v[66:67]
	v_add_f64 v[140:141], v[136:137], -v[140:141]
	v_add_f64 v[56:57], v[138:139], -v[54:55]
	ds_read_b128 v[136:139], v130 offset:15360
	s_waitcnt lgkmcnt(1)
	v_mul_f64 v[54:55], v[134:135], v[56:57]
	v_mul_f64 v[56:57], v[132:133], v[56:57]
	v_fma_f64 v[54:55], v[132:133], v[140:141], -v[54:55]
	v_fmac_f64_e32 v[56:57], v[134:135], v[140:141]
	ds_write_b128 v1, v[54:57] offset:14848
	ds_read_b128 v[132:135], v130 offset:15376
	ds_read_b128 v[140:143], v130 offset:15392
	;; [unrolled: 1-line block ×3, first 2 shown]
	s_waitcnt lgkmcnt(4)
	v_mul_f64 v[148:149], v[138:139], v[8:9]
	v_fma_f64 v[148:149], v[136:137], v[6:7], -v[148:149]
	v_mul_f64 v[136:137], v[136:137], v[8:9]
	v_fmac_f64_e32 v[136:137], v[138:139], v[6:7]
	v_add_f64 v[40:41], v[40:41], -v[136:137]
	s_waitcnt lgkmcnt(2)
	v_mul_f64 v[136:137], v[134:135], v[12:13]
	v_fma_f64 v[136:137], v[132:133], v[10:11], -v[136:137]
	v_mul_f64 v[132:133], v[132:133], v[12:13]
	v_fmac_f64_e32 v[132:133], v[134:135], v[10:11]
	v_add_f64 v[38:39], v[38:39], -v[148:149]
	v_add_f64 v[40:41], v[40:41], -v[132:133]
	s_waitcnt lgkmcnt(1)
	v_mul_f64 v[132:133], v[142:143], v[16:17]
	v_mul_f64 v[134:135], v[140:141], v[16:17]
	v_add_f64 v[38:39], v[38:39], -v[136:137]
	v_fma_f64 v[132:133], v[140:141], v[14:15], -v[132:133]
	v_fmac_f64_e32 v[134:135], v[142:143], v[14:15]
	v_add_f64 v[132:133], v[38:39], -v[132:133]
	v_add_f64 v[134:135], v[40:41], -v[134:135]
	ds_read_b128 v[38:41], v130 offset:15424
	s_waitcnt lgkmcnt(1)
	v_mul_f64 v[136:137], v[146:147], v[20:21]
	v_fma_f64 v[136:137], v[144:145], v[18:19], -v[136:137]
	v_mul_f64 v[138:139], v[144:145], v[20:21]
	v_fmac_f64_e32 v[138:139], v[146:147], v[18:19]
	v_add_f64 v[136:137], v[132:133], -v[136:137]
	s_waitcnt lgkmcnt(0)
	v_mul_f64 v[132:133], v[40:41], v[24:25]
	v_add_f64 v[138:139], v[134:135], -v[138:139]
	v_fma_f64 v[140:141], v[38:39], v[22:23], -v[132:133]
	ds_read_b128 v[132:135], v130 offset:15440
	v_mul_f64 v[38:39], v[38:39], v[24:25]
	v_fmac_f64_e32 v[38:39], v[40:41], v[22:23]
	v_add_f64 v[138:139], v[138:139], -v[38:39]
	ds_read_b128 v[38:41], v130 offset:15456
	v_add_f64 v[136:137], v[136:137], -v[140:141]
	s_waitcnt lgkmcnt(1)
	v_mul_f64 v[140:141], v[134:135], v[28:29]
	v_fma_f64 v[140:141], v[132:133], v[26:27], -v[140:141]
	v_mul_f64 v[132:133], v[132:133], v[28:29]
	v_fmac_f64_e32 v[132:133], v[134:135], v[26:27]
	v_add_f64 v[138:139], v[138:139], -v[132:133]
	s_waitcnt lgkmcnt(0)
	v_mul_f64 v[132:133], v[40:41], v[32:33]
	v_add_f64 v[136:137], v[136:137], -v[140:141]
	v_fma_f64 v[140:141], v[38:39], v[30:31], -v[132:133]
	ds_read_b128 v[132:135], v130 offset:15472
	v_mul_f64 v[38:39], v[38:39], v[32:33]
	v_fmac_f64_e32 v[38:39], v[40:41], v[30:31]
	v_add_f64 v[138:139], v[138:139], -v[38:39]
	ds_read_b128 v[38:41], v130 offset:15488
	v_add_f64 v[136:137], v[136:137], -v[140:141]
	;; [unrolled: 16-line block ×12, first 2 shown]
	s_waitcnt lgkmcnt(1)
	v_mul_f64 v[140:141], v[134:135], v[80:81]
	v_fma_f64 v[140:141], v[132:133], v[78:79], -v[140:141]
	v_mul_f64 v[132:133], v[132:133], v[80:81]
	v_fmac_f64_e32 v[132:133], v[134:135], v[78:79]
	v_add_f64 v[138:139], v[138:139], -v[132:133]
	s_waitcnt lgkmcnt(0)
	v_mul_f64 v[132:133], v[40:41], v[68:69]
	v_add_f64 v[136:137], v[136:137], -v[140:141]
	v_fma_f64 v[140:141], v[38:39], v[66:67], -v[132:133]
	ds_read_b128 v[132:135], v130 offset:15824
	v_mul_f64 v[38:39], v[38:39], v[68:69]
	v_fmac_f64_e32 v[38:39], v[40:41], v[66:67]
	v_add_f64 v[40:41], v[136:137], -v[140:141]
	v_add_f64 v[38:39], v[138:139], -v[38:39]
	ds_read_b128 v[136:139], v130 offset:15840
	s_waitcnt lgkmcnt(1)
	v_mul_f64 v[140:141], v[134:135], v[56:57]
	v_fma_f64 v[140:141], v[132:133], v[54:55], -v[140:141]
	v_mul_f64 v[132:133], v[132:133], v[56:57]
	v_fmac_f64_e32 v[132:133], v[134:135], v[54:55]
	v_add_f64 v[134:135], v[40:41], -v[140:141]
	v_add_f64 v[40:41], v[38:39], -v[132:133]
	s_waitcnt lgkmcnt(0)
	v_mul_f64 v[38:39], v[138:139], v[40:41]
	v_mul_f64 v[40:41], v[136:137], v[40:41]
	v_fma_f64 v[38:39], v[136:137], v[134:135], -v[38:39]
	v_fmac_f64_e32 v[40:41], v[138:139], v[134:135]
	ds_read_b128 v[132:135], v130 offset:15872
	ds_write_b128 v1, v[38:41] offset:15360
	ds_read_b128 v[136:139], v130 offset:15888
	ds_read_b128 v[140:143], v130 offset:15904
	;; [unrolled: 1-line block ×3, first 2 shown]
	s_waitcnt lgkmcnt(4)
	v_mul_f64 v[148:149], v[134:135], v[8:9]
	v_mul_f64 v[8:9], v[132:133], v[8:9]
	v_fma_f64 v[148:149], v[132:133], v[6:7], -v[148:149]
	v_fmac_f64_e32 v[8:9], v[134:135], v[6:7]
	s_waitcnt lgkmcnt(2)
	v_mul_f64 v[6:7], v[138:139], v[12:13]
	v_add_f64 v[2:3], v[2:3], -v[148:149]
	v_add_f64 v[4:5], v[4:5], -v[8:9]
	v_fma_f64 v[6:7], v[136:137], v[10:11], -v[6:7]
	v_mul_f64 v[8:9], v[136:137], v[12:13]
	v_fmac_f64_e32 v[8:9], v[138:139], v[10:11]
	v_add_f64 v[2:3], v[2:3], -v[6:7]
	s_waitcnt lgkmcnt(1)
	v_mul_f64 v[6:7], v[142:143], v[16:17]
	v_add_f64 v[4:5], v[4:5], -v[8:9]
	v_fma_f64 v[6:7], v[140:141], v[14:15], -v[6:7]
	v_mul_f64 v[8:9], v[140:141], v[16:17]
	v_fmac_f64_e32 v[8:9], v[142:143], v[14:15]
	v_add_f64 v[6:7], v[2:3], -v[6:7]
	s_waitcnt lgkmcnt(0)
	v_mul_f64 v[2:3], v[146:147], v[20:21]
	v_add_f64 v[8:9], v[4:5], -v[8:9]
	v_fma_f64 v[10:11], v[144:145], v[18:19], -v[2:3]
	ds_read_b128 v[2:5], v130 offset:15936
	v_mul_f64 v[12:13], v[144:145], v[20:21]
	v_fmac_f64_e32 v[12:13], v[146:147], v[18:19]
	v_add_f64 v[10:11], v[6:7], -v[10:11]
	v_add_f64 v[12:13], v[8:9], -v[12:13]
	ds_read_b128 v[6:9], v130 offset:15952
	s_waitcnt lgkmcnt(1)
	v_mul_f64 v[14:15], v[4:5], v[24:25]
	v_fma_f64 v[14:15], v[2:3], v[22:23], -v[14:15]
	v_mul_f64 v[2:3], v[2:3], v[24:25]
	v_fmac_f64_e32 v[2:3], v[4:5], v[22:23]
	v_add_f64 v[12:13], v[12:13], -v[2:3]
	s_waitcnt lgkmcnt(0)
	v_mul_f64 v[2:3], v[8:9], v[28:29]
	v_add_f64 v[10:11], v[10:11], -v[14:15]
	v_fma_f64 v[14:15], v[6:7], v[26:27], -v[2:3]
	ds_read_b128 v[2:5], v130 offset:15968
	v_mul_f64 v[6:7], v[6:7], v[28:29]
	v_fmac_f64_e32 v[6:7], v[8:9], v[26:27]
	v_add_f64 v[12:13], v[12:13], -v[6:7]
	ds_read_b128 v[6:9], v130 offset:15984
	v_add_f64 v[10:11], v[10:11], -v[14:15]
	s_waitcnt lgkmcnt(1)
	v_mul_f64 v[14:15], v[4:5], v[32:33]
	v_fma_f64 v[14:15], v[2:3], v[30:31], -v[14:15]
	v_mul_f64 v[2:3], v[2:3], v[32:33]
	v_fmac_f64_e32 v[2:3], v[4:5], v[30:31]
	v_add_f64 v[12:13], v[12:13], -v[2:3]
	s_waitcnt lgkmcnt(0)
	v_mul_f64 v[2:3], v[8:9], v[36:37]
	v_add_f64 v[10:11], v[10:11], -v[14:15]
	v_fma_f64 v[14:15], v[6:7], v[34:35], -v[2:3]
	ds_read_b128 v[2:5], v130 offset:16000
	v_mul_f64 v[6:7], v[6:7], v[36:37]
	v_fmac_f64_e32 v[6:7], v[8:9], v[34:35]
	v_add_f64 v[12:13], v[12:13], -v[6:7]
	ds_read_b128 v[6:9], v130 offset:16016
	v_add_f64 v[10:11], v[10:11], -v[14:15]
	;; [unrolled: 16-line block ×13, first 2 shown]
	s_waitcnt lgkmcnt(1)
	v_mul_f64 v[14:15], v[4:5], v[40:41]
	v_fma_f64 v[14:15], v[2:3], v[38:39], -v[14:15]
	v_mul_f64 v[2:3], v[2:3], v[40:41]
	v_fmac_f64_e32 v[2:3], v[4:5], v[38:39]
	v_add_f64 v[4:5], v[12:13], -v[2:3]
	v_add_f64 v[10:11], v[10:11], -v[14:15]
	s_waitcnt lgkmcnt(0)
	v_mul_f64 v[2:3], v[8:9], v[4:5]
	v_mul_f64 v[4:5], v[6:7], v[4:5]
	v_fma_f64 v[2:3], v[6:7], v[10:11], -v[2:3]
	v_fmac_f64_e32 v[4:5], v[8:9], v[10:11]
	ds_write_b128 v1, v[2:5] offset:15872
.LBB234_17:
	s_cmp_lt_i32 s10, s24
	s_cbranch_scc0 .LBB234_28
; %bb.18:
	s_or_b32 s6, s10, 27
	s_cmp_ge_u32 s6, s24
	s_cbranch_scc1 .LBB234_23
; %bb.19:
	s_lshl_b32 s11, s10, 9
	v_add_u32_e32 v120, s11, v1
	ds_read_b128 v[114:117], v120
	ds_read_b128 v[18:21], v120 offset:512
	ds_read_b128 v[22:25], v120 offset:1024
	;; [unrolled: 1-line block ×25, first 2 shown]
	s_lshl_b32 s7, s6, 9
	v_add_u32_e32 v118, s7, v1
	ds_read_b128 v[6:9], v120 offset:13312
	ds_read_b128 v[2:5], v118
	s_andn2_b64 vcc, exec, s[4:5]
	s_cbranch_vccnz .LBB234_22
; %bb.20:
	v_mov_b32_e32 v14, 0x4000
	v_lshl_or_b32 v119, v0, 4, v14
	s_mov_b32 s4, s11
	s_mov_b32 s5, s10
.LBB234_21:                             ; =>This Inner Loop Header: Depth=1
	ds_read_b128 v[14:17], v119
	v_mov_b32_e32 v121, s4
	ds_read_b128 v[122:125], v121
	ds_read_b128 v[126:129], v121 offset:512
	ds_read_b128 v[130:133], v121 offset:1024
	;; [unrolled: 1-line block ×27, first 2 shown]
	s_add_i32 s5, s5, -1
	s_add_i32 s4, s4, 16
	s_waitcnt lgkmcnt(14)
	v_mul_f64 v[234:235], v[16:17], v[124:125]
	v_mul_f64 v[124:125], v[14:15], v[124:125]
	;; [unrolled: 1-line block ×11, first 2 shown]
	v_fma_f64 v[234:235], v[14:15], v[122:123], -v[234:235]
	v_fmac_f64_e32 v[124:125], v[16:17], v[122:123]
	v_mul_f64 v[122:123], v[14:15], v[144:145]
	v_mul_f64 v[144:145], v[16:17], v[148:149]
	v_fma_f64 v[236:237], v[14:15], v[126:127], -v[236:237]
	v_fmac_f64_e32 v[128:129], v[16:17], v[126:127]
	v_mul_f64 v[126:127], v[14:15], v[148:149]
	v_mul_f64 v[148:149], v[16:17], v[152:153]
	;; [unrolled: 4-line block ×8, first 2 shown]
	v_fma_f64 v[152:153], v[14:15], v[154:155], -v[152:153]
	v_fmac_f64_e32 v[134:135], v[16:17], v[154:155]
	v_mul_f64 v[154:155], v[14:15], v[176:177]
	s_waitcnt lgkmcnt(13)
	v_mul_f64 v[176:177], v[16:17], v[180:181]
	v_fma_f64 v[156:157], v[14:15], v[158:159], -v[156:157]
	v_fmac_f64_e32 v[138:139], v[16:17], v[158:159]
	v_mul_f64 v[158:159], v[14:15], v[180:181]
	s_waitcnt lgkmcnt(12)
	v_mul_f64 v[180:181], v[16:17], v[184:185]
	;; [unrolled: 5-line block ×14, first 2 shown]
	v_fma_f64 v[208:209], v[14:15], v[210:211], -v[208:209]
	v_fmac_f64_e32 v[190:191], v[16:17], v[210:211]
	v_mul_f64 v[210:211], v[14:15], v[232:233]
	v_fma_f64 v[212:213], v[14:15], v[214:215], -v[212:213]
	v_fmac_f64_e32 v[194:195], v[16:17], v[214:215]
	v_fma_f64 v[214:215], v[14:15], v[218:219], -v[216:217]
	v_fmac_f64_e32 v[198:199], v[16:17], v[218:219]
	;; [unrolled: 2-line block ×5, first 2 shown]
	v_add_u32_e32 v119, 0x200, v119
	s_cmp_lg_u32 s5, 0
	v_add_f64 v[114:115], v[114:115], -v[234:235]
	v_add_f64 v[116:117], v[116:117], -v[124:125]
	;; [unrolled: 1-line block ×56, first 2 shown]
	s_cbranch_scc1 .LBB234_21
.LBB234_22:
	s_lshl_b32 s5, s10, 4
	s_add_i32 s4, s5, s11
	v_mov_b32_e32 v119, s4
	ds_read_b128 v[122:125], v119
	s_or_b32 s12, s11, 0x200
	s_add_i32 s15, s5, s12
	ds_read_b128 v[126:129], v119 offset:528
	s_or_b32 s4, s10, 28
	s_waitcnt lgkmcnt(1)
	v_mul_f64 v[14:15], v[124:125], v[116:117]
	v_mul_f64 v[16:17], v[122:123], v[116:117]
	v_fma_f64 v[14:15], v[122:123], v[114:115], -v[14:15]
	v_fmac_f64_e32 v[16:17], v[124:125], v[114:115]
	v_mov_b32_e32 v114, s15
	ds_read_b128 v[114:117], v114
	s_or_b32 s15, s11, 0x400
	s_add_i32 s16, s5, s15
	v_mov_b32_e32 v130, s16
	ds_write_b128 v120, v[14:17]
	s_waitcnt lgkmcnt(1)
	v_mul_f64 v[124:125], v[116:117], v[16:17]
	v_fma_f64 v[124:125], v[114:115], v[14:15], -v[124:125]
	v_mul_f64 v[114:115], v[114:115], v[16:17]
	v_fmac_f64_e32 v[114:115], v[116:117], v[14:15]
	v_add_f64 v[20:21], v[20:21], -v[114:115]
	ds_read_b128 v[120:123], v130
	v_add_f64 v[116:117], v[18:19], -v[124:125]
	v_mul_f64 v[18:19], v[128:129], v[20:21]
	v_mul_f64 v[20:21], v[126:127], v[20:21]
	v_fma_f64 v[18:19], v[126:127], v[116:117], -v[18:19]
	v_fmac_f64_e32 v[20:21], v[128:129], v[116:117]
	v_add_u32_e32 v114, s12, v1
	ds_write_b128 v114, v[18:21]
	ds_read_b128 v[114:117], v130 offset:16
	s_waitcnt lgkmcnt(2)
	v_mul_f64 v[124:125], v[122:123], v[16:17]
	v_fma_f64 v[124:125], v[120:121], v[14:15], -v[124:125]
	v_add_f64 v[22:23], v[22:23], -v[124:125]
	v_mul_f64 v[120:121], v[120:121], v[16:17]
	s_waitcnt lgkmcnt(0)
	v_mul_f64 v[124:125], v[116:117], v[20:21]
	v_fma_f64 v[128:129], v[114:115], v[18:19], -v[124:125]
	ds_read_b128 v[124:127], v119 offset:1056
	v_fmac_f64_e32 v[120:121], v[122:123], v[14:15]
	s_or_b32 s12, s11, 0x600
	v_mul_f64 v[114:115], v[114:115], v[20:21]
	v_add_f64 v[24:25], v[24:25], -v[120:121]
	s_add_i32 s16, s5, s12
	v_fmac_f64_e32 v[114:115], v[116:117], v[18:19]
	v_mov_b32_e32 v130, s16
	v_add_f64 v[24:25], v[24:25], -v[114:115]
	ds_read_b128 v[120:123], v130
	v_add_f64 v[128:129], v[22:23], -v[128:129]
	ds_read_b128 v[114:117], v119 offset:1584
	s_waitcnt lgkmcnt(2)
	v_mul_f64 v[22:23], v[126:127], v[24:25]
	v_mul_f64 v[24:25], v[124:125], v[24:25]
	v_fma_f64 v[22:23], v[124:125], v[128:129], -v[22:23]
	v_fmac_f64_e32 v[24:25], v[126:127], v[128:129]
	v_add_u32_e32 v124, s15, v1
	ds_write_b128 v124, v[22:25]
	ds_read_b128 v[124:127], v130 offset:16
	ds_read_b128 v[128:131], v130 offset:32
	s_waitcnt lgkmcnt(4)
	v_mul_f64 v[132:133], v[122:123], v[16:17]
	v_fma_f64 v[132:133], v[120:121], v[14:15], -v[132:133]
	v_mul_f64 v[120:121], v[120:121], v[16:17]
	v_fmac_f64_e32 v[120:121], v[122:123], v[14:15]
	s_waitcnt lgkmcnt(1)
	v_mul_f64 v[122:123], v[124:125], v[20:21]
	v_add_f64 v[28:29], v[28:29], -v[120:121]
	v_mul_f64 v[120:121], v[126:127], v[20:21]
	v_fmac_f64_e32 v[122:123], v[126:127], v[18:19]
	v_add_f64 v[26:27], v[26:27], -v[132:133]
	v_fma_f64 v[120:121], v[124:125], v[18:19], -v[120:121]
	v_add_f64 v[28:29], v[28:29], -v[122:123]
	s_waitcnt lgkmcnt(0)
	v_mul_f64 v[122:123], v[128:129], v[24:25]
	v_add_f64 v[26:27], v[26:27], -v[120:121]
	v_mul_f64 v[120:121], v[130:131], v[24:25]
	v_fmac_f64_e32 v[122:123], v[130:131], v[22:23]
	v_fma_f64 v[120:121], v[128:129], v[22:23], -v[120:121]
	v_add_f64 v[28:29], v[28:29], -v[122:123]
	v_add_f64 v[120:121], v[26:27], -v[120:121]
	v_mul_f64 v[26:27], v[116:117], v[28:29]
	v_mul_f64 v[28:29], v[114:115], v[28:29]
	v_fma_f64 v[26:27], v[114:115], v[120:121], -v[26:27]
	v_fmac_f64_e32 v[28:29], v[116:117], v[120:121]
	v_add_u32_e32 v120, s12, v1
	s_or_b32 s12, s11, 0x800
	s_add_i32 s15, s5, s12
	v_mov_b32_e32 v128, s15
	ds_read_b128 v[114:117], v128
	ds_write_b128 v120, v[26:29]
	ds_read_b128 v[120:123], v128 offset:16
	ds_read_b128 v[124:127], v128 offset:32
	;; [unrolled: 1-line block ×3, first 2 shown]
	s_or_b32 s15, s11, 0xa00
	s_waitcnt lgkmcnt(4)
	v_mul_f64 v[132:133], v[116:117], v[16:17]
	v_fma_f64 v[132:133], v[114:115], v[14:15], -v[132:133]
	v_mul_f64 v[114:115], v[114:115], v[16:17]
	v_fmac_f64_e32 v[114:115], v[116:117], v[14:15]
	v_add_f64 v[32:33], v[32:33], -v[114:115]
	s_waitcnt lgkmcnt(2)
	v_mul_f64 v[114:115], v[122:123], v[20:21]
	v_add_f64 v[30:31], v[30:31], -v[132:133]
	v_fma_f64 v[114:115], v[120:121], v[18:19], -v[114:115]
	v_mul_f64 v[116:117], v[120:121], v[20:21]
	v_fmac_f64_e32 v[116:117], v[122:123], v[18:19]
	v_add_f64 v[30:31], v[30:31], -v[114:115]
	s_waitcnt lgkmcnt(1)
	v_mul_f64 v[114:115], v[126:127], v[24:25]
	v_add_f64 v[32:33], v[32:33], -v[116:117]
	;; [unrolled: 7-line block ×3, first 2 shown]
	v_fma_f64 v[120:121], v[128:129], v[26:27], -v[114:115]
	ds_read_b128 v[114:117], v119 offset:2112
	v_mul_f64 v[122:123], v[128:129], v[28:29]
	v_fmac_f64_e32 v[122:123], v[130:131], v[26:27]
	v_add_f64 v[32:33], v[32:33], -v[122:123]
	v_add_f64 v[124:125], v[30:31], -v[120:121]
	ds_read_b128 v[120:123], v119 offset:2640
	s_waitcnt lgkmcnt(1)
	v_mul_f64 v[30:31], v[116:117], v[32:33]
	v_mul_f64 v[32:33], v[114:115], v[32:33]
	v_fma_f64 v[30:31], v[114:115], v[124:125], -v[30:31]
	v_fmac_f64_e32 v[32:33], v[116:117], v[124:125]
	v_add_u32_e32 v124, s12, v1
	s_add_i32 s12, s5, s15
	v_mov_b32_e32 v138, s12
	ds_read_b128 v[114:117], v138
	ds_write_b128 v124, v[30:33]
	ds_read_b128 v[124:127], v138 offset:16
	ds_read_b128 v[128:131], v138 offset:32
	;; [unrolled: 1-line block ×3, first 2 shown]
	s_or_b32 s12, s11, 0xc00
	s_add_i32 s16, s5, s12
	s_waitcnt lgkmcnt(4)
	v_mul_f64 v[136:137], v[116:117], v[16:17]
	v_fma_f64 v[136:137], v[114:115], v[14:15], -v[136:137]
	v_mul_f64 v[114:115], v[114:115], v[16:17]
	v_fmac_f64_e32 v[114:115], v[116:117], v[14:15]
	v_add_f64 v[36:37], v[36:37], -v[114:115]
	s_waitcnt lgkmcnt(2)
	v_mul_f64 v[114:115], v[126:127], v[20:21]
	v_mul_f64 v[116:117], v[124:125], v[20:21]
	v_add_f64 v[34:35], v[34:35], -v[136:137]
	v_fma_f64 v[114:115], v[124:125], v[18:19], -v[114:115]
	v_fmac_f64_e32 v[116:117], v[126:127], v[18:19]
	v_add_f64 v[34:35], v[34:35], -v[114:115]
	v_add_f64 v[36:37], v[36:37], -v[116:117]
	s_waitcnt lgkmcnt(1)
	v_mul_f64 v[114:115], v[130:131], v[24:25]
	v_mul_f64 v[116:117], v[128:129], v[24:25]
	v_fma_f64 v[114:115], v[128:129], v[22:23], -v[114:115]
	v_fmac_f64_e32 v[116:117], v[130:131], v[22:23]
	v_add_f64 v[34:35], v[34:35], -v[114:115]
	v_add_f64 v[36:37], v[36:37], -v[116:117]
	s_waitcnt lgkmcnt(0)
	v_mul_f64 v[114:115], v[134:135], v[28:29]
	v_mul_f64 v[116:117], v[132:133], v[28:29]
	v_fma_f64 v[114:115], v[132:133], v[26:27], -v[114:115]
	v_fmac_f64_e32 v[116:117], v[134:135], v[26:27]
	v_add_f64 v[124:125], v[34:35], -v[114:115]
	v_add_f64 v[126:127], v[36:37], -v[116:117]
	ds_read_b128 v[34:37], v138 offset:64
	v_mov_b32_e32 v134, s16
	ds_read_b128 v[114:117], v134
	s_waitcnt lgkmcnt(1)
	v_mul_f64 v[128:129], v[36:37], v[32:33]
	v_fma_f64 v[128:129], v[34:35], v[30:31], -v[128:129]
	v_mul_f64 v[34:35], v[34:35], v[32:33]
	v_fmac_f64_e32 v[34:35], v[36:37], v[30:31]
	v_add_f64 v[36:37], v[126:127], -v[34:35]
	v_add_f64 v[124:125], v[124:125], -v[128:129]
	v_mul_f64 v[34:35], v[122:123], v[36:37]
	v_mul_f64 v[36:37], v[120:121], v[36:37]
	v_fma_f64 v[34:35], v[120:121], v[124:125], -v[34:35]
	v_fmac_f64_e32 v[36:37], v[122:123], v[124:125]
	v_add_u32_e32 v120, s15, v1
	ds_write_b128 v120, v[34:37]
	ds_read_b128 v[120:123], v134 offset:16
	ds_read_b128 v[124:127], v134 offset:32
	;; [unrolled: 1-line block ×3, first 2 shown]
	s_waitcnt lgkmcnt(4)
	v_mul_f64 v[132:133], v[116:117], v[16:17]
	v_fma_f64 v[132:133], v[114:115], v[14:15], -v[132:133]
	v_mul_f64 v[114:115], v[114:115], v[16:17]
	v_fmac_f64_e32 v[114:115], v[116:117], v[14:15]
	v_add_f64 v[44:45], v[44:45], -v[114:115]
	s_waitcnt lgkmcnt(2)
	v_mul_f64 v[114:115], v[122:123], v[20:21]
	v_mul_f64 v[116:117], v[120:121], v[20:21]
	v_add_f64 v[42:43], v[42:43], -v[132:133]
	v_fma_f64 v[114:115], v[120:121], v[18:19], -v[114:115]
	v_fmac_f64_e32 v[116:117], v[122:123], v[18:19]
	v_add_f64 v[42:43], v[42:43], -v[114:115]
	v_add_f64 v[44:45], v[44:45], -v[116:117]
	s_waitcnt lgkmcnt(1)
	v_mul_f64 v[114:115], v[126:127], v[24:25]
	v_mul_f64 v[116:117], v[124:125], v[24:25]
	v_fma_f64 v[114:115], v[124:125], v[22:23], -v[114:115]
	v_fmac_f64_e32 v[116:117], v[126:127], v[22:23]
	v_add_f64 v[114:115], v[42:43], -v[114:115]
	v_add_f64 v[116:117], v[44:45], -v[116:117]
	ds_read_b128 v[42:45], v134 offset:64
	s_waitcnt lgkmcnt(1)
	v_mul_f64 v[120:121], v[130:131], v[28:29]
	v_fma_f64 v[120:121], v[128:129], v[26:27], -v[120:121]
	v_mul_f64 v[122:123], v[128:129], v[28:29]
	v_add_f64 v[114:115], v[114:115], -v[120:121]
	s_waitcnt lgkmcnt(0)
	v_mul_f64 v[120:121], v[44:45], v[32:33]
	v_fmac_f64_e32 v[122:123], v[130:131], v[26:27]
	v_fma_f64 v[120:121], v[42:43], v[30:31], -v[120:121]
	v_mul_f64 v[42:43], v[42:43], v[32:33]
	v_add_f64 v[116:117], v[116:117], -v[122:123]
	v_fmac_f64_e32 v[42:43], v[44:45], v[30:31]
	v_add_f64 v[126:127], v[116:117], -v[42:43]
	ds_read_b128 v[42:45], v134 offset:80
	s_or_b32 s15, s11, 0xe00
	s_add_i32 s16, s5, s15
	v_mov_b32_e32 v138, s16
	v_add_f64 v[124:125], v[114:115], -v[120:121]
	ds_read_b128 v[114:117], v138
	s_waitcnt lgkmcnt(1)
	v_mul_f64 v[120:121], v[44:45], v[36:37]
	v_fma_f64 v[128:129], v[42:43], v[34:35], -v[120:121]
	ds_read_b128 v[120:123], v119 offset:3168
	v_mul_f64 v[42:43], v[42:43], v[36:37]
	v_fmac_f64_e32 v[42:43], v[44:45], v[34:35]
	v_add_f64 v[44:45], v[126:127], -v[42:43]
	v_add_f64 v[128:129], v[124:125], -v[128:129]
	ds_read_b128 v[124:127], v119 offset:3696
	s_waitcnt lgkmcnt(1)
	v_mul_f64 v[42:43], v[122:123], v[44:45]
	v_mul_f64 v[44:45], v[120:121], v[44:45]
	v_fma_f64 v[42:43], v[120:121], v[128:129], -v[42:43]
	v_fmac_f64_e32 v[44:45], v[122:123], v[128:129]
	v_add_u32_e32 v120, s12, v1
	ds_write_b128 v120, v[42:45]
	ds_read_b128 v[120:123], v138 offset:16
	ds_read_b128 v[128:131], v138 offset:32
	;; [unrolled: 1-line block ×3, first 2 shown]
	v_mul_f64 v[136:137], v[116:117], v[16:17]
	v_fma_f64 v[136:137], v[114:115], v[14:15], -v[136:137]
	v_mul_f64 v[114:115], v[114:115], v[16:17]
	v_fmac_f64_e32 v[114:115], v[116:117], v[14:15]
	v_add_f64 v[48:49], v[48:49], -v[114:115]
	s_waitcnt lgkmcnt(2)
	v_mul_f64 v[114:115], v[122:123], v[20:21]
	v_mul_f64 v[116:117], v[120:121], v[20:21]
	v_add_f64 v[46:47], v[46:47], -v[136:137]
	v_fma_f64 v[114:115], v[120:121], v[18:19], -v[114:115]
	v_fmac_f64_e32 v[116:117], v[122:123], v[18:19]
	v_add_f64 v[46:47], v[46:47], -v[114:115]
	v_add_f64 v[48:49], v[48:49], -v[116:117]
	s_waitcnt lgkmcnt(1)
	v_mul_f64 v[114:115], v[130:131], v[24:25]
	v_mul_f64 v[116:117], v[128:129], v[24:25]
	v_fma_f64 v[114:115], v[128:129], v[22:23], -v[114:115]
	v_fmac_f64_e32 v[116:117], v[130:131], v[22:23]
	v_add_f64 v[114:115], v[46:47], -v[114:115]
	v_add_f64 v[116:117], v[48:49], -v[116:117]
	ds_read_b128 v[46:49], v138 offset:64
	s_waitcnt lgkmcnt(1)
	v_mul_f64 v[120:121], v[134:135], v[28:29]
	v_fma_f64 v[120:121], v[132:133], v[26:27], -v[120:121]
	v_mul_f64 v[122:123], v[132:133], v[28:29]
	v_fmac_f64_e32 v[122:123], v[134:135], v[26:27]
	v_add_f64 v[120:121], v[114:115], -v[120:121]
	s_waitcnt lgkmcnt(0)
	v_mul_f64 v[114:115], v[48:49], v[32:33]
	v_add_f64 v[122:123], v[116:117], -v[122:123]
	v_fma_f64 v[128:129], v[46:47], v[30:31], -v[114:115]
	v_mul_f64 v[46:47], v[46:47], v[32:33]
	ds_read_b128 v[114:117], v138 offset:80
	v_fmac_f64_e32 v[46:47], v[48:49], v[30:31]
	v_add_f64 v[122:123], v[122:123], -v[46:47]
	ds_read_b128 v[46:49], v138 offset:96
	v_add_f64 v[120:121], v[120:121], -v[128:129]
	s_waitcnt lgkmcnt(1)
	v_mul_f64 v[128:129], v[116:117], v[36:37]
	v_fma_f64 v[128:129], v[114:115], v[34:35], -v[128:129]
	v_mul_f64 v[114:115], v[114:115], v[36:37]
	v_fmac_f64_e32 v[114:115], v[116:117], v[34:35]
	v_add_f64 v[116:117], v[120:121], -v[128:129]
	s_waitcnt lgkmcnt(0)
	v_mul_f64 v[120:121], v[48:49], v[44:45]
	v_fma_f64 v[120:121], v[46:47], v[42:43], -v[120:121]
	v_mul_f64 v[46:47], v[46:47], v[44:45]
	v_add_f64 v[114:115], v[122:123], -v[114:115]
	v_fmac_f64_e32 v[46:47], v[48:49], v[42:43]
	s_or_b32 s12, s11, 0x1000
	v_add_f64 v[116:117], v[116:117], -v[120:121]
	v_add_f64 v[48:49], v[114:115], -v[46:47]
	v_add_u32_e32 v120, s15, v1
	s_add_i32 s15, s5, s12
	v_mul_f64 v[46:47], v[126:127], v[48:49]
	v_mul_f64 v[48:49], v[124:125], v[48:49]
	v_mov_b32_e32 v134, s15
	v_fma_f64 v[46:47], v[124:125], v[116:117], -v[46:47]
	v_fmac_f64_e32 v[48:49], v[126:127], v[116:117]
	ds_read_b128 v[114:117], v134
	ds_write_b128 v120, v[46:49]
	ds_read_b128 v[120:123], v134 offset:16
	ds_read_b128 v[124:127], v134 offset:32
	;; [unrolled: 1-line block ×3, first 2 shown]
	s_or_b32 s15, s11, 0x1200
	s_waitcnt lgkmcnt(4)
	v_mul_f64 v[132:133], v[116:117], v[16:17]
	v_fma_f64 v[132:133], v[114:115], v[14:15], -v[132:133]
	v_mul_f64 v[114:115], v[114:115], v[16:17]
	v_fmac_f64_e32 v[114:115], v[116:117], v[14:15]
	v_add_f64 v[56:57], v[56:57], -v[114:115]
	s_waitcnt lgkmcnt(2)
	v_mul_f64 v[114:115], v[122:123], v[20:21]
	v_add_f64 v[54:55], v[54:55], -v[132:133]
	v_fma_f64 v[114:115], v[120:121], v[18:19], -v[114:115]
	v_mul_f64 v[116:117], v[120:121], v[20:21]
	v_fmac_f64_e32 v[116:117], v[122:123], v[18:19]
	v_add_f64 v[54:55], v[54:55], -v[114:115]
	s_waitcnt lgkmcnt(1)
	v_mul_f64 v[114:115], v[126:127], v[24:25]
	v_add_f64 v[56:57], v[56:57], -v[116:117]
	;; [unrolled: 7-line block ×3, first 2 shown]
	v_fma_f64 v[120:121], v[128:129], v[26:27], -v[54:55]
	ds_read_b128 v[54:57], v134 offset:64
	v_mul_f64 v[122:123], v[128:129], v[28:29]
	v_fmac_f64_e32 v[122:123], v[130:131], v[26:27]
	v_add_f64 v[120:121], v[114:115], -v[120:121]
	v_add_f64 v[122:123], v[116:117], -v[122:123]
	ds_read_b128 v[114:117], v134 offset:80
	s_waitcnt lgkmcnt(1)
	v_mul_f64 v[124:125], v[56:57], v[32:33]
	v_fma_f64 v[124:125], v[54:55], v[30:31], -v[124:125]
	v_mul_f64 v[54:55], v[54:55], v[32:33]
	v_fmac_f64_e32 v[54:55], v[56:57], v[30:31]
	v_add_f64 v[122:123], v[122:123], -v[54:55]
	s_waitcnt lgkmcnt(0)
	v_mul_f64 v[54:55], v[116:117], v[36:37]
	v_add_f64 v[120:121], v[120:121], -v[124:125]
	v_fma_f64 v[124:125], v[114:115], v[34:35], -v[54:55]
	v_mul_f64 v[114:115], v[114:115], v[36:37]
	ds_read_b128 v[54:57], v134 offset:96
	v_fmac_f64_e32 v[114:115], v[116:117], v[34:35]
	v_add_f64 v[122:123], v[122:123], -v[114:115]
	ds_read_b128 v[114:117], v134 offset:112
	v_add_f64 v[120:121], v[120:121], -v[124:125]
	s_waitcnt lgkmcnt(1)
	v_mul_f64 v[124:125], v[56:57], v[44:45]
	v_fma_f64 v[124:125], v[54:55], v[42:43], -v[124:125]
	v_mul_f64 v[54:55], v[54:55], v[44:45]
	v_fmac_f64_e32 v[54:55], v[56:57], v[42:43]
	v_add_f64 v[56:57], v[120:121], -v[124:125]
	s_waitcnt lgkmcnt(0)
	v_mul_f64 v[120:121], v[116:117], v[48:49]
	v_add_f64 v[54:55], v[122:123], -v[54:55]
	v_fma_f64 v[124:125], v[114:115], v[46:47], -v[120:121]
	ds_read_b128 v[120:123], v119 offset:4224
	v_mul_f64 v[114:115], v[114:115], v[48:49]
	v_fmac_f64_e32 v[114:115], v[116:117], v[46:47]
	v_add_f64 v[124:125], v[56:57], -v[124:125]
	v_add_f64 v[56:57], v[54:55], -v[114:115]
	ds_read_b128 v[114:117], v119 offset:4752
	s_waitcnt lgkmcnt(1)
	v_mul_f64 v[54:55], v[122:123], v[56:57]
	v_mul_f64 v[56:57], v[120:121], v[56:57]
	v_fma_f64 v[54:55], v[120:121], v[124:125], -v[54:55]
	v_fmac_f64_e32 v[56:57], v[122:123], v[124:125]
	v_add_u32_e32 v124, s12, v1
	s_add_i32 s12, s5, s15
	v_mov_b32_e32 v138, s12
	ds_read_b128 v[120:123], v138
	ds_write_b128 v124, v[54:57]
	ds_read_b128 v[124:127], v138 offset:16
	ds_read_b128 v[128:131], v138 offset:32
	;; [unrolled: 1-line block ×3, first 2 shown]
	s_or_b32 s12, s11, 0x1400
	s_add_i32 s16, s5, s12
	s_waitcnt lgkmcnt(4)
	v_mul_f64 v[136:137], v[122:123], v[16:17]
	v_fma_f64 v[136:137], v[120:121], v[14:15], -v[136:137]
	v_mul_f64 v[120:121], v[120:121], v[16:17]
	v_fmac_f64_e32 v[120:121], v[122:123], v[14:15]
	v_add_f64 v[60:61], v[60:61], -v[120:121]
	s_waitcnt lgkmcnt(2)
	v_mul_f64 v[120:121], v[126:127], v[20:21]
	v_add_f64 v[58:59], v[58:59], -v[136:137]
	v_fma_f64 v[120:121], v[124:125], v[18:19], -v[120:121]
	v_mul_f64 v[122:123], v[124:125], v[20:21]
	v_fmac_f64_e32 v[122:123], v[126:127], v[18:19]
	v_add_f64 v[58:59], v[58:59], -v[120:121]
	s_waitcnt lgkmcnt(1)
	v_mul_f64 v[120:121], v[130:131], v[24:25]
	v_add_f64 v[60:61], v[60:61], -v[122:123]
	;; [unrolled: 7-line block ×3, first 2 shown]
	v_fma_f64 v[124:125], v[132:133], v[26:27], -v[58:59]
	ds_read_b128 v[58:61], v138 offset:64
	v_mul_f64 v[126:127], v[132:133], v[28:29]
	v_fmac_f64_e32 v[126:127], v[134:135], v[26:27]
	v_add_f64 v[124:125], v[120:121], -v[124:125]
	v_add_f64 v[126:127], v[122:123], -v[126:127]
	ds_read_b128 v[120:123], v138 offset:80
	s_waitcnt lgkmcnt(1)
	v_mul_f64 v[128:129], v[60:61], v[32:33]
	v_fma_f64 v[128:129], v[58:59], v[30:31], -v[128:129]
	v_mul_f64 v[58:59], v[58:59], v[32:33]
	v_fmac_f64_e32 v[58:59], v[60:61], v[30:31]
	v_add_f64 v[126:127], v[126:127], -v[58:59]
	s_waitcnt lgkmcnt(0)
	v_mul_f64 v[58:59], v[122:123], v[36:37]
	v_add_f64 v[124:125], v[124:125], -v[128:129]
	v_fma_f64 v[128:129], v[120:121], v[34:35], -v[58:59]
	v_mul_f64 v[120:121], v[120:121], v[36:37]
	ds_read_b128 v[58:61], v138 offset:96
	v_fmac_f64_e32 v[120:121], v[122:123], v[34:35]
	v_add_f64 v[126:127], v[126:127], -v[120:121]
	ds_read_b128 v[120:123], v138 offset:112
	v_add_f64 v[124:125], v[124:125], -v[128:129]
	s_waitcnt lgkmcnt(1)
	v_mul_f64 v[128:129], v[60:61], v[44:45]
	v_fma_f64 v[128:129], v[58:59], v[42:43], -v[128:129]
	v_mul_f64 v[58:59], v[58:59], v[44:45]
	v_fmac_f64_e32 v[58:59], v[60:61], v[42:43]
	v_add_f64 v[60:61], v[124:125], -v[128:129]
	s_waitcnt lgkmcnt(0)
	v_mul_f64 v[124:125], v[122:123], v[48:49]
	v_fma_f64 v[124:125], v[120:121], v[46:47], -v[124:125]
	v_mul_f64 v[120:121], v[120:121], v[48:49]
	v_add_f64 v[58:59], v[126:127], -v[58:59]
	v_fmac_f64_e32 v[120:121], v[122:123], v[46:47]
	v_add_f64 v[124:125], v[60:61], -v[124:125]
	v_add_f64 v[126:127], v[58:59], -v[120:121]
	ds_read_b128 v[58:61], v138 offset:128
	v_mov_b32_e32 v134, s16
	ds_read_b128 v[120:123], v134
	s_waitcnt lgkmcnt(1)
	v_mul_f64 v[128:129], v[60:61], v[56:57]
	v_fma_f64 v[128:129], v[58:59], v[54:55], -v[128:129]
	v_mul_f64 v[58:59], v[58:59], v[56:57]
	v_fmac_f64_e32 v[58:59], v[60:61], v[54:55]
	v_add_f64 v[60:61], v[126:127], -v[58:59]
	v_add_f64 v[124:125], v[124:125], -v[128:129]
	v_mul_f64 v[58:59], v[116:117], v[60:61]
	v_mul_f64 v[60:61], v[114:115], v[60:61]
	v_fma_f64 v[58:59], v[114:115], v[124:125], -v[58:59]
	v_fmac_f64_e32 v[60:61], v[116:117], v[124:125]
	v_add_u32_e32 v114, s15, v1
	ds_write_b128 v114, v[58:61]
	ds_read_b128 v[114:117], v134 offset:16
	ds_read_b128 v[124:127], v134 offset:32
	;; [unrolled: 1-line block ×3, first 2 shown]
	s_waitcnt lgkmcnt(4)
	v_mul_f64 v[132:133], v[122:123], v[16:17]
	v_fma_f64 v[132:133], v[120:121], v[14:15], -v[132:133]
	v_mul_f64 v[120:121], v[120:121], v[16:17]
	v_fmac_f64_e32 v[120:121], v[122:123], v[14:15]
	v_add_f64 v[68:69], v[68:69], -v[120:121]
	s_waitcnt lgkmcnt(2)
	v_mul_f64 v[120:121], v[116:117], v[20:21]
	v_fma_f64 v[120:121], v[114:115], v[18:19], -v[120:121]
	v_mul_f64 v[114:115], v[114:115], v[20:21]
	v_fmac_f64_e32 v[114:115], v[116:117], v[18:19]
	v_add_f64 v[66:67], v[66:67], -v[132:133]
	v_add_f64 v[68:69], v[68:69], -v[114:115]
	s_waitcnt lgkmcnt(1)
	v_mul_f64 v[114:115], v[126:127], v[24:25]
	v_mul_f64 v[116:117], v[124:125], v[24:25]
	v_add_f64 v[66:67], v[66:67], -v[120:121]
	v_fma_f64 v[114:115], v[124:125], v[22:23], -v[114:115]
	v_fmac_f64_e32 v[116:117], v[126:127], v[22:23]
	v_add_f64 v[114:115], v[66:67], -v[114:115]
	v_add_f64 v[116:117], v[68:69], -v[116:117]
	ds_read_b128 v[66:69], v134 offset:64
	s_waitcnt lgkmcnt(1)
	v_mul_f64 v[120:121], v[130:131], v[28:29]
	v_fma_f64 v[120:121], v[128:129], v[26:27], -v[120:121]
	v_mul_f64 v[122:123], v[128:129], v[28:29]
	v_fmac_f64_e32 v[122:123], v[130:131], v[26:27]
	v_add_f64 v[120:121], v[114:115], -v[120:121]
	s_waitcnt lgkmcnt(0)
	v_mul_f64 v[114:115], v[68:69], v[32:33]
	v_add_f64 v[122:123], v[116:117], -v[122:123]
	v_fma_f64 v[124:125], v[66:67], v[30:31], -v[114:115]
	ds_read_b128 v[114:117], v134 offset:80
	v_mul_f64 v[66:67], v[66:67], v[32:33]
	v_fmac_f64_e32 v[66:67], v[68:69], v[30:31]
	v_add_f64 v[122:123], v[122:123], -v[66:67]
	ds_read_b128 v[66:69], v134 offset:96
	v_add_f64 v[120:121], v[120:121], -v[124:125]
	s_waitcnt lgkmcnt(1)
	v_mul_f64 v[124:125], v[116:117], v[36:37]
	v_fma_f64 v[124:125], v[114:115], v[34:35], -v[124:125]
	v_mul_f64 v[114:115], v[114:115], v[36:37]
	v_fmac_f64_e32 v[114:115], v[116:117], v[34:35]
	v_add_f64 v[122:123], v[122:123], -v[114:115]
	s_waitcnt lgkmcnt(0)
	v_mul_f64 v[114:115], v[68:69], v[44:45]
	v_add_f64 v[120:121], v[120:121], -v[124:125]
	v_fma_f64 v[124:125], v[66:67], v[42:43], -v[114:115]
	v_mul_f64 v[66:67], v[66:67], v[44:45]
	ds_read_b128 v[114:117], v134 offset:112
	v_fmac_f64_e32 v[66:67], v[68:69], v[42:43]
	v_add_f64 v[122:123], v[122:123], -v[66:67]
	ds_read_b128 v[66:69], v134 offset:128
	v_add_f64 v[120:121], v[120:121], -v[124:125]
	s_waitcnt lgkmcnt(1)
	v_mul_f64 v[124:125], v[116:117], v[48:49]
	v_fma_f64 v[124:125], v[114:115], v[46:47], -v[124:125]
	v_mul_f64 v[114:115], v[114:115], v[48:49]
	v_fmac_f64_e32 v[114:115], v[116:117], v[46:47]
	v_add_f64 v[116:117], v[120:121], -v[124:125]
	s_waitcnt lgkmcnt(0)
	v_mul_f64 v[120:121], v[68:69], v[56:57]
	v_fma_f64 v[120:121], v[66:67], v[54:55], -v[120:121]
	v_mul_f64 v[66:67], v[66:67], v[56:57]
	v_add_f64 v[114:115], v[122:123], -v[114:115]
	v_fmac_f64_e32 v[66:67], v[68:69], v[54:55]
	v_add_f64 v[126:127], v[114:115], -v[66:67]
	ds_read_b128 v[66:69], v134 offset:144
	s_or_b32 s15, s11, 0x1600
	s_add_i32 s16, s5, s15
	v_mov_b32_e32 v138, s16
	v_add_f64 v[124:125], v[116:117], -v[120:121]
	ds_read_b128 v[114:117], v138
	s_waitcnt lgkmcnt(1)
	v_mul_f64 v[120:121], v[68:69], v[60:61]
	v_fma_f64 v[128:129], v[66:67], v[58:59], -v[120:121]
	ds_read_b128 v[120:123], v119 offset:5280
	v_mul_f64 v[66:67], v[66:67], v[60:61]
	v_fmac_f64_e32 v[66:67], v[68:69], v[58:59]
	v_add_f64 v[68:69], v[126:127], -v[66:67]
	v_add_f64 v[128:129], v[124:125], -v[128:129]
	ds_read_b128 v[124:127], v119 offset:5808
	s_waitcnt lgkmcnt(1)
	v_mul_f64 v[66:67], v[122:123], v[68:69]
	v_mul_f64 v[68:69], v[120:121], v[68:69]
	v_fma_f64 v[66:67], v[120:121], v[128:129], -v[66:67]
	v_fmac_f64_e32 v[68:69], v[122:123], v[128:129]
	v_add_u32_e32 v120, s12, v1
	ds_write_b128 v120, v[66:69]
	ds_read_b128 v[120:123], v138 offset:16
	ds_read_b128 v[128:131], v138 offset:32
	;; [unrolled: 1-line block ×3, first 2 shown]
	v_mul_f64 v[136:137], v[116:117], v[16:17]
	v_fma_f64 v[136:137], v[114:115], v[14:15], -v[136:137]
	v_mul_f64 v[114:115], v[114:115], v[16:17]
	v_fmac_f64_e32 v[114:115], v[116:117], v[14:15]
	v_add_f64 v[72:73], v[72:73], -v[114:115]
	s_waitcnt lgkmcnt(2)
	v_mul_f64 v[114:115], v[122:123], v[20:21]
	v_mul_f64 v[116:117], v[120:121], v[20:21]
	v_add_f64 v[70:71], v[70:71], -v[136:137]
	v_fma_f64 v[114:115], v[120:121], v[18:19], -v[114:115]
	v_fmac_f64_e32 v[116:117], v[122:123], v[18:19]
	v_add_f64 v[70:71], v[70:71], -v[114:115]
	v_add_f64 v[72:73], v[72:73], -v[116:117]
	s_waitcnt lgkmcnt(1)
	v_mul_f64 v[114:115], v[130:131], v[24:25]
	v_mul_f64 v[116:117], v[128:129], v[24:25]
	v_fma_f64 v[114:115], v[128:129], v[22:23], -v[114:115]
	v_fmac_f64_e32 v[116:117], v[130:131], v[22:23]
	v_add_f64 v[114:115], v[70:71], -v[114:115]
	v_add_f64 v[116:117], v[72:73], -v[116:117]
	ds_read_b128 v[70:73], v138 offset:64
	s_waitcnt lgkmcnt(1)
	v_mul_f64 v[120:121], v[134:135], v[28:29]
	v_fma_f64 v[120:121], v[132:133], v[26:27], -v[120:121]
	v_mul_f64 v[122:123], v[132:133], v[28:29]
	v_fmac_f64_e32 v[122:123], v[134:135], v[26:27]
	v_add_f64 v[120:121], v[114:115], -v[120:121]
	s_waitcnt lgkmcnt(0)
	v_mul_f64 v[114:115], v[72:73], v[32:33]
	v_add_f64 v[122:123], v[116:117], -v[122:123]
	v_fma_f64 v[128:129], v[70:71], v[30:31], -v[114:115]
	ds_read_b128 v[114:117], v138 offset:80
	v_mul_f64 v[70:71], v[70:71], v[32:33]
	v_fmac_f64_e32 v[70:71], v[72:73], v[30:31]
	v_add_f64 v[122:123], v[122:123], -v[70:71]
	ds_read_b128 v[70:73], v138 offset:96
	v_add_f64 v[120:121], v[120:121], -v[128:129]
	s_waitcnt lgkmcnt(1)
	v_mul_f64 v[128:129], v[116:117], v[36:37]
	v_fma_f64 v[128:129], v[114:115], v[34:35], -v[128:129]
	v_mul_f64 v[114:115], v[114:115], v[36:37]
	v_fmac_f64_e32 v[114:115], v[116:117], v[34:35]
	v_add_f64 v[122:123], v[122:123], -v[114:115]
	s_waitcnt lgkmcnt(0)
	v_mul_f64 v[114:115], v[72:73], v[44:45]
	v_add_f64 v[120:121], v[120:121], -v[128:129]
	v_fma_f64 v[128:129], v[70:71], v[42:43], -v[114:115]
	ds_read_b128 v[114:117], v138 offset:112
	v_mul_f64 v[70:71], v[70:71], v[44:45]
	v_fmac_f64_e32 v[70:71], v[72:73], v[42:43]
	v_add_f64 v[122:123], v[122:123], -v[70:71]
	ds_read_b128 v[70:73], v138 offset:128
	v_add_f64 v[120:121], v[120:121], -v[128:129]
	s_waitcnt lgkmcnt(1)
	v_mul_f64 v[128:129], v[116:117], v[48:49]
	v_fma_f64 v[128:129], v[114:115], v[46:47], -v[128:129]
	v_mul_f64 v[114:115], v[114:115], v[48:49]
	v_fmac_f64_e32 v[114:115], v[116:117], v[46:47]
	v_add_f64 v[122:123], v[122:123], -v[114:115]
	s_waitcnt lgkmcnt(0)
	v_mul_f64 v[114:115], v[72:73], v[56:57]
	v_add_f64 v[120:121], v[120:121], -v[128:129]
	v_fma_f64 v[128:129], v[70:71], v[54:55], -v[114:115]
	v_mul_f64 v[70:71], v[70:71], v[56:57]
	ds_read_b128 v[114:117], v138 offset:144
	v_fmac_f64_e32 v[70:71], v[72:73], v[54:55]
	v_add_f64 v[122:123], v[122:123], -v[70:71]
	ds_read_b128 v[70:73], v138 offset:160
	v_add_f64 v[120:121], v[120:121], -v[128:129]
	s_waitcnt lgkmcnt(1)
	v_mul_f64 v[128:129], v[116:117], v[60:61]
	v_fma_f64 v[128:129], v[114:115], v[58:59], -v[128:129]
	v_mul_f64 v[114:115], v[114:115], v[60:61]
	v_fmac_f64_e32 v[114:115], v[116:117], v[58:59]
	v_add_f64 v[116:117], v[120:121], -v[128:129]
	s_waitcnt lgkmcnt(0)
	v_mul_f64 v[120:121], v[72:73], v[68:69]
	v_fma_f64 v[120:121], v[70:71], v[66:67], -v[120:121]
	v_mul_f64 v[70:71], v[70:71], v[68:69]
	v_add_f64 v[114:115], v[122:123], -v[114:115]
	v_fmac_f64_e32 v[70:71], v[72:73], v[66:67]
	s_or_b32 s12, s11, 0x1800
	v_add_f64 v[116:117], v[116:117], -v[120:121]
	v_add_f64 v[72:73], v[114:115], -v[70:71]
	v_add_u32_e32 v120, s15, v1
	s_add_i32 s15, s5, s12
	v_mul_f64 v[70:71], v[126:127], v[72:73]
	v_mul_f64 v[72:73], v[124:125], v[72:73]
	v_mov_b32_e32 v134, s15
	v_fma_f64 v[70:71], v[124:125], v[116:117], -v[70:71]
	v_fmac_f64_e32 v[72:73], v[126:127], v[116:117]
	ds_read_b128 v[114:117], v134
	ds_write_b128 v120, v[70:73]
	ds_read_b128 v[120:123], v134 offset:16
	ds_read_b128 v[124:127], v134 offset:32
	;; [unrolled: 1-line block ×3, first 2 shown]
	s_or_b32 s15, s11, 0x1a00
	s_waitcnt lgkmcnt(4)
	v_mul_f64 v[132:133], v[116:117], v[16:17]
	v_fma_f64 v[132:133], v[114:115], v[14:15], -v[132:133]
	v_mul_f64 v[114:115], v[114:115], v[16:17]
	v_fmac_f64_e32 v[114:115], v[116:117], v[14:15]
	v_add_f64 v[80:81], v[80:81], -v[114:115]
	s_waitcnt lgkmcnt(2)
	v_mul_f64 v[114:115], v[122:123], v[20:21]
	v_add_f64 v[78:79], v[78:79], -v[132:133]
	v_fma_f64 v[114:115], v[120:121], v[18:19], -v[114:115]
	v_mul_f64 v[116:117], v[120:121], v[20:21]
	v_fmac_f64_e32 v[116:117], v[122:123], v[18:19]
	v_add_f64 v[78:79], v[78:79], -v[114:115]
	s_waitcnt lgkmcnt(1)
	v_mul_f64 v[114:115], v[126:127], v[24:25]
	v_add_f64 v[80:81], v[80:81], -v[116:117]
	;; [unrolled: 7-line block ×3, first 2 shown]
	v_fma_f64 v[120:121], v[128:129], v[26:27], -v[78:79]
	ds_read_b128 v[78:81], v134 offset:64
	v_mul_f64 v[122:123], v[128:129], v[28:29]
	v_fmac_f64_e32 v[122:123], v[130:131], v[26:27]
	v_add_f64 v[120:121], v[114:115], -v[120:121]
	v_add_f64 v[122:123], v[116:117], -v[122:123]
	ds_read_b128 v[114:117], v134 offset:80
	s_waitcnt lgkmcnt(1)
	v_mul_f64 v[124:125], v[80:81], v[32:33]
	v_fma_f64 v[124:125], v[78:79], v[30:31], -v[124:125]
	v_mul_f64 v[78:79], v[78:79], v[32:33]
	v_fmac_f64_e32 v[78:79], v[80:81], v[30:31]
	v_add_f64 v[122:123], v[122:123], -v[78:79]
	s_waitcnt lgkmcnt(0)
	v_mul_f64 v[78:79], v[116:117], v[36:37]
	v_add_f64 v[120:121], v[120:121], -v[124:125]
	v_fma_f64 v[124:125], v[114:115], v[34:35], -v[78:79]
	ds_read_b128 v[78:81], v134 offset:96
	v_mul_f64 v[114:115], v[114:115], v[36:37]
	v_fmac_f64_e32 v[114:115], v[116:117], v[34:35]
	v_add_f64 v[122:123], v[122:123], -v[114:115]
	ds_read_b128 v[114:117], v134 offset:112
	v_add_f64 v[120:121], v[120:121], -v[124:125]
	s_waitcnt lgkmcnt(1)
	v_mul_f64 v[124:125], v[80:81], v[44:45]
	v_fma_f64 v[124:125], v[78:79], v[42:43], -v[124:125]
	v_mul_f64 v[78:79], v[78:79], v[44:45]
	v_fmac_f64_e32 v[78:79], v[80:81], v[42:43]
	v_add_f64 v[122:123], v[122:123], -v[78:79]
	s_waitcnt lgkmcnt(0)
	v_mul_f64 v[78:79], v[116:117], v[48:49]
	v_add_f64 v[120:121], v[120:121], -v[124:125]
	v_fma_f64 v[124:125], v[114:115], v[46:47], -v[78:79]
	ds_read_b128 v[78:81], v134 offset:128
	v_mul_f64 v[114:115], v[114:115], v[48:49]
	v_fmac_f64_e32 v[114:115], v[116:117], v[46:47]
	v_add_f64 v[122:123], v[122:123], -v[114:115]
	ds_read_b128 v[114:117], v134 offset:144
	v_add_f64 v[120:121], v[120:121], -v[124:125]
	s_waitcnt lgkmcnt(1)
	v_mul_f64 v[124:125], v[80:81], v[56:57]
	v_fma_f64 v[124:125], v[78:79], v[54:55], -v[124:125]
	v_mul_f64 v[78:79], v[78:79], v[56:57]
	v_fmac_f64_e32 v[78:79], v[80:81], v[54:55]
	v_add_f64 v[122:123], v[122:123], -v[78:79]
	s_waitcnt lgkmcnt(0)
	v_mul_f64 v[78:79], v[116:117], v[60:61]
	v_add_f64 v[120:121], v[120:121], -v[124:125]
	v_fma_f64 v[124:125], v[114:115], v[58:59], -v[78:79]
	v_mul_f64 v[114:115], v[114:115], v[60:61]
	ds_read_b128 v[78:81], v134 offset:160
	v_fmac_f64_e32 v[114:115], v[116:117], v[58:59]
	v_add_f64 v[122:123], v[122:123], -v[114:115]
	ds_read_b128 v[114:117], v134 offset:176
	v_add_f64 v[120:121], v[120:121], -v[124:125]
	s_waitcnt lgkmcnt(1)
	v_mul_f64 v[124:125], v[80:81], v[68:69]
	v_fma_f64 v[124:125], v[78:79], v[66:67], -v[124:125]
	v_mul_f64 v[78:79], v[78:79], v[68:69]
	v_fmac_f64_e32 v[78:79], v[80:81], v[66:67]
	v_add_f64 v[80:81], v[120:121], -v[124:125]
	s_waitcnt lgkmcnt(0)
	v_mul_f64 v[120:121], v[116:117], v[72:73]
	v_add_f64 v[78:79], v[122:123], -v[78:79]
	v_fma_f64 v[124:125], v[114:115], v[70:71], -v[120:121]
	ds_read_b128 v[120:123], v119 offset:6336
	v_mul_f64 v[114:115], v[114:115], v[72:73]
	v_fmac_f64_e32 v[114:115], v[116:117], v[70:71]
	v_add_f64 v[124:125], v[80:81], -v[124:125]
	v_add_f64 v[80:81], v[78:79], -v[114:115]
	ds_read_b128 v[114:117], v119 offset:6864
	s_waitcnt lgkmcnt(1)
	v_mul_f64 v[78:79], v[122:123], v[80:81]
	v_mul_f64 v[80:81], v[120:121], v[80:81]
	v_fma_f64 v[78:79], v[120:121], v[124:125], -v[78:79]
	v_fmac_f64_e32 v[80:81], v[122:123], v[124:125]
	v_add_u32_e32 v124, s12, v1
	s_add_i32 s12, s5, s15
	v_mov_b32_e32 v138, s12
	ds_read_b128 v[120:123], v138
	ds_write_b128 v124, v[78:81]
	ds_read_b128 v[124:127], v138 offset:16
	ds_read_b128 v[128:131], v138 offset:32
	;; [unrolled: 1-line block ×3, first 2 shown]
	s_or_b32 s12, s11, 0x1c00
	s_add_i32 s16, s5, s12
	s_waitcnt lgkmcnt(4)
	v_mul_f64 v[136:137], v[122:123], v[16:17]
	v_fma_f64 v[136:137], v[120:121], v[14:15], -v[136:137]
	v_mul_f64 v[120:121], v[120:121], v[16:17]
	v_fmac_f64_e32 v[120:121], v[122:123], v[14:15]
	v_add_f64 v[84:85], v[84:85], -v[120:121]
	s_waitcnt lgkmcnt(2)
	v_mul_f64 v[120:121], v[126:127], v[20:21]
	v_add_f64 v[82:83], v[82:83], -v[136:137]
	v_fma_f64 v[120:121], v[124:125], v[18:19], -v[120:121]
	v_mul_f64 v[122:123], v[124:125], v[20:21]
	v_fmac_f64_e32 v[122:123], v[126:127], v[18:19]
	v_add_f64 v[82:83], v[82:83], -v[120:121]
	s_waitcnt lgkmcnt(1)
	v_mul_f64 v[120:121], v[130:131], v[24:25]
	v_add_f64 v[84:85], v[84:85], -v[122:123]
	;; [unrolled: 7-line block ×3, first 2 shown]
	v_fma_f64 v[124:125], v[132:133], v[26:27], -v[82:83]
	ds_read_b128 v[82:85], v138 offset:64
	v_mul_f64 v[126:127], v[132:133], v[28:29]
	v_fmac_f64_e32 v[126:127], v[134:135], v[26:27]
	v_add_f64 v[124:125], v[120:121], -v[124:125]
	v_add_f64 v[126:127], v[122:123], -v[126:127]
	ds_read_b128 v[120:123], v138 offset:80
	s_waitcnt lgkmcnt(1)
	v_mul_f64 v[128:129], v[84:85], v[32:33]
	v_fma_f64 v[128:129], v[82:83], v[30:31], -v[128:129]
	v_mul_f64 v[82:83], v[82:83], v[32:33]
	v_fmac_f64_e32 v[82:83], v[84:85], v[30:31]
	v_add_f64 v[126:127], v[126:127], -v[82:83]
	s_waitcnt lgkmcnt(0)
	v_mul_f64 v[82:83], v[122:123], v[36:37]
	v_add_f64 v[124:125], v[124:125], -v[128:129]
	v_fma_f64 v[128:129], v[120:121], v[34:35], -v[82:83]
	ds_read_b128 v[82:85], v138 offset:96
	v_mul_f64 v[120:121], v[120:121], v[36:37]
	v_fmac_f64_e32 v[120:121], v[122:123], v[34:35]
	v_add_f64 v[126:127], v[126:127], -v[120:121]
	ds_read_b128 v[120:123], v138 offset:112
	v_add_f64 v[124:125], v[124:125], -v[128:129]
	s_waitcnt lgkmcnt(1)
	v_mul_f64 v[128:129], v[84:85], v[44:45]
	v_fma_f64 v[128:129], v[82:83], v[42:43], -v[128:129]
	v_mul_f64 v[82:83], v[82:83], v[44:45]
	v_fmac_f64_e32 v[82:83], v[84:85], v[42:43]
	v_add_f64 v[126:127], v[126:127], -v[82:83]
	s_waitcnt lgkmcnt(0)
	v_mul_f64 v[82:83], v[122:123], v[48:49]
	v_add_f64 v[124:125], v[124:125], -v[128:129]
	v_fma_f64 v[128:129], v[120:121], v[46:47], -v[82:83]
	ds_read_b128 v[82:85], v138 offset:128
	v_mul_f64 v[120:121], v[120:121], v[48:49]
	v_fmac_f64_e32 v[120:121], v[122:123], v[46:47]
	v_add_f64 v[126:127], v[126:127], -v[120:121]
	ds_read_b128 v[120:123], v138 offset:144
	v_add_f64 v[124:125], v[124:125], -v[128:129]
	s_waitcnt lgkmcnt(1)
	v_mul_f64 v[128:129], v[84:85], v[56:57]
	v_fma_f64 v[128:129], v[82:83], v[54:55], -v[128:129]
	v_mul_f64 v[82:83], v[82:83], v[56:57]
	v_fmac_f64_e32 v[82:83], v[84:85], v[54:55]
	v_add_f64 v[126:127], v[126:127], -v[82:83]
	s_waitcnt lgkmcnt(0)
	v_mul_f64 v[82:83], v[122:123], v[60:61]
	v_add_f64 v[124:125], v[124:125], -v[128:129]
	v_fma_f64 v[128:129], v[120:121], v[58:59], -v[82:83]
	v_mul_f64 v[120:121], v[120:121], v[60:61]
	ds_read_b128 v[82:85], v138 offset:160
	v_fmac_f64_e32 v[120:121], v[122:123], v[58:59]
	v_add_f64 v[126:127], v[126:127], -v[120:121]
	ds_read_b128 v[120:123], v138 offset:176
	v_add_f64 v[124:125], v[124:125], -v[128:129]
	s_waitcnt lgkmcnt(1)
	v_mul_f64 v[128:129], v[84:85], v[68:69]
	v_fma_f64 v[128:129], v[82:83], v[66:67], -v[128:129]
	v_mul_f64 v[82:83], v[82:83], v[68:69]
	v_fmac_f64_e32 v[82:83], v[84:85], v[66:67]
	v_add_f64 v[84:85], v[124:125], -v[128:129]
	s_waitcnt lgkmcnt(0)
	v_mul_f64 v[124:125], v[122:123], v[72:73]
	v_fma_f64 v[124:125], v[120:121], v[70:71], -v[124:125]
	v_mul_f64 v[120:121], v[120:121], v[72:73]
	v_add_f64 v[82:83], v[126:127], -v[82:83]
	v_fmac_f64_e32 v[120:121], v[122:123], v[70:71]
	v_add_f64 v[124:125], v[84:85], -v[124:125]
	v_add_f64 v[126:127], v[82:83], -v[120:121]
	ds_read_b128 v[82:85], v138 offset:192
	v_mov_b32_e32 v134, s16
	ds_read_b128 v[120:123], v134
	s_waitcnt lgkmcnt(1)
	v_mul_f64 v[128:129], v[84:85], v[80:81]
	v_fma_f64 v[128:129], v[82:83], v[78:79], -v[128:129]
	v_mul_f64 v[82:83], v[82:83], v[80:81]
	v_fmac_f64_e32 v[82:83], v[84:85], v[78:79]
	v_add_f64 v[84:85], v[126:127], -v[82:83]
	v_add_f64 v[124:125], v[124:125], -v[128:129]
	v_mul_f64 v[82:83], v[116:117], v[84:85]
	v_mul_f64 v[84:85], v[114:115], v[84:85]
	v_fma_f64 v[82:83], v[114:115], v[124:125], -v[82:83]
	v_fmac_f64_e32 v[84:85], v[116:117], v[124:125]
	v_add_u32_e32 v114, s15, v1
	ds_write_b128 v114, v[82:85]
	ds_read_b128 v[114:117], v134 offset:16
	ds_read_b128 v[124:127], v134 offset:32
	;; [unrolled: 1-line block ×3, first 2 shown]
	s_waitcnt lgkmcnt(4)
	v_mul_f64 v[132:133], v[122:123], v[16:17]
	v_fma_f64 v[132:133], v[120:121], v[14:15], -v[132:133]
	v_mul_f64 v[120:121], v[120:121], v[16:17]
	v_fmac_f64_e32 v[120:121], v[122:123], v[14:15]
	v_add_f64 v[96:97], v[96:97], -v[120:121]
	s_waitcnt lgkmcnt(2)
	v_mul_f64 v[120:121], v[116:117], v[20:21]
	v_fma_f64 v[120:121], v[114:115], v[18:19], -v[120:121]
	v_mul_f64 v[114:115], v[114:115], v[20:21]
	v_fmac_f64_e32 v[114:115], v[116:117], v[18:19]
	v_add_f64 v[94:95], v[94:95], -v[132:133]
	v_add_f64 v[96:97], v[96:97], -v[114:115]
	s_waitcnt lgkmcnt(1)
	v_mul_f64 v[114:115], v[126:127], v[24:25]
	v_mul_f64 v[116:117], v[124:125], v[24:25]
	v_add_f64 v[94:95], v[94:95], -v[120:121]
	v_fma_f64 v[114:115], v[124:125], v[22:23], -v[114:115]
	v_fmac_f64_e32 v[116:117], v[126:127], v[22:23]
	v_add_f64 v[114:115], v[94:95], -v[114:115]
	v_add_f64 v[116:117], v[96:97], -v[116:117]
	ds_read_b128 v[94:97], v134 offset:64
	s_waitcnt lgkmcnt(1)
	v_mul_f64 v[120:121], v[130:131], v[28:29]
	v_fma_f64 v[120:121], v[128:129], v[26:27], -v[120:121]
	v_mul_f64 v[122:123], v[128:129], v[28:29]
	v_fmac_f64_e32 v[122:123], v[130:131], v[26:27]
	v_add_f64 v[120:121], v[114:115], -v[120:121]
	s_waitcnt lgkmcnt(0)
	v_mul_f64 v[114:115], v[96:97], v[32:33]
	v_add_f64 v[122:123], v[116:117], -v[122:123]
	v_fma_f64 v[124:125], v[94:95], v[30:31], -v[114:115]
	ds_read_b128 v[114:117], v134 offset:80
	v_mul_f64 v[94:95], v[94:95], v[32:33]
	v_fmac_f64_e32 v[94:95], v[96:97], v[30:31]
	v_add_f64 v[122:123], v[122:123], -v[94:95]
	ds_read_b128 v[94:97], v134 offset:96
	v_add_f64 v[120:121], v[120:121], -v[124:125]
	s_waitcnt lgkmcnt(1)
	v_mul_f64 v[124:125], v[116:117], v[36:37]
	v_fma_f64 v[124:125], v[114:115], v[34:35], -v[124:125]
	v_mul_f64 v[114:115], v[114:115], v[36:37]
	v_fmac_f64_e32 v[114:115], v[116:117], v[34:35]
	v_add_f64 v[122:123], v[122:123], -v[114:115]
	s_waitcnt lgkmcnt(0)
	v_mul_f64 v[114:115], v[96:97], v[44:45]
	v_add_f64 v[120:121], v[120:121], -v[124:125]
	v_fma_f64 v[124:125], v[94:95], v[42:43], -v[114:115]
	ds_read_b128 v[114:117], v134 offset:112
	v_mul_f64 v[94:95], v[94:95], v[44:45]
	v_fmac_f64_e32 v[94:95], v[96:97], v[42:43]
	v_add_f64 v[122:123], v[122:123], -v[94:95]
	ds_read_b128 v[94:97], v134 offset:128
	v_add_f64 v[120:121], v[120:121], -v[124:125]
	;; [unrolled: 16-line block ×3, first 2 shown]
	s_waitcnt lgkmcnt(1)
	v_mul_f64 v[124:125], v[116:117], v[60:61]
	v_fma_f64 v[124:125], v[114:115], v[58:59], -v[124:125]
	v_mul_f64 v[114:115], v[114:115], v[60:61]
	v_fmac_f64_e32 v[114:115], v[116:117], v[58:59]
	v_add_f64 v[122:123], v[122:123], -v[114:115]
	s_waitcnt lgkmcnt(0)
	v_mul_f64 v[114:115], v[96:97], v[68:69]
	v_add_f64 v[120:121], v[120:121], -v[124:125]
	v_fma_f64 v[124:125], v[94:95], v[66:67], -v[114:115]
	v_mul_f64 v[94:95], v[94:95], v[68:69]
	ds_read_b128 v[114:117], v134 offset:176
	v_fmac_f64_e32 v[94:95], v[96:97], v[66:67]
	v_add_f64 v[122:123], v[122:123], -v[94:95]
	ds_read_b128 v[94:97], v134 offset:192
	v_add_f64 v[120:121], v[120:121], -v[124:125]
	s_waitcnt lgkmcnt(1)
	v_mul_f64 v[124:125], v[116:117], v[72:73]
	v_fma_f64 v[124:125], v[114:115], v[70:71], -v[124:125]
	v_mul_f64 v[114:115], v[114:115], v[72:73]
	v_fmac_f64_e32 v[114:115], v[116:117], v[70:71]
	v_add_f64 v[116:117], v[120:121], -v[124:125]
	s_waitcnt lgkmcnt(0)
	v_mul_f64 v[120:121], v[96:97], v[80:81]
	v_fma_f64 v[120:121], v[94:95], v[78:79], -v[120:121]
	v_mul_f64 v[94:95], v[94:95], v[80:81]
	v_add_f64 v[114:115], v[122:123], -v[114:115]
	v_fmac_f64_e32 v[94:95], v[96:97], v[78:79]
	v_add_f64 v[126:127], v[114:115], -v[94:95]
	ds_read_b128 v[94:97], v134 offset:208
	s_or_b32 s15, s11, 0x1e00
	s_add_i32 s16, s5, s15
	v_mov_b32_e32 v138, s16
	v_add_f64 v[124:125], v[116:117], -v[120:121]
	ds_read_b128 v[114:117], v138
	s_waitcnt lgkmcnt(1)
	v_mul_f64 v[120:121], v[96:97], v[84:85]
	v_fma_f64 v[128:129], v[94:95], v[82:83], -v[120:121]
	ds_read_b128 v[120:123], v119 offset:7392
	v_mul_f64 v[94:95], v[94:95], v[84:85]
	v_fmac_f64_e32 v[94:95], v[96:97], v[82:83]
	v_add_f64 v[96:97], v[126:127], -v[94:95]
	v_add_f64 v[128:129], v[124:125], -v[128:129]
	ds_read_b128 v[124:127], v119 offset:7920
	s_waitcnt lgkmcnt(1)
	v_mul_f64 v[94:95], v[122:123], v[96:97]
	v_mul_f64 v[96:97], v[120:121], v[96:97]
	v_fma_f64 v[94:95], v[120:121], v[128:129], -v[94:95]
	v_fmac_f64_e32 v[96:97], v[122:123], v[128:129]
	v_add_u32_e32 v120, s12, v1
	ds_write_b128 v120, v[94:97]
	ds_read_b128 v[120:123], v138 offset:16
	ds_read_b128 v[128:131], v138 offset:32
	;; [unrolled: 1-line block ×3, first 2 shown]
	v_mul_f64 v[136:137], v[116:117], v[16:17]
	v_fma_f64 v[136:137], v[114:115], v[14:15], -v[136:137]
	v_mul_f64 v[114:115], v[114:115], v[16:17]
	v_fmac_f64_e32 v[114:115], v[116:117], v[14:15]
	v_add_f64 v[100:101], v[100:101], -v[114:115]
	s_waitcnt lgkmcnt(2)
	v_mul_f64 v[114:115], v[122:123], v[20:21]
	v_mul_f64 v[116:117], v[120:121], v[20:21]
	v_add_f64 v[98:99], v[98:99], -v[136:137]
	v_fma_f64 v[114:115], v[120:121], v[18:19], -v[114:115]
	v_fmac_f64_e32 v[116:117], v[122:123], v[18:19]
	v_add_f64 v[98:99], v[98:99], -v[114:115]
	v_add_f64 v[100:101], v[100:101], -v[116:117]
	s_waitcnt lgkmcnt(1)
	v_mul_f64 v[114:115], v[130:131], v[24:25]
	v_mul_f64 v[116:117], v[128:129], v[24:25]
	v_fma_f64 v[114:115], v[128:129], v[22:23], -v[114:115]
	v_fmac_f64_e32 v[116:117], v[130:131], v[22:23]
	v_add_f64 v[114:115], v[98:99], -v[114:115]
	v_add_f64 v[116:117], v[100:101], -v[116:117]
	ds_read_b128 v[98:101], v138 offset:64
	s_waitcnt lgkmcnt(1)
	v_mul_f64 v[120:121], v[134:135], v[28:29]
	v_fma_f64 v[120:121], v[132:133], v[26:27], -v[120:121]
	v_mul_f64 v[122:123], v[132:133], v[28:29]
	v_fmac_f64_e32 v[122:123], v[134:135], v[26:27]
	v_add_f64 v[120:121], v[114:115], -v[120:121]
	s_waitcnt lgkmcnt(0)
	v_mul_f64 v[114:115], v[100:101], v[32:33]
	v_add_f64 v[122:123], v[116:117], -v[122:123]
	v_fma_f64 v[128:129], v[98:99], v[30:31], -v[114:115]
	ds_read_b128 v[114:117], v138 offset:80
	v_mul_f64 v[98:99], v[98:99], v[32:33]
	v_fmac_f64_e32 v[98:99], v[100:101], v[30:31]
	v_add_f64 v[122:123], v[122:123], -v[98:99]
	ds_read_b128 v[98:101], v138 offset:96
	v_add_f64 v[120:121], v[120:121], -v[128:129]
	s_waitcnt lgkmcnt(1)
	v_mul_f64 v[128:129], v[116:117], v[36:37]
	v_fma_f64 v[128:129], v[114:115], v[34:35], -v[128:129]
	v_mul_f64 v[114:115], v[114:115], v[36:37]
	v_fmac_f64_e32 v[114:115], v[116:117], v[34:35]
	v_add_f64 v[122:123], v[122:123], -v[114:115]
	s_waitcnt lgkmcnt(0)
	v_mul_f64 v[114:115], v[100:101], v[44:45]
	v_add_f64 v[120:121], v[120:121], -v[128:129]
	v_fma_f64 v[128:129], v[98:99], v[42:43], -v[114:115]
	ds_read_b128 v[114:117], v138 offset:112
	v_mul_f64 v[98:99], v[98:99], v[44:45]
	v_fmac_f64_e32 v[98:99], v[100:101], v[42:43]
	v_add_f64 v[122:123], v[122:123], -v[98:99]
	ds_read_b128 v[98:101], v138 offset:128
	v_add_f64 v[120:121], v[120:121], -v[128:129]
	;; [unrolled: 16-line block ×4, first 2 shown]
	s_waitcnt lgkmcnt(1)
	v_mul_f64 v[128:129], v[116:117], v[72:73]
	v_fma_f64 v[128:129], v[114:115], v[70:71], -v[128:129]
	v_mul_f64 v[114:115], v[114:115], v[72:73]
	v_fmac_f64_e32 v[114:115], v[116:117], v[70:71]
	v_add_f64 v[122:123], v[122:123], -v[114:115]
	s_waitcnt lgkmcnt(0)
	v_mul_f64 v[114:115], v[100:101], v[80:81]
	v_add_f64 v[120:121], v[120:121], -v[128:129]
	v_fma_f64 v[128:129], v[98:99], v[78:79], -v[114:115]
	v_mul_f64 v[98:99], v[98:99], v[80:81]
	ds_read_b128 v[114:117], v138 offset:208
	v_fmac_f64_e32 v[98:99], v[100:101], v[78:79]
	v_add_f64 v[122:123], v[122:123], -v[98:99]
	ds_read_b128 v[98:101], v138 offset:224
	v_add_f64 v[120:121], v[120:121], -v[128:129]
	s_waitcnt lgkmcnt(1)
	v_mul_f64 v[128:129], v[116:117], v[84:85]
	v_fma_f64 v[128:129], v[114:115], v[82:83], -v[128:129]
	v_mul_f64 v[114:115], v[114:115], v[84:85]
	v_fmac_f64_e32 v[114:115], v[116:117], v[82:83]
	v_add_f64 v[116:117], v[120:121], -v[128:129]
	s_waitcnt lgkmcnt(0)
	v_mul_f64 v[120:121], v[100:101], v[96:97]
	v_fma_f64 v[120:121], v[98:99], v[94:95], -v[120:121]
	v_mul_f64 v[98:99], v[98:99], v[96:97]
	v_add_f64 v[114:115], v[122:123], -v[114:115]
	v_fmac_f64_e32 v[98:99], v[100:101], v[94:95]
	s_or_b32 s12, s11, 0x2000
	v_add_f64 v[116:117], v[116:117], -v[120:121]
	v_add_f64 v[100:101], v[114:115], -v[98:99]
	v_add_u32_e32 v120, s15, v1
	s_add_i32 s15, s5, s12
	v_mul_f64 v[98:99], v[126:127], v[100:101]
	v_mul_f64 v[100:101], v[124:125], v[100:101]
	v_mov_b32_e32 v134, s15
	v_fma_f64 v[98:99], v[124:125], v[116:117], -v[98:99]
	v_fmac_f64_e32 v[100:101], v[126:127], v[116:117]
	ds_read_b128 v[114:117], v134
	ds_write_b128 v120, v[98:101]
	ds_read_b128 v[120:123], v134 offset:16
	ds_read_b128 v[124:127], v134 offset:32
	;; [unrolled: 1-line block ×3, first 2 shown]
	s_or_b32 s15, s11, 0x2200
	s_waitcnt lgkmcnt(4)
	v_mul_f64 v[132:133], v[116:117], v[16:17]
	v_fma_f64 v[132:133], v[114:115], v[14:15], -v[132:133]
	v_mul_f64 v[114:115], v[114:115], v[16:17]
	v_fmac_f64_e32 v[114:115], v[116:117], v[14:15]
	v_add_f64 v[112:113], v[112:113], -v[114:115]
	s_waitcnt lgkmcnt(2)
	v_mul_f64 v[114:115], v[122:123], v[20:21]
	v_add_f64 v[110:111], v[110:111], -v[132:133]
	v_fma_f64 v[114:115], v[120:121], v[18:19], -v[114:115]
	v_mul_f64 v[116:117], v[120:121], v[20:21]
	v_fmac_f64_e32 v[116:117], v[122:123], v[18:19]
	v_add_f64 v[110:111], v[110:111], -v[114:115]
	s_waitcnt lgkmcnt(1)
	v_mul_f64 v[114:115], v[126:127], v[24:25]
	v_add_f64 v[112:113], v[112:113], -v[116:117]
	;; [unrolled: 7-line block ×3, first 2 shown]
	v_fma_f64 v[120:121], v[128:129], v[26:27], -v[110:111]
	ds_read_b128 v[110:113], v134 offset:64
	v_mul_f64 v[122:123], v[128:129], v[28:29]
	v_fmac_f64_e32 v[122:123], v[130:131], v[26:27]
	v_add_f64 v[120:121], v[114:115], -v[120:121]
	v_add_f64 v[122:123], v[116:117], -v[122:123]
	ds_read_b128 v[114:117], v134 offset:80
	s_waitcnt lgkmcnt(1)
	v_mul_f64 v[124:125], v[112:113], v[32:33]
	v_fma_f64 v[124:125], v[110:111], v[30:31], -v[124:125]
	v_mul_f64 v[110:111], v[110:111], v[32:33]
	v_fmac_f64_e32 v[110:111], v[112:113], v[30:31]
	v_add_f64 v[122:123], v[122:123], -v[110:111]
	s_waitcnt lgkmcnt(0)
	v_mul_f64 v[110:111], v[116:117], v[36:37]
	v_add_f64 v[120:121], v[120:121], -v[124:125]
	v_fma_f64 v[124:125], v[114:115], v[34:35], -v[110:111]
	ds_read_b128 v[110:113], v134 offset:96
	v_mul_f64 v[114:115], v[114:115], v[36:37]
	v_fmac_f64_e32 v[114:115], v[116:117], v[34:35]
	v_add_f64 v[122:123], v[122:123], -v[114:115]
	ds_read_b128 v[114:117], v134 offset:112
	v_add_f64 v[120:121], v[120:121], -v[124:125]
	s_waitcnt lgkmcnt(1)
	v_mul_f64 v[124:125], v[112:113], v[44:45]
	v_fma_f64 v[124:125], v[110:111], v[42:43], -v[124:125]
	v_mul_f64 v[110:111], v[110:111], v[44:45]
	v_fmac_f64_e32 v[110:111], v[112:113], v[42:43]
	v_add_f64 v[122:123], v[122:123], -v[110:111]
	s_waitcnt lgkmcnt(0)
	v_mul_f64 v[110:111], v[116:117], v[48:49]
	v_add_f64 v[120:121], v[120:121], -v[124:125]
	v_fma_f64 v[124:125], v[114:115], v[46:47], -v[110:111]
	ds_read_b128 v[110:113], v134 offset:128
	v_mul_f64 v[114:115], v[114:115], v[48:49]
	v_fmac_f64_e32 v[114:115], v[116:117], v[46:47]
	v_add_f64 v[122:123], v[122:123], -v[114:115]
	ds_read_b128 v[114:117], v134 offset:144
	v_add_f64 v[120:121], v[120:121], -v[124:125]
	;; [unrolled: 16-line block ×4, first 2 shown]
	s_waitcnt lgkmcnt(1)
	v_mul_f64 v[124:125], v[112:113], v[80:81]
	v_fma_f64 v[124:125], v[110:111], v[78:79], -v[124:125]
	v_mul_f64 v[110:111], v[110:111], v[80:81]
	v_fmac_f64_e32 v[110:111], v[112:113], v[78:79]
	v_add_f64 v[122:123], v[122:123], -v[110:111]
	s_waitcnt lgkmcnt(0)
	v_mul_f64 v[110:111], v[116:117], v[84:85]
	v_add_f64 v[120:121], v[120:121], -v[124:125]
	v_fma_f64 v[124:125], v[114:115], v[82:83], -v[110:111]
	v_mul_f64 v[114:115], v[114:115], v[84:85]
	ds_read_b128 v[110:113], v134 offset:224
	v_fmac_f64_e32 v[114:115], v[116:117], v[82:83]
	v_add_f64 v[122:123], v[122:123], -v[114:115]
	ds_read_b128 v[114:117], v134 offset:240
	v_add_f64 v[120:121], v[120:121], -v[124:125]
	s_waitcnt lgkmcnt(1)
	v_mul_f64 v[124:125], v[112:113], v[96:97]
	v_fma_f64 v[124:125], v[110:111], v[94:95], -v[124:125]
	v_mul_f64 v[110:111], v[110:111], v[96:97]
	v_fmac_f64_e32 v[110:111], v[112:113], v[94:95]
	s_waitcnt lgkmcnt(0)
	v_mul_f64 v[112:113], v[116:117], v[100:101]
	v_add_f64 v[120:121], v[120:121], -v[124:125]
	v_add_f64 v[110:111], v[122:123], -v[110:111]
	v_fma_f64 v[122:123], v[114:115], v[98:99], -v[112:113]
	v_mul_f64 v[124:125], v[114:115], v[100:101]
	ds_read_b128 v[112:115], v119 offset:8448
	v_fmac_f64_e32 v[124:125], v[116:117], v[98:99]
	v_add_f64 v[124:125], v[110:111], -v[124:125]
	v_add_f64 v[116:117], v[120:121], -v[122:123]
	ds_read_b128 v[120:123], v119 offset:8976
	s_waitcnt lgkmcnt(1)
	v_mul_f64 v[110:111], v[114:115], v[124:125]
	v_fma_f64 v[110:111], v[112:113], v[116:117], -v[110:111]
	v_mul_f64 v[112:113], v[112:113], v[124:125]
	v_add_u32_e32 v124, s12, v1
	s_add_i32 s12, s5, s15
	v_mov_b32_e32 v138, s12
	v_fmac_f64_e32 v[112:113], v[114:115], v[116:117]
	ds_read_b128 v[114:117], v138
	ds_write_b128 v124, v[110:113]
	ds_read_b128 v[124:127], v138 offset:16
	ds_read_b128 v[128:131], v138 offset:32
	;; [unrolled: 1-line block ×3, first 2 shown]
	s_or_b32 s12, s11, 0x2400
	s_add_i32 s16, s5, s12
	s_waitcnt lgkmcnt(4)
	v_mul_f64 v[136:137], v[116:117], v[16:17]
	v_fma_f64 v[136:137], v[114:115], v[14:15], -v[136:137]
	v_mul_f64 v[114:115], v[114:115], v[16:17]
	v_fmac_f64_e32 v[114:115], v[116:117], v[14:15]
	v_add_f64 v[108:109], v[108:109], -v[114:115]
	s_waitcnt lgkmcnt(2)
	v_mul_f64 v[114:115], v[126:127], v[20:21]
	v_add_f64 v[106:107], v[106:107], -v[136:137]
	v_fma_f64 v[114:115], v[124:125], v[18:19], -v[114:115]
	v_mul_f64 v[116:117], v[124:125], v[20:21]
	v_fmac_f64_e32 v[116:117], v[126:127], v[18:19]
	v_add_f64 v[106:107], v[106:107], -v[114:115]
	s_waitcnt lgkmcnt(1)
	v_mul_f64 v[114:115], v[130:131], v[24:25]
	v_add_f64 v[108:109], v[108:109], -v[116:117]
	;; [unrolled: 7-line block ×3, first 2 shown]
	v_fma_f64 v[124:125], v[132:133], v[26:27], -v[106:107]
	ds_read_b128 v[106:109], v138 offset:64
	v_mul_f64 v[126:127], v[132:133], v[28:29]
	v_fmac_f64_e32 v[126:127], v[134:135], v[26:27]
	v_add_f64 v[124:125], v[114:115], -v[124:125]
	v_add_f64 v[126:127], v[116:117], -v[126:127]
	ds_read_b128 v[114:117], v138 offset:80
	s_waitcnt lgkmcnt(1)
	v_mul_f64 v[128:129], v[108:109], v[32:33]
	v_fma_f64 v[128:129], v[106:107], v[30:31], -v[128:129]
	v_mul_f64 v[106:107], v[106:107], v[32:33]
	v_fmac_f64_e32 v[106:107], v[108:109], v[30:31]
	v_add_f64 v[126:127], v[126:127], -v[106:107]
	s_waitcnt lgkmcnt(0)
	v_mul_f64 v[106:107], v[116:117], v[36:37]
	v_add_f64 v[124:125], v[124:125], -v[128:129]
	v_fma_f64 v[128:129], v[114:115], v[34:35], -v[106:107]
	ds_read_b128 v[106:109], v138 offset:96
	v_mul_f64 v[114:115], v[114:115], v[36:37]
	v_fmac_f64_e32 v[114:115], v[116:117], v[34:35]
	v_add_f64 v[126:127], v[126:127], -v[114:115]
	ds_read_b128 v[114:117], v138 offset:112
	v_add_f64 v[124:125], v[124:125], -v[128:129]
	s_waitcnt lgkmcnt(1)
	v_mul_f64 v[128:129], v[108:109], v[44:45]
	v_fma_f64 v[128:129], v[106:107], v[42:43], -v[128:129]
	v_mul_f64 v[106:107], v[106:107], v[44:45]
	v_fmac_f64_e32 v[106:107], v[108:109], v[42:43]
	v_add_f64 v[126:127], v[126:127], -v[106:107]
	s_waitcnt lgkmcnt(0)
	v_mul_f64 v[106:107], v[116:117], v[48:49]
	v_add_f64 v[124:125], v[124:125], -v[128:129]
	v_fma_f64 v[128:129], v[114:115], v[46:47], -v[106:107]
	ds_read_b128 v[106:109], v138 offset:128
	v_mul_f64 v[114:115], v[114:115], v[48:49]
	v_fmac_f64_e32 v[114:115], v[116:117], v[46:47]
	v_add_f64 v[126:127], v[126:127], -v[114:115]
	ds_read_b128 v[114:117], v138 offset:144
	v_add_f64 v[124:125], v[124:125], -v[128:129]
	s_waitcnt lgkmcnt(1)
	v_mul_f64 v[128:129], v[108:109], v[56:57]
	v_fma_f64 v[128:129], v[106:107], v[54:55], -v[128:129]
	v_mul_f64 v[106:107], v[106:107], v[56:57]
	v_fmac_f64_e32 v[106:107], v[108:109], v[54:55]
	v_add_f64 v[126:127], v[126:127], -v[106:107]
	s_waitcnt lgkmcnt(0)
	v_mul_f64 v[106:107], v[116:117], v[60:61]
	v_add_f64 v[124:125], v[124:125], -v[128:129]
	v_fma_f64 v[128:129], v[114:115], v[58:59], -v[106:107]
	ds_read_b128 v[106:109], v138 offset:160
	v_mul_f64 v[114:115], v[114:115], v[60:61]
	v_fmac_f64_e32 v[114:115], v[116:117], v[58:59]
	v_add_f64 v[126:127], v[126:127], -v[114:115]
	ds_read_b128 v[114:117], v138 offset:176
	v_add_f64 v[124:125], v[124:125], -v[128:129]
	s_waitcnt lgkmcnt(1)
	v_mul_f64 v[128:129], v[108:109], v[68:69]
	v_fma_f64 v[128:129], v[106:107], v[66:67], -v[128:129]
	v_mul_f64 v[106:107], v[106:107], v[68:69]
	v_fmac_f64_e32 v[106:107], v[108:109], v[66:67]
	v_add_f64 v[126:127], v[126:127], -v[106:107]
	s_waitcnt lgkmcnt(0)
	v_mul_f64 v[106:107], v[116:117], v[72:73]
	v_add_f64 v[124:125], v[124:125], -v[128:129]
	v_fma_f64 v[128:129], v[114:115], v[70:71], -v[106:107]
	ds_read_b128 v[106:109], v138 offset:192
	v_mul_f64 v[114:115], v[114:115], v[72:73]
	v_fmac_f64_e32 v[114:115], v[116:117], v[70:71]
	v_add_f64 v[126:127], v[126:127], -v[114:115]
	ds_read_b128 v[114:117], v138 offset:208
	v_add_f64 v[124:125], v[124:125], -v[128:129]
	s_waitcnt lgkmcnt(1)
	v_mul_f64 v[128:129], v[108:109], v[80:81]
	v_fma_f64 v[128:129], v[106:107], v[78:79], -v[128:129]
	v_mul_f64 v[106:107], v[106:107], v[80:81]
	v_fmac_f64_e32 v[106:107], v[108:109], v[78:79]
	v_add_f64 v[126:127], v[126:127], -v[106:107]
	s_waitcnt lgkmcnt(0)
	v_mul_f64 v[106:107], v[116:117], v[84:85]
	v_add_f64 v[124:125], v[124:125], -v[128:129]
	v_fma_f64 v[128:129], v[114:115], v[82:83], -v[106:107]
	v_mul_f64 v[114:115], v[114:115], v[84:85]
	ds_read_b128 v[106:109], v138 offset:224
	v_fmac_f64_e32 v[114:115], v[116:117], v[82:83]
	v_add_f64 v[126:127], v[126:127], -v[114:115]
	ds_read_b128 v[114:117], v138 offset:240
	v_add_f64 v[124:125], v[124:125], -v[128:129]
	s_waitcnt lgkmcnt(1)
	v_mul_f64 v[128:129], v[108:109], v[96:97]
	v_fma_f64 v[128:129], v[106:107], v[94:95], -v[128:129]
	v_mul_f64 v[106:107], v[106:107], v[96:97]
	v_fmac_f64_e32 v[106:107], v[108:109], v[94:95]
	v_add_f64 v[108:109], v[124:125], -v[128:129]
	s_waitcnt lgkmcnt(0)
	v_mul_f64 v[124:125], v[116:117], v[100:101]
	v_fma_f64 v[124:125], v[114:115], v[98:99], -v[124:125]
	v_mul_f64 v[114:115], v[114:115], v[100:101]
	v_add_f64 v[106:107], v[126:127], -v[106:107]
	v_fmac_f64_e32 v[114:115], v[116:117], v[98:99]
	v_add_f64 v[124:125], v[108:109], -v[124:125]
	v_add_f64 v[126:127], v[106:107], -v[114:115]
	ds_read_b128 v[106:109], v138 offset:256
	v_mov_b32_e32 v134, s16
	ds_read_b128 v[114:117], v134
	s_waitcnt lgkmcnt(1)
	v_mul_f64 v[128:129], v[108:109], v[112:113]
	v_fma_f64 v[128:129], v[106:107], v[110:111], -v[128:129]
	v_mul_f64 v[106:107], v[106:107], v[112:113]
	v_fmac_f64_e32 v[106:107], v[108:109], v[110:111]
	v_add_f64 v[108:109], v[126:127], -v[106:107]
	v_add_f64 v[124:125], v[124:125], -v[128:129]
	v_mul_f64 v[106:107], v[122:123], v[108:109]
	v_mul_f64 v[108:109], v[120:121], v[108:109]
	v_fma_f64 v[106:107], v[120:121], v[124:125], -v[106:107]
	v_fmac_f64_e32 v[108:109], v[122:123], v[124:125]
	v_add_u32_e32 v120, s15, v1
	ds_write_b128 v120, v[106:109]
	ds_read_b128 v[120:123], v134 offset:16
	ds_read_b128 v[124:127], v134 offset:32
	;; [unrolled: 1-line block ×3, first 2 shown]
	s_waitcnt lgkmcnt(4)
	v_mul_f64 v[132:133], v[116:117], v[16:17]
	v_fma_f64 v[132:133], v[114:115], v[14:15], -v[132:133]
	v_mul_f64 v[114:115], v[114:115], v[16:17]
	v_fmac_f64_e32 v[114:115], v[116:117], v[14:15]
	v_add_f64 v[104:105], v[104:105], -v[114:115]
	s_waitcnt lgkmcnt(2)
	v_mul_f64 v[114:115], v[122:123], v[20:21]
	v_mul_f64 v[116:117], v[120:121], v[20:21]
	v_add_f64 v[102:103], v[102:103], -v[132:133]
	v_fma_f64 v[114:115], v[120:121], v[18:19], -v[114:115]
	v_fmac_f64_e32 v[116:117], v[122:123], v[18:19]
	v_add_f64 v[102:103], v[102:103], -v[114:115]
	v_add_f64 v[104:105], v[104:105], -v[116:117]
	s_waitcnt lgkmcnt(1)
	v_mul_f64 v[114:115], v[126:127], v[24:25]
	v_mul_f64 v[116:117], v[124:125], v[24:25]
	v_fma_f64 v[114:115], v[124:125], v[22:23], -v[114:115]
	v_fmac_f64_e32 v[116:117], v[126:127], v[22:23]
	v_add_f64 v[114:115], v[102:103], -v[114:115]
	v_add_f64 v[116:117], v[104:105], -v[116:117]
	ds_read_b128 v[102:105], v134 offset:64
	s_waitcnt lgkmcnt(1)
	v_mul_f64 v[120:121], v[130:131], v[28:29]
	v_fma_f64 v[120:121], v[128:129], v[26:27], -v[120:121]
	v_mul_f64 v[122:123], v[128:129], v[28:29]
	v_fmac_f64_e32 v[122:123], v[130:131], v[26:27]
	v_add_f64 v[120:121], v[114:115], -v[120:121]
	s_waitcnt lgkmcnt(0)
	v_mul_f64 v[114:115], v[104:105], v[32:33]
	v_add_f64 v[122:123], v[116:117], -v[122:123]
	v_fma_f64 v[124:125], v[102:103], v[30:31], -v[114:115]
	ds_read_b128 v[114:117], v134 offset:80
	v_mul_f64 v[102:103], v[102:103], v[32:33]
	v_fmac_f64_e32 v[102:103], v[104:105], v[30:31]
	v_add_f64 v[122:123], v[122:123], -v[102:103]
	ds_read_b128 v[102:105], v134 offset:96
	v_add_f64 v[120:121], v[120:121], -v[124:125]
	s_waitcnt lgkmcnt(1)
	v_mul_f64 v[124:125], v[116:117], v[36:37]
	v_fma_f64 v[124:125], v[114:115], v[34:35], -v[124:125]
	v_mul_f64 v[114:115], v[114:115], v[36:37]
	v_fmac_f64_e32 v[114:115], v[116:117], v[34:35]
	v_add_f64 v[122:123], v[122:123], -v[114:115]
	s_waitcnt lgkmcnt(0)
	v_mul_f64 v[114:115], v[104:105], v[44:45]
	v_add_f64 v[120:121], v[120:121], -v[124:125]
	v_fma_f64 v[124:125], v[102:103], v[42:43], -v[114:115]
	ds_read_b128 v[114:117], v134 offset:112
	v_mul_f64 v[102:103], v[102:103], v[44:45]
	v_fmac_f64_e32 v[102:103], v[104:105], v[42:43]
	v_add_f64 v[122:123], v[122:123], -v[102:103]
	ds_read_b128 v[102:105], v134 offset:128
	v_add_f64 v[120:121], v[120:121], -v[124:125]
	s_waitcnt lgkmcnt(1)
	v_mul_f64 v[124:125], v[116:117], v[48:49]
	v_fma_f64 v[124:125], v[114:115], v[46:47], -v[124:125]
	v_mul_f64 v[114:115], v[114:115], v[48:49]
	v_fmac_f64_e32 v[114:115], v[116:117], v[46:47]
	v_add_f64 v[122:123], v[122:123], -v[114:115]
	s_waitcnt lgkmcnt(0)
	v_mul_f64 v[114:115], v[104:105], v[56:57]
	v_add_f64 v[120:121], v[120:121], -v[124:125]
	v_fma_f64 v[124:125], v[102:103], v[54:55], -v[114:115]
	ds_read_b128 v[114:117], v134 offset:144
	v_mul_f64 v[102:103], v[102:103], v[56:57]
	v_fmac_f64_e32 v[102:103], v[104:105], v[54:55]
	v_add_f64 v[122:123], v[122:123], -v[102:103]
	ds_read_b128 v[102:105], v134 offset:160
	v_add_f64 v[120:121], v[120:121], -v[124:125]
	s_waitcnt lgkmcnt(1)
	v_mul_f64 v[124:125], v[116:117], v[60:61]
	v_fma_f64 v[124:125], v[114:115], v[58:59], -v[124:125]
	v_mul_f64 v[114:115], v[114:115], v[60:61]
	v_fmac_f64_e32 v[114:115], v[116:117], v[58:59]
	v_add_f64 v[122:123], v[122:123], -v[114:115]
	s_waitcnt lgkmcnt(0)
	v_mul_f64 v[114:115], v[104:105], v[68:69]
	v_add_f64 v[120:121], v[120:121], -v[124:125]
	v_fma_f64 v[124:125], v[102:103], v[66:67], -v[114:115]
	ds_read_b128 v[114:117], v134 offset:176
	v_mul_f64 v[102:103], v[102:103], v[68:69]
	v_fmac_f64_e32 v[102:103], v[104:105], v[66:67]
	v_add_f64 v[122:123], v[122:123], -v[102:103]
	ds_read_b128 v[102:105], v134 offset:192
	v_add_f64 v[120:121], v[120:121], -v[124:125]
	s_waitcnt lgkmcnt(1)
	v_mul_f64 v[124:125], v[116:117], v[72:73]
	v_fma_f64 v[124:125], v[114:115], v[70:71], -v[124:125]
	v_mul_f64 v[114:115], v[114:115], v[72:73]
	v_fmac_f64_e32 v[114:115], v[116:117], v[70:71]
	v_add_f64 v[122:123], v[122:123], -v[114:115]
	s_waitcnt lgkmcnt(0)
	v_mul_f64 v[114:115], v[104:105], v[80:81]
	v_add_f64 v[120:121], v[120:121], -v[124:125]
	v_fma_f64 v[124:125], v[102:103], v[78:79], -v[114:115]
	ds_read_b128 v[114:117], v134 offset:208
	v_mul_f64 v[102:103], v[102:103], v[80:81]
	v_fmac_f64_e32 v[102:103], v[104:105], v[78:79]
	v_add_f64 v[122:123], v[122:123], -v[102:103]
	ds_read_b128 v[102:105], v134 offset:224
	v_add_f64 v[120:121], v[120:121], -v[124:125]
	s_waitcnt lgkmcnt(1)
	v_mul_f64 v[124:125], v[116:117], v[84:85]
	v_fma_f64 v[124:125], v[114:115], v[82:83], -v[124:125]
	v_mul_f64 v[114:115], v[114:115], v[84:85]
	v_fmac_f64_e32 v[114:115], v[116:117], v[82:83]
	v_add_f64 v[122:123], v[122:123], -v[114:115]
	s_waitcnt lgkmcnt(0)
	v_mul_f64 v[114:115], v[104:105], v[96:97]
	v_add_f64 v[120:121], v[120:121], -v[124:125]
	v_fma_f64 v[124:125], v[102:103], v[94:95], -v[114:115]
	v_mul_f64 v[102:103], v[102:103], v[96:97]
	ds_read_b128 v[114:117], v134 offset:240
	v_fmac_f64_e32 v[102:103], v[104:105], v[94:95]
	v_add_f64 v[122:123], v[122:123], -v[102:103]
	ds_read_b128 v[102:105], v134 offset:256
	v_add_f64 v[120:121], v[120:121], -v[124:125]
	s_waitcnt lgkmcnt(1)
	v_mul_f64 v[124:125], v[116:117], v[100:101]
	v_fma_f64 v[124:125], v[114:115], v[98:99], -v[124:125]
	v_mul_f64 v[114:115], v[114:115], v[100:101]
	v_fmac_f64_e32 v[114:115], v[116:117], v[98:99]
	v_add_f64 v[116:117], v[120:121], -v[124:125]
	s_waitcnt lgkmcnt(0)
	v_mul_f64 v[120:121], v[104:105], v[112:113]
	v_fma_f64 v[120:121], v[102:103], v[110:111], -v[120:121]
	v_mul_f64 v[102:103], v[102:103], v[112:113]
	v_add_f64 v[114:115], v[122:123], -v[114:115]
	v_fmac_f64_e32 v[102:103], v[104:105], v[110:111]
	v_add_f64 v[126:127], v[114:115], -v[102:103]
	ds_read_b128 v[102:105], v134 offset:272
	s_or_b32 s15, s11, 0x2600
	s_add_i32 s16, s5, s15
	v_mov_b32_e32 v138, s16
	v_add_f64 v[124:125], v[116:117], -v[120:121]
	ds_read_b128 v[114:117], v138
	s_waitcnt lgkmcnt(1)
	v_mul_f64 v[120:121], v[104:105], v[108:109]
	v_fma_f64 v[128:129], v[102:103], v[106:107], -v[120:121]
	ds_read_b128 v[120:123], v119 offset:9504
	v_mul_f64 v[102:103], v[102:103], v[108:109]
	v_fmac_f64_e32 v[102:103], v[104:105], v[106:107]
	v_add_f64 v[104:105], v[126:127], -v[102:103]
	v_add_f64 v[128:129], v[124:125], -v[128:129]
	ds_read_b128 v[124:127], v119 offset:10032
	s_waitcnt lgkmcnt(1)
	v_mul_f64 v[102:103], v[122:123], v[104:105]
	v_mul_f64 v[104:105], v[120:121], v[104:105]
	v_fma_f64 v[102:103], v[120:121], v[128:129], -v[102:103]
	v_fmac_f64_e32 v[104:105], v[122:123], v[128:129]
	v_add_u32_e32 v120, s12, v1
	ds_write_b128 v120, v[102:105]
	ds_read_b128 v[120:123], v138 offset:16
	ds_read_b128 v[128:131], v138 offset:32
	;; [unrolled: 1-line block ×3, first 2 shown]
	v_mul_f64 v[136:137], v[116:117], v[16:17]
	v_fma_f64 v[136:137], v[114:115], v[14:15], -v[136:137]
	v_mul_f64 v[114:115], v[114:115], v[16:17]
	v_fmac_f64_e32 v[114:115], v[116:117], v[14:15]
	v_add_f64 v[92:93], v[92:93], -v[114:115]
	s_waitcnt lgkmcnt(2)
	v_mul_f64 v[114:115], v[122:123], v[20:21]
	v_mul_f64 v[116:117], v[120:121], v[20:21]
	v_add_f64 v[90:91], v[90:91], -v[136:137]
	v_fma_f64 v[114:115], v[120:121], v[18:19], -v[114:115]
	v_fmac_f64_e32 v[116:117], v[122:123], v[18:19]
	v_add_f64 v[90:91], v[90:91], -v[114:115]
	v_add_f64 v[92:93], v[92:93], -v[116:117]
	s_waitcnt lgkmcnt(1)
	v_mul_f64 v[114:115], v[130:131], v[24:25]
	v_mul_f64 v[116:117], v[128:129], v[24:25]
	v_fma_f64 v[114:115], v[128:129], v[22:23], -v[114:115]
	v_fmac_f64_e32 v[116:117], v[130:131], v[22:23]
	v_add_f64 v[114:115], v[90:91], -v[114:115]
	v_add_f64 v[116:117], v[92:93], -v[116:117]
	ds_read_b128 v[90:93], v138 offset:64
	s_waitcnt lgkmcnt(1)
	v_mul_f64 v[120:121], v[134:135], v[28:29]
	v_fma_f64 v[120:121], v[132:133], v[26:27], -v[120:121]
	v_mul_f64 v[122:123], v[132:133], v[28:29]
	v_fmac_f64_e32 v[122:123], v[134:135], v[26:27]
	v_add_f64 v[120:121], v[114:115], -v[120:121]
	s_waitcnt lgkmcnt(0)
	v_mul_f64 v[114:115], v[92:93], v[32:33]
	v_add_f64 v[122:123], v[116:117], -v[122:123]
	v_fma_f64 v[128:129], v[90:91], v[30:31], -v[114:115]
	ds_read_b128 v[114:117], v138 offset:80
	v_mul_f64 v[90:91], v[90:91], v[32:33]
	v_fmac_f64_e32 v[90:91], v[92:93], v[30:31]
	v_add_f64 v[122:123], v[122:123], -v[90:91]
	ds_read_b128 v[90:93], v138 offset:96
	v_add_f64 v[120:121], v[120:121], -v[128:129]
	s_waitcnt lgkmcnt(1)
	v_mul_f64 v[128:129], v[116:117], v[36:37]
	v_fma_f64 v[128:129], v[114:115], v[34:35], -v[128:129]
	v_mul_f64 v[114:115], v[114:115], v[36:37]
	v_fmac_f64_e32 v[114:115], v[116:117], v[34:35]
	v_add_f64 v[122:123], v[122:123], -v[114:115]
	s_waitcnt lgkmcnt(0)
	v_mul_f64 v[114:115], v[92:93], v[44:45]
	v_add_f64 v[120:121], v[120:121], -v[128:129]
	v_fma_f64 v[128:129], v[90:91], v[42:43], -v[114:115]
	ds_read_b128 v[114:117], v138 offset:112
	v_mul_f64 v[90:91], v[90:91], v[44:45]
	v_fmac_f64_e32 v[90:91], v[92:93], v[42:43]
	v_add_f64 v[122:123], v[122:123], -v[90:91]
	ds_read_b128 v[90:93], v138 offset:128
	v_add_f64 v[120:121], v[120:121], -v[128:129]
	s_waitcnt lgkmcnt(1)
	v_mul_f64 v[128:129], v[116:117], v[48:49]
	v_fma_f64 v[128:129], v[114:115], v[46:47], -v[128:129]
	v_mul_f64 v[114:115], v[114:115], v[48:49]
	v_fmac_f64_e32 v[114:115], v[116:117], v[46:47]
	v_add_f64 v[122:123], v[122:123], -v[114:115]
	s_waitcnt lgkmcnt(0)
	v_mul_f64 v[114:115], v[92:93], v[56:57]
	v_add_f64 v[120:121], v[120:121], -v[128:129]
	v_fma_f64 v[128:129], v[90:91], v[54:55], -v[114:115]
	ds_read_b128 v[114:117], v138 offset:144
	v_mul_f64 v[90:91], v[90:91], v[56:57]
	v_fmac_f64_e32 v[90:91], v[92:93], v[54:55]
	v_add_f64 v[122:123], v[122:123], -v[90:91]
	ds_read_b128 v[90:93], v138 offset:160
	v_add_f64 v[120:121], v[120:121], -v[128:129]
	s_waitcnt lgkmcnt(1)
	v_mul_f64 v[128:129], v[116:117], v[60:61]
	v_fma_f64 v[128:129], v[114:115], v[58:59], -v[128:129]
	v_mul_f64 v[114:115], v[114:115], v[60:61]
	v_fmac_f64_e32 v[114:115], v[116:117], v[58:59]
	v_add_f64 v[122:123], v[122:123], -v[114:115]
	s_waitcnt lgkmcnt(0)
	v_mul_f64 v[114:115], v[92:93], v[68:69]
	v_add_f64 v[120:121], v[120:121], -v[128:129]
	v_fma_f64 v[128:129], v[90:91], v[66:67], -v[114:115]
	ds_read_b128 v[114:117], v138 offset:176
	v_mul_f64 v[90:91], v[90:91], v[68:69]
	v_fmac_f64_e32 v[90:91], v[92:93], v[66:67]
	v_add_f64 v[122:123], v[122:123], -v[90:91]
	ds_read_b128 v[90:93], v138 offset:192
	v_add_f64 v[120:121], v[120:121], -v[128:129]
	s_waitcnt lgkmcnt(1)
	v_mul_f64 v[128:129], v[116:117], v[72:73]
	v_fma_f64 v[128:129], v[114:115], v[70:71], -v[128:129]
	v_mul_f64 v[114:115], v[114:115], v[72:73]
	v_fmac_f64_e32 v[114:115], v[116:117], v[70:71]
	v_add_f64 v[122:123], v[122:123], -v[114:115]
	s_waitcnt lgkmcnt(0)
	v_mul_f64 v[114:115], v[92:93], v[80:81]
	v_add_f64 v[120:121], v[120:121], -v[128:129]
	v_fma_f64 v[128:129], v[90:91], v[78:79], -v[114:115]
	ds_read_b128 v[114:117], v138 offset:208
	v_mul_f64 v[90:91], v[90:91], v[80:81]
	v_fmac_f64_e32 v[90:91], v[92:93], v[78:79]
	v_add_f64 v[122:123], v[122:123], -v[90:91]
	ds_read_b128 v[90:93], v138 offset:224
	v_add_f64 v[120:121], v[120:121], -v[128:129]
	s_waitcnt lgkmcnt(1)
	v_mul_f64 v[128:129], v[116:117], v[84:85]
	v_fma_f64 v[128:129], v[114:115], v[82:83], -v[128:129]
	v_mul_f64 v[114:115], v[114:115], v[84:85]
	v_fmac_f64_e32 v[114:115], v[116:117], v[82:83]
	v_add_f64 v[122:123], v[122:123], -v[114:115]
	s_waitcnt lgkmcnt(0)
	v_mul_f64 v[114:115], v[92:93], v[96:97]
	v_add_f64 v[120:121], v[120:121], -v[128:129]
	v_fma_f64 v[128:129], v[90:91], v[94:95], -v[114:115]
	ds_read_b128 v[114:117], v138 offset:240
	v_mul_f64 v[90:91], v[90:91], v[96:97]
	v_fmac_f64_e32 v[90:91], v[92:93], v[94:95]
	v_add_f64 v[122:123], v[122:123], -v[90:91]
	ds_read_b128 v[90:93], v138 offset:256
	v_add_f64 v[120:121], v[120:121], -v[128:129]
	s_waitcnt lgkmcnt(1)
	v_mul_f64 v[128:129], v[116:117], v[100:101]
	v_fma_f64 v[128:129], v[114:115], v[98:99], -v[128:129]
	v_mul_f64 v[114:115], v[114:115], v[100:101]
	v_fmac_f64_e32 v[114:115], v[116:117], v[98:99]
	v_add_f64 v[122:123], v[122:123], -v[114:115]
	s_waitcnt lgkmcnt(0)
	v_mul_f64 v[114:115], v[92:93], v[112:113]
	v_add_f64 v[120:121], v[120:121], -v[128:129]
	v_fma_f64 v[128:129], v[90:91], v[110:111], -v[114:115]
	v_mul_f64 v[90:91], v[90:91], v[112:113]
	ds_read_b128 v[114:117], v138 offset:272
	v_fmac_f64_e32 v[90:91], v[92:93], v[110:111]
	v_add_f64 v[122:123], v[122:123], -v[90:91]
	ds_read_b128 v[90:93], v138 offset:288
	v_add_f64 v[120:121], v[120:121], -v[128:129]
	s_waitcnt lgkmcnt(1)
	v_mul_f64 v[128:129], v[116:117], v[108:109]
	v_fma_f64 v[128:129], v[114:115], v[106:107], -v[128:129]
	v_mul_f64 v[114:115], v[114:115], v[108:109]
	v_fmac_f64_e32 v[114:115], v[116:117], v[106:107]
	v_add_f64 v[116:117], v[120:121], -v[128:129]
	s_waitcnt lgkmcnt(0)
	v_mul_f64 v[120:121], v[92:93], v[104:105]
	v_fma_f64 v[120:121], v[90:91], v[102:103], -v[120:121]
	v_mul_f64 v[90:91], v[90:91], v[104:105]
	v_add_f64 v[114:115], v[122:123], -v[114:115]
	v_fmac_f64_e32 v[90:91], v[92:93], v[102:103]
	s_or_b32 s11, s11, 0x2800
	v_add_f64 v[92:93], v[114:115], -v[90:91]
	s_add_i32 s12, s5, s11
	v_add_f64 v[116:117], v[116:117], -v[120:121]
	v_mul_f64 v[90:91], v[126:127], v[92:93]
	v_mul_f64 v[92:93], v[124:125], v[92:93]
	v_mov_b32_e32 v134, s12
	v_fma_f64 v[90:91], v[124:125], v[116:117], -v[90:91]
	v_fmac_f64_e32 v[92:93], v[126:127], v[116:117]
	ds_read_b128 v[114:117], v134
	v_add_u32_e32 v120, s15, v1
	ds_write_b128 v120, v[90:93]
	ds_read_b128 v[120:123], v134 offset:16
	ds_read_b128 v[124:127], v134 offset:32
	;; [unrolled: 1-line block ×3, first 2 shown]
	s_or_b32 s12, s10, 21
	s_waitcnt lgkmcnt(4)
	v_mul_f64 v[132:133], v[116:117], v[16:17]
	v_fma_f64 v[132:133], v[114:115], v[14:15], -v[132:133]
	v_mul_f64 v[114:115], v[114:115], v[16:17]
	v_fmac_f64_e32 v[114:115], v[116:117], v[14:15]
	v_add_f64 v[88:89], v[88:89], -v[114:115]
	s_waitcnt lgkmcnt(2)
	v_mul_f64 v[114:115], v[122:123], v[20:21]
	v_add_f64 v[86:87], v[86:87], -v[132:133]
	v_fma_f64 v[114:115], v[120:121], v[18:19], -v[114:115]
	v_mul_f64 v[116:117], v[120:121], v[20:21]
	v_fmac_f64_e32 v[116:117], v[122:123], v[18:19]
	v_add_f64 v[86:87], v[86:87], -v[114:115]
	s_waitcnt lgkmcnt(1)
	v_mul_f64 v[114:115], v[126:127], v[24:25]
	v_add_f64 v[88:89], v[88:89], -v[116:117]
	;; [unrolled: 7-line block ×3, first 2 shown]
	v_fma_f64 v[120:121], v[128:129], v[26:27], -v[86:87]
	ds_read_b128 v[86:89], v134 offset:64
	v_mul_f64 v[122:123], v[128:129], v[28:29]
	v_fmac_f64_e32 v[122:123], v[130:131], v[26:27]
	v_add_f64 v[120:121], v[114:115], -v[120:121]
	v_add_f64 v[122:123], v[116:117], -v[122:123]
	ds_read_b128 v[114:117], v134 offset:80
	s_waitcnt lgkmcnt(1)
	v_mul_f64 v[124:125], v[88:89], v[32:33]
	v_fma_f64 v[124:125], v[86:87], v[30:31], -v[124:125]
	v_mul_f64 v[86:87], v[86:87], v[32:33]
	v_fmac_f64_e32 v[86:87], v[88:89], v[30:31]
	v_add_f64 v[122:123], v[122:123], -v[86:87]
	s_waitcnt lgkmcnt(0)
	v_mul_f64 v[86:87], v[116:117], v[36:37]
	v_add_f64 v[120:121], v[120:121], -v[124:125]
	v_fma_f64 v[124:125], v[114:115], v[34:35], -v[86:87]
	ds_read_b128 v[86:89], v134 offset:96
	v_mul_f64 v[114:115], v[114:115], v[36:37]
	v_fmac_f64_e32 v[114:115], v[116:117], v[34:35]
	v_add_f64 v[122:123], v[122:123], -v[114:115]
	ds_read_b128 v[114:117], v134 offset:112
	v_add_f64 v[120:121], v[120:121], -v[124:125]
	s_waitcnt lgkmcnt(1)
	v_mul_f64 v[124:125], v[88:89], v[44:45]
	v_fma_f64 v[124:125], v[86:87], v[42:43], -v[124:125]
	v_mul_f64 v[86:87], v[86:87], v[44:45]
	v_fmac_f64_e32 v[86:87], v[88:89], v[42:43]
	v_add_f64 v[122:123], v[122:123], -v[86:87]
	s_waitcnt lgkmcnt(0)
	v_mul_f64 v[86:87], v[116:117], v[48:49]
	v_add_f64 v[120:121], v[120:121], -v[124:125]
	v_fma_f64 v[124:125], v[114:115], v[46:47], -v[86:87]
	ds_read_b128 v[86:89], v134 offset:128
	v_mul_f64 v[114:115], v[114:115], v[48:49]
	v_fmac_f64_e32 v[114:115], v[116:117], v[46:47]
	v_add_f64 v[122:123], v[122:123], -v[114:115]
	ds_read_b128 v[114:117], v134 offset:144
	v_add_f64 v[120:121], v[120:121], -v[124:125]
	s_waitcnt lgkmcnt(1)
	v_mul_f64 v[124:125], v[88:89], v[56:57]
	v_fma_f64 v[124:125], v[86:87], v[54:55], -v[124:125]
	v_mul_f64 v[86:87], v[86:87], v[56:57]
	v_fmac_f64_e32 v[86:87], v[88:89], v[54:55]
	v_add_f64 v[122:123], v[122:123], -v[86:87]
	s_waitcnt lgkmcnt(0)
	v_mul_f64 v[86:87], v[116:117], v[60:61]
	v_add_f64 v[120:121], v[120:121], -v[124:125]
	v_fma_f64 v[124:125], v[114:115], v[58:59], -v[86:87]
	ds_read_b128 v[86:89], v134 offset:160
	v_mul_f64 v[114:115], v[114:115], v[60:61]
	v_fmac_f64_e32 v[114:115], v[116:117], v[58:59]
	v_add_f64 v[122:123], v[122:123], -v[114:115]
	ds_read_b128 v[114:117], v134 offset:176
	v_add_f64 v[120:121], v[120:121], -v[124:125]
	s_waitcnt lgkmcnt(1)
	v_mul_f64 v[124:125], v[88:89], v[68:69]
	v_fma_f64 v[124:125], v[86:87], v[66:67], -v[124:125]
	v_mul_f64 v[86:87], v[86:87], v[68:69]
	v_fmac_f64_e32 v[86:87], v[88:89], v[66:67]
	v_add_f64 v[122:123], v[122:123], -v[86:87]
	s_waitcnt lgkmcnt(0)
	v_mul_f64 v[86:87], v[116:117], v[72:73]
	v_add_f64 v[120:121], v[120:121], -v[124:125]
	v_fma_f64 v[124:125], v[114:115], v[70:71], -v[86:87]
	ds_read_b128 v[86:89], v134 offset:192
	v_mul_f64 v[114:115], v[114:115], v[72:73]
	v_fmac_f64_e32 v[114:115], v[116:117], v[70:71]
	v_add_f64 v[122:123], v[122:123], -v[114:115]
	ds_read_b128 v[114:117], v134 offset:208
	v_add_f64 v[120:121], v[120:121], -v[124:125]
	s_waitcnt lgkmcnt(1)
	v_mul_f64 v[124:125], v[88:89], v[80:81]
	v_fma_f64 v[124:125], v[86:87], v[78:79], -v[124:125]
	v_mul_f64 v[86:87], v[86:87], v[80:81]
	v_fmac_f64_e32 v[86:87], v[88:89], v[78:79]
	v_add_f64 v[122:123], v[122:123], -v[86:87]
	s_waitcnt lgkmcnt(0)
	v_mul_f64 v[86:87], v[116:117], v[84:85]
	v_add_f64 v[120:121], v[120:121], -v[124:125]
	v_fma_f64 v[124:125], v[114:115], v[82:83], -v[86:87]
	ds_read_b128 v[86:89], v134 offset:224
	v_mul_f64 v[114:115], v[114:115], v[84:85]
	v_fmac_f64_e32 v[114:115], v[116:117], v[82:83]
	v_add_f64 v[122:123], v[122:123], -v[114:115]
	ds_read_b128 v[114:117], v134 offset:240
	v_add_f64 v[120:121], v[120:121], -v[124:125]
	s_waitcnt lgkmcnt(1)
	v_mul_f64 v[124:125], v[88:89], v[96:97]
	v_fma_f64 v[124:125], v[86:87], v[94:95], -v[124:125]
	v_mul_f64 v[86:87], v[86:87], v[96:97]
	v_fmac_f64_e32 v[86:87], v[88:89], v[94:95]
	v_add_f64 v[122:123], v[122:123], -v[86:87]
	s_waitcnt lgkmcnt(0)
	v_mul_f64 v[86:87], v[116:117], v[100:101]
	v_add_f64 v[120:121], v[120:121], -v[124:125]
	v_fma_f64 v[124:125], v[114:115], v[98:99], -v[86:87]
	ds_read_b128 v[86:89], v134 offset:256
	v_mul_f64 v[114:115], v[114:115], v[100:101]
	v_fmac_f64_e32 v[114:115], v[116:117], v[98:99]
	v_add_f64 v[122:123], v[122:123], -v[114:115]
	ds_read_b128 v[114:117], v134 offset:272
	v_add_f64 v[120:121], v[120:121], -v[124:125]
	s_waitcnt lgkmcnt(1)
	v_mul_f64 v[124:125], v[88:89], v[112:113]
	v_fma_f64 v[124:125], v[86:87], v[110:111], -v[124:125]
	v_mul_f64 v[86:87], v[86:87], v[112:113]
	v_fmac_f64_e32 v[86:87], v[88:89], v[110:111]
	v_add_f64 v[122:123], v[122:123], -v[86:87]
	s_waitcnt lgkmcnt(0)
	v_mul_f64 v[86:87], v[116:117], v[108:109]
	v_add_f64 v[120:121], v[120:121], -v[124:125]
	v_fma_f64 v[124:125], v[114:115], v[106:107], -v[86:87]
	v_mul_f64 v[114:115], v[114:115], v[108:109]
	ds_read_b128 v[86:89], v134 offset:288
	v_fmac_f64_e32 v[114:115], v[116:117], v[106:107]
	v_add_f64 v[122:123], v[122:123], -v[114:115]
	ds_read_b128 v[114:117], v134 offset:304
	v_add_f64 v[120:121], v[120:121], -v[124:125]
	s_waitcnt lgkmcnt(1)
	v_mul_f64 v[124:125], v[88:89], v[104:105]
	v_fma_f64 v[124:125], v[86:87], v[102:103], -v[124:125]
	v_mul_f64 v[86:87], v[86:87], v[104:105]
	v_fmac_f64_e32 v[86:87], v[88:89], v[102:103]
	v_add_f64 v[88:89], v[120:121], -v[124:125]
	s_waitcnt lgkmcnt(0)
	v_mul_f64 v[120:121], v[116:117], v[92:93]
	v_add_f64 v[86:87], v[122:123], -v[86:87]
	v_fma_f64 v[124:125], v[114:115], v[90:91], -v[120:121]
	ds_read_b128 v[120:123], v119 offset:10560
	v_mul_f64 v[114:115], v[114:115], v[92:93]
	v_fmac_f64_e32 v[114:115], v[116:117], v[90:91]
	v_add_u32_e32 v119, s11, v1
	s_lshl_b32 s11, s12, 9
	v_add_f64 v[116:117], v[88:89], -v[124:125]
	v_add_f64 v[88:89], v[86:87], -v[114:115]
	s_add_i32 s15, s5, s11
	s_waitcnt lgkmcnt(0)
	v_mul_f64 v[86:87], v[122:123], v[88:89]
	v_mul_f64 v[88:89], v[120:121], v[88:89]
	v_mov_b32_e32 v134, s15
	v_fma_f64 v[86:87], v[120:121], v[116:117], -v[86:87]
	v_fmac_f64_e32 v[88:89], v[122:123], v[116:117]
	ds_read_b128 v[114:117], v134
	ds_write_b128 v119, v[86:89]
	ds_read_b128 v[120:123], v134 offset:16
	ds_read_b128 v[124:127], v134 offset:32
	;; [unrolled: 1-line block ×3, first 2 shown]
	s_mulk_i32 s12, 0x210
	v_add_u32_e32 v119, s11, v1
	s_waitcnt lgkmcnt(4)
	v_mul_f64 v[132:133], v[116:117], v[16:17]
	v_fma_f64 v[132:133], v[114:115], v[14:15], -v[132:133]
	v_mul_f64 v[114:115], v[114:115], v[16:17]
	v_fmac_f64_e32 v[114:115], v[116:117], v[14:15]
	v_add_f64 v[76:77], v[76:77], -v[114:115]
	s_waitcnt lgkmcnt(2)
	v_mul_f64 v[114:115], v[122:123], v[20:21]
	v_add_f64 v[74:75], v[74:75], -v[132:133]
	v_fma_f64 v[114:115], v[120:121], v[18:19], -v[114:115]
	v_mul_f64 v[116:117], v[120:121], v[20:21]
	v_fmac_f64_e32 v[116:117], v[122:123], v[18:19]
	v_add_f64 v[74:75], v[74:75], -v[114:115]
	s_waitcnt lgkmcnt(1)
	v_mul_f64 v[114:115], v[126:127], v[24:25]
	v_add_f64 v[76:77], v[76:77], -v[116:117]
	v_fma_f64 v[114:115], v[124:125], v[22:23], -v[114:115]
	v_mul_f64 v[116:117], v[124:125], v[24:25]
	v_fmac_f64_e32 v[116:117], v[126:127], v[22:23]
	v_add_f64 v[114:115], v[74:75], -v[114:115]
	s_waitcnt lgkmcnt(0)
	v_mul_f64 v[74:75], v[130:131], v[28:29]
	v_add_f64 v[116:117], v[76:77], -v[116:117]
	v_fma_f64 v[120:121], v[128:129], v[26:27], -v[74:75]
	ds_read_b128 v[74:77], v134 offset:64
	v_mul_f64 v[122:123], v[128:129], v[28:29]
	v_fmac_f64_e32 v[122:123], v[130:131], v[26:27]
	v_add_f64 v[120:121], v[114:115], -v[120:121]
	v_add_f64 v[122:123], v[116:117], -v[122:123]
	ds_read_b128 v[114:117], v134 offset:80
	s_waitcnt lgkmcnt(1)
	v_mul_f64 v[124:125], v[76:77], v[32:33]
	v_fma_f64 v[124:125], v[74:75], v[30:31], -v[124:125]
	v_mul_f64 v[74:75], v[74:75], v[32:33]
	v_fmac_f64_e32 v[74:75], v[76:77], v[30:31]
	v_add_f64 v[122:123], v[122:123], -v[74:75]
	s_waitcnt lgkmcnt(0)
	v_mul_f64 v[74:75], v[116:117], v[36:37]
	v_add_f64 v[120:121], v[120:121], -v[124:125]
	v_fma_f64 v[124:125], v[114:115], v[34:35], -v[74:75]
	ds_read_b128 v[74:77], v134 offset:96
	v_mul_f64 v[114:115], v[114:115], v[36:37]
	v_fmac_f64_e32 v[114:115], v[116:117], v[34:35]
	v_add_f64 v[122:123], v[122:123], -v[114:115]
	ds_read_b128 v[114:117], v134 offset:112
	v_add_f64 v[120:121], v[120:121], -v[124:125]
	s_waitcnt lgkmcnt(1)
	v_mul_f64 v[124:125], v[76:77], v[44:45]
	v_fma_f64 v[124:125], v[74:75], v[42:43], -v[124:125]
	v_mul_f64 v[74:75], v[74:75], v[44:45]
	v_fmac_f64_e32 v[74:75], v[76:77], v[42:43]
	v_add_f64 v[122:123], v[122:123], -v[74:75]
	s_waitcnt lgkmcnt(0)
	v_mul_f64 v[74:75], v[116:117], v[48:49]
	v_add_f64 v[120:121], v[120:121], -v[124:125]
	v_fma_f64 v[124:125], v[114:115], v[46:47], -v[74:75]
	ds_read_b128 v[74:77], v134 offset:128
	v_mul_f64 v[114:115], v[114:115], v[48:49]
	v_fmac_f64_e32 v[114:115], v[116:117], v[46:47]
	v_add_f64 v[122:123], v[122:123], -v[114:115]
	ds_read_b128 v[114:117], v134 offset:144
	v_add_f64 v[120:121], v[120:121], -v[124:125]
	;; [unrolled: 16-line block ×7, first 2 shown]
	s_waitcnt lgkmcnt(1)
	v_mul_f64 v[124:125], v[76:77], v[104:105]
	v_fma_f64 v[124:125], v[74:75], v[102:103], -v[124:125]
	v_mul_f64 v[74:75], v[74:75], v[104:105]
	v_fmac_f64_e32 v[74:75], v[76:77], v[102:103]
	v_add_f64 v[76:77], v[120:121], -v[124:125]
	v_add_f64 v[120:121], v[122:123], -v[74:75]
	s_waitcnt lgkmcnt(0)
	v_mul_f64 v[74:75], v[116:117], v[92:93]
	v_fma_f64 v[74:75], v[114:115], v[90:91], -v[74:75]
	v_add_f64 v[122:123], v[76:77], -v[74:75]
	ds_read_b128 v[74:77], v134 offset:320
	v_mul_f64 v[114:115], v[114:115], v[92:93]
	v_fmac_f64_e32 v[114:115], v[116:117], v[90:91]
	v_add_f64 v[120:121], v[120:121], -v[114:115]
	v_mov_b32_e32 v114, s12
	ds_read_b128 v[114:117], v114
	s_waitcnt lgkmcnt(1)
	v_mul_f64 v[124:125], v[76:77], v[88:89]
	v_fma_f64 v[124:125], v[74:75], v[86:87], -v[124:125]
	v_mul_f64 v[74:75], v[74:75], v[88:89]
	s_or_b32 s12, s10, 22
	v_fmac_f64_e32 v[74:75], v[76:77], v[86:87]
	s_lshl_b32 s11, s12, 9
	v_add_f64 v[76:77], v[120:121], -v[74:75]
	s_add_i32 s15, s5, s11
	v_add_f64 v[122:123], v[122:123], -v[124:125]
	s_waitcnt lgkmcnt(0)
	v_mul_f64 v[74:75], v[116:117], v[76:77]
	v_mul_f64 v[76:77], v[114:115], v[76:77]
	v_mov_b32_e32 v134, s15
	v_fma_f64 v[74:75], v[114:115], v[122:123], -v[74:75]
	v_fmac_f64_e32 v[76:77], v[116:117], v[122:123]
	ds_read_b128 v[114:117], v134
	ds_write_b128 v119, v[74:77]
	ds_read_b128 v[120:123], v134 offset:16
	ds_read_b128 v[124:127], v134 offset:32
	;; [unrolled: 1-line block ×3, first 2 shown]
	s_mulk_i32 s12, 0x210
	s_or_b32 s15, s10, 23
	s_waitcnt lgkmcnt(4)
	v_mul_f64 v[132:133], v[116:117], v[16:17]
	v_fma_f64 v[132:133], v[114:115], v[14:15], -v[132:133]
	v_mul_f64 v[114:115], v[114:115], v[16:17]
	v_fmac_f64_e32 v[114:115], v[116:117], v[14:15]
	v_add_f64 v[64:65], v[64:65], -v[114:115]
	s_waitcnt lgkmcnt(2)
	v_mul_f64 v[114:115], v[122:123], v[20:21]
	v_add_f64 v[62:63], v[62:63], -v[132:133]
	v_fma_f64 v[114:115], v[120:121], v[18:19], -v[114:115]
	v_mul_f64 v[116:117], v[120:121], v[20:21]
	v_fmac_f64_e32 v[116:117], v[122:123], v[18:19]
	v_add_f64 v[62:63], v[62:63], -v[114:115]
	s_waitcnt lgkmcnt(1)
	v_mul_f64 v[114:115], v[126:127], v[24:25]
	v_add_f64 v[64:65], v[64:65], -v[116:117]
	;; [unrolled: 7-line block ×3, first 2 shown]
	v_fma_f64 v[120:121], v[128:129], v[26:27], -v[62:63]
	ds_read_b128 v[62:65], v134 offset:64
	v_mul_f64 v[122:123], v[128:129], v[28:29]
	v_fmac_f64_e32 v[122:123], v[130:131], v[26:27]
	v_add_f64 v[120:121], v[114:115], -v[120:121]
	v_add_f64 v[122:123], v[116:117], -v[122:123]
	ds_read_b128 v[114:117], v134 offset:80
	s_waitcnt lgkmcnt(1)
	v_mul_f64 v[124:125], v[64:65], v[32:33]
	v_fma_f64 v[124:125], v[62:63], v[30:31], -v[124:125]
	v_mul_f64 v[62:63], v[62:63], v[32:33]
	v_fmac_f64_e32 v[62:63], v[64:65], v[30:31]
	v_add_f64 v[122:123], v[122:123], -v[62:63]
	s_waitcnt lgkmcnt(0)
	v_mul_f64 v[62:63], v[116:117], v[36:37]
	v_add_f64 v[120:121], v[120:121], -v[124:125]
	v_fma_f64 v[124:125], v[114:115], v[34:35], -v[62:63]
	ds_read_b128 v[62:65], v134 offset:96
	v_mul_f64 v[114:115], v[114:115], v[36:37]
	v_fmac_f64_e32 v[114:115], v[116:117], v[34:35]
	v_add_f64 v[122:123], v[122:123], -v[114:115]
	ds_read_b128 v[114:117], v134 offset:112
	v_add_f64 v[120:121], v[120:121], -v[124:125]
	s_waitcnt lgkmcnt(1)
	v_mul_f64 v[124:125], v[64:65], v[44:45]
	v_fma_f64 v[124:125], v[62:63], v[42:43], -v[124:125]
	v_mul_f64 v[62:63], v[62:63], v[44:45]
	v_fmac_f64_e32 v[62:63], v[64:65], v[42:43]
	v_add_f64 v[122:123], v[122:123], -v[62:63]
	s_waitcnt lgkmcnt(0)
	v_mul_f64 v[62:63], v[116:117], v[48:49]
	v_add_f64 v[120:121], v[120:121], -v[124:125]
	v_fma_f64 v[124:125], v[114:115], v[46:47], -v[62:63]
	ds_read_b128 v[62:65], v134 offset:128
	v_mul_f64 v[114:115], v[114:115], v[48:49]
	v_fmac_f64_e32 v[114:115], v[116:117], v[46:47]
	v_add_f64 v[122:123], v[122:123], -v[114:115]
	ds_read_b128 v[114:117], v134 offset:144
	v_add_f64 v[120:121], v[120:121], -v[124:125]
	;; [unrolled: 16-line block ×7, first 2 shown]
	s_waitcnt lgkmcnt(1)
	v_mul_f64 v[124:125], v[64:65], v[104:105]
	v_fma_f64 v[124:125], v[62:63], v[102:103], -v[124:125]
	v_mul_f64 v[62:63], v[62:63], v[104:105]
	v_fmac_f64_e32 v[62:63], v[64:65], v[102:103]
	v_add_f64 v[122:123], v[122:123], -v[62:63]
	s_waitcnt lgkmcnt(0)
	v_mul_f64 v[62:63], v[116:117], v[92:93]
	v_add_f64 v[120:121], v[120:121], -v[124:125]
	v_fma_f64 v[124:125], v[114:115], v[90:91], -v[62:63]
	v_mul_f64 v[114:115], v[114:115], v[92:93]
	ds_read_b128 v[62:65], v134 offset:320
	v_fmac_f64_e32 v[114:115], v[116:117], v[90:91]
	v_add_f64 v[122:123], v[122:123], -v[114:115]
	ds_read_b128 v[114:117], v134 offset:336
	v_add_f64 v[120:121], v[120:121], -v[124:125]
	s_waitcnt lgkmcnt(1)
	v_mul_f64 v[124:125], v[64:65], v[88:89]
	v_fma_f64 v[124:125], v[62:63], v[86:87], -v[124:125]
	v_mul_f64 v[62:63], v[62:63], v[88:89]
	v_fmac_f64_e32 v[62:63], v[64:65], v[86:87]
	v_add_f64 v[64:65], v[120:121], -v[124:125]
	s_waitcnt lgkmcnt(0)
	v_mul_f64 v[120:121], v[116:117], v[76:77]
	v_fma_f64 v[120:121], v[114:115], v[74:75], -v[120:121]
	v_mul_f64 v[114:115], v[114:115], v[76:77]
	v_add_f64 v[62:63], v[122:123], -v[62:63]
	v_fmac_f64_e32 v[114:115], v[116:117], v[74:75]
	v_add_f64 v[124:125], v[64:65], -v[120:121]
	v_add_f64 v[64:65], v[62:63], -v[114:115]
	v_mov_b32_e32 v62, s12
	ds_read_b128 v[114:117], v62
	s_lshl_b32 s12, s15, 9
	s_add_i32 s16, s5, s12
	v_mov_b32_e32 v119, s16
	ds_read_b128 v[120:123], v119
	s_waitcnt lgkmcnt(1)
	v_mul_f64 v[62:63], v[116:117], v[64:65]
	v_mul_f64 v[64:65], v[114:115], v[64:65]
	v_fma_f64 v[62:63], v[114:115], v[124:125], -v[62:63]
	v_fmac_f64_e32 v[64:65], v[116:117], v[124:125]
	v_add_u32_e32 v114, s11, v1
	ds_write_b128 v114, v[62:65]
	ds_read_b128 v[114:117], v119 offset:16
	ds_read_b128 v[124:127], v119 offset:32
	;; [unrolled: 1-line block ×3, first 2 shown]
	s_waitcnt lgkmcnt(4)
	v_mul_f64 v[132:133], v[122:123], v[16:17]
	v_fma_f64 v[132:133], v[120:121], v[14:15], -v[132:133]
	v_mul_f64 v[120:121], v[120:121], v[16:17]
	v_fmac_f64_e32 v[120:121], v[122:123], v[14:15]
	v_add_f64 v[52:53], v[52:53], -v[120:121]
	s_waitcnt lgkmcnt(2)
	v_mul_f64 v[120:121], v[116:117], v[20:21]
	v_fma_f64 v[120:121], v[114:115], v[18:19], -v[120:121]
	v_mul_f64 v[114:115], v[114:115], v[20:21]
	v_fmac_f64_e32 v[114:115], v[116:117], v[18:19]
	v_add_f64 v[50:51], v[50:51], -v[132:133]
	v_add_f64 v[52:53], v[52:53], -v[114:115]
	s_waitcnt lgkmcnt(1)
	v_mul_f64 v[114:115], v[126:127], v[24:25]
	v_mul_f64 v[116:117], v[124:125], v[24:25]
	v_add_f64 v[50:51], v[50:51], -v[120:121]
	v_fma_f64 v[114:115], v[124:125], v[22:23], -v[114:115]
	v_fmac_f64_e32 v[116:117], v[126:127], v[22:23]
	v_add_f64 v[114:115], v[50:51], -v[114:115]
	v_add_f64 v[116:117], v[52:53], -v[116:117]
	ds_read_b128 v[50:53], v119 offset:64
	s_waitcnt lgkmcnt(1)
	v_mul_f64 v[120:121], v[130:131], v[28:29]
	v_fma_f64 v[120:121], v[128:129], v[26:27], -v[120:121]
	v_mul_f64 v[122:123], v[128:129], v[28:29]
	v_fmac_f64_e32 v[122:123], v[130:131], v[26:27]
	v_add_f64 v[120:121], v[114:115], -v[120:121]
	s_waitcnt lgkmcnt(0)
	v_mul_f64 v[114:115], v[52:53], v[32:33]
	v_add_f64 v[122:123], v[116:117], -v[122:123]
	v_fma_f64 v[124:125], v[50:51], v[30:31], -v[114:115]
	ds_read_b128 v[114:117], v119 offset:80
	v_mul_f64 v[50:51], v[50:51], v[32:33]
	v_fmac_f64_e32 v[50:51], v[52:53], v[30:31]
	v_add_f64 v[122:123], v[122:123], -v[50:51]
	ds_read_b128 v[50:53], v119 offset:96
	v_add_f64 v[120:121], v[120:121], -v[124:125]
	s_waitcnt lgkmcnt(1)
	v_mul_f64 v[124:125], v[116:117], v[36:37]
	v_fma_f64 v[124:125], v[114:115], v[34:35], -v[124:125]
	v_mul_f64 v[114:115], v[114:115], v[36:37]
	v_fmac_f64_e32 v[114:115], v[116:117], v[34:35]
	v_add_f64 v[122:123], v[122:123], -v[114:115]
	s_waitcnt lgkmcnt(0)
	v_mul_f64 v[114:115], v[52:53], v[44:45]
	v_add_f64 v[120:121], v[120:121], -v[124:125]
	v_fma_f64 v[124:125], v[50:51], v[42:43], -v[114:115]
	ds_read_b128 v[114:117], v119 offset:112
	v_mul_f64 v[50:51], v[50:51], v[44:45]
	v_fmac_f64_e32 v[50:51], v[52:53], v[42:43]
	v_add_f64 v[122:123], v[122:123], -v[50:51]
	ds_read_b128 v[50:53], v119 offset:128
	v_add_f64 v[120:121], v[120:121], -v[124:125]
	;; [unrolled: 16-line block ×8, first 2 shown]
	s_waitcnt lgkmcnt(1)
	v_mul_f64 v[124:125], v[116:117], v[92:93]
	v_fma_f64 v[124:125], v[114:115], v[90:91], -v[124:125]
	v_mul_f64 v[114:115], v[114:115], v[92:93]
	v_fmac_f64_e32 v[114:115], v[116:117], v[90:91]
	v_add_f64 v[122:123], v[122:123], -v[114:115]
	s_waitcnt lgkmcnt(0)
	v_mul_f64 v[114:115], v[52:53], v[88:89]
	v_add_f64 v[120:121], v[120:121], -v[124:125]
	v_fma_f64 v[124:125], v[50:51], v[86:87], -v[114:115]
	v_mul_f64 v[50:51], v[50:51], v[88:89]
	ds_read_b128 v[114:117], v119 offset:336
	v_fmac_f64_e32 v[50:51], v[52:53], v[86:87]
	v_add_f64 v[122:123], v[122:123], -v[50:51]
	ds_read_b128 v[50:53], v119 offset:352
	v_add_f64 v[120:121], v[120:121], -v[124:125]
	s_waitcnt lgkmcnt(1)
	v_mul_f64 v[124:125], v[116:117], v[76:77]
	v_fma_f64 v[124:125], v[114:115], v[74:75], -v[124:125]
	v_mul_f64 v[114:115], v[114:115], v[76:77]
	v_fmac_f64_e32 v[114:115], v[116:117], v[74:75]
	v_add_f64 v[116:117], v[120:121], -v[124:125]
	s_waitcnt lgkmcnt(0)
	v_mul_f64 v[120:121], v[52:53], v[64:65]
	v_fma_f64 v[120:121], v[50:51], v[62:63], -v[120:121]
	v_mul_f64 v[50:51], v[50:51], v[64:65]
	v_add_f64 v[114:115], v[122:123], -v[114:115]
	v_fmac_f64_e32 v[50:51], v[52:53], v[62:63]
	s_mul_i32 s11, s15, 0x210
	v_add_f64 v[52:53], v[114:115], -v[50:51]
	v_mov_b32_e32 v50, s11
	s_or_b32 s15, s10, 24
	v_add_f64 v[124:125], v[116:117], -v[120:121]
	ds_read_b128 v[114:117], v50
	s_lshl_b32 s11, s15, 9
	s_add_i32 s16, s5, s11
	v_mov_b32_e32 v119, s16
	ds_read_b128 v[120:123], v119
	s_waitcnt lgkmcnt(1)
	v_mul_f64 v[50:51], v[116:117], v[52:53]
	v_mul_f64 v[52:53], v[114:115], v[52:53]
	v_fma_f64 v[50:51], v[114:115], v[124:125], -v[50:51]
	v_fmac_f64_e32 v[52:53], v[116:117], v[124:125]
	v_add_u32_e32 v114, s12, v1
	ds_write_b128 v114, v[50:53]
	ds_read_b128 v[114:117], v119 offset:16
	ds_read_b128 v[124:127], v119 offset:32
	;; [unrolled: 1-line block ×3, first 2 shown]
	s_waitcnt lgkmcnt(4)
	v_mul_f64 v[132:133], v[122:123], v[16:17]
	v_fma_f64 v[132:133], v[120:121], v[14:15], -v[132:133]
	v_mul_f64 v[120:121], v[120:121], v[16:17]
	v_fmac_f64_e32 v[120:121], v[122:123], v[14:15]
	v_add_f64 v[40:41], v[40:41], -v[120:121]
	s_waitcnt lgkmcnt(2)
	v_mul_f64 v[120:121], v[116:117], v[20:21]
	v_fma_f64 v[120:121], v[114:115], v[18:19], -v[120:121]
	v_mul_f64 v[114:115], v[114:115], v[20:21]
	v_fmac_f64_e32 v[114:115], v[116:117], v[18:19]
	v_add_f64 v[38:39], v[38:39], -v[132:133]
	v_add_f64 v[40:41], v[40:41], -v[114:115]
	s_waitcnt lgkmcnt(1)
	v_mul_f64 v[114:115], v[126:127], v[24:25]
	v_mul_f64 v[116:117], v[124:125], v[24:25]
	v_add_f64 v[38:39], v[38:39], -v[120:121]
	v_fma_f64 v[114:115], v[124:125], v[22:23], -v[114:115]
	v_fmac_f64_e32 v[116:117], v[126:127], v[22:23]
	v_add_f64 v[114:115], v[38:39], -v[114:115]
	v_add_f64 v[116:117], v[40:41], -v[116:117]
	ds_read_b128 v[38:41], v119 offset:64
	s_waitcnt lgkmcnt(1)
	v_mul_f64 v[120:121], v[130:131], v[28:29]
	v_fma_f64 v[120:121], v[128:129], v[26:27], -v[120:121]
	v_mul_f64 v[122:123], v[128:129], v[28:29]
	v_fmac_f64_e32 v[122:123], v[130:131], v[26:27]
	v_add_f64 v[120:121], v[114:115], -v[120:121]
	s_waitcnt lgkmcnt(0)
	v_mul_f64 v[114:115], v[40:41], v[32:33]
	v_add_f64 v[122:123], v[116:117], -v[122:123]
	v_fma_f64 v[124:125], v[38:39], v[30:31], -v[114:115]
	ds_read_b128 v[114:117], v119 offset:80
	v_mul_f64 v[38:39], v[38:39], v[32:33]
	v_fmac_f64_e32 v[38:39], v[40:41], v[30:31]
	v_add_f64 v[122:123], v[122:123], -v[38:39]
	ds_read_b128 v[38:41], v119 offset:96
	v_add_f64 v[120:121], v[120:121], -v[124:125]
	s_waitcnt lgkmcnt(1)
	v_mul_f64 v[124:125], v[116:117], v[36:37]
	v_fma_f64 v[124:125], v[114:115], v[34:35], -v[124:125]
	v_mul_f64 v[114:115], v[114:115], v[36:37]
	v_fmac_f64_e32 v[114:115], v[116:117], v[34:35]
	v_add_f64 v[122:123], v[122:123], -v[114:115]
	s_waitcnt lgkmcnt(0)
	v_mul_f64 v[114:115], v[40:41], v[44:45]
	v_add_f64 v[120:121], v[120:121], -v[124:125]
	v_fma_f64 v[124:125], v[38:39], v[42:43], -v[114:115]
	ds_read_b128 v[114:117], v119 offset:112
	v_mul_f64 v[38:39], v[38:39], v[44:45]
	v_fmac_f64_e32 v[38:39], v[40:41], v[42:43]
	v_add_f64 v[122:123], v[122:123], -v[38:39]
	ds_read_b128 v[38:41], v119 offset:128
	v_add_f64 v[120:121], v[120:121], -v[124:125]
	;; [unrolled: 16-line block ×9, first 2 shown]
	s_waitcnt lgkmcnt(1)
	v_mul_f64 v[124:125], v[116:117], v[76:77]
	v_fma_f64 v[124:125], v[114:115], v[74:75], -v[124:125]
	v_mul_f64 v[114:115], v[114:115], v[76:77]
	v_fmac_f64_e32 v[114:115], v[116:117], v[74:75]
	v_add_f64 v[116:117], v[120:121], -v[124:125]
	v_add_f64 v[114:115], v[122:123], -v[114:115]
	s_waitcnt lgkmcnt(0)
	v_mul_f64 v[120:121], v[40:41], v[64:65]
	v_mul_f64 v[122:123], v[38:39], v[64:65]
	v_fma_f64 v[120:121], v[38:39], v[62:63], -v[120:121]
	v_fmac_f64_e32 v[122:123], v[40:41], v[62:63]
	ds_read_b128 v[38:41], v119 offset:368
	s_mul_i32 s12, s15, 0x210
	v_add_f64 v[122:123], v[114:115], -v[122:123]
	v_mov_b32_e32 v114, s12
	v_add_f64 v[120:121], v[116:117], -v[120:121]
	ds_read_b128 v[114:117], v114
	s_waitcnt lgkmcnt(1)
	v_mul_f64 v[124:125], v[40:41], v[52:53]
	v_fma_f64 v[124:125], v[38:39], v[50:51], -v[124:125]
	v_mul_f64 v[38:39], v[38:39], v[52:53]
	s_or_b32 s12, s10, 25
	v_fmac_f64_e32 v[38:39], v[40:41], v[50:51]
	v_add_u32_e32 v119, s11, v1
	s_lshl_b32 s11, s12, 9
	v_add_f64 v[40:41], v[122:123], -v[38:39]
	s_add_i32 s15, s5, s11
	v_add_f64 v[120:121], v[120:121], -v[124:125]
	s_waitcnt lgkmcnt(0)
	v_mul_f64 v[38:39], v[116:117], v[40:41]
	v_mul_f64 v[40:41], v[114:115], v[40:41]
	v_mov_b32_e32 v134, s15
	v_fma_f64 v[38:39], v[114:115], v[120:121], -v[38:39]
	v_fmac_f64_e32 v[40:41], v[116:117], v[120:121]
	ds_read_b128 v[114:117], v134
	ds_write_b128 v119, v[38:41]
	ds_read_b128 v[120:123], v134 offset:16
	ds_read_b128 v[124:127], v134 offset:32
	;; [unrolled: 1-line block ×3, first 2 shown]
	s_mulk_i32 s12, 0x210
	v_add_u32_e32 v119, s11, v1
	s_waitcnt lgkmcnt(4)
	v_mul_f64 v[132:133], v[116:117], v[16:17]
	v_fma_f64 v[132:133], v[114:115], v[14:15], -v[132:133]
	v_mul_f64 v[114:115], v[114:115], v[16:17]
	v_fmac_f64_e32 v[114:115], v[116:117], v[14:15]
	v_add_f64 v[12:13], v[12:13], -v[114:115]
	s_waitcnt lgkmcnt(2)
	v_mul_f64 v[114:115], v[122:123], v[20:21]
	v_add_f64 v[10:11], v[10:11], -v[132:133]
	v_fma_f64 v[114:115], v[120:121], v[18:19], -v[114:115]
	v_mul_f64 v[116:117], v[120:121], v[20:21]
	v_fmac_f64_e32 v[116:117], v[122:123], v[18:19]
	v_add_f64 v[10:11], v[10:11], -v[114:115]
	s_waitcnt lgkmcnt(1)
	v_mul_f64 v[114:115], v[126:127], v[24:25]
	v_add_f64 v[12:13], v[12:13], -v[116:117]
	;; [unrolled: 7-line block ×3, first 2 shown]
	v_fma_f64 v[120:121], v[128:129], v[26:27], -v[10:11]
	ds_read_b128 v[10:13], v134 offset:64
	v_mul_f64 v[122:123], v[128:129], v[28:29]
	v_fmac_f64_e32 v[122:123], v[130:131], v[26:27]
	v_add_f64 v[120:121], v[114:115], -v[120:121]
	v_add_f64 v[122:123], v[116:117], -v[122:123]
	ds_read_b128 v[114:117], v134 offset:80
	s_waitcnt lgkmcnt(1)
	v_mul_f64 v[124:125], v[12:13], v[32:33]
	v_fma_f64 v[124:125], v[10:11], v[30:31], -v[124:125]
	v_mul_f64 v[10:11], v[10:11], v[32:33]
	v_fmac_f64_e32 v[10:11], v[12:13], v[30:31]
	v_add_f64 v[122:123], v[122:123], -v[10:11]
	s_waitcnt lgkmcnt(0)
	v_mul_f64 v[10:11], v[116:117], v[36:37]
	v_add_f64 v[120:121], v[120:121], -v[124:125]
	v_fma_f64 v[124:125], v[114:115], v[34:35], -v[10:11]
	ds_read_b128 v[10:13], v134 offset:96
	v_mul_f64 v[114:115], v[114:115], v[36:37]
	v_fmac_f64_e32 v[114:115], v[116:117], v[34:35]
	v_add_f64 v[122:123], v[122:123], -v[114:115]
	ds_read_b128 v[114:117], v134 offset:112
	v_add_f64 v[120:121], v[120:121], -v[124:125]
	s_waitcnt lgkmcnt(1)
	v_mul_f64 v[124:125], v[12:13], v[44:45]
	v_fma_f64 v[124:125], v[10:11], v[42:43], -v[124:125]
	v_mul_f64 v[10:11], v[10:11], v[44:45]
	v_fmac_f64_e32 v[10:11], v[12:13], v[42:43]
	v_add_f64 v[122:123], v[122:123], -v[10:11]
	s_waitcnt lgkmcnt(0)
	v_mul_f64 v[10:11], v[116:117], v[48:49]
	v_add_f64 v[120:121], v[120:121], -v[124:125]
	v_fma_f64 v[124:125], v[114:115], v[46:47], -v[10:11]
	ds_read_b128 v[10:13], v134 offset:128
	v_mul_f64 v[114:115], v[114:115], v[48:49]
	v_fmac_f64_e32 v[114:115], v[116:117], v[46:47]
	v_add_f64 v[122:123], v[122:123], -v[114:115]
	ds_read_b128 v[114:117], v134 offset:144
	v_add_f64 v[120:121], v[120:121], -v[124:125]
	;; [unrolled: 16-line block ×9, first 2 shown]
	s_waitcnt lgkmcnt(1)
	v_mul_f64 v[124:125], v[12:13], v[64:65]
	v_fma_f64 v[124:125], v[10:11], v[62:63], -v[124:125]
	v_mul_f64 v[10:11], v[10:11], v[64:65]
	v_fmac_f64_e32 v[10:11], v[12:13], v[62:63]
	v_add_f64 v[12:13], v[120:121], -v[124:125]
	v_add_f64 v[120:121], v[122:123], -v[10:11]
	s_waitcnt lgkmcnt(0)
	v_mul_f64 v[10:11], v[116:117], v[52:53]
	v_fma_f64 v[10:11], v[114:115], v[50:51], -v[10:11]
	v_add_f64 v[122:123], v[12:13], -v[10:11]
	ds_read_b128 v[10:13], v134 offset:384
	v_mul_f64 v[114:115], v[114:115], v[52:53]
	v_fmac_f64_e32 v[114:115], v[116:117], v[50:51]
	v_add_f64 v[120:121], v[120:121], -v[114:115]
	v_mov_b32_e32 v114, s12
	ds_read_b128 v[114:117], v114
	s_waitcnt lgkmcnt(1)
	v_mul_f64 v[124:125], v[12:13], v[40:41]
	v_fma_f64 v[124:125], v[10:11], v[38:39], -v[124:125]
	v_mul_f64 v[10:11], v[10:11], v[40:41]
	s_or_b32 s11, s10, 26
	v_fmac_f64_e32 v[10:11], v[12:13], v[38:39]
	s_lshl_b32 s10, s11, 9
	v_add_f64 v[12:13], v[120:121], -v[10:11]
	s_add_i32 s12, s5, s10
	v_add_f64 v[122:123], v[122:123], -v[124:125]
	s_waitcnt lgkmcnt(0)
	v_mul_f64 v[10:11], v[116:117], v[12:13]
	v_mul_f64 v[12:13], v[114:115], v[12:13]
	v_mov_b32_e32 v134, s12
	v_fma_f64 v[10:11], v[114:115], v[122:123], -v[10:11]
	v_fmac_f64_e32 v[12:13], v[116:117], v[122:123]
	ds_read_b128 v[114:117], v134
	ds_write_b128 v119, v[10:13]
	ds_read_b128 v[120:123], v134 offset:16
	ds_read_b128 v[124:127], v134 offset:32
	;; [unrolled: 1-line block ×3, first 2 shown]
	s_mulk_i32 s11, 0x210
	s_add_i32 s5, s5, s7
	s_waitcnt lgkmcnt(4)
	v_mul_f64 v[132:133], v[116:117], v[16:17]
	v_fma_f64 v[132:133], v[114:115], v[14:15], -v[132:133]
	v_mul_f64 v[114:115], v[114:115], v[16:17]
	v_fmac_f64_e32 v[114:115], v[116:117], v[14:15]
	v_add_f64 v[8:9], v[8:9], -v[114:115]
	s_waitcnt lgkmcnt(2)
	v_mul_f64 v[114:115], v[122:123], v[20:21]
	v_add_f64 v[6:7], v[6:7], -v[132:133]
	v_fma_f64 v[114:115], v[120:121], v[18:19], -v[114:115]
	v_mul_f64 v[116:117], v[120:121], v[20:21]
	v_fmac_f64_e32 v[116:117], v[122:123], v[18:19]
	v_add_f64 v[6:7], v[6:7], -v[114:115]
	s_waitcnt lgkmcnt(1)
	v_mul_f64 v[114:115], v[126:127], v[24:25]
	v_add_f64 v[8:9], v[8:9], -v[116:117]
	;; [unrolled: 7-line block ×3, first 2 shown]
	v_fma_f64 v[120:121], v[128:129], v[26:27], -v[6:7]
	ds_read_b128 v[6:9], v134 offset:64
	v_mul_f64 v[122:123], v[128:129], v[28:29]
	v_fmac_f64_e32 v[122:123], v[130:131], v[26:27]
	v_add_f64 v[120:121], v[114:115], -v[120:121]
	v_add_f64 v[122:123], v[116:117], -v[122:123]
	ds_read_b128 v[114:117], v134 offset:80
	s_waitcnt lgkmcnt(1)
	v_mul_f64 v[124:125], v[8:9], v[32:33]
	v_fma_f64 v[124:125], v[6:7], v[30:31], -v[124:125]
	v_mul_f64 v[6:7], v[6:7], v[32:33]
	v_fmac_f64_e32 v[6:7], v[8:9], v[30:31]
	v_add_f64 v[122:123], v[122:123], -v[6:7]
	s_waitcnt lgkmcnt(0)
	v_mul_f64 v[6:7], v[116:117], v[36:37]
	v_add_f64 v[120:121], v[120:121], -v[124:125]
	v_fma_f64 v[124:125], v[114:115], v[34:35], -v[6:7]
	ds_read_b128 v[6:9], v134 offset:96
	v_mul_f64 v[114:115], v[114:115], v[36:37]
	v_fmac_f64_e32 v[114:115], v[116:117], v[34:35]
	v_add_f64 v[122:123], v[122:123], -v[114:115]
	ds_read_b128 v[114:117], v134 offset:112
	v_add_f64 v[120:121], v[120:121], -v[124:125]
	s_waitcnt lgkmcnt(1)
	v_mul_f64 v[124:125], v[8:9], v[44:45]
	v_fma_f64 v[124:125], v[6:7], v[42:43], -v[124:125]
	v_mul_f64 v[6:7], v[6:7], v[44:45]
	v_fmac_f64_e32 v[6:7], v[8:9], v[42:43]
	v_add_f64 v[122:123], v[122:123], -v[6:7]
	s_waitcnt lgkmcnt(0)
	v_mul_f64 v[6:7], v[116:117], v[48:49]
	v_add_f64 v[120:121], v[120:121], -v[124:125]
	v_fma_f64 v[124:125], v[114:115], v[46:47], -v[6:7]
	ds_read_b128 v[6:9], v134 offset:128
	v_mul_f64 v[114:115], v[114:115], v[48:49]
	v_fmac_f64_e32 v[114:115], v[116:117], v[46:47]
	v_add_f64 v[122:123], v[122:123], -v[114:115]
	ds_read_b128 v[114:117], v134 offset:144
	v_add_f64 v[120:121], v[120:121], -v[124:125]
	;; [unrolled: 16-line block ×9, first 2 shown]
	s_waitcnt lgkmcnt(1)
	v_mul_f64 v[124:125], v[8:9], v[64:65]
	v_fma_f64 v[124:125], v[6:7], v[62:63], -v[124:125]
	v_mul_f64 v[6:7], v[6:7], v[64:65]
	v_fmac_f64_e32 v[6:7], v[8:9], v[62:63]
	v_add_f64 v[122:123], v[122:123], -v[6:7]
	s_waitcnt lgkmcnt(0)
	v_mul_f64 v[6:7], v[116:117], v[52:53]
	v_add_f64 v[120:121], v[120:121], -v[124:125]
	v_fma_f64 v[124:125], v[114:115], v[50:51], -v[6:7]
	v_mul_f64 v[114:115], v[114:115], v[52:53]
	ds_read_b128 v[6:9], v134 offset:384
	v_fmac_f64_e32 v[114:115], v[116:117], v[50:51]
	v_add_f64 v[122:123], v[122:123], -v[114:115]
	ds_read_b128 v[114:117], v134 offset:400
	v_add_f64 v[120:121], v[120:121], -v[124:125]
	s_waitcnt lgkmcnt(1)
	v_mul_f64 v[124:125], v[8:9], v[40:41]
	v_fma_f64 v[124:125], v[6:7], v[38:39], -v[124:125]
	v_mul_f64 v[6:7], v[6:7], v[40:41]
	v_fmac_f64_e32 v[6:7], v[8:9], v[38:39]
	v_add_f64 v[8:9], v[120:121], -v[124:125]
	s_waitcnt lgkmcnt(0)
	v_mul_f64 v[120:121], v[116:117], v[12:13]
	v_fma_f64 v[120:121], v[114:115], v[10:11], -v[120:121]
	v_add_f64 v[6:7], v[122:123], -v[6:7]
	v_mul_f64 v[122:123], v[114:115], v[12:13]
	v_add_f64 v[124:125], v[8:9], -v[120:121]
	v_mov_b32_e32 v8, s11
	v_fmac_f64_e32 v[122:123], v[116:117], v[10:11]
	ds_read_b128 v[114:117], v8
	v_mov_b32_e32 v119, s5
	v_add_f64 v[8:9], v[6:7], -v[122:123]
	ds_read_b128 v[120:123], v119
	s_mul_i32 s5, s6, 0x210
	s_waitcnt lgkmcnt(1)
	v_mul_f64 v[6:7], v[116:117], v[8:9]
	v_mul_f64 v[8:9], v[114:115], v[8:9]
	v_fma_f64 v[6:7], v[114:115], v[124:125], -v[6:7]
	v_fmac_f64_e32 v[8:9], v[116:117], v[124:125]
	v_add_u32_e32 v114, s10, v1
	ds_write_b128 v114, v[6:9]
	ds_read_b128 v[114:117], v119 offset:16
	ds_read_b128 v[124:127], v119 offset:32
	;; [unrolled: 1-line block ×3, first 2 shown]
	s_waitcnt lgkmcnt(4)
	v_mul_f64 v[132:133], v[122:123], v[16:17]
	v_mul_f64 v[16:17], v[120:121], v[16:17]
	v_fmac_f64_e32 v[16:17], v[122:123], v[14:15]
	v_fma_f64 v[132:133], v[120:121], v[14:15], -v[132:133]
	v_add_f64 v[4:5], v[4:5], -v[16:17]
	s_waitcnt lgkmcnt(2)
	v_mul_f64 v[14:15], v[116:117], v[20:21]
	v_mul_f64 v[16:17], v[114:115], v[20:21]
	v_add_f64 v[2:3], v[2:3], -v[132:133]
	v_fma_f64 v[14:15], v[114:115], v[18:19], -v[14:15]
	v_fmac_f64_e32 v[16:17], v[116:117], v[18:19]
	v_add_f64 v[2:3], v[2:3], -v[14:15]
	v_add_f64 v[4:5], v[4:5], -v[16:17]
	s_waitcnt lgkmcnt(1)
	v_mul_f64 v[14:15], v[126:127], v[24:25]
	v_mul_f64 v[16:17], v[124:125], v[24:25]
	v_fma_f64 v[14:15], v[124:125], v[22:23], -v[14:15]
	v_fmac_f64_e32 v[16:17], v[126:127], v[22:23]
	v_add_f64 v[14:15], v[2:3], -v[14:15]
	v_add_f64 v[16:17], v[4:5], -v[16:17]
	ds_read_b128 v[2:5], v119 offset:64
	s_waitcnt lgkmcnt(1)
	v_mul_f64 v[18:19], v[130:131], v[28:29]
	v_fma_f64 v[18:19], v[128:129], v[26:27], -v[18:19]
	v_mul_f64 v[20:21], v[128:129], v[28:29]
	v_fmac_f64_e32 v[20:21], v[130:131], v[26:27]
	v_add_f64 v[18:19], v[14:15], -v[18:19]
	s_waitcnt lgkmcnt(0)
	v_mul_f64 v[14:15], v[4:5], v[32:33]
	v_add_f64 v[20:21], v[16:17], -v[20:21]
	v_fma_f64 v[22:23], v[2:3], v[30:31], -v[14:15]
	ds_read_b128 v[14:17], v119 offset:80
	v_mul_f64 v[2:3], v[2:3], v[32:33]
	v_fmac_f64_e32 v[2:3], v[4:5], v[30:31]
	v_add_f64 v[20:21], v[20:21], -v[2:3]
	ds_read_b128 v[2:5], v119 offset:96
	v_add_f64 v[18:19], v[18:19], -v[22:23]
	s_waitcnt lgkmcnt(1)
	v_mul_f64 v[22:23], v[16:17], v[36:37]
	v_fma_f64 v[22:23], v[14:15], v[34:35], -v[22:23]
	v_mul_f64 v[14:15], v[14:15], v[36:37]
	v_fmac_f64_e32 v[14:15], v[16:17], v[34:35]
	v_add_f64 v[20:21], v[20:21], -v[14:15]
	s_waitcnt lgkmcnt(0)
	v_mul_f64 v[14:15], v[4:5], v[44:45]
	v_add_f64 v[18:19], v[18:19], -v[22:23]
	v_fma_f64 v[22:23], v[2:3], v[42:43], -v[14:15]
	ds_read_b128 v[14:17], v119 offset:112
	v_mul_f64 v[2:3], v[2:3], v[44:45]
	v_fmac_f64_e32 v[2:3], v[4:5], v[42:43]
	v_add_f64 v[20:21], v[20:21], -v[2:3]
	ds_read_b128 v[2:5], v119 offset:128
	v_add_f64 v[18:19], v[18:19], -v[22:23]
	;; [unrolled: 16-line block ×10, first 2 shown]
	s_waitcnt lgkmcnt(1)
	v_mul_f64 v[22:23], v[16:17], v[52:53]
	v_fma_f64 v[22:23], v[14:15], v[50:51], -v[22:23]
	v_mul_f64 v[14:15], v[14:15], v[52:53]
	v_fmac_f64_e32 v[14:15], v[16:17], v[50:51]
	v_add_f64 v[20:21], v[20:21], -v[14:15]
	s_waitcnt lgkmcnt(0)
	v_mul_f64 v[14:15], v[4:5], v[40:41]
	v_add_f64 v[18:19], v[18:19], -v[22:23]
	v_fma_f64 v[22:23], v[2:3], v[38:39], -v[14:15]
	v_mul_f64 v[2:3], v[2:3], v[40:41]
	ds_read_b128 v[14:17], v119 offset:400
	v_fmac_f64_e32 v[2:3], v[4:5], v[38:39]
	v_add_f64 v[20:21], v[20:21], -v[2:3]
	ds_read_b128 v[2:5], v119 offset:416
	v_add_f64 v[18:19], v[18:19], -v[22:23]
	s_waitcnt lgkmcnt(1)
	v_mul_f64 v[22:23], v[16:17], v[12:13]
	v_mul_f64 v[12:13], v[14:15], v[12:13]
	v_fma_f64 v[22:23], v[14:15], v[10:11], -v[22:23]
	v_fmac_f64_e32 v[12:13], v[16:17], v[10:11]
	s_waitcnt lgkmcnt(0)
	v_mul_f64 v[10:11], v[4:5], v[8:9]
	v_add_f64 v[14:15], v[18:19], -v[22:23]
	v_fma_f64 v[18:19], v[2:3], v[6:7], -v[10:11]
	v_mov_b32_e32 v10, s5
	v_add_f64 v[16:17], v[20:21], -v[12:13]
	ds_read_b128 v[10:13], v10
	v_mul_f64 v[2:3], v[2:3], v[8:9]
	v_fmac_f64_e32 v[2:3], v[4:5], v[6:7]
	v_add_f64 v[4:5], v[16:17], -v[2:3]
	v_add_f64 v[6:7], v[14:15], -v[18:19]
	s_waitcnt lgkmcnt(0)
	v_mul_f64 v[2:3], v[12:13], v[4:5]
	v_mul_f64 v[4:5], v[10:11], v[4:5]
	v_fma_f64 v[2:3], v[10:11], v[6:7], -v[2:3]
	v_fmac_f64_e32 v[4:5], v[12:13], v[6:7]
	s_mov_b32 s10, s4
	ds_write_b128 v118, v[2:5]
.LBB234_23:
	s_cmp_ge_i32 s10, s24
	s_cbranch_scc1 .LBB234_28
; %bb.24:
	v_mov_b32_e32 v2, 0x4000
	s_lshl_b32 s4, s10, 9
	v_lshl_or_b32 v6, v0, 4, v2
	s_branch .LBB234_26
.LBB234_25:                             ;   in Loop: Header=BB234_26 Depth=1
	s_mul_i32 s5, s10, 0x210
	v_mov_b32_e32 v8, s5
	ds_read_b128 v[8:11], v8
	s_add_i32 s10, s10, 1
	s_addk_i32 s4, 0x200
	s_cmp_ge_i32 s10, s24
	s_waitcnt lgkmcnt(0)
	v_mul_f64 v[12:13], v[10:11], v[4:5]
	v_mul_f64 v[14:15], v[8:9], v[4:5]
	v_fma_f64 v[12:13], v[8:9], v[2:3], -v[12:13]
	v_fmac_f64_e32 v[14:15], v[10:11], v[2:3]
	ds_write_b128 v7, v[12:15]
	s_cbranch_scc1 .LBB234_28
.LBB234_26:                             ; =>This Loop Header: Depth=1
                                        ;     Child Loop BB234_27 Depth 2
	s_lshl_b32 s5, s10, 9
	v_add_u32_e32 v7, s5, v1
	ds_read_b128 v[2:5], v7
	s_cmp_eq_u32 s10, 0
	v_mov_b32_e32 v8, v6
	s_mov_b32 s5, s10
	s_mov_b32 s6, s4
	s_cbranch_scc1 .LBB234_25
.LBB234_27:                             ;   Parent Loop BB234_26 Depth=1
                                        ; =>  This Inner Loop Header: Depth=2
	v_mov_b32_e32 v9, s6
	ds_read_b128 v[10:13], v8
	ds_read_b128 v[14:17], v9
	s_add_i32 s6, s6, 16
	s_add_i32 s5, s5, -1
	v_add_u32_e32 v8, 0x200, v8
	s_cmp_lg_u32 s5, 0
	s_waitcnt lgkmcnt(0)
	v_mul_f64 v[18:19], v[12:13], v[16:17]
	v_mul_f64 v[16:17], v[10:11], v[16:17]
	v_fma_f64 v[10:11], v[10:11], v[14:15], -v[18:19]
	v_fmac_f64_e32 v[16:17], v[12:13], v[14:15]
	v_add_f64 v[2:3], v[2:3], -v[10:11]
	v_add_f64 v[4:5], v[4:5], -v[16:17]
	s_cbranch_scc1 .LBB234_27
	s_branch .LBB234_25
.LBB234_28:
	s_mov_b64 s[4:5], 0
.LBB234_29:
	s_and_b64 vcc, exec, s[4:5]
	s_cbranch_vccz .LBB234_51
; %bb.30:
	s_add_i32 s4, s24, -1
	s_cmp_gt_i32 s14, 31
	s_mov_b32 s5, s4
	s_cbranch_scc0 .LBB234_32
; %bb.31:
	v_mov_b32_e32 v136, 0
	ds_read_b128 v[22:25], v1 offset:15872
	ds_read_b128 v[130:133], v1 offset:15360
	;; [unrolled: 1-line block ×32, first 2 shown]
	ds_read_b128 v[10:13], v1
	ds_read_b128 v[142:145], v136 offset:16352
	s_waitcnt lgkmcnt(5)
	v_mul_f64 v[26:27], v[140:141], v[24:25]
	v_mul_f64 v[28:29], v[138:139], v[24:25]
	v_fma_f64 v[26:27], v[138:139], v[22:23], -v[26:27]
	v_fmac_f64_e32 v[28:29], v[140:141], v[22:23]
	ds_read_b128 v[138:141], v136 offset:15840
	s_waitcnt lgkmcnt(1)
	v_mul_f64 v[22:23], v[144:145], v[28:29]
	v_mul_f64 v[24:25], v[142:143], v[28:29]
	v_fma_f64 v[22:23], v[142:143], v[26:27], -v[22:23]
	v_fmac_f64_e32 v[24:25], v[144:145], v[26:27]
	v_add_f64 v[134:135], v[130:131], -v[22:23]
	v_add_f64 v[24:25], v[132:133], -v[24:25]
	ds_read_b128 v[130:133], v136 offset:16336
	s_waitcnt lgkmcnt(1)
	v_mul_f64 v[22:23], v[140:141], v[24:25]
	v_mul_f64 v[24:25], v[138:139], v[24:25]
	v_fma_f64 v[22:23], v[138:139], v[134:135], -v[22:23]
	v_fmac_f64_e32 v[24:25], v[140:141], v[134:135]
	ds_read_b128 v[138:141], v136 offset:15824
	s_waitcnt lgkmcnt(1)
	v_mul_f64 v[134:135], v[132:133], v[28:29]
	v_fma_f64 v[134:135], v[130:131], v[26:27], -v[134:135]
	v_mul_f64 v[130:131], v[130:131], v[28:29]
	v_fmac_f64_e32 v[130:131], v[132:133], v[26:27]
	v_add_f64 v[44:45], v[44:45], -v[130:131]
	s_waitcnt lgkmcnt(0)
	v_mul_f64 v[130:131], v[140:141], v[24:25]
	v_add_f64 v[42:43], v[42:43], -v[134:135]
	v_fma_f64 v[134:135], v[138:139], v[22:23], -v[130:131]
	v_mul_f64 v[138:139], v[138:139], v[24:25]
	ds_read_b128 v[130:133], v136 offset:15312
	v_fmac_f64_e32 v[138:139], v[140:141], v[22:23]
	v_add_f64 v[44:45], v[44:45], -v[138:139]
	ds_read_b128 v[138:141], v136 offset:16320
	v_add_f64 v[134:135], v[42:43], -v[134:135]
	s_waitcnt lgkmcnt(1)
	v_mul_f64 v[42:43], v[132:133], v[44:45]
	v_fma_f64 v[42:43], v[130:131], v[134:135], -v[42:43]
	v_mul_f64 v[44:45], v[130:131], v[44:45]
	s_waitcnt lgkmcnt(0)
	v_mul_f64 v[130:131], v[140:141], v[28:29]
	v_fmac_f64_e32 v[44:45], v[132:133], v[134:135]
	v_fma_f64 v[134:135], v[138:139], v[26:27], -v[130:131]
	ds_read_b128 v[130:133], v136 offset:15808
	v_mul_f64 v[138:139], v[138:139], v[28:29]
	v_fmac_f64_e32 v[138:139], v[140:141], v[26:27]
	v_add_f64 v[134:135], v[50:51], -v[134:135]
	v_add_f64 v[138:139], v[52:53], -v[138:139]
	s_waitcnt lgkmcnt(0)
	v_mul_f64 v[50:51], v[132:133], v[24:25]
	v_fma_f64 v[140:141], v[130:131], v[22:23], -v[50:51]
	ds_read_b128 v[50:53], v136 offset:15296
	v_mul_f64 v[130:131], v[130:131], v[24:25]
	v_fmac_f64_e32 v[130:131], v[132:133], v[22:23]
	v_add_f64 v[138:139], v[138:139], -v[130:131]
	v_add_f64 v[134:135], v[134:135], -v[140:141]
	s_waitcnt lgkmcnt(0)
	v_mul_f64 v[130:131], v[52:53], v[44:45]
	v_fma_f64 v[140:141], v[50:51], v[42:43], -v[130:131]
	v_mul_f64 v[50:51], v[50:51], v[44:45]
	ds_read_b128 v[130:133], v136 offset:14784
	v_fmac_f64_e32 v[50:51], v[52:53], v[42:43]
	v_add_f64 v[134:135], v[134:135], -v[140:141]
	v_add_f64 v[52:53], v[138:139], -v[50:51]
	ds_read_b128 v[138:141], v136 offset:16304
	s_waitcnt lgkmcnt(1)
	v_mul_f64 v[50:51], v[132:133], v[52:53]
	v_fma_f64 v[50:51], v[130:131], v[134:135], -v[50:51]
	v_mul_f64 v[52:53], v[130:131], v[52:53]
	v_fmac_f64_e32 v[52:53], v[132:133], v[134:135]
	s_waitcnt lgkmcnt(0)
	v_mul_f64 v[130:131], v[140:141], v[28:29]
	v_fma_f64 v[134:135], v[138:139], v[26:27], -v[130:131]
	ds_read_b128 v[130:133], v136 offset:15792
	v_mul_f64 v[138:139], v[138:139], v[28:29]
	v_fmac_f64_e32 v[138:139], v[140:141], v[26:27]
	v_add_f64 v[134:135], v[18:19], -v[134:135]
	v_add_f64 v[138:139], v[20:21], -v[138:139]
	s_waitcnt lgkmcnt(0)
	v_mul_f64 v[18:19], v[132:133], v[24:25]
	v_fma_f64 v[140:141], v[130:131], v[22:23], -v[18:19]
	ds_read_b128 v[18:21], v136 offset:15280
	v_mul_f64 v[130:131], v[130:131], v[24:25]
	v_fmac_f64_e32 v[130:131], v[132:133], v[22:23]
	v_add_f64 v[138:139], v[138:139], -v[130:131]
	v_add_f64 v[134:135], v[134:135], -v[140:141]
	;; [unrolled: 8-line block ×3, first 2 shown]
	ds_read_b128 v[138:141], v136 offset:14256
	s_waitcnt lgkmcnt(1)
	v_mul_f64 v[134:135], v[132:133], v[52:53]
	v_fma_f64 v[134:135], v[130:131], v[50:51], -v[134:135]
	v_mul_f64 v[130:131], v[130:131], v[52:53]
	v_fmac_f64_e32 v[130:131], v[132:133], v[50:51]
	v_add_f64 v[134:135], v[20:21], -v[134:135]
	v_add_f64 v[20:21], v[18:19], -v[130:131]
	ds_read_b128 v[130:133], v136 offset:16288
	s_waitcnt lgkmcnt(1)
	v_mul_f64 v[18:19], v[140:141], v[20:21]
	v_mul_f64 v[20:21], v[138:139], v[20:21]
	v_fma_f64 v[18:19], v[138:139], v[134:135], -v[18:19]
	v_fmac_f64_e32 v[20:21], v[140:141], v[134:135]
	ds_read_b128 v[138:141], v136 offset:15776
	s_waitcnt lgkmcnt(1)
	v_mul_f64 v[134:135], v[132:133], v[28:29]
	v_fma_f64 v[134:135], v[130:131], v[26:27], -v[134:135]
	v_mul_f64 v[130:131], v[130:131], v[28:29]
	v_fmac_f64_e32 v[130:131], v[132:133], v[26:27]
	v_add_f64 v[132:133], v[14:15], -v[134:135]
	s_waitcnt lgkmcnt(0)
	v_mul_f64 v[14:15], v[140:141], v[24:25]
	v_add_f64 v[130:131], v[16:17], -v[130:131]
	v_fma_f64 v[134:135], v[138:139], v[22:23], -v[14:15]
	ds_read_b128 v[14:17], v136 offset:15264
	v_mul_f64 v[138:139], v[138:139], v[24:25]
	v_fmac_f64_e32 v[138:139], v[140:141], v[22:23]
	v_add_f64 v[138:139], v[130:131], -v[138:139]
	v_add_f64 v[134:135], v[132:133], -v[134:135]
	s_waitcnt lgkmcnt(0)
	v_mul_f64 v[130:131], v[16:17], v[44:45]
	v_fma_f64 v[140:141], v[14:15], v[42:43], -v[130:131]
	ds_read_b128 v[130:133], v136 offset:14752
	v_mul_f64 v[14:15], v[14:15], v[44:45]
	v_fmac_f64_e32 v[14:15], v[16:17], v[42:43]
	v_add_f64 v[138:139], v[138:139], -v[14:15]
	v_add_f64 v[134:135], v[134:135], -v[140:141]
	s_waitcnt lgkmcnt(0)
	v_mul_f64 v[14:15], v[132:133], v[52:53]
	;; [unrolled: 8-line block ×3, first 2 shown]
	v_fma_f64 v[140:141], v[14:15], v[18:19], -v[130:131]
	v_mul_f64 v[14:15], v[14:15], v[20:21]
	ds_read_b128 v[130:133], v136 offset:13728
	v_fmac_f64_e32 v[14:15], v[16:17], v[18:19]
	v_add_f64 v[134:135], v[134:135], -v[140:141]
	v_add_f64 v[16:17], v[138:139], -v[14:15]
	ds_read_b128 v[138:141], v136 offset:16272
	s_waitcnt lgkmcnt(1)
	v_mul_f64 v[14:15], v[132:133], v[16:17]
	v_fma_f64 v[14:15], v[130:131], v[134:135], -v[14:15]
	v_mul_f64 v[16:17], v[130:131], v[16:17]
	v_fmac_f64_e32 v[16:17], v[132:133], v[134:135]
	s_waitcnt lgkmcnt(0)
	v_mul_f64 v[130:131], v[140:141], v[28:29]
	v_fma_f64 v[134:135], v[138:139], v[26:27], -v[130:131]
	ds_read_b128 v[130:133], v136 offset:15760
	v_mul_f64 v[138:139], v[138:139], v[28:29]
	v_fmac_f64_e32 v[138:139], v[140:141], v[26:27]
	v_add_f64 v[134:135], v[38:39], -v[134:135]
	v_add_f64 v[138:139], v[40:41], -v[138:139]
	s_waitcnt lgkmcnt(0)
	v_mul_f64 v[38:39], v[132:133], v[24:25]
	v_fma_f64 v[140:141], v[130:131], v[22:23], -v[38:39]
	ds_read_b128 v[38:41], v136 offset:15248
	v_mul_f64 v[130:131], v[130:131], v[24:25]
	v_fmac_f64_e32 v[130:131], v[132:133], v[22:23]
	v_add_f64 v[138:139], v[138:139], -v[130:131]
	v_add_f64 v[134:135], v[134:135], -v[140:141]
	;; [unrolled: 8-line block ×5, first 2 shown]
	ds_read_b128 v[138:141], v136 offset:13200
	s_waitcnt lgkmcnt(1)
	v_mul_f64 v[134:135], v[132:133], v[16:17]
	v_fma_f64 v[134:135], v[130:131], v[14:15], -v[134:135]
	v_mul_f64 v[130:131], v[130:131], v[16:17]
	v_fmac_f64_e32 v[130:131], v[132:133], v[14:15]
	v_add_f64 v[134:135], v[40:41], -v[134:135]
	v_add_f64 v[40:41], v[38:39], -v[130:131]
	ds_read_b128 v[130:133], v136 offset:16256
	s_waitcnt lgkmcnt(1)
	v_mul_f64 v[38:39], v[140:141], v[40:41]
	v_mul_f64 v[40:41], v[138:139], v[40:41]
	v_fma_f64 v[38:39], v[138:139], v[134:135], -v[38:39]
	v_fmac_f64_e32 v[40:41], v[140:141], v[134:135]
	ds_read_b128 v[138:141], v136 offset:15744
	s_waitcnt lgkmcnt(1)
	v_mul_f64 v[134:135], v[132:133], v[28:29]
	v_fma_f64 v[134:135], v[130:131], v[26:27], -v[134:135]
	v_mul_f64 v[130:131], v[130:131], v[28:29]
	v_fmac_f64_e32 v[130:131], v[132:133], v[26:27]
	v_add_f64 v[132:133], v[58:59], -v[134:135]
	s_waitcnt lgkmcnt(0)
	v_mul_f64 v[58:59], v[140:141], v[24:25]
	v_add_f64 v[130:131], v[60:61], -v[130:131]
	v_fma_f64 v[134:135], v[138:139], v[22:23], -v[58:59]
	ds_read_b128 v[58:61], v136 offset:15232
	v_mul_f64 v[138:139], v[138:139], v[24:25]
	v_fmac_f64_e32 v[138:139], v[140:141], v[22:23]
	v_add_f64 v[138:139], v[130:131], -v[138:139]
	v_add_f64 v[134:135], v[132:133], -v[134:135]
	s_waitcnt lgkmcnt(0)
	v_mul_f64 v[130:131], v[60:61], v[44:45]
	v_fma_f64 v[140:141], v[58:59], v[42:43], -v[130:131]
	ds_read_b128 v[130:133], v136 offset:14720
	v_mul_f64 v[58:59], v[58:59], v[44:45]
	v_fmac_f64_e32 v[58:59], v[60:61], v[42:43]
	v_add_f64 v[138:139], v[138:139], -v[58:59]
	v_add_f64 v[134:135], v[134:135], -v[140:141]
	s_waitcnt lgkmcnt(0)
	v_mul_f64 v[58:59], v[132:133], v[52:53]
	v_fma_f64 v[140:141], v[130:131], v[50:51], -v[58:59]
	ds_read_b128 v[58:61], v136 offset:14208
	v_mul_f64 v[130:131], v[130:131], v[52:53]
	v_fmac_f64_e32 v[130:131], v[132:133], v[50:51]
	v_add_f64 v[138:139], v[138:139], -v[130:131]
	v_add_f64 v[134:135], v[134:135], -v[140:141]
	s_waitcnt lgkmcnt(0)
	v_mul_f64 v[130:131], v[60:61], v[20:21]
	v_fma_f64 v[140:141], v[58:59], v[18:19], -v[130:131]
	ds_read_b128 v[130:133], v136 offset:13696
	v_mul_f64 v[58:59], v[58:59], v[20:21]
	v_fmac_f64_e32 v[58:59], v[60:61], v[18:19]
	v_add_f64 v[138:139], v[138:139], -v[58:59]
	v_add_f64 v[134:135], v[134:135], -v[140:141]
	s_waitcnt lgkmcnt(0)
	v_mul_f64 v[58:59], v[132:133], v[16:17]
	v_fma_f64 v[140:141], v[130:131], v[14:15], -v[58:59]
	ds_read_b128 v[58:61], v136 offset:13184
	v_mul_f64 v[130:131], v[130:131], v[16:17]
	v_fmac_f64_e32 v[130:131], v[132:133], v[14:15]
	v_add_f64 v[138:139], v[138:139], -v[130:131]
	v_add_f64 v[134:135], v[134:135], -v[140:141]
	s_waitcnt lgkmcnt(0)
	v_mul_f64 v[130:131], v[60:61], v[40:41]
	v_fma_f64 v[140:141], v[58:59], v[38:39], -v[130:131]
	v_mul_f64 v[58:59], v[58:59], v[40:41]
	ds_read_b128 v[130:133], v136 offset:12672
	v_fmac_f64_e32 v[58:59], v[60:61], v[38:39]
	v_add_f64 v[134:135], v[134:135], -v[140:141]
	v_add_f64 v[60:61], v[138:139], -v[58:59]
	ds_read_b128 v[138:141], v136 offset:16240
	s_waitcnt lgkmcnt(1)
	v_mul_f64 v[58:59], v[132:133], v[60:61]
	v_fma_f64 v[58:59], v[130:131], v[134:135], -v[58:59]
	v_mul_f64 v[60:61], v[130:131], v[60:61]
	v_fmac_f64_e32 v[60:61], v[132:133], v[134:135]
	s_waitcnt lgkmcnt(0)
	v_mul_f64 v[130:131], v[140:141], v[28:29]
	v_fma_f64 v[134:135], v[138:139], v[26:27], -v[130:131]
	ds_read_b128 v[130:133], v136 offset:15728
	v_mul_f64 v[138:139], v[138:139], v[28:29]
	v_fmac_f64_e32 v[138:139], v[140:141], v[26:27]
	v_add_f64 v[134:135], v[2:3], -v[134:135]
	v_add_f64 v[138:139], v[4:5], -v[138:139]
	s_waitcnt lgkmcnt(0)
	v_mul_f64 v[2:3], v[132:133], v[24:25]
	v_fma_f64 v[140:141], v[130:131], v[22:23], -v[2:3]
	ds_read_b128 v[2:5], v136 offset:15216
	v_mul_f64 v[130:131], v[130:131], v[24:25]
	v_fmac_f64_e32 v[130:131], v[132:133], v[22:23]
	v_add_f64 v[138:139], v[138:139], -v[130:131]
	v_add_f64 v[134:135], v[134:135], -v[140:141]
	;; [unrolled: 8-line block ×7, first 2 shown]
	ds_read_b128 v[138:141], v136 offset:12144
	s_waitcnt lgkmcnt(1)
	v_mul_f64 v[134:135], v[132:133], v[60:61]
	v_fma_f64 v[134:135], v[130:131], v[58:59], -v[134:135]
	v_mul_f64 v[130:131], v[130:131], v[60:61]
	v_fmac_f64_e32 v[130:131], v[132:133], v[58:59]
	v_add_f64 v[134:135], v[4:5], -v[134:135]
	v_add_f64 v[4:5], v[2:3], -v[130:131]
	ds_read_b128 v[130:133], v136 offset:16224
	s_waitcnt lgkmcnt(1)
	v_mul_f64 v[2:3], v[140:141], v[4:5]
	v_mul_f64 v[4:5], v[138:139], v[4:5]
	v_fma_f64 v[2:3], v[138:139], v[134:135], -v[2:3]
	v_fmac_f64_e32 v[4:5], v[140:141], v[134:135]
	ds_read_b128 v[138:141], v136 offset:15712
	s_waitcnt lgkmcnt(1)
	v_mul_f64 v[134:135], v[132:133], v[28:29]
	v_fma_f64 v[134:135], v[130:131], v[26:27], -v[134:135]
	v_mul_f64 v[130:131], v[130:131], v[28:29]
	v_fmac_f64_e32 v[130:131], v[132:133], v[26:27]
	v_add_f64 v[132:133], v[6:7], -v[134:135]
	s_waitcnt lgkmcnt(0)
	v_mul_f64 v[6:7], v[140:141], v[24:25]
	v_add_f64 v[130:131], v[8:9], -v[130:131]
	v_fma_f64 v[134:135], v[138:139], v[22:23], -v[6:7]
	ds_read_b128 v[6:9], v136 offset:15200
	v_mul_f64 v[138:139], v[138:139], v[24:25]
	v_fmac_f64_e32 v[138:139], v[140:141], v[22:23]
	v_add_f64 v[138:139], v[130:131], -v[138:139]
	v_add_f64 v[134:135], v[132:133], -v[134:135]
	s_waitcnt lgkmcnt(0)
	v_mul_f64 v[130:131], v[8:9], v[44:45]
	v_fma_f64 v[140:141], v[6:7], v[42:43], -v[130:131]
	ds_read_b128 v[130:133], v136 offset:14688
	v_mul_f64 v[6:7], v[6:7], v[44:45]
	v_fmac_f64_e32 v[6:7], v[8:9], v[42:43]
	v_add_f64 v[138:139], v[138:139], -v[6:7]
	v_add_f64 v[134:135], v[134:135], -v[140:141]
	s_waitcnt lgkmcnt(0)
	v_mul_f64 v[6:7], v[132:133], v[52:53]
	;; [unrolled: 8-line block ×7, first 2 shown]
	v_fma_f64 v[140:141], v[6:7], v[2:3], -v[130:131]
	v_mul_f64 v[6:7], v[6:7], v[4:5]
	ds_read_b128 v[130:133], v136 offset:11616
	v_fmac_f64_e32 v[6:7], v[8:9], v[2:3]
	v_add_f64 v[134:135], v[134:135], -v[140:141]
	v_add_f64 v[8:9], v[138:139], -v[6:7]
	ds_read_b128 v[138:141], v136 offset:16208
	s_waitcnt lgkmcnt(1)
	v_mul_f64 v[6:7], v[132:133], v[8:9]
	v_fma_f64 v[6:7], v[130:131], v[134:135], -v[6:7]
	v_mul_f64 v[8:9], v[130:131], v[8:9]
	v_fmac_f64_e32 v[8:9], v[132:133], v[134:135]
	s_waitcnt lgkmcnt(0)
	v_mul_f64 v[130:131], v[140:141], v[28:29]
	v_fma_f64 v[134:135], v[138:139], v[26:27], -v[130:131]
	ds_read_b128 v[130:133], v136 offset:15696
	v_mul_f64 v[138:139], v[138:139], v[28:29]
	v_fmac_f64_e32 v[138:139], v[140:141], v[26:27]
	v_add_f64 v[134:135], v[46:47], -v[134:135]
	v_add_f64 v[138:139], v[48:49], -v[138:139]
	s_waitcnt lgkmcnt(0)
	v_mul_f64 v[46:47], v[132:133], v[24:25]
	v_fma_f64 v[140:141], v[130:131], v[22:23], -v[46:47]
	ds_read_b128 v[46:49], v136 offset:15184
	v_mul_f64 v[130:131], v[130:131], v[24:25]
	v_fmac_f64_e32 v[130:131], v[132:133], v[22:23]
	v_add_f64 v[138:139], v[138:139], -v[130:131]
	v_add_f64 v[134:135], v[134:135], -v[140:141]
	;; [unrolled: 8-line block ×9, first 2 shown]
	ds_read_b128 v[138:141], v136 offset:11088
	s_waitcnt lgkmcnt(1)
	v_mul_f64 v[134:135], v[132:133], v[8:9]
	v_fma_f64 v[134:135], v[130:131], v[6:7], -v[134:135]
	v_mul_f64 v[130:131], v[130:131], v[8:9]
	v_fmac_f64_e32 v[130:131], v[132:133], v[6:7]
	v_add_f64 v[134:135], v[48:49], -v[134:135]
	v_add_f64 v[48:49], v[46:47], -v[130:131]
	ds_read_b128 v[130:133], v136 offset:16192
	s_waitcnt lgkmcnt(1)
	v_mul_f64 v[46:47], v[140:141], v[48:49]
	v_mul_f64 v[48:49], v[138:139], v[48:49]
	v_fma_f64 v[46:47], v[138:139], v[134:135], -v[46:47]
	v_fmac_f64_e32 v[48:49], v[140:141], v[134:135]
	ds_read_b128 v[138:141], v136 offset:15680
	s_waitcnt lgkmcnt(1)
	v_mul_f64 v[134:135], v[132:133], v[28:29]
	v_fma_f64 v[134:135], v[130:131], v[26:27], -v[134:135]
	v_mul_f64 v[130:131], v[130:131], v[28:29]
	v_fmac_f64_e32 v[130:131], v[132:133], v[26:27]
	v_add_f64 v[132:133], v[70:71], -v[134:135]
	s_waitcnt lgkmcnt(0)
	v_mul_f64 v[70:71], v[140:141], v[24:25]
	v_add_f64 v[130:131], v[72:73], -v[130:131]
	v_fma_f64 v[134:135], v[138:139], v[22:23], -v[70:71]
	ds_read_b128 v[70:73], v136 offset:15168
	v_mul_f64 v[138:139], v[138:139], v[24:25]
	v_fmac_f64_e32 v[138:139], v[140:141], v[22:23]
	v_add_f64 v[138:139], v[130:131], -v[138:139]
	v_add_f64 v[134:135], v[132:133], -v[134:135]
	s_waitcnt lgkmcnt(0)
	v_mul_f64 v[130:131], v[72:73], v[44:45]
	v_fma_f64 v[140:141], v[70:71], v[42:43], -v[130:131]
	ds_read_b128 v[130:133], v136 offset:14656
	v_mul_f64 v[70:71], v[70:71], v[44:45]
	v_fmac_f64_e32 v[70:71], v[72:73], v[42:43]
	v_add_f64 v[138:139], v[138:139], -v[70:71]
	v_add_f64 v[134:135], v[134:135], -v[140:141]
	s_waitcnt lgkmcnt(0)
	v_mul_f64 v[70:71], v[132:133], v[52:53]
	;; [unrolled: 8-line block ×9, first 2 shown]
	v_fma_f64 v[140:141], v[70:71], v[46:47], -v[130:131]
	v_mul_f64 v[70:71], v[70:71], v[48:49]
	ds_read_b128 v[130:133], v136 offset:10560
	v_fmac_f64_e32 v[70:71], v[72:73], v[46:47]
	v_add_f64 v[134:135], v[134:135], -v[140:141]
	v_add_f64 v[72:73], v[138:139], -v[70:71]
	ds_read_b128 v[138:141], v136 offset:16176
	s_waitcnt lgkmcnt(1)
	v_mul_f64 v[70:71], v[132:133], v[72:73]
	v_fma_f64 v[70:71], v[130:131], v[134:135], -v[70:71]
	v_mul_f64 v[72:73], v[130:131], v[72:73]
	v_fmac_f64_e32 v[72:73], v[132:133], v[134:135]
	s_waitcnt lgkmcnt(0)
	v_mul_f64 v[130:131], v[140:141], v[28:29]
	v_fma_f64 v[134:135], v[138:139], v[26:27], -v[130:131]
	ds_read_b128 v[130:133], v136 offset:15664
	v_mul_f64 v[138:139], v[138:139], v[28:29]
	v_fmac_f64_e32 v[138:139], v[140:141], v[26:27]
	v_add_f64 v[134:135], v[30:31], -v[134:135]
	v_add_f64 v[138:139], v[32:33], -v[138:139]
	s_waitcnt lgkmcnt(0)
	v_mul_f64 v[30:31], v[132:133], v[24:25]
	v_fma_f64 v[140:141], v[130:131], v[22:23], -v[30:31]
	ds_read_b128 v[30:33], v136 offset:15152
	v_mul_f64 v[130:131], v[130:131], v[24:25]
	v_fmac_f64_e32 v[130:131], v[132:133], v[22:23]
	v_add_f64 v[138:139], v[138:139], -v[130:131]
	v_add_f64 v[134:135], v[134:135], -v[140:141]
	;; [unrolled: 8-line block ×11, first 2 shown]
	ds_read_b128 v[138:141], v136 offset:10032
	s_waitcnt lgkmcnt(1)
	v_mul_f64 v[134:135], v[132:133], v[72:73]
	v_fma_f64 v[134:135], v[130:131], v[70:71], -v[134:135]
	v_mul_f64 v[130:131], v[130:131], v[72:73]
	v_fmac_f64_e32 v[130:131], v[132:133], v[70:71]
	v_add_f64 v[134:135], v[32:33], -v[134:135]
	v_add_f64 v[32:33], v[30:31], -v[130:131]
	ds_read_b128 v[130:133], v136 offset:16160
	s_waitcnt lgkmcnt(1)
	v_mul_f64 v[30:31], v[140:141], v[32:33]
	v_mul_f64 v[32:33], v[138:139], v[32:33]
	v_fma_f64 v[30:31], v[138:139], v[134:135], -v[30:31]
	v_fmac_f64_e32 v[32:33], v[140:141], v[134:135]
	ds_read_b128 v[138:141], v136 offset:15648
	s_waitcnt lgkmcnt(1)
	v_mul_f64 v[134:135], v[132:133], v[28:29]
	v_fma_f64 v[134:135], v[130:131], v[26:27], -v[134:135]
	v_mul_f64 v[130:131], v[130:131], v[28:29]
	v_fmac_f64_e32 v[130:131], v[132:133], v[26:27]
	v_add_f64 v[132:133], v[34:35], -v[134:135]
	s_waitcnt lgkmcnt(0)
	v_mul_f64 v[34:35], v[140:141], v[24:25]
	v_add_f64 v[130:131], v[36:37], -v[130:131]
	v_fma_f64 v[134:135], v[138:139], v[22:23], -v[34:35]
	ds_read_b128 v[34:37], v136 offset:15136
	v_mul_f64 v[138:139], v[138:139], v[24:25]
	v_fmac_f64_e32 v[138:139], v[140:141], v[22:23]
	v_add_f64 v[138:139], v[130:131], -v[138:139]
	v_add_f64 v[134:135], v[132:133], -v[134:135]
	s_waitcnt lgkmcnt(0)
	v_mul_f64 v[130:131], v[36:37], v[44:45]
	v_fma_f64 v[140:141], v[34:35], v[42:43], -v[130:131]
	ds_read_b128 v[130:133], v136 offset:14624
	v_mul_f64 v[34:35], v[34:35], v[44:45]
	v_fmac_f64_e32 v[34:35], v[36:37], v[42:43]
	v_add_f64 v[138:139], v[138:139], -v[34:35]
	v_add_f64 v[134:135], v[134:135], -v[140:141]
	s_waitcnt lgkmcnt(0)
	v_mul_f64 v[34:35], v[132:133], v[52:53]
	;; [unrolled: 8-line block ×11, first 2 shown]
	v_fma_f64 v[140:141], v[34:35], v[30:31], -v[130:131]
	v_mul_f64 v[34:35], v[34:35], v[32:33]
	ds_read_b128 v[130:133], v136 offset:9504
	v_fmac_f64_e32 v[34:35], v[36:37], v[30:31]
	v_add_f64 v[134:135], v[134:135], -v[140:141]
	v_add_f64 v[36:37], v[138:139], -v[34:35]
	ds_read_b128 v[138:141], v136 offset:16144
	s_waitcnt lgkmcnt(1)
	v_mul_f64 v[34:35], v[132:133], v[36:37]
	v_fma_f64 v[34:35], v[130:131], v[134:135], -v[34:35]
	v_mul_f64 v[36:37], v[130:131], v[36:37]
	v_fmac_f64_e32 v[36:37], v[132:133], v[134:135]
	s_waitcnt lgkmcnt(0)
	v_mul_f64 v[130:131], v[140:141], v[28:29]
	v_fma_f64 v[134:135], v[138:139], v[26:27], -v[130:131]
	ds_read_b128 v[130:133], v136 offset:15632
	v_mul_f64 v[138:139], v[138:139], v[28:29]
	v_fmac_f64_e32 v[138:139], v[140:141], v[26:27]
	v_add_f64 v[134:135], v[66:67], -v[134:135]
	v_add_f64 v[138:139], v[68:69], -v[138:139]
	s_waitcnt lgkmcnt(0)
	v_mul_f64 v[66:67], v[132:133], v[24:25]
	v_fma_f64 v[140:141], v[130:131], v[22:23], -v[66:67]
	ds_read_b128 v[66:69], v136 offset:15120
	v_mul_f64 v[130:131], v[130:131], v[24:25]
	v_fmac_f64_e32 v[130:131], v[132:133], v[22:23]
	v_add_f64 v[138:139], v[138:139], -v[130:131]
	v_add_f64 v[134:135], v[134:135], -v[140:141]
	;; [unrolled: 8-line block ×13, first 2 shown]
	ds_read_b128 v[138:141], v136 offset:8976
	s_waitcnt lgkmcnt(1)
	v_mul_f64 v[134:135], v[132:133], v[36:37]
	v_fma_f64 v[134:135], v[130:131], v[34:35], -v[134:135]
	v_mul_f64 v[130:131], v[130:131], v[36:37]
	v_fmac_f64_e32 v[130:131], v[132:133], v[34:35]
	v_add_f64 v[134:135], v[68:69], -v[134:135]
	v_add_f64 v[68:69], v[66:67], -v[130:131]
	ds_read_b128 v[130:133], v136 offset:16128
	s_waitcnt lgkmcnt(1)
	v_mul_f64 v[66:67], v[140:141], v[68:69]
	v_mul_f64 v[68:69], v[138:139], v[68:69]
	v_fma_f64 v[66:67], v[138:139], v[134:135], -v[66:67]
	v_fmac_f64_e32 v[68:69], v[140:141], v[134:135]
	ds_read_b128 v[138:141], v136 offset:15616
	s_waitcnt lgkmcnt(1)
	v_mul_f64 v[134:135], v[132:133], v[28:29]
	v_fma_f64 v[134:135], v[130:131], v[26:27], -v[134:135]
	v_mul_f64 v[130:131], v[130:131], v[28:29]
	v_fmac_f64_e32 v[130:131], v[132:133], v[26:27]
	v_add_f64 v[132:133], v[90:91], -v[134:135]
	s_waitcnt lgkmcnt(0)
	v_mul_f64 v[90:91], v[140:141], v[24:25]
	v_add_f64 v[130:131], v[92:93], -v[130:131]
	v_fma_f64 v[134:135], v[138:139], v[22:23], -v[90:91]
	ds_read_b128 v[90:93], v136 offset:15104
	v_mul_f64 v[138:139], v[138:139], v[24:25]
	v_fmac_f64_e32 v[138:139], v[140:141], v[22:23]
	v_add_f64 v[138:139], v[130:131], -v[138:139]
	v_add_f64 v[134:135], v[132:133], -v[134:135]
	s_waitcnt lgkmcnt(0)
	v_mul_f64 v[130:131], v[92:93], v[44:45]
	v_fma_f64 v[140:141], v[90:91], v[42:43], -v[130:131]
	ds_read_b128 v[130:133], v136 offset:14592
	v_mul_f64 v[90:91], v[90:91], v[44:45]
	v_fmac_f64_e32 v[90:91], v[92:93], v[42:43]
	v_add_f64 v[138:139], v[138:139], -v[90:91]
	v_add_f64 v[134:135], v[134:135], -v[140:141]
	s_waitcnt lgkmcnt(0)
	v_mul_f64 v[90:91], v[132:133], v[52:53]
	;; [unrolled: 8-line block ×13, first 2 shown]
	v_fma_f64 v[140:141], v[90:91], v[66:67], -v[130:131]
	v_mul_f64 v[90:91], v[90:91], v[68:69]
	ds_read_b128 v[130:133], v136 offset:8448
	v_fmac_f64_e32 v[90:91], v[92:93], v[66:67]
	v_add_f64 v[134:135], v[134:135], -v[140:141]
	v_add_f64 v[92:93], v[138:139], -v[90:91]
	ds_read_b128 v[138:141], v136 offset:16112
	s_waitcnt lgkmcnt(1)
	v_mul_f64 v[90:91], v[132:133], v[92:93]
	v_fma_f64 v[90:91], v[130:131], v[134:135], -v[90:91]
	v_mul_f64 v[92:93], v[130:131], v[92:93]
	v_fmac_f64_e32 v[92:93], v[132:133], v[134:135]
	s_waitcnt lgkmcnt(0)
	v_mul_f64 v[130:131], v[140:141], v[28:29]
	v_fma_f64 v[134:135], v[138:139], v[26:27], -v[130:131]
	ds_read_b128 v[130:133], v136 offset:15600
	v_mul_f64 v[138:139], v[138:139], v[28:29]
	v_fmac_f64_e32 v[138:139], v[140:141], v[26:27]
	v_add_f64 v[134:135], v[54:55], -v[134:135]
	v_add_f64 v[138:139], v[56:57], -v[138:139]
	s_waitcnt lgkmcnt(0)
	v_mul_f64 v[54:55], v[132:133], v[24:25]
	v_fma_f64 v[140:141], v[130:131], v[22:23], -v[54:55]
	ds_read_b128 v[54:57], v136 offset:15088
	v_mul_f64 v[130:131], v[130:131], v[24:25]
	v_fmac_f64_e32 v[130:131], v[132:133], v[22:23]
	v_add_f64 v[138:139], v[138:139], -v[130:131]
	v_add_f64 v[134:135], v[134:135], -v[140:141]
	s_waitcnt lgkmcnt(0)
	v_mul_f64 v[130:131], v[56:57], v[44:45]
	v_fma_f64 v[140:141], v[54:55], v[42:43], -v[130:131]
	ds_read_b128 v[130:133], v136 offset:14576
	v_mul_f64 v[54:55], v[54:55], v[44:45]
	v_fmac_f64_e32 v[54:55], v[56:57], v[42:43]
	v_add_f64 v[138:139], v[138:139], -v[54:55]
	v_add_f64 v[134:135], v[134:135], -v[140:141]
	s_waitcnt lgkmcnt(0)
	v_mul_f64 v[54:55], v[132:133], v[52:53]
	v_fma_f64 v[140:141], v[130:131], v[50:51], -v[54:55]
	ds_read_b128 v[54:57], v136 offset:14064
	v_mul_f64 v[130:131], v[130:131], v[52:53]
	v_fmac_f64_e32 v[130:131], v[132:133], v[50:51]
	v_add_f64 v[138:139], v[138:139], -v[130:131]
	v_add_f64 v[134:135], v[134:135], -v[140:141]
	s_waitcnt lgkmcnt(0)
	v_mul_f64 v[130:131], v[56:57], v[20:21]
	v_fma_f64 v[140:141], v[54:55], v[18:19], -v[130:131]
	ds_read_b128 v[130:133], v136 offset:13552
	v_mul_f64 v[54:55], v[54:55], v[20:21]
	v_fmac_f64_e32 v[54:55], v[56:57], v[18:19]
	v_add_f64 v[138:139], v[138:139], -v[54:55]
	v_add_f64 v[134:135], v[134:135], -v[140:141]
	s_waitcnt lgkmcnt(0)
	v_mul_f64 v[54:55], v[132:133], v[16:17]
	v_fma_f64 v[140:141], v[130:131], v[14:15], -v[54:55]
	ds_read_b128 v[54:57], v136 offset:13040
	v_mul_f64 v[130:131], v[130:131], v[16:17]
	v_fmac_f64_e32 v[130:131], v[132:133], v[14:15]
	v_add_f64 v[138:139], v[138:139], -v[130:131]
	v_add_f64 v[134:135], v[134:135], -v[140:141]
	s_waitcnt lgkmcnt(0)
	v_mul_f64 v[130:131], v[56:57], v[40:41]
	v_fma_f64 v[140:141], v[54:55], v[38:39], -v[130:131]
	ds_read_b128 v[130:133], v136 offset:12528
	v_mul_f64 v[54:55], v[54:55], v[40:41]
	v_fmac_f64_e32 v[54:55], v[56:57], v[38:39]
	v_add_f64 v[138:139], v[138:139], -v[54:55]
	v_add_f64 v[134:135], v[134:135], -v[140:141]
	s_waitcnt lgkmcnt(0)
	v_mul_f64 v[54:55], v[132:133], v[60:61]
	v_fma_f64 v[140:141], v[130:131], v[58:59], -v[54:55]
	ds_read_b128 v[54:57], v136 offset:12016
	v_mul_f64 v[130:131], v[130:131], v[60:61]
	v_fmac_f64_e32 v[130:131], v[132:133], v[58:59]
	v_add_f64 v[138:139], v[138:139], -v[130:131]
	v_add_f64 v[134:135], v[134:135], -v[140:141]
	s_waitcnt lgkmcnt(0)
	v_mul_f64 v[130:131], v[56:57], v[4:5]
	v_fma_f64 v[140:141], v[54:55], v[2:3], -v[130:131]
	ds_read_b128 v[130:133], v136 offset:11504
	v_mul_f64 v[54:55], v[54:55], v[4:5]
	v_fmac_f64_e32 v[54:55], v[56:57], v[2:3]
	v_add_f64 v[138:139], v[138:139], -v[54:55]
	v_add_f64 v[134:135], v[134:135], -v[140:141]
	s_waitcnt lgkmcnt(0)
	v_mul_f64 v[54:55], v[132:133], v[8:9]
	v_fma_f64 v[140:141], v[130:131], v[6:7], -v[54:55]
	ds_read_b128 v[54:57], v136 offset:10992
	v_mul_f64 v[130:131], v[130:131], v[8:9]
	v_fmac_f64_e32 v[130:131], v[132:133], v[6:7]
	v_add_f64 v[138:139], v[138:139], -v[130:131]
	v_add_f64 v[134:135], v[134:135], -v[140:141]
	s_waitcnt lgkmcnt(0)
	v_mul_f64 v[130:131], v[56:57], v[48:49]
	v_fma_f64 v[140:141], v[54:55], v[46:47], -v[130:131]
	ds_read_b128 v[130:133], v136 offset:10480
	v_mul_f64 v[54:55], v[54:55], v[48:49]
	v_fmac_f64_e32 v[54:55], v[56:57], v[46:47]
	v_add_f64 v[138:139], v[138:139], -v[54:55]
	v_add_f64 v[134:135], v[134:135], -v[140:141]
	s_waitcnt lgkmcnt(0)
	v_mul_f64 v[54:55], v[132:133], v[72:73]
	v_fma_f64 v[140:141], v[130:131], v[70:71], -v[54:55]
	ds_read_b128 v[54:57], v136 offset:9968
	v_mul_f64 v[130:131], v[130:131], v[72:73]
	v_fmac_f64_e32 v[130:131], v[132:133], v[70:71]
	v_add_f64 v[138:139], v[138:139], -v[130:131]
	v_add_f64 v[134:135], v[134:135], -v[140:141]
	s_waitcnt lgkmcnt(0)
	v_mul_f64 v[130:131], v[56:57], v[32:33]
	v_fma_f64 v[140:141], v[54:55], v[30:31], -v[130:131]
	ds_read_b128 v[130:133], v136 offset:9456
	v_mul_f64 v[54:55], v[54:55], v[32:33]
	v_fmac_f64_e32 v[54:55], v[56:57], v[30:31]
	v_add_f64 v[138:139], v[138:139], -v[54:55]
	v_add_f64 v[134:135], v[134:135], -v[140:141]
	s_waitcnt lgkmcnt(0)
	v_mul_f64 v[54:55], v[132:133], v[36:37]
	v_fma_f64 v[140:141], v[130:131], v[34:35], -v[54:55]
	ds_read_b128 v[54:57], v136 offset:8944
	v_mul_f64 v[130:131], v[130:131], v[36:37]
	v_fmac_f64_e32 v[130:131], v[132:133], v[34:35]
	v_add_f64 v[138:139], v[138:139], -v[130:131]
	v_add_f64 v[134:135], v[134:135], -v[140:141]
	s_waitcnt lgkmcnt(0)
	v_mul_f64 v[130:131], v[56:57], v[68:69]
	v_fma_f64 v[140:141], v[54:55], v[66:67], -v[130:131]
	ds_read_b128 v[130:133], v136 offset:8432
	v_mul_f64 v[54:55], v[54:55], v[68:69]
	v_fmac_f64_e32 v[54:55], v[56:57], v[66:67]
	v_add_f64 v[56:57], v[134:135], -v[140:141]
	v_add_f64 v[54:55], v[138:139], -v[54:55]
	ds_read_b128 v[138:141], v136 offset:7920
	s_waitcnt lgkmcnt(1)
	v_mul_f64 v[134:135], v[132:133], v[92:93]
	v_fma_f64 v[134:135], v[130:131], v[90:91], -v[134:135]
	v_mul_f64 v[130:131], v[130:131], v[92:93]
	v_fmac_f64_e32 v[130:131], v[132:133], v[90:91]
	v_add_f64 v[134:135], v[56:57], -v[134:135]
	v_add_f64 v[56:57], v[54:55], -v[130:131]
	ds_read_b128 v[130:133], v136 offset:16096
	s_waitcnt lgkmcnt(1)
	v_mul_f64 v[54:55], v[140:141], v[56:57]
	v_mul_f64 v[56:57], v[138:139], v[56:57]
	v_fma_f64 v[54:55], v[138:139], v[134:135], -v[54:55]
	v_fmac_f64_e32 v[56:57], v[140:141], v[134:135]
	ds_read_b128 v[138:141], v136 offset:15584
	s_waitcnt lgkmcnt(1)
	v_mul_f64 v[134:135], v[132:133], v[28:29]
	v_fma_f64 v[134:135], v[130:131], v[26:27], -v[134:135]
	v_mul_f64 v[130:131], v[130:131], v[28:29]
	v_fmac_f64_e32 v[130:131], v[132:133], v[26:27]
	v_add_f64 v[132:133], v[62:63], -v[134:135]
	s_waitcnt lgkmcnt(0)
	v_mul_f64 v[62:63], v[140:141], v[24:25]
	v_add_f64 v[130:131], v[64:65], -v[130:131]
	v_fma_f64 v[134:135], v[138:139], v[22:23], -v[62:63]
	ds_read_b128 v[62:65], v136 offset:15072
	v_mul_f64 v[138:139], v[138:139], v[24:25]
	v_fmac_f64_e32 v[138:139], v[140:141], v[22:23]
	v_add_f64 v[138:139], v[130:131], -v[138:139]
	v_add_f64 v[134:135], v[132:133], -v[134:135]
	s_waitcnt lgkmcnt(0)
	v_mul_f64 v[130:131], v[64:65], v[44:45]
	v_fma_f64 v[140:141], v[62:63], v[42:43], -v[130:131]
	ds_read_b128 v[130:133], v136 offset:14560
	v_mul_f64 v[62:63], v[62:63], v[44:45]
	v_fmac_f64_e32 v[62:63], v[64:65], v[42:43]
	v_add_f64 v[138:139], v[138:139], -v[62:63]
	v_add_f64 v[134:135], v[134:135], -v[140:141]
	s_waitcnt lgkmcnt(0)
	v_mul_f64 v[62:63], v[132:133], v[52:53]
	;; [unrolled: 8-line block ×15, first 2 shown]
	v_fma_f64 v[140:141], v[62:63], v[54:55], -v[130:131]
	v_mul_f64 v[62:63], v[62:63], v[56:57]
	ds_read_b128 v[130:133], v136 offset:7392
	v_fmac_f64_e32 v[62:63], v[64:65], v[54:55]
	v_add_f64 v[134:135], v[134:135], -v[140:141]
	v_add_f64 v[64:65], v[138:139], -v[62:63]
	ds_read_b128 v[138:141], v136 offset:16080
	s_waitcnt lgkmcnt(1)
	v_mul_f64 v[62:63], v[132:133], v[64:65]
	v_fma_f64 v[62:63], v[130:131], v[134:135], -v[62:63]
	v_mul_f64 v[64:65], v[130:131], v[64:65]
	v_fmac_f64_e32 v[64:65], v[132:133], v[134:135]
	s_waitcnt lgkmcnt(0)
	v_mul_f64 v[130:131], v[140:141], v[28:29]
	v_fma_f64 v[134:135], v[138:139], v[26:27], -v[130:131]
	ds_read_b128 v[130:133], v136 offset:15568
	v_mul_f64 v[138:139], v[138:139], v[28:29]
	v_fmac_f64_e32 v[138:139], v[140:141], v[26:27]
	v_add_f64 v[134:135], v[86:87], -v[134:135]
	v_add_f64 v[138:139], v[88:89], -v[138:139]
	s_waitcnt lgkmcnt(0)
	v_mul_f64 v[86:87], v[132:133], v[24:25]
	v_fma_f64 v[140:141], v[130:131], v[22:23], -v[86:87]
	ds_read_b128 v[86:89], v136 offset:15056
	v_mul_f64 v[130:131], v[130:131], v[24:25]
	v_fmac_f64_e32 v[130:131], v[132:133], v[22:23]
	v_add_f64 v[138:139], v[138:139], -v[130:131]
	v_add_f64 v[134:135], v[134:135], -v[140:141]
	;; [unrolled: 8-line block ×17, first 2 shown]
	ds_read_b128 v[138:141], v136 offset:6864
	s_waitcnt lgkmcnt(1)
	v_mul_f64 v[134:135], v[132:133], v[64:65]
	v_fma_f64 v[134:135], v[130:131], v[62:63], -v[134:135]
	v_mul_f64 v[130:131], v[130:131], v[64:65]
	v_fmac_f64_e32 v[130:131], v[132:133], v[62:63]
	v_add_f64 v[134:135], v[88:89], -v[134:135]
	v_add_f64 v[88:89], v[86:87], -v[130:131]
	ds_read_b128 v[130:133], v136 offset:16064
	s_waitcnt lgkmcnt(1)
	v_mul_f64 v[86:87], v[140:141], v[88:89]
	v_mul_f64 v[88:89], v[138:139], v[88:89]
	v_fma_f64 v[86:87], v[138:139], v[134:135], -v[86:87]
	v_fmac_f64_e32 v[88:89], v[140:141], v[134:135]
	ds_read_b128 v[138:141], v136 offset:15552
	s_waitcnt lgkmcnt(1)
	v_mul_f64 v[134:135], v[132:133], v[28:29]
	v_fma_f64 v[134:135], v[130:131], v[26:27], -v[134:135]
	v_mul_f64 v[130:131], v[130:131], v[28:29]
	v_fmac_f64_e32 v[130:131], v[132:133], v[26:27]
	v_add_f64 v[132:133], v[98:99], -v[134:135]
	s_waitcnt lgkmcnt(0)
	v_mul_f64 v[98:99], v[140:141], v[24:25]
	v_add_f64 v[130:131], v[100:101], -v[130:131]
	v_fma_f64 v[134:135], v[138:139], v[22:23], -v[98:99]
	ds_read_b128 v[98:101], v136 offset:15040
	v_mul_f64 v[138:139], v[138:139], v[24:25]
	v_fmac_f64_e32 v[138:139], v[140:141], v[22:23]
	v_add_f64 v[138:139], v[130:131], -v[138:139]
	v_add_f64 v[134:135], v[132:133], -v[134:135]
	s_waitcnt lgkmcnt(0)
	v_mul_f64 v[130:131], v[100:101], v[44:45]
	v_fma_f64 v[140:141], v[98:99], v[42:43], -v[130:131]
	ds_read_b128 v[130:133], v136 offset:14528
	v_mul_f64 v[98:99], v[98:99], v[44:45]
	v_fmac_f64_e32 v[98:99], v[100:101], v[42:43]
	v_add_f64 v[138:139], v[138:139], -v[98:99]
	v_add_f64 v[134:135], v[134:135], -v[140:141]
	s_waitcnt lgkmcnt(0)
	v_mul_f64 v[98:99], v[132:133], v[52:53]
	;; [unrolled: 8-line block ×17, first 2 shown]
	v_fma_f64 v[140:141], v[98:99], v[86:87], -v[130:131]
	v_mul_f64 v[98:99], v[98:99], v[88:89]
	ds_read_b128 v[130:133], v136 offset:6336
	v_fmac_f64_e32 v[98:99], v[100:101], v[86:87]
	v_add_f64 v[134:135], v[134:135], -v[140:141]
	v_add_f64 v[100:101], v[138:139], -v[98:99]
	ds_read_b128 v[138:141], v136 offset:16048
	s_waitcnt lgkmcnt(1)
	v_mul_f64 v[98:99], v[132:133], v[100:101]
	v_fma_f64 v[98:99], v[130:131], v[134:135], -v[98:99]
	v_mul_f64 v[100:101], v[130:131], v[100:101]
	v_fmac_f64_e32 v[100:101], v[132:133], v[134:135]
	s_waitcnt lgkmcnt(0)
	v_mul_f64 v[130:131], v[140:141], v[28:29]
	v_fma_f64 v[134:135], v[138:139], v[26:27], -v[130:131]
	ds_read_b128 v[130:133], v136 offset:15536
	v_mul_f64 v[138:139], v[138:139], v[28:29]
	v_fmac_f64_e32 v[138:139], v[140:141], v[26:27]
	v_add_f64 v[134:135], v[74:75], -v[134:135]
	v_add_f64 v[138:139], v[76:77], -v[138:139]
	s_waitcnt lgkmcnt(0)
	v_mul_f64 v[74:75], v[132:133], v[24:25]
	v_fma_f64 v[140:141], v[130:131], v[22:23], -v[74:75]
	ds_read_b128 v[74:77], v136 offset:15024
	v_mul_f64 v[130:131], v[130:131], v[24:25]
	v_fmac_f64_e32 v[130:131], v[132:133], v[22:23]
	v_add_f64 v[138:139], v[138:139], -v[130:131]
	v_add_f64 v[134:135], v[134:135], -v[140:141]
	;; [unrolled: 8-line block ×19, first 2 shown]
	ds_read_b128 v[138:141], v136 offset:5808
	s_waitcnt lgkmcnt(1)
	v_mul_f64 v[134:135], v[132:133], v[100:101]
	v_fma_f64 v[134:135], v[130:131], v[98:99], -v[134:135]
	v_mul_f64 v[130:131], v[130:131], v[100:101]
	v_fmac_f64_e32 v[130:131], v[132:133], v[98:99]
	v_add_f64 v[134:135], v[76:77], -v[134:135]
	v_add_f64 v[76:77], v[74:75], -v[130:131]
	ds_read_b128 v[130:133], v136 offset:16032
	s_waitcnt lgkmcnt(1)
	v_mul_f64 v[74:75], v[140:141], v[76:77]
	v_mul_f64 v[76:77], v[138:139], v[76:77]
	v_fma_f64 v[74:75], v[138:139], v[134:135], -v[74:75]
	v_fmac_f64_e32 v[76:77], v[140:141], v[134:135]
	ds_read_b128 v[138:141], v136 offset:15520
	s_waitcnt lgkmcnt(1)
	v_mul_f64 v[134:135], v[132:133], v[28:29]
	v_fma_f64 v[134:135], v[130:131], v[26:27], -v[134:135]
	v_mul_f64 v[130:131], v[130:131], v[28:29]
	v_fmac_f64_e32 v[130:131], v[132:133], v[26:27]
	v_add_f64 v[132:133], v[82:83], -v[134:135]
	s_waitcnt lgkmcnt(0)
	v_mul_f64 v[82:83], v[140:141], v[24:25]
	v_add_f64 v[130:131], v[84:85], -v[130:131]
	v_fma_f64 v[134:135], v[138:139], v[22:23], -v[82:83]
	ds_read_b128 v[82:85], v136 offset:15008
	v_mul_f64 v[138:139], v[138:139], v[24:25]
	v_fmac_f64_e32 v[138:139], v[140:141], v[22:23]
	v_add_f64 v[138:139], v[130:131], -v[138:139]
	v_add_f64 v[134:135], v[132:133], -v[134:135]
	s_waitcnt lgkmcnt(0)
	v_mul_f64 v[130:131], v[84:85], v[44:45]
	v_fma_f64 v[140:141], v[82:83], v[42:43], -v[130:131]
	ds_read_b128 v[130:133], v136 offset:14496
	v_mul_f64 v[82:83], v[82:83], v[44:45]
	v_fmac_f64_e32 v[82:83], v[84:85], v[42:43]
	v_add_f64 v[138:139], v[138:139], -v[82:83]
	v_add_f64 v[134:135], v[134:135], -v[140:141]
	s_waitcnt lgkmcnt(0)
	v_mul_f64 v[82:83], v[132:133], v[52:53]
	;; [unrolled: 8-line block ×19, first 2 shown]
	v_fma_f64 v[140:141], v[82:83], v[74:75], -v[130:131]
	v_mul_f64 v[82:83], v[82:83], v[76:77]
	ds_read_b128 v[130:133], v136 offset:5280
	v_fmac_f64_e32 v[82:83], v[84:85], v[74:75]
	v_add_f64 v[134:135], v[134:135], -v[140:141]
	v_add_f64 v[84:85], v[138:139], -v[82:83]
	ds_read_b128 v[138:141], v136 offset:16016
	s_waitcnt lgkmcnt(1)
	v_mul_f64 v[82:83], v[132:133], v[84:85]
	v_fma_f64 v[82:83], v[130:131], v[134:135], -v[82:83]
	v_mul_f64 v[84:85], v[130:131], v[84:85]
	v_fmac_f64_e32 v[84:85], v[132:133], v[134:135]
	s_waitcnt lgkmcnt(0)
	v_mul_f64 v[130:131], v[140:141], v[28:29]
	v_fma_f64 v[134:135], v[138:139], v[26:27], -v[130:131]
	ds_read_b128 v[130:133], v136 offset:15504
	v_mul_f64 v[138:139], v[138:139], v[28:29]
	v_fmac_f64_e32 v[138:139], v[140:141], v[26:27]
	v_add_f64 v[134:135], v[102:103], -v[134:135]
	v_add_f64 v[138:139], v[104:105], -v[138:139]
	s_waitcnt lgkmcnt(0)
	v_mul_f64 v[102:103], v[132:133], v[24:25]
	v_fma_f64 v[140:141], v[130:131], v[22:23], -v[102:103]
	ds_read_b128 v[102:105], v136 offset:14992
	v_mul_f64 v[130:131], v[130:131], v[24:25]
	v_fmac_f64_e32 v[130:131], v[132:133], v[22:23]
	v_add_f64 v[138:139], v[138:139], -v[130:131]
	v_add_f64 v[134:135], v[134:135], -v[140:141]
	;; [unrolled: 8-line block ×21, first 2 shown]
	ds_read_b128 v[138:141], v136 offset:4752
	s_waitcnt lgkmcnt(1)
	v_mul_f64 v[134:135], v[132:133], v[84:85]
	v_fma_f64 v[134:135], v[130:131], v[82:83], -v[134:135]
	v_mul_f64 v[130:131], v[130:131], v[84:85]
	v_fmac_f64_e32 v[130:131], v[132:133], v[82:83]
	v_add_f64 v[134:135], v[104:105], -v[134:135]
	v_add_f64 v[104:105], v[102:103], -v[130:131]
	ds_read_b128 v[130:133], v136 offset:16000
	s_waitcnt lgkmcnt(1)
	v_mul_f64 v[102:103], v[140:141], v[104:105]
	v_mul_f64 v[104:105], v[138:139], v[104:105]
	v_fma_f64 v[102:103], v[138:139], v[134:135], -v[102:103]
	v_fmac_f64_e32 v[104:105], v[140:141], v[134:135]
	ds_read_b128 v[138:141], v136 offset:15488
	s_waitcnt lgkmcnt(1)
	v_mul_f64 v[134:135], v[132:133], v[28:29]
	v_fma_f64 v[134:135], v[130:131], v[26:27], -v[134:135]
	v_mul_f64 v[130:131], v[130:131], v[28:29]
	v_fmac_f64_e32 v[130:131], v[132:133], v[26:27]
	v_add_f64 v[132:133], v[118:119], -v[134:135]
	s_waitcnt lgkmcnt(0)
	v_mul_f64 v[118:119], v[140:141], v[24:25]
	v_add_f64 v[130:131], v[120:121], -v[130:131]
	v_fma_f64 v[134:135], v[138:139], v[22:23], -v[118:119]
	ds_read_b128 v[118:121], v136 offset:14976
	v_mul_f64 v[138:139], v[138:139], v[24:25]
	v_fmac_f64_e32 v[138:139], v[140:141], v[22:23]
	v_add_f64 v[138:139], v[130:131], -v[138:139]
	v_add_f64 v[134:135], v[132:133], -v[134:135]
	s_waitcnt lgkmcnt(0)
	v_mul_f64 v[130:131], v[120:121], v[44:45]
	v_fma_f64 v[140:141], v[118:119], v[42:43], -v[130:131]
	ds_read_b128 v[130:133], v136 offset:14464
	v_mul_f64 v[118:119], v[118:119], v[44:45]
	v_fmac_f64_e32 v[118:119], v[120:121], v[42:43]
	v_add_f64 v[138:139], v[138:139], -v[118:119]
	v_add_f64 v[134:135], v[134:135], -v[140:141]
	s_waitcnt lgkmcnt(0)
	v_mul_f64 v[118:119], v[132:133], v[52:53]
	;; [unrolled: 8-line block ×21, first 2 shown]
	v_fma_f64 v[140:141], v[118:119], v[102:103], -v[130:131]
	v_mul_f64 v[118:119], v[118:119], v[104:105]
	ds_read_b128 v[130:133], v136 offset:4224
	v_fmac_f64_e32 v[118:119], v[120:121], v[102:103]
	v_add_f64 v[134:135], v[134:135], -v[140:141]
	v_add_f64 v[120:121], v[138:139], -v[118:119]
	ds_read_b128 v[138:141], v136 offset:15984
	s_waitcnt lgkmcnt(1)
	v_mul_f64 v[118:119], v[132:133], v[120:121]
	v_fma_f64 v[118:119], v[130:131], v[134:135], -v[118:119]
	v_mul_f64 v[120:121], v[130:131], v[120:121]
	v_fmac_f64_e32 v[120:121], v[132:133], v[134:135]
	s_waitcnt lgkmcnt(0)
	v_mul_f64 v[130:131], v[140:141], v[28:29]
	v_fma_f64 v[134:135], v[138:139], v[26:27], -v[130:131]
	ds_read_b128 v[130:133], v136 offset:15472
	v_mul_f64 v[138:139], v[138:139], v[28:29]
	v_fmac_f64_e32 v[138:139], v[140:141], v[26:27]
	v_add_f64 v[134:135], v[94:95], -v[134:135]
	v_add_f64 v[138:139], v[96:97], -v[138:139]
	s_waitcnt lgkmcnt(0)
	v_mul_f64 v[94:95], v[132:133], v[24:25]
	v_fma_f64 v[140:141], v[130:131], v[22:23], -v[94:95]
	ds_read_b128 v[94:97], v136 offset:14960
	v_mul_f64 v[130:131], v[130:131], v[24:25]
	v_fmac_f64_e32 v[130:131], v[132:133], v[22:23]
	v_add_f64 v[138:139], v[138:139], -v[130:131]
	v_add_f64 v[134:135], v[134:135], -v[140:141]
	;; [unrolled: 8-line block ×23, first 2 shown]
	ds_read_b128 v[138:141], v136 offset:3696
	s_waitcnt lgkmcnt(1)
	v_mul_f64 v[134:135], v[132:133], v[120:121]
	v_fma_f64 v[134:135], v[130:131], v[118:119], -v[134:135]
	v_mul_f64 v[130:131], v[130:131], v[120:121]
	v_fmac_f64_e32 v[130:131], v[132:133], v[118:119]
	v_add_f64 v[134:135], v[96:97], -v[134:135]
	v_add_f64 v[96:97], v[94:95], -v[130:131]
	ds_read_b128 v[130:133], v136 offset:15968
	s_waitcnt lgkmcnt(1)
	v_mul_f64 v[94:95], v[140:141], v[96:97]
	v_mul_f64 v[96:97], v[138:139], v[96:97]
	v_fma_f64 v[94:95], v[138:139], v[134:135], -v[94:95]
	v_fmac_f64_e32 v[96:97], v[140:141], v[134:135]
	ds_read_b128 v[138:141], v136 offset:15456
	s_waitcnt lgkmcnt(1)
	v_mul_f64 v[134:135], v[132:133], v[28:29]
	v_fma_f64 v[134:135], v[130:131], v[26:27], -v[134:135]
	v_mul_f64 v[130:131], v[130:131], v[28:29]
	v_fmac_f64_e32 v[130:131], v[132:133], v[26:27]
	v_add_f64 v[132:133], v[110:111], -v[134:135]
	s_waitcnt lgkmcnt(0)
	v_mul_f64 v[110:111], v[140:141], v[24:25]
	v_add_f64 v[130:131], v[112:113], -v[130:131]
	v_fma_f64 v[134:135], v[138:139], v[22:23], -v[110:111]
	ds_read_b128 v[110:113], v136 offset:14944
	v_mul_f64 v[138:139], v[138:139], v[24:25]
	v_fmac_f64_e32 v[138:139], v[140:141], v[22:23]
	v_add_f64 v[138:139], v[130:131], -v[138:139]
	v_add_f64 v[134:135], v[132:133], -v[134:135]
	s_waitcnt lgkmcnt(0)
	v_mul_f64 v[130:131], v[112:113], v[44:45]
	v_fma_f64 v[140:141], v[110:111], v[42:43], -v[130:131]
	ds_read_b128 v[130:133], v136 offset:14432
	v_mul_f64 v[110:111], v[110:111], v[44:45]
	v_fmac_f64_e32 v[110:111], v[112:113], v[42:43]
	v_add_f64 v[138:139], v[138:139], -v[110:111]
	v_add_f64 v[134:135], v[134:135], -v[140:141]
	s_waitcnt lgkmcnt(0)
	v_mul_f64 v[110:111], v[132:133], v[52:53]
	;; [unrolled: 8-line block ×23, first 2 shown]
	v_fma_f64 v[140:141], v[110:111], v[94:95], -v[130:131]
	v_mul_f64 v[110:111], v[110:111], v[96:97]
	ds_read_b128 v[130:133], v136 offset:3168
	v_fmac_f64_e32 v[110:111], v[112:113], v[94:95]
	v_add_f64 v[134:135], v[134:135], -v[140:141]
	v_add_f64 v[112:113], v[138:139], -v[110:111]
	ds_read_b128 v[138:141], v136 offset:15952
	s_waitcnt lgkmcnt(1)
	v_mul_f64 v[110:111], v[132:133], v[112:113]
	v_fma_f64 v[110:111], v[130:131], v[134:135], -v[110:111]
	v_mul_f64 v[112:113], v[130:131], v[112:113]
	v_fmac_f64_e32 v[112:113], v[132:133], v[134:135]
	s_waitcnt lgkmcnt(0)
	v_mul_f64 v[130:131], v[140:141], v[28:29]
	v_fma_f64 v[134:135], v[138:139], v[26:27], -v[130:131]
	ds_read_b128 v[130:133], v136 offset:15440
	v_mul_f64 v[138:139], v[138:139], v[28:29]
	v_fmac_f64_e32 v[138:139], v[140:141], v[26:27]
	v_add_f64 v[134:135], v[78:79], -v[134:135]
	v_add_f64 v[138:139], v[80:81], -v[138:139]
	s_waitcnt lgkmcnt(0)
	v_mul_f64 v[78:79], v[132:133], v[24:25]
	v_fma_f64 v[140:141], v[130:131], v[22:23], -v[78:79]
	ds_read_b128 v[78:81], v136 offset:14928
	v_mul_f64 v[130:131], v[130:131], v[24:25]
	v_fmac_f64_e32 v[130:131], v[132:133], v[22:23]
	v_add_f64 v[138:139], v[138:139], -v[130:131]
	v_add_f64 v[134:135], v[134:135], -v[140:141]
	;; [unrolled: 8-line block ×25, first 2 shown]
	ds_read_b128 v[138:141], v136 offset:2640
	s_waitcnt lgkmcnt(1)
	v_mul_f64 v[134:135], v[132:133], v[112:113]
	v_fma_f64 v[134:135], v[130:131], v[110:111], -v[134:135]
	v_mul_f64 v[130:131], v[130:131], v[112:113]
	v_fmac_f64_e32 v[130:131], v[132:133], v[110:111]
	v_add_f64 v[134:135], v[80:81], -v[134:135]
	v_add_f64 v[80:81], v[78:79], -v[130:131]
	ds_read_b128 v[130:133], v136 offset:15936
	s_waitcnt lgkmcnt(1)
	v_mul_f64 v[78:79], v[140:141], v[80:81]
	v_mul_f64 v[80:81], v[138:139], v[80:81]
	v_fma_f64 v[78:79], v[138:139], v[134:135], -v[78:79]
	v_fmac_f64_e32 v[80:81], v[140:141], v[134:135]
	ds_read_b128 v[138:141], v136 offset:15424
	s_waitcnt lgkmcnt(1)
	v_mul_f64 v[134:135], v[132:133], v[28:29]
	v_fma_f64 v[134:135], v[130:131], v[26:27], -v[134:135]
	v_mul_f64 v[130:131], v[130:131], v[28:29]
	v_fmac_f64_e32 v[130:131], v[132:133], v[26:27]
	v_add_f64 v[132:133], v[106:107], -v[134:135]
	s_waitcnt lgkmcnt(0)
	v_mul_f64 v[106:107], v[140:141], v[24:25]
	v_add_f64 v[130:131], v[108:109], -v[130:131]
	v_fma_f64 v[134:135], v[138:139], v[22:23], -v[106:107]
	ds_read_b128 v[106:109], v136 offset:14912
	v_mul_f64 v[138:139], v[138:139], v[24:25]
	v_fmac_f64_e32 v[138:139], v[140:141], v[22:23]
	v_add_f64 v[138:139], v[130:131], -v[138:139]
	v_add_f64 v[134:135], v[132:133], -v[134:135]
	s_waitcnt lgkmcnt(0)
	v_mul_f64 v[130:131], v[108:109], v[44:45]
	v_fma_f64 v[140:141], v[106:107], v[42:43], -v[130:131]
	ds_read_b128 v[130:133], v136 offset:14400
	v_mul_f64 v[106:107], v[106:107], v[44:45]
	v_fmac_f64_e32 v[106:107], v[108:109], v[42:43]
	v_add_f64 v[138:139], v[138:139], -v[106:107]
	v_add_f64 v[134:135], v[134:135], -v[140:141]
	s_waitcnt lgkmcnt(0)
	v_mul_f64 v[106:107], v[132:133], v[52:53]
	;; [unrolled: 8-line block ×25, first 2 shown]
	v_fma_f64 v[140:141], v[106:107], v[78:79], -v[130:131]
	v_mul_f64 v[106:107], v[106:107], v[80:81]
	ds_read_b128 v[130:133], v136 offset:2112
	v_fmac_f64_e32 v[106:107], v[108:109], v[78:79]
	v_add_f64 v[134:135], v[134:135], -v[140:141]
	v_add_f64 v[108:109], v[138:139], -v[106:107]
	ds_read_b128 v[138:141], v136 offset:15920
	s_waitcnt lgkmcnt(1)
	v_mul_f64 v[106:107], v[132:133], v[108:109]
	v_fma_f64 v[106:107], v[130:131], v[134:135], -v[106:107]
	v_mul_f64 v[108:109], v[130:131], v[108:109]
	v_fmac_f64_e32 v[108:109], v[132:133], v[134:135]
	s_waitcnt lgkmcnt(0)
	v_mul_f64 v[130:131], v[140:141], v[28:29]
	v_fma_f64 v[134:135], v[138:139], v[26:27], -v[130:131]
	ds_read_b128 v[130:133], v136 offset:15408
	v_mul_f64 v[138:139], v[138:139], v[28:29]
	v_fmac_f64_e32 v[138:139], v[140:141], v[26:27]
	v_add_f64 v[134:135], v[114:115], -v[134:135]
	v_add_f64 v[138:139], v[116:117], -v[138:139]
	s_waitcnt lgkmcnt(0)
	v_mul_f64 v[114:115], v[132:133], v[24:25]
	v_fma_f64 v[140:141], v[130:131], v[22:23], -v[114:115]
	ds_read_b128 v[114:117], v136 offset:14896
	v_mul_f64 v[130:131], v[130:131], v[24:25]
	v_fmac_f64_e32 v[130:131], v[132:133], v[22:23]
	v_add_f64 v[138:139], v[138:139], -v[130:131]
	v_add_f64 v[134:135], v[134:135], -v[140:141]
	;; [unrolled: 8-line block ×27, first 2 shown]
	ds_read_b128 v[138:141], v136 offset:1584
	s_waitcnt lgkmcnt(1)
	v_mul_f64 v[134:135], v[132:133], v[108:109]
	v_fma_f64 v[134:135], v[130:131], v[106:107], -v[134:135]
	v_mul_f64 v[130:131], v[130:131], v[108:109]
	v_fmac_f64_e32 v[130:131], v[132:133], v[106:107]
	v_add_f64 v[134:135], v[116:117], -v[134:135]
	v_add_f64 v[116:117], v[114:115], -v[130:131]
	ds_read_b128 v[130:133], v136 offset:15904
	s_waitcnt lgkmcnt(1)
	v_mul_f64 v[114:115], v[140:141], v[116:117]
	v_mul_f64 v[116:117], v[138:139], v[116:117]
	v_fma_f64 v[114:115], v[138:139], v[134:135], -v[114:115]
	v_fmac_f64_e32 v[116:117], v[140:141], v[134:135]
	ds_read_b128 v[138:141], v136 offset:15392
	s_waitcnt lgkmcnt(1)
	v_mul_f64 v[134:135], v[132:133], v[28:29]
	v_fma_f64 v[134:135], v[130:131], v[26:27], -v[134:135]
	v_mul_f64 v[130:131], v[130:131], v[28:29]
	v_fmac_f64_e32 v[130:131], v[132:133], v[26:27]
	v_add_f64 v[132:133], v[122:123], -v[134:135]
	s_waitcnt lgkmcnt(0)
	v_mul_f64 v[122:123], v[140:141], v[24:25]
	v_add_f64 v[130:131], v[124:125], -v[130:131]
	v_fma_f64 v[134:135], v[138:139], v[22:23], -v[122:123]
	ds_read_b128 v[122:125], v136 offset:14880
	v_mul_f64 v[138:139], v[138:139], v[24:25]
	v_fmac_f64_e32 v[138:139], v[140:141], v[22:23]
	v_add_f64 v[138:139], v[130:131], -v[138:139]
	v_add_f64 v[134:135], v[132:133], -v[134:135]
	s_waitcnt lgkmcnt(0)
	v_mul_f64 v[130:131], v[124:125], v[44:45]
	v_fma_f64 v[140:141], v[122:123], v[42:43], -v[130:131]
	ds_read_b128 v[130:133], v136 offset:14368
	v_mul_f64 v[122:123], v[122:123], v[44:45]
	v_fmac_f64_e32 v[122:123], v[124:125], v[42:43]
	v_add_f64 v[138:139], v[138:139], -v[122:123]
	v_add_f64 v[134:135], v[134:135], -v[140:141]
	s_waitcnt lgkmcnt(0)
	v_mul_f64 v[122:123], v[132:133], v[52:53]
	;; [unrolled: 8-line block ×27, first 2 shown]
	v_fma_f64 v[140:141], v[122:123], v[114:115], -v[130:131]
	v_mul_f64 v[122:123], v[122:123], v[116:117]
	ds_read_b128 v[130:133], v136 offset:1056
	v_fmac_f64_e32 v[122:123], v[124:125], v[114:115]
	v_add_f64 v[134:135], v[134:135], -v[140:141]
	v_add_f64 v[124:125], v[138:139], -v[122:123]
	ds_read_b128 v[138:141], v136 offset:15888
	s_waitcnt lgkmcnt(1)
	v_mul_f64 v[122:123], v[132:133], v[124:125]
	v_fma_f64 v[122:123], v[130:131], v[134:135], -v[122:123]
	v_mul_f64 v[124:125], v[130:131], v[124:125]
	v_fmac_f64_e32 v[124:125], v[132:133], v[134:135]
	s_waitcnt lgkmcnt(0)
	v_mul_f64 v[130:131], v[140:141], v[28:29]
	v_fma_f64 v[134:135], v[138:139], v[26:27], -v[130:131]
	ds_read_b128 v[130:133], v136 offset:15376
	v_mul_f64 v[138:139], v[138:139], v[28:29]
	v_fmac_f64_e32 v[138:139], v[140:141], v[26:27]
	v_add_f64 v[134:135], v[126:127], -v[134:135]
	v_add_f64 v[138:139], v[128:129], -v[138:139]
	s_waitcnt lgkmcnt(0)
	v_mul_f64 v[126:127], v[132:133], v[24:25]
	v_fma_f64 v[140:141], v[130:131], v[22:23], -v[126:127]
	ds_read_b128 v[126:129], v136 offset:14864
	v_mul_f64 v[130:131], v[130:131], v[24:25]
	v_fmac_f64_e32 v[130:131], v[132:133], v[22:23]
	v_add_f64 v[138:139], v[138:139], -v[130:131]
	v_add_f64 v[134:135], v[134:135], -v[140:141]
	;; [unrolled: 8-line block ×29, first 2 shown]
	ds_read_b128 v[138:141], v136 offset:528
	s_waitcnt lgkmcnt(1)
	v_mul_f64 v[134:135], v[132:133], v[124:125]
	v_fma_f64 v[134:135], v[130:131], v[122:123], -v[134:135]
	v_mul_f64 v[130:131], v[130:131], v[124:125]
	v_fmac_f64_e32 v[130:131], v[132:133], v[122:123]
	v_add_f64 v[134:135], v[128:129], -v[134:135]
	v_add_f64 v[128:129], v[126:127], -v[130:131]
	ds_read_b128 v[130:133], v136 offset:15872
	s_waitcnt lgkmcnt(1)
	v_mul_f64 v[126:127], v[140:141], v[128:129]
	v_mul_f64 v[128:129], v[138:139], v[128:129]
	v_fma_f64 v[126:127], v[138:139], v[134:135], -v[126:127]
	v_fmac_f64_e32 v[128:129], v[140:141], v[134:135]
	ds_read_b128 v[138:141], v136 offset:15360
	s_waitcnt lgkmcnt(1)
	v_mul_f64 v[134:135], v[132:133], v[28:29]
	ds_write_b128 v1, v[26:29] offset:15872
	v_fma_f64 v[134:135], v[130:131], v[26:27], -v[134:135]
	v_mul_f64 v[28:29], v[130:131], v[28:29]
	v_fmac_f64_e32 v[28:29], v[132:133], v[26:27]
	v_add_f64 v[26:27], v[10:11], -v[134:135]
	s_waitcnt lgkmcnt(1)
	v_mul_f64 v[10:11], v[140:141], v[24:25]
	v_add_f64 v[28:29], v[12:13], -v[28:29]
	v_fma_f64 v[130:131], v[138:139], v[22:23], -v[10:11]
	ds_read_b128 v[10:13], v136 offset:14848
	ds_write_b128 v1, v[22:25] offset:15360
	v_mul_f64 v[24:25], v[138:139], v[24:25]
	v_fmac_f64_e32 v[24:25], v[140:141], v[22:23]
	v_add_f64 v[26:27], v[26:27], -v[130:131]
	s_waitcnt lgkmcnt(1)
	v_mul_f64 v[22:23], v[12:13], v[44:45]
	v_add_f64 v[28:29], v[28:29], -v[24:25]
	v_fma_f64 v[130:131], v[10:11], v[42:43], -v[22:23]
	ds_read_b128 v[22:25], v136 offset:14336
	v_mul_f64 v[10:11], v[10:11], v[44:45]
	v_fmac_f64_e32 v[10:11], v[12:13], v[42:43]
	v_add_f64 v[28:29], v[28:29], -v[10:11]
	ds_write_b128 v1, v[42:45] offset:14848
	s_waitcnt lgkmcnt(1)
	v_mul_f64 v[10:11], v[24:25], v[52:53]
	v_fma_f64 v[42:43], v[22:23], v[50:51], -v[10:11]
	ds_read_b128 v[10:13], v136 offset:13824
	v_mul_f64 v[22:23], v[22:23], v[52:53]
	v_fmac_f64_e32 v[22:23], v[24:25], v[50:51]
	v_add_f64 v[26:27], v[26:27], -v[130:131]
	v_add_f64 v[28:29], v[28:29], -v[22:23]
	s_waitcnt lgkmcnt(0)
	v_mul_f64 v[22:23], v[12:13], v[20:21]
	v_add_f64 v[26:27], v[26:27], -v[42:43]
	v_fma_f64 v[42:43], v[10:11], v[18:19], -v[22:23]
	ds_read_b128 v[22:25], v136 offset:13312
	v_mul_f64 v[10:11], v[10:11], v[20:21]
	v_fmac_f64_e32 v[10:11], v[12:13], v[18:19]
	ds_write_b128 v1, v[18:21] offset:13824
	v_add_f64 v[20:21], v[28:29], -v[10:11]
	s_waitcnt lgkmcnt(1)
	v_mul_f64 v[10:11], v[24:25], v[16:17]
	v_add_f64 v[18:19], v[26:27], -v[42:43]
	v_fma_f64 v[26:27], v[22:23], v[14:15], -v[10:11]
	ds_read_b128 v[10:13], v136 offset:12800
	ds_write_b128 v1, v[14:17] offset:13312
	v_mul_f64 v[16:17], v[22:23], v[16:17]
	v_fmac_f64_e32 v[16:17], v[24:25], v[14:15]
	v_add_f64 v[20:21], v[20:21], -v[16:17]
	s_waitcnt lgkmcnt(1)
	v_mul_f64 v[14:15], v[12:13], v[40:41]
	v_fma_f64 v[22:23], v[10:11], v[38:39], -v[14:15]
	ds_read_b128 v[14:17], v136 offset:12288
	v_mul_f64 v[10:11], v[10:11], v[40:41]
	v_fmac_f64_e32 v[10:11], v[12:13], v[38:39]
	v_add_f64 v[18:19], v[18:19], -v[26:27]
	v_add_f64 v[20:21], v[20:21], -v[10:11]
	s_waitcnt lgkmcnt(0)
	v_mul_f64 v[10:11], v[16:17], v[60:61]
	v_add_f64 v[18:19], v[18:19], -v[22:23]
	v_fma_f64 v[22:23], v[14:15], v[58:59], -v[10:11]
	ds_read_b128 v[10:13], v136 offset:11776
	v_mul_f64 v[14:15], v[14:15], v[60:61]
	v_fmac_f64_e32 v[14:15], v[16:17], v[58:59]
	v_add_f64 v[20:21], v[20:21], -v[14:15]
	v_add_f64 v[18:19], v[18:19], -v[22:23]
	s_waitcnt lgkmcnt(0)
	v_mul_f64 v[14:15], v[12:13], v[4:5]
	v_fma_f64 v[22:23], v[10:11], v[2:3], -v[14:15]
	ds_read_b128 v[14:17], v136 offset:11264
	ds_write_b128 v1, v[2:5] offset:11776
	v_mul_f64 v[4:5], v[10:11], v[4:5]
	v_fmac_f64_e32 v[4:5], v[12:13], v[2:3]
	v_add_f64 v[10:11], v[18:19], -v[22:23]
	s_waitcnt lgkmcnt(1)
	v_mul_f64 v[2:3], v[16:17], v[8:9]
	v_add_f64 v[12:13], v[20:21], -v[4:5]
	v_fma_f64 v[18:19], v[14:15], v[6:7], -v[2:3]
	ds_read_b128 v[2:5], v136 offset:10752
	ds_write_b128 v1, v[6:9] offset:11264
	v_mul_f64 v[8:9], v[14:15], v[8:9]
	v_fmac_f64_e32 v[8:9], v[16:17], v[6:7]
	v_add_f64 v[12:13], v[12:13], -v[8:9]
	s_waitcnt lgkmcnt(1)
	v_mul_f64 v[6:7], v[4:5], v[48:49]
	v_fma_f64 v[14:15], v[2:3], v[46:47], -v[6:7]
	ds_read_b128 v[6:9], v136 offset:10240
	v_mul_f64 v[2:3], v[2:3], v[48:49]
	v_fmac_f64_e32 v[2:3], v[4:5], v[46:47]
	v_add_f64 v[10:11], v[10:11], -v[18:19]
	v_add_f64 v[12:13], v[12:13], -v[2:3]
	s_waitcnt lgkmcnt(0)
	v_mul_f64 v[2:3], v[8:9], v[72:73]
	v_add_f64 v[10:11], v[10:11], -v[14:15]
	v_fma_f64 v[14:15], v[6:7], v[70:71], -v[2:3]
	ds_read_b128 v[2:5], v136 offset:9728
	v_mul_f64 v[16:17], v[6:7], v[72:73]
	v_fmac_f64_e32 v[16:17], v[8:9], v[70:71]
	v_add_f64 v[6:7], v[10:11], -v[14:15]
	v_add_f64 v[8:9], v[12:13], -v[16:17]
	ds_read_b128 v[12:15], v136 offset:9216
	s_waitcnt lgkmcnt(1)
	v_mul_f64 v[10:11], v[4:5], v[32:33]
	v_fma_f64 v[10:11], v[2:3], v[30:31], -v[10:11]
	v_mul_f64 v[2:3], v[2:3], v[32:33]
	v_fmac_f64_e32 v[2:3], v[4:5], v[30:31]
	v_add_f64 v[8:9], v[8:9], -v[2:3]
	s_waitcnt lgkmcnt(0)
	v_mul_f64 v[2:3], v[14:15], v[36:37]
	v_add_f64 v[6:7], v[6:7], -v[10:11]
	v_fma_f64 v[10:11], v[12:13], v[34:35], -v[2:3]
	ds_read_b128 v[2:5], v136 offset:8704
	v_mul_f64 v[12:13], v[12:13], v[36:37]
	v_fmac_f64_e32 v[12:13], v[14:15], v[34:35]
	v_add_f64 v[10:11], v[6:7], -v[10:11]
	v_add_f64 v[12:13], v[8:9], -v[12:13]
	s_waitcnt lgkmcnt(0)
	v_mul_f64 v[6:7], v[4:5], v[68:69]
	v_fma_f64 v[14:15], v[2:3], v[66:67], -v[6:7]
	ds_read_b128 v[6:9], v136 offset:8192
	v_mul_f64 v[2:3], v[2:3], v[68:69]
	v_fmac_f64_e32 v[2:3], v[4:5], v[66:67]
	v_add_f64 v[12:13], v[12:13], -v[2:3]
	v_add_f64 v[10:11], v[10:11], -v[14:15]
	s_waitcnt lgkmcnt(0)
	v_mul_f64 v[2:3], v[8:9], v[92:93]
	v_fma_f64 v[14:15], v[6:7], v[90:91], -v[2:3]
	ds_read_b128 v[2:5], v136 offset:7680
	v_mul_f64 v[16:17], v[6:7], v[92:93]
	v_fmac_f64_e32 v[16:17], v[8:9], v[90:91]
	v_add_f64 v[6:7], v[10:11], -v[14:15]
	v_add_f64 v[8:9], v[12:13], -v[16:17]
	ds_read_b128 v[12:15], v136 offset:7168
	s_waitcnt lgkmcnt(1)
	v_mul_f64 v[10:11], v[4:5], v[56:57]
	v_fma_f64 v[10:11], v[2:3], v[54:55], -v[10:11]
	v_mul_f64 v[2:3], v[2:3], v[56:57]
	v_fmac_f64_e32 v[2:3], v[4:5], v[54:55]
	v_add_f64 v[8:9], v[8:9], -v[2:3]
	s_waitcnt lgkmcnt(0)
	v_mul_f64 v[2:3], v[14:15], v[64:65]
	v_add_f64 v[6:7], v[6:7], -v[10:11]
	v_fma_f64 v[10:11], v[12:13], v[62:63], -v[2:3]
	ds_read_b128 v[2:5], v136 offset:6656
	v_mul_f64 v[12:13], v[12:13], v[64:65]
	v_fmac_f64_e32 v[12:13], v[14:15], v[62:63]
	v_add_f64 v[10:11], v[6:7], -v[10:11]
	v_add_f64 v[12:13], v[8:9], -v[12:13]
	s_waitcnt lgkmcnt(0)
	v_mul_f64 v[6:7], v[4:5], v[88:89]
	v_fma_f64 v[14:15], v[2:3], v[86:87], -v[6:7]
	ds_read_b128 v[6:9], v136 offset:6144
	v_mul_f64 v[2:3], v[2:3], v[88:89]
	v_fmac_f64_e32 v[2:3], v[4:5], v[86:87]
	v_add_f64 v[12:13], v[12:13], -v[2:3]
	v_add_f64 v[10:11], v[10:11], -v[14:15]
	s_waitcnt lgkmcnt(0)
	v_mul_f64 v[2:3], v[8:9], v[100:101]
	;; [unrolled: 32-line block ×3, first 2 shown]
	v_fma_f64 v[14:15], v[6:7], v[118:119], -v[2:3]
	ds_read_b128 v[2:5], v136 offset:3584
	v_mul_f64 v[16:17], v[6:7], v[120:121]
	v_fmac_f64_e32 v[16:17], v[8:9], v[118:119]
	v_add_f64 v[6:7], v[10:11], -v[14:15]
	v_add_f64 v[8:9], v[12:13], -v[16:17]
	ds_read_b128 v[12:15], v136 offset:3072
	s_waitcnt lgkmcnt(1)
	v_mul_f64 v[10:11], v[4:5], v[96:97]
	v_fma_f64 v[10:11], v[2:3], v[94:95], -v[10:11]
	v_mul_f64 v[2:3], v[2:3], v[96:97]
	v_fmac_f64_e32 v[2:3], v[4:5], v[94:95]
	v_add_f64 v[8:9], v[8:9], -v[2:3]
	s_waitcnt lgkmcnt(0)
	v_mul_f64 v[2:3], v[14:15], v[112:113]
	v_add_f64 v[6:7], v[6:7], -v[10:11]
	v_fma_f64 v[10:11], v[12:13], v[110:111], -v[2:3]
	ds_read_b128 v[2:5], v136 offset:2560
	v_mul_f64 v[12:13], v[12:13], v[112:113]
	v_fmac_f64_e32 v[12:13], v[14:15], v[110:111]
	v_add_f64 v[8:9], v[8:9], -v[12:13]
	ds_read_b128 v[12:15], v136 offset:2048
	v_add_f64 v[6:7], v[6:7], -v[10:11]
	s_waitcnt lgkmcnt(1)
	v_mul_f64 v[10:11], v[4:5], v[80:81]
	v_fma_f64 v[10:11], v[2:3], v[78:79], -v[10:11]
	v_mul_f64 v[2:3], v[2:3], v[80:81]
	v_fmac_f64_e32 v[2:3], v[4:5], v[78:79]
	v_add_f64 v[8:9], v[8:9], -v[2:3]
	s_waitcnt lgkmcnt(0)
	v_mul_f64 v[2:3], v[14:15], v[108:109]
	v_add_f64 v[6:7], v[6:7], -v[10:11]
	v_fma_f64 v[10:11], v[12:13], v[106:107], -v[2:3]
	ds_read_b128 v[2:5], v136 offset:1536
	v_mul_f64 v[12:13], v[12:13], v[108:109]
	v_fmac_f64_e32 v[12:13], v[14:15], v[106:107]
	v_add_f64 v[10:11], v[6:7], -v[10:11]
	v_add_f64 v[12:13], v[8:9], -v[12:13]
	s_waitcnt lgkmcnt(0)
	v_mul_f64 v[6:7], v[4:5], v[116:117]
	v_fma_f64 v[14:15], v[2:3], v[114:115], -v[6:7]
	ds_read_b128 v[6:9], v136 offset:1024
	v_mul_f64 v[2:3], v[2:3], v[116:117]
	v_fmac_f64_e32 v[2:3], v[4:5], v[114:115]
	v_add_f64 v[12:13], v[12:13], -v[2:3]
	v_add_f64 v[10:11], v[10:11], -v[14:15]
	s_waitcnt lgkmcnt(0)
	v_mul_f64 v[2:3], v[8:9], v[124:125]
	v_fma_f64 v[14:15], v[6:7], v[122:123], -v[2:3]
	ds_read_b128 v[2:5], v136 offset:512
	v_mul_f64 v[6:7], v[6:7], v[124:125]
	v_fmac_f64_e32 v[6:7], v[8:9], v[122:123]
	v_add_f64 v[12:13], v[12:13], -v[6:7]
	v_add_f64 v[10:11], v[10:11], -v[14:15]
	s_waitcnt lgkmcnt(0)
	v_mul_f64 v[6:7], v[4:5], v[128:129]
	v_fma_f64 v[14:15], v[2:3], v[126:127], -v[6:7]
	ds_read_b128 v[6:9], v136
	v_mul_f64 v[2:3], v[2:3], v[128:129]
	v_fmac_f64_e32 v[2:3], v[4:5], v[126:127]
	v_add_f64 v[4:5], v[12:13], -v[2:3]
	v_add_f64 v[10:11], v[10:11], -v[14:15]
	s_waitcnt lgkmcnt(0)
	v_mul_f64 v[2:3], v[8:9], v[4:5]
	v_mul_f64 v[4:5], v[6:7], v[4:5]
	v_fma_f64 v[2:3], v[6:7], v[10:11], -v[2:3]
	v_fmac_f64_e32 v[4:5], v[8:9], v[10:11]
	s_mov_b32 s5, -1
	ds_write_b128 v1, v[50:53] offset:14336
	ds_write_b128 v1, v[38:41] offset:12800
	;; [unrolled: 1-line block ×24, first 2 shown]
	ds_write_b128 v1, v[2:5]
.LBB234_32:
	s_cmp_gt_i32 s5, -1
	s_cbranch_scc0 .LBB234_51
; %bb.33:
	s_cmp_lt_u32 s5, 27
	s_cbranch_scc1 .LBB234_38
; %bb.34:
	s_lshl_b32 s6, s5, 9
	v_add_u32_e32 v118, s6, v1
	v_add_u32_e32 v2, 0xfffffe00, v118
	ds_read_b128 v[114:117], v118
	ds_read_b128 v[18:21], v2
	v_add_u32_e32 v2, 0xfffffc00, v118
	v_add_u32_e32 v3, 0xfffffa00, v118
	ds_read_b128 v[22:25], v2
	ds_read_b128 v[26:29], v3
	;; [unrolled: 4-line block ×14, first 2 shown]
	s_cmp_le_i32 s4, s5
	s_cbranch_scc1 .LBB234_37
; %bb.35:
	s_lshl_b32 s7, s24, 9
	s_lshl_b32 s10, s5, 4
	v_lshl_or_b32 v14, v0, 4, s7
	s_add_i32 s7, s7, s10
	v_add_u32_e32 v119, 0x3e00, v14
	s_addk_i32 s7, 0xfc50
	s_mov_b32 s10, s4
.LBB234_36:                             ; =>This Inner Loop Header: Depth=1
	ds_read_b128 v[14:17], v119
	v_mov_b32_e32 v228, s7
	ds_read_b128 v[120:123], v228 offset:432
	ds_read_b128 v[124:127], v228 offset:416
	;; [unrolled: 1-line block ×24, first 2 shown]
	ds_read_b128 v[216:219], v228
	ds_read_b128 v[220:223], v228 offset:16
	ds_read_b128 v[224:227], v228 offset:32
	;; [unrolled: 1-line block ×3, first 2 shown]
	s_add_i32 s10, s10, -1
	s_addk_i32 s7, 0xfe00
	s_waitcnt lgkmcnt(14)
	v_mul_f64 v[232:233], v[16:17], v[122:123]
	v_mul_f64 v[122:123], v[14:15], v[122:123]
	;; [unrolled: 1-line block ×11, first 2 shown]
	v_fma_f64 v[232:233], v[14:15], v[120:121], -v[232:233]
	v_fmac_f64_e32 v[122:123], v[16:17], v[120:121]
	v_mul_f64 v[120:121], v[14:15], v[142:143]
	v_mul_f64 v[142:143], v[16:17], v[146:147]
	v_fma_f64 v[234:235], v[14:15], v[124:125], -v[234:235]
	v_fmac_f64_e32 v[126:127], v[16:17], v[124:125]
	v_mul_f64 v[124:125], v[14:15], v[146:147]
	v_mul_f64 v[146:147], v[16:17], v[150:151]
	v_fma_f64 v[236:237], v[14:15], v[128:129], -v[236:237]
	v_fmac_f64_e32 v[130:131], v[16:17], v[128:129]
	v_mul_f64 v[128:129], v[14:15], v[150:151]
	v_mul_f64 v[150:151], v[16:17], v[154:155]
	v_fma_f64 v[238:239], v[14:15], v[132:133], -v[238:239]
	v_fmac_f64_e32 v[134:135], v[16:17], v[132:133]
	v_mul_f64 v[132:133], v[14:15], v[154:155]
	v_mul_f64 v[154:155], v[16:17], v[158:159]
	v_fma_f64 v[240:241], v[14:15], v[136:137], -v[240:241]
	v_fmac_f64_e32 v[138:139], v[16:17], v[136:137]
	v_mul_f64 v[136:137], v[14:15], v[158:159]
	v_mul_f64 v[158:159], v[16:17], v[162:163]
	v_fma_f64 v[242:243], v[14:15], v[140:141], -v[242:243]
	v_fmac_f64_e32 v[120:121], v[16:17], v[140:141]
	v_mul_f64 v[140:141], v[14:15], v[162:163]
	v_mul_f64 v[162:163], v[16:17], v[166:167]
	v_fma_f64 v[142:143], v[14:15], v[144:145], -v[142:143]
	v_fmac_f64_e32 v[124:125], v[16:17], v[144:145]
	v_mul_f64 v[144:145], v[14:15], v[166:167]
	v_mul_f64 v[166:167], v[16:17], v[170:171]
	v_fma_f64 v[146:147], v[14:15], v[148:149], -v[146:147]
	v_fmac_f64_e32 v[128:129], v[16:17], v[148:149]
	v_mul_f64 v[148:149], v[14:15], v[170:171]
	v_mul_f64 v[170:171], v[16:17], v[174:175]
	v_fma_f64 v[150:151], v[14:15], v[152:153], -v[150:151]
	v_fmac_f64_e32 v[132:133], v[16:17], v[152:153]
	v_mul_f64 v[152:153], v[14:15], v[174:175]
	s_waitcnt lgkmcnt(13)
	v_mul_f64 v[174:175], v[16:17], v[178:179]
	v_fma_f64 v[154:155], v[14:15], v[156:157], -v[154:155]
	v_fmac_f64_e32 v[136:137], v[16:17], v[156:157]
	v_mul_f64 v[156:157], v[14:15], v[178:179]
	s_waitcnt lgkmcnt(12)
	v_mul_f64 v[178:179], v[16:17], v[182:183]
	;; [unrolled: 5-line block ×11, first 2 shown]
	v_fma_f64 v[194:195], v[14:15], v[196:197], -v[194:195]
	v_fmac_f64_e32 v[176:177], v[16:17], v[196:197]
	v_mul_f64 v[196:197], v[14:15], v[230:231]
	v_mul_f64 v[230:231], v[16:17], v[226:227]
	v_fma_f64 v[198:199], v[14:15], v[200:201], -v[198:199]
	v_fmac_f64_e32 v[180:181], v[16:17], v[200:201]
	v_mul_f64 v[200:201], v[14:15], v[226:227]
	v_mul_f64 v[226:227], v[16:17], v[222:223]
	v_fma_f64 v[202:203], v[14:15], v[204:205], -v[202:203]
	v_fmac_f64_e32 v[184:185], v[16:17], v[204:205]
	v_mul_f64 v[204:205], v[14:15], v[222:223]
	v_mul_f64 v[222:223], v[16:17], v[218:219]
	v_fma_f64 v[206:207], v[14:15], v[208:209], -v[206:207]
	v_fmac_f64_e32 v[188:189], v[16:17], v[208:209]
	v_mul_f64 v[208:209], v[14:15], v[218:219]
	v_fma_f64 v[210:211], v[14:15], v[212:213], -v[210:211]
	v_fmac_f64_e32 v[192:193], v[16:17], v[212:213]
	v_fma_f64 v[212:213], v[14:15], v[228:229], -v[214:215]
	v_fmac_f64_e32 v[196:197], v[16:17], v[228:229]
	;; [unrolled: 2-line block ×5, first 2 shown]
	v_add_u32_e32 v119, 0xfffffe00, v119
	s_cmp_gt_i32 s10, s5
	v_add_f64 v[114:115], v[114:115], -v[232:233]
	v_add_f64 v[116:117], v[116:117], -v[122:123]
	v_add_f64 v[18:19], v[18:19], -v[234:235]
	v_add_f64 v[20:21], v[20:21], -v[126:127]
	v_add_f64 v[22:23], v[22:23], -v[236:237]
	v_add_f64 v[24:25], v[24:25], -v[130:131]
	v_add_f64 v[26:27], v[26:27], -v[238:239]
	v_add_f64 v[28:29], v[28:29], -v[134:135]
	v_add_f64 v[30:31], v[30:31], -v[240:241]
	v_add_f64 v[32:33], v[32:33], -v[138:139]
	v_add_f64 v[34:35], v[34:35], -v[242:243]
	v_add_f64 v[36:37], v[36:37], -v[120:121]
	v_add_f64 v[38:39], v[38:39], -v[142:143]
	v_add_f64 v[40:41], v[40:41], -v[124:125]
	v_add_f64 v[46:47], v[46:47], -v[146:147]
	v_add_f64 v[48:49], v[48:49], -v[128:129]
	v_add_f64 v[50:51], v[50:51], -v[150:151]
	v_add_f64 v[52:53], v[52:53], -v[132:133]
	v_add_f64 v[54:55], v[54:55], -v[154:155]
	v_add_f64 v[56:57], v[56:57], -v[136:137]
	v_add_f64 v[62:63], v[62:63], -v[158:159]
	v_add_f64 v[64:65], v[64:65], -v[140:141]
	v_add_f64 v[66:67], v[66:67], -v[162:163]
	v_add_f64 v[68:69], v[68:69], -v[144:145]
	v_add_f64 v[74:75], v[74:75], -v[166:167]
	v_add_f64 v[76:77], v[76:77], -v[148:149]
	v_add_f64 v[82:83], v[82:83], -v[170:171]
	v_add_f64 v[84:85], v[84:85], -v[152:153]
	v_add_f64 v[86:87], v[86:87], -v[174:175]
	v_add_f64 v[88:89], v[88:89], -v[156:157]
	v_add_f64 v[94:95], v[94:95], -v[178:179]
	v_add_f64 v[96:97], v[96:97], -v[160:161]
	v_add_f64 v[102:103], v[102:103], -v[182:183]
	v_add_f64 v[104:105], v[104:105], -v[164:165]
	v_add_f64 v[110:111], v[110:111], -v[186:187]
	v_add_f64 v[112:113], v[112:113], -v[168:169]
	v_add_f64 v[106:107], v[106:107], -v[190:191]
	v_add_f64 v[108:109], v[108:109], -v[172:173]
	v_add_f64 v[98:99], v[98:99], -v[194:195]
	v_add_f64 v[100:101], v[100:101], -v[176:177]
	v_add_f64 v[90:91], v[90:91], -v[198:199]
	v_add_f64 v[92:93], v[92:93], -v[180:181]
	v_add_f64 v[78:79], v[78:79], -v[202:203]
	v_add_f64 v[80:81], v[80:81], -v[184:185]
	v_add_f64 v[70:71], v[70:71], -v[206:207]
	v_add_f64 v[72:73], v[72:73], -v[188:189]
	v_add_f64 v[58:59], v[58:59], -v[210:211]
	v_add_f64 v[60:61], v[60:61], -v[192:193]
	v_add_f64 v[42:43], v[42:43], -v[212:213]
	v_add_f64 v[44:45], v[44:45], -v[196:197]
	v_add_f64 v[10:11], v[10:11], -v[214:215]
	v_add_f64 v[12:13], v[12:13], -v[200:201]
	v_add_f64 v[6:7], v[6:7], -v[218:219]
	v_add_f64 v[8:9], v[8:9], -v[204:205]
	v_add_f64 v[2:3], v[2:3], -v[14:15]
	v_add_f64 v[4:5], v[4:5], -v[208:209]
	s_cbranch_scc1 .LBB234_36
.LBB234_37:
	s_mul_i32 s7, s5, 0x210
	s_add_i32 s10, s5, -1
	v_mov_b32_e32 v14, s7
	s_lshl_b32 s11, s10, 4
	ds_read_b128 v[120:123], v14
	s_add_i32 s12, s11, s6
	v_mov_b32_e32 v14, s12
	ds_read_b128 v[124:127], v14
	s_lshl_b32 s10, s10, 9
	s_waitcnt lgkmcnt(1)
	v_mul_f64 v[16:17], v[120:121], v[116:117]
	v_mul_f64 v[14:15], v[122:123], v[116:117]
	v_fmac_f64_e32 v[16:17], v[122:123], v[114:115]
	v_fma_f64 v[14:15], v[120:121], v[114:115], -v[14:15]
	s_waitcnt lgkmcnt(0)
	v_mul_f64 v[114:115], v[126:127], v[16:17]
	v_fma_f64 v[114:115], v[124:125], v[14:15], -v[114:115]
	s_add_i32 s11, s11, s10
	v_mul_f64 v[116:117], v[124:125], v[16:17]
	v_add_f64 v[122:123], v[18:19], -v[114:115]
	v_mov_b32_e32 v18, s11
	s_add_i32 s11, s5, -2
	v_fmac_f64_e32 v[116:117], v[126:127], v[14:15]
	s_lshl_b32 s12, s11, 4
	v_add_f64 v[20:21], v[20:21], -v[116:117]
	ds_read_b128 v[114:117], v18
	s_add_i32 s14, s12, s6
	v_mov_b32_e32 v18, s14
	ds_write_b128 v118, v[14:17]
	ds_read_b128 v[118:121], v18
	s_waitcnt lgkmcnt(2)
	v_mul_f64 v[18:19], v[116:117], v[20:21]
	v_mul_f64 v[20:21], v[114:115], v[20:21]
	v_fma_f64 v[18:19], v[114:115], v[122:123], -v[18:19]
	v_fmac_f64_e32 v[20:21], v[116:117], v[122:123]
	v_add_u32_e32 v114, s10, v1
	ds_write_b128 v114, v[18:21]
	s_waitcnt lgkmcnt(1)
	v_mul_f64 v[114:115], v[120:121], v[16:17]
	v_fma_f64 v[114:115], v[118:119], v[14:15], -v[114:115]
	v_mul_f64 v[116:117], v[118:119], v[16:17]
	s_add_i32 s14, s12, s10
	v_fmac_f64_e32 v[116:117], v[120:121], v[14:15]
	v_add_f64 v[118:119], v[22:23], -v[114:115]
	v_mov_b32_e32 v22, s14
	v_add_f64 v[120:121], v[24:25], -v[116:117]
	ds_read_b128 v[22:25], v22
	s_lshl_b32 s11, s11, 9
	s_add_i32 s12, s12, s11
	v_mov_b32_e32 v114, s12
	ds_read_b128 v[114:117], v114
	s_waitcnt lgkmcnt(1)
	v_mul_f64 v[122:123], v[24:25], v[20:21]
	v_fma_f64 v[122:123], v[22:23], v[18:19], -v[122:123]
	v_mul_f64 v[22:23], v[22:23], v[20:21]
	v_fmac_f64_e32 v[22:23], v[24:25], v[18:19]
	s_add_i32 s12, s5, -3
	v_add_f64 v[24:25], v[120:121], -v[22:23]
	s_lshl_b32 s14, s12, 4
	v_add_f64 v[118:119], v[118:119], -v[122:123]
	s_waitcnt lgkmcnt(0)
	v_mul_f64 v[22:23], v[116:117], v[24:25]
	s_add_i32 s15, s14, s6
	v_fma_f64 v[22:23], v[114:115], v[118:119], -v[22:23]
	v_mul_f64 v[24:25], v[114:115], v[24:25]
	v_mov_b32_e32 v114, s15
	v_fmac_f64_e32 v[24:25], v[116:117], v[118:119]
	ds_read_b128 v[114:117], v114
	v_add_u32_e32 v118, s11, v1
	s_add_i32 s15, s14, s10
	ds_write_b128 v118, v[22:25]
	v_mov_b32_e32 v118, s15
	ds_read_b128 v[118:121], v118
	s_waitcnt lgkmcnt(2)
	v_mul_f64 v[122:123], v[116:117], v[16:17]
	v_fma_f64 v[122:123], v[114:115], v[14:15], -v[122:123]
	v_mul_f64 v[114:115], v[114:115], v[16:17]
	v_fmac_f64_e32 v[114:115], v[116:117], v[14:15]
	v_add_f64 v[28:29], v[28:29], -v[114:115]
	s_waitcnt lgkmcnt(0)
	v_mul_f64 v[114:115], v[120:121], v[20:21]
	v_add_f64 v[26:27], v[26:27], -v[122:123]
	v_fma_f64 v[114:115], v[118:119], v[18:19], -v[114:115]
	v_mul_f64 v[116:117], v[118:119], v[20:21]
	s_add_i32 s15, s14, s11
	v_fmac_f64_e32 v[116:117], v[120:121], v[18:19]
	v_add_f64 v[118:119], v[26:27], -v[114:115]
	v_mov_b32_e32 v26, s15
	v_add_f64 v[120:121], v[28:29], -v[116:117]
	ds_read_b128 v[26:29], v26
	s_lshl_b32 s12, s12, 9
	s_add_i32 s14, s14, s12
	v_mov_b32_e32 v114, s14
	ds_read_b128 v[114:117], v114
	s_waitcnt lgkmcnt(1)
	v_mul_f64 v[122:123], v[28:29], v[24:25]
	v_fma_f64 v[122:123], v[26:27], v[22:23], -v[122:123]
	v_mul_f64 v[26:27], v[26:27], v[24:25]
	v_fmac_f64_e32 v[26:27], v[28:29], v[22:23]
	s_add_i32 s14, s5, -4
	v_add_f64 v[28:29], v[120:121], -v[26:27]
	s_lshl_b32 s15, s14, 4
	v_add_f64 v[118:119], v[118:119], -v[122:123]
	s_waitcnt lgkmcnt(0)
	v_mul_f64 v[26:27], v[116:117], v[28:29]
	s_add_i32 s16, s15, s6
	v_fma_f64 v[26:27], v[114:115], v[118:119], -v[26:27]
	v_mul_f64 v[28:29], v[114:115], v[28:29]
	v_mov_b32_e32 v114, s16
	v_fmac_f64_e32 v[28:29], v[116:117], v[118:119]
	ds_read_b128 v[114:117], v114
	v_add_u32_e32 v118, s12, v1
	s_add_i32 s16, s15, s10
	ds_write_b128 v118, v[26:29]
	v_mov_b32_e32 v118, s16
	ds_read_b128 v[118:121], v118
	s_waitcnt lgkmcnt(2)
	v_mul_f64 v[122:123], v[116:117], v[16:17]
	v_fma_f64 v[122:123], v[114:115], v[14:15], -v[122:123]
	v_mul_f64 v[114:115], v[114:115], v[16:17]
	v_fmac_f64_e32 v[114:115], v[116:117], v[14:15]
	v_add_f64 v[114:115], v[32:33], -v[114:115]
	s_waitcnt lgkmcnt(0)
	v_mul_f64 v[32:33], v[120:121], v[20:21]
	v_add_f64 v[30:31], v[30:31], -v[122:123]
	v_fma_f64 v[32:33], v[118:119], v[18:19], -v[32:33]
	s_add_i32 s16, s15, s11
	v_mul_f64 v[116:117], v[118:119], v[20:21]
	v_add_f64 v[118:119], v[30:31], -v[32:33]
	v_mov_b32_e32 v30, s16
	v_fmac_f64_e32 v[116:117], v[120:121], v[18:19]
	ds_read_b128 v[30:33], v30
	s_add_i32 s16, s15, s12
	v_add_f64 v[120:121], v[114:115], -v[116:117]
	v_mov_b32_e32 v114, s16
	ds_read_b128 v[114:117], v114
	s_waitcnt lgkmcnt(1)
	v_mul_f64 v[122:123], v[32:33], v[24:25]
	v_fma_f64 v[122:123], v[30:31], v[22:23], -v[122:123]
	v_mul_f64 v[30:31], v[30:31], v[24:25]
	v_fmac_f64_e32 v[30:31], v[32:33], v[22:23]
	v_add_f64 v[32:33], v[118:119], -v[122:123]
	s_waitcnt lgkmcnt(0)
	v_mul_f64 v[118:119], v[116:117], v[28:29]
	v_fma_f64 v[118:119], v[114:115], v[26:27], -v[118:119]
	v_mul_f64 v[114:115], v[114:115], v[28:29]
	s_lshl_b32 s14, s14, 9
	v_add_f64 v[30:31], v[120:121], -v[30:31]
	v_fmac_f64_e32 v[114:115], v[116:117], v[26:27]
	s_add_i32 s15, s15, s14
	v_add_f64 v[122:123], v[32:33], -v[118:119]
	v_add_f64 v[32:33], v[30:31], -v[114:115]
	v_mov_b32_e32 v30, s15
	s_add_i32 s15, s5, -5
	s_lshl_b32 s16, s15, 4
	ds_read_b128 v[114:117], v30
	s_add_i32 s17, s16, s6
	v_mov_b32_e32 v30, s17
	ds_read_b128 v[118:121], v30
	s_add_i32 s17, s16, s10
	s_waitcnt lgkmcnt(1)
	v_mul_f64 v[30:31], v[116:117], v[32:33]
	v_mul_f64 v[32:33], v[114:115], v[32:33]
	v_fma_f64 v[30:31], v[114:115], v[122:123], -v[30:31]
	v_fmac_f64_e32 v[32:33], v[116:117], v[122:123]
	v_add_u32_e32 v114, s14, v1
	ds_write_b128 v114, v[30:33]
	s_waitcnt lgkmcnt(1)
	v_mul_f64 v[114:115], v[120:121], v[16:17]
	v_fma_f64 v[114:115], v[118:119], v[14:15], -v[114:115]
	v_mul_f64 v[118:119], v[118:119], v[16:17]
	v_fmac_f64_e32 v[118:119], v[120:121], v[14:15]
	v_add_f64 v[120:121], v[34:35], -v[114:115]
	v_mov_b32_e32 v34, s17
	ds_read_b128 v[114:117], v34
	s_add_i32 s17, s16, s11
	v_mov_b32_e32 v34, s17
	v_add_f64 v[118:119], v[36:37], -v[118:119]
	ds_read_b128 v[34:37], v34
	s_waitcnt lgkmcnt(1)
	v_mul_f64 v[122:123], v[116:117], v[20:21]
	v_fma_f64 v[122:123], v[114:115], v[18:19], -v[122:123]
	v_mul_f64 v[114:115], v[114:115], v[20:21]
	v_fmac_f64_e32 v[114:115], v[116:117], v[18:19]
	v_add_f64 v[114:115], v[118:119], -v[114:115]
	s_waitcnt lgkmcnt(0)
	v_mul_f64 v[118:119], v[36:37], v[24:25]
	s_add_i32 s17, s16, s12
	v_add_f64 v[116:117], v[120:121], -v[122:123]
	v_fma_f64 v[118:119], v[34:35], v[22:23], -v[118:119]
	v_mul_f64 v[120:121], v[34:35], v[24:25]
	v_mov_b32_e32 v34, s17
	v_fmac_f64_e32 v[120:121], v[36:37], v[22:23]
	ds_read_b128 v[34:37], v34
	s_add_i32 s17, s16, s14
	v_add_f64 v[120:121], v[114:115], -v[120:121]
	v_mov_b32_e32 v114, s17
	v_add_f64 v[118:119], v[116:117], -v[118:119]
	ds_read_b128 v[114:117], v114
	s_waitcnt lgkmcnt(1)
	v_mul_f64 v[122:123], v[36:37], v[28:29]
	v_fma_f64 v[122:123], v[34:35], v[26:27], -v[122:123]
	v_mul_f64 v[34:35], v[34:35], v[28:29]
	v_fmac_f64_e32 v[34:35], v[36:37], v[26:27]
	v_add_f64 v[36:37], v[118:119], -v[122:123]
	s_waitcnt lgkmcnt(0)
	v_mul_f64 v[118:119], v[116:117], v[32:33]
	v_fma_f64 v[118:119], v[114:115], v[30:31], -v[118:119]
	v_mul_f64 v[114:115], v[114:115], v[32:33]
	s_lshl_b32 s15, s15, 9
	v_add_f64 v[34:35], v[120:121], -v[34:35]
	v_fmac_f64_e32 v[114:115], v[116:117], v[30:31]
	s_add_i32 s16, s16, s15
	v_add_f64 v[122:123], v[36:37], -v[118:119]
	v_add_f64 v[36:37], v[34:35], -v[114:115]
	v_mov_b32_e32 v34, s16
	s_add_i32 s16, s5, -6
	s_lshl_b32 s17, s16, 4
	ds_read_b128 v[114:117], v34
	s_add_i32 s18, s17, s6
	v_mov_b32_e32 v34, s18
	ds_read_b128 v[118:121], v34
	s_add_i32 s18, s17, s10
	s_waitcnt lgkmcnt(1)
	v_mul_f64 v[34:35], v[116:117], v[36:37]
	v_mul_f64 v[36:37], v[114:115], v[36:37]
	v_fma_f64 v[34:35], v[114:115], v[122:123], -v[34:35]
	v_fmac_f64_e32 v[36:37], v[116:117], v[122:123]
	v_add_u32_e32 v114, s15, v1
	ds_write_b128 v114, v[34:37]
	s_waitcnt lgkmcnt(1)
	v_mul_f64 v[114:115], v[120:121], v[16:17]
	v_fma_f64 v[114:115], v[118:119], v[14:15], -v[114:115]
	v_mul_f64 v[118:119], v[118:119], v[16:17]
	v_fmac_f64_e32 v[118:119], v[120:121], v[14:15]
	v_add_f64 v[120:121], v[38:39], -v[114:115]
	v_mov_b32_e32 v38, s18
	ds_read_b128 v[114:117], v38
	s_add_i32 s18, s17, s11
	v_mov_b32_e32 v38, s18
	v_add_f64 v[118:119], v[40:41], -v[118:119]
	ds_read_b128 v[38:41], v38
	s_waitcnt lgkmcnt(1)
	v_mul_f64 v[122:123], v[116:117], v[20:21]
	v_fma_f64 v[122:123], v[114:115], v[18:19], -v[122:123]
	v_mul_f64 v[114:115], v[114:115], v[20:21]
	v_fmac_f64_e32 v[114:115], v[116:117], v[18:19]
	v_add_f64 v[114:115], v[118:119], -v[114:115]
	s_waitcnt lgkmcnt(0)
	v_mul_f64 v[118:119], v[40:41], v[24:25]
	s_add_i32 s18, s17, s12
	v_add_f64 v[116:117], v[120:121], -v[122:123]
	v_fma_f64 v[118:119], v[38:39], v[22:23], -v[118:119]
	v_mul_f64 v[120:121], v[38:39], v[24:25]
	v_mov_b32_e32 v38, s18
	v_fmac_f64_e32 v[120:121], v[40:41], v[22:23]
	ds_read_b128 v[38:41], v38
	s_add_i32 s18, s17, s14
	v_add_f64 v[120:121], v[114:115], -v[120:121]
	v_mov_b32_e32 v114, s18
	v_add_f64 v[118:119], v[116:117], -v[118:119]
	ds_read_b128 v[114:117], v114
	s_waitcnt lgkmcnt(1)
	v_mul_f64 v[122:123], v[40:41], v[28:29]
	v_fma_f64 v[122:123], v[38:39], v[26:27], -v[122:123]
	v_mul_f64 v[38:39], v[38:39], v[28:29]
	v_fmac_f64_e32 v[38:39], v[40:41], v[26:27]
	v_add_f64 v[40:41], v[118:119], -v[122:123]
	s_waitcnt lgkmcnt(0)
	v_mul_f64 v[118:119], v[116:117], v[32:33]
	v_fma_f64 v[118:119], v[114:115], v[30:31], -v[118:119]
	v_mul_f64 v[114:115], v[114:115], v[32:33]
	v_add_f64 v[38:39], v[120:121], -v[38:39]
	v_fmac_f64_e32 v[114:115], v[116:117], v[30:31]
	s_add_i32 s18, s17, s15
	v_add_f64 v[120:121], v[38:39], -v[114:115]
	v_mov_b32_e32 v38, s18
	v_add_f64 v[118:119], v[40:41], -v[118:119]
	ds_read_b128 v[38:41], v38
	s_lshl_b32 s16, s16, 9
	s_add_i32 s17, s17, s16
	v_mov_b32_e32 v114, s17
	ds_read_b128 v[114:117], v114
	s_waitcnt lgkmcnt(1)
	v_mul_f64 v[122:123], v[40:41], v[36:37]
	v_fma_f64 v[122:123], v[38:39], v[34:35], -v[122:123]
	v_mul_f64 v[38:39], v[38:39], v[36:37]
	v_fmac_f64_e32 v[38:39], v[40:41], v[34:35]
	s_add_i32 s17, s5, -7
	v_add_f64 v[40:41], v[120:121], -v[38:39]
	s_lshl_b32 s18, s17, 4
	v_add_f64 v[118:119], v[118:119], -v[122:123]
	s_waitcnt lgkmcnt(0)
	v_mul_f64 v[38:39], v[116:117], v[40:41]
	s_add_i32 s19, s18, s6
	v_fma_f64 v[38:39], v[114:115], v[118:119], -v[38:39]
	v_mul_f64 v[40:41], v[114:115], v[40:41]
	v_mov_b32_e32 v114, s19
	v_fmac_f64_e32 v[40:41], v[116:117], v[118:119]
	ds_read_b128 v[114:117], v114
	v_add_u32_e32 v118, s16, v1
	s_add_i32 s19, s18, s10
	ds_write_b128 v118, v[38:41]
	v_mov_b32_e32 v118, s19
	ds_read_b128 v[118:121], v118
	s_waitcnt lgkmcnt(2)
	v_mul_f64 v[122:123], v[116:117], v[16:17]
	v_fma_f64 v[122:123], v[114:115], v[14:15], -v[122:123]
	v_mul_f64 v[114:115], v[114:115], v[16:17]
	v_fmac_f64_e32 v[114:115], v[116:117], v[14:15]
	v_add_f64 v[114:115], v[48:49], -v[114:115]
	s_waitcnt lgkmcnt(0)
	v_mul_f64 v[48:49], v[120:121], v[20:21]
	v_add_f64 v[46:47], v[46:47], -v[122:123]
	v_fma_f64 v[48:49], v[118:119], v[18:19], -v[48:49]
	s_add_i32 s19, s18, s11
	v_mul_f64 v[116:117], v[118:119], v[20:21]
	v_add_f64 v[118:119], v[46:47], -v[48:49]
	v_mov_b32_e32 v46, s19
	ds_read_b128 v[46:49], v46
	v_fmac_f64_e32 v[116:117], v[120:121], v[18:19]
	s_add_i32 s19, s18, s12
	v_add_f64 v[120:121], v[114:115], -v[116:117]
	v_mov_b32_e32 v114, s19
	ds_read_b128 v[114:117], v114
	s_waitcnt lgkmcnt(1)
	v_mul_f64 v[122:123], v[48:49], v[24:25]
	v_fma_f64 v[122:123], v[46:47], v[22:23], -v[122:123]
	v_mul_f64 v[46:47], v[46:47], v[24:25]
	v_fmac_f64_e32 v[46:47], v[48:49], v[22:23]
	v_add_f64 v[48:49], v[118:119], -v[122:123]
	v_add_f64 v[118:119], v[120:121], -v[46:47]
	s_waitcnt lgkmcnt(0)
	v_mul_f64 v[46:47], v[116:117], v[28:29]
	v_fma_f64 v[46:47], v[114:115], v[26:27], -v[46:47]
	s_add_i32 s19, s18, s14
	v_add_f64 v[120:121], v[48:49], -v[46:47]
	v_mov_b32_e32 v46, s19
	v_mul_f64 v[114:115], v[114:115], v[28:29]
	ds_read_b128 v[46:49], v46
	v_fmac_f64_e32 v[114:115], v[116:117], v[26:27]
	s_add_i32 s19, s18, s15
	v_add_f64 v[118:119], v[118:119], -v[114:115]
	v_mov_b32_e32 v114, s19
	ds_read_b128 v[114:117], v114
	s_waitcnt lgkmcnt(1)
	v_mul_f64 v[122:123], v[48:49], v[32:33]
	v_fma_f64 v[122:123], v[46:47], v[30:31], -v[122:123]
	v_mul_f64 v[46:47], v[46:47], v[32:33]
	v_fmac_f64_e32 v[46:47], v[48:49], v[30:31]
	v_add_f64 v[46:47], v[118:119], -v[46:47]
	s_waitcnt lgkmcnt(0)
	v_mul_f64 v[118:119], v[116:117], v[36:37]
	v_fma_f64 v[118:119], v[114:115], v[34:35], -v[118:119]
	v_mul_f64 v[114:115], v[114:115], v[36:37]
	v_fmac_f64_e32 v[114:115], v[116:117], v[34:35]
	s_add_i32 s19, s18, s16
	v_add_f64 v[48:49], v[120:121], -v[122:123]
	v_add_f64 v[120:121], v[46:47], -v[114:115]
	v_mov_b32_e32 v46, s19
	v_add_f64 v[118:119], v[48:49], -v[118:119]
	ds_read_b128 v[46:49], v46
	s_lshl_b32 s17, s17, 9
	s_add_i32 s18, s18, s17
	v_mov_b32_e32 v114, s18
	ds_read_b128 v[114:117], v114
	s_waitcnt lgkmcnt(1)
	v_mul_f64 v[122:123], v[48:49], v[40:41]
	v_fma_f64 v[122:123], v[46:47], v[38:39], -v[122:123]
	v_mul_f64 v[46:47], v[46:47], v[40:41]
	v_fmac_f64_e32 v[46:47], v[48:49], v[38:39]
	s_add_i32 s18, s5, -8
	v_add_f64 v[48:49], v[120:121], -v[46:47]
	s_lshl_b32 s19, s18, 4
	v_add_f64 v[118:119], v[118:119], -v[122:123]
	s_waitcnt lgkmcnt(0)
	v_mul_f64 v[46:47], v[116:117], v[48:49]
	s_add_i32 s20, s19, s6
	v_fma_f64 v[46:47], v[114:115], v[118:119], -v[46:47]
	v_mul_f64 v[48:49], v[114:115], v[48:49]
	v_mov_b32_e32 v114, s20
	v_fmac_f64_e32 v[48:49], v[116:117], v[118:119]
	ds_read_b128 v[114:117], v114
	v_add_u32_e32 v118, s17, v1
	s_add_i32 s20, s19, s10
	ds_write_b128 v118, v[46:49]
	v_mov_b32_e32 v118, s20
	ds_read_b128 v[118:121], v118
	s_waitcnt lgkmcnt(2)
	v_mul_f64 v[122:123], v[116:117], v[16:17]
	v_fma_f64 v[122:123], v[114:115], v[14:15], -v[122:123]
	v_mul_f64 v[114:115], v[114:115], v[16:17]
	v_fmac_f64_e32 v[114:115], v[116:117], v[14:15]
	v_add_f64 v[114:115], v[52:53], -v[114:115]
	s_waitcnt lgkmcnt(0)
	v_mul_f64 v[52:53], v[120:121], v[20:21]
	v_add_f64 v[50:51], v[50:51], -v[122:123]
	v_fma_f64 v[52:53], v[118:119], v[18:19], -v[52:53]
	s_add_i32 s20, s19, s11
	v_mul_f64 v[116:117], v[118:119], v[20:21]
	v_add_f64 v[118:119], v[50:51], -v[52:53]
	v_mov_b32_e32 v50, s20
	ds_read_b128 v[50:53], v50
	v_fmac_f64_e32 v[116:117], v[120:121], v[18:19]
	s_add_i32 s20, s19, s12
	v_add_f64 v[120:121], v[114:115], -v[116:117]
	v_mov_b32_e32 v114, s20
	ds_read_b128 v[114:117], v114
	s_waitcnt lgkmcnt(1)
	v_mul_f64 v[122:123], v[52:53], v[24:25]
	v_fma_f64 v[122:123], v[50:51], v[22:23], -v[122:123]
	v_mul_f64 v[50:51], v[50:51], v[24:25]
	v_fmac_f64_e32 v[50:51], v[52:53], v[22:23]
	v_add_f64 v[52:53], v[118:119], -v[122:123]
	v_add_f64 v[118:119], v[120:121], -v[50:51]
	s_waitcnt lgkmcnt(0)
	v_mul_f64 v[50:51], v[116:117], v[28:29]
	v_fma_f64 v[50:51], v[114:115], v[26:27], -v[50:51]
	s_add_i32 s20, s19, s14
	v_add_f64 v[120:121], v[52:53], -v[50:51]
	v_mov_b32_e32 v50, s20
	v_mul_f64 v[114:115], v[114:115], v[28:29]
	ds_read_b128 v[50:53], v50
	v_fmac_f64_e32 v[114:115], v[116:117], v[26:27]
	s_add_i32 s20, s19, s15
	v_add_f64 v[118:119], v[118:119], -v[114:115]
	v_mov_b32_e32 v114, s20
	ds_read_b128 v[114:117], v114
	s_waitcnt lgkmcnt(1)
	v_mul_f64 v[122:123], v[52:53], v[32:33]
	v_fma_f64 v[122:123], v[50:51], v[30:31], -v[122:123]
	v_mul_f64 v[50:51], v[50:51], v[32:33]
	v_fmac_f64_e32 v[50:51], v[52:53], v[30:31]
	v_add_f64 v[118:119], v[118:119], -v[50:51]
	s_waitcnt lgkmcnt(0)
	v_mul_f64 v[50:51], v[116:117], v[36:37]
	v_add_f64 v[52:53], v[120:121], -v[122:123]
	v_fma_f64 v[50:51], v[114:115], v[34:35], -v[50:51]
	s_add_i32 s20, s19, s16
	v_add_f64 v[120:121], v[52:53], -v[50:51]
	v_mov_b32_e32 v50, s20
	v_mul_f64 v[114:115], v[114:115], v[36:37]
	ds_read_b128 v[50:53], v50
	v_fmac_f64_e32 v[114:115], v[116:117], v[34:35]
	s_add_i32 s20, s19, s17
	v_add_f64 v[118:119], v[118:119], -v[114:115]
	v_mov_b32_e32 v114, s20
	ds_read_b128 v[114:117], v114
	s_waitcnt lgkmcnt(1)
	v_mul_f64 v[122:123], v[52:53], v[40:41]
	v_fma_f64 v[122:123], v[50:51], v[38:39], -v[122:123]
	v_mul_f64 v[50:51], v[50:51], v[40:41]
	v_fmac_f64_e32 v[50:51], v[52:53], v[38:39]
	v_add_f64 v[50:51], v[118:119], -v[50:51]
	s_waitcnt lgkmcnt(0)
	v_mul_f64 v[118:119], v[116:117], v[48:49]
	v_fma_f64 v[118:119], v[114:115], v[46:47], -v[118:119]
	v_mul_f64 v[114:115], v[114:115], v[48:49]
	s_lshl_b32 s18, s18, 9
	v_add_f64 v[52:53], v[120:121], -v[122:123]
	v_fmac_f64_e32 v[114:115], v[116:117], v[46:47]
	s_add_i32 s19, s19, s18
	v_add_f64 v[122:123], v[52:53], -v[118:119]
	v_add_f64 v[52:53], v[50:51], -v[114:115]
	v_mov_b32_e32 v50, s19
	s_add_i32 s19, s5, -9
	s_lshl_b32 s20, s19, 4
	ds_read_b128 v[114:117], v50
	s_add_i32 s21, s20, s6
	v_mov_b32_e32 v50, s21
	ds_read_b128 v[118:121], v50
	s_add_i32 s21, s20, s10
	s_waitcnt lgkmcnt(1)
	v_mul_f64 v[50:51], v[116:117], v[52:53]
	v_mul_f64 v[52:53], v[114:115], v[52:53]
	v_fma_f64 v[50:51], v[114:115], v[122:123], -v[50:51]
	v_fmac_f64_e32 v[52:53], v[116:117], v[122:123]
	v_add_u32_e32 v114, s18, v1
	ds_write_b128 v114, v[50:53]
	s_waitcnt lgkmcnt(1)
	v_mul_f64 v[114:115], v[120:121], v[16:17]
	v_fma_f64 v[114:115], v[118:119], v[14:15], -v[114:115]
	v_mul_f64 v[118:119], v[118:119], v[16:17]
	v_fmac_f64_e32 v[118:119], v[120:121], v[14:15]
	v_add_f64 v[120:121], v[54:55], -v[114:115]
	v_mov_b32_e32 v54, s21
	ds_read_b128 v[114:117], v54
	s_add_i32 s21, s20, s11
	v_mov_b32_e32 v54, s21
	v_add_f64 v[118:119], v[56:57], -v[118:119]
	ds_read_b128 v[54:57], v54
	s_waitcnt lgkmcnt(1)
	v_mul_f64 v[122:123], v[116:117], v[20:21]
	v_fma_f64 v[122:123], v[114:115], v[18:19], -v[122:123]
	v_mul_f64 v[114:115], v[114:115], v[20:21]
	v_fmac_f64_e32 v[114:115], v[116:117], v[18:19]
	v_add_f64 v[114:115], v[118:119], -v[114:115]
	s_waitcnt lgkmcnt(0)
	v_mul_f64 v[118:119], v[56:57], v[24:25]
	s_add_i32 s21, s20, s12
	v_add_f64 v[116:117], v[120:121], -v[122:123]
	v_fma_f64 v[118:119], v[54:55], v[22:23], -v[118:119]
	v_mul_f64 v[120:121], v[54:55], v[24:25]
	v_mov_b32_e32 v54, s21
	v_fmac_f64_e32 v[120:121], v[56:57], v[22:23]
	ds_read_b128 v[54:57], v54
	s_add_i32 s21, s20, s14
	v_add_f64 v[120:121], v[114:115], -v[120:121]
	v_mov_b32_e32 v114, s21
	v_add_f64 v[118:119], v[116:117], -v[118:119]
	ds_read_b128 v[114:117], v114
	s_waitcnt lgkmcnt(1)
	v_mul_f64 v[122:123], v[56:57], v[28:29]
	v_fma_f64 v[122:123], v[54:55], v[26:27], -v[122:123]
	v_mul_f64 v[54:55], v[54:55], v[28:29]
	v_fmac_f64_e32 v[54:55], v[56:57], v[26:27]
	v_add_f64 v[56:57], v[118:119], -v[122:123]
	v_add_f64 v[118:119], v[120:121], -v[54:55]
	s_waitcnt lgkmcnt(0)
	v_mul_f64 v[54:55], v[116:117], v[32:33]
	v_fma_f64 v[54:55], v[114:115], v[30:31], -v[54:55]
	s_add_i32 s21, s20, s15
	v_add_f64 v[120:121], v[56:57], -v[54:55]
	v_mov_b32_e32 v54, s21
	v_mul_f64 v[114:115], v[114:115], v[32:33]
	ds_read_b128 v[54:57], v54
	v_fmac_f64_e32 v[114:115], v[116:117], v[30:31]
	s_add_i32 s21, s20, s16
	v_add_f64 v[118:119], v[118:119], -v[114:115]
	v_mov_b32_e32 v114, s21
	ds_read_b128 v[114:117], v114
	s_waitcnt lgkmcnt(1)
	v_mul_f64 v[122:123], v[56:57], v[36:37]
	v_fma_f64 v[122:123], v[54:55], v[34:35], -v[122:123]
	v_mul_f64 v[54:55], v[54:55], v[36:37]
	v_fmac_f64_e32 v[54:55], v[56:57], v[34:35]
	v_add_f64 v[118:119], v[118:119], -v[54:55]
	s_waitcnt lgkmcnt(0)
	v_mul_f64 v[54:55], v[116:117], v[40:41]
	v_add_f64 v[56:57], v[120:121], -v[122:123]
	v_fma_f64 v[54:55], v[114:115], v[38:39], -v[54:55]
	s_add_i32 s21, s20, s17
	v_add_f64 v[120:121], v[56:57], -v[54:55]
	v_mov_b32_e32 v54, s21
	v_mul_f64 v[114:115], v[114:115], v[40:41]
	ds_read_b128 v[54:57], v54
	v_fmac_f64_e32 v[114:115], v[116:117], v[38:39]
	s_add_i32 s21, s20, s18
	v_add_f64 v[118:119], v[118:119], -v[114:115]
	v_mov_b32_e32 v114, s21
	ds_read_b128 v[114:117], v114
	s_waitcnt lgkmcnt(1)
	v_mul_f64 v[122:123], v[56:57], v[48:49]
	v_fma_f64 v[122:123], v[54:55], v[46:47], -v[122:123]
	v_mul_f64 v[54:55], v[54:55], v[48:49]
	v_fmac_f64_e32 v[54:55], v[56:57], v[46:47]
	v_add_f64 v[54:55], v[118:119], -v[54:55]
	s_waitcnt lgkmcnt(0)
	v_mul_f64 v[118:119], v[116:117], v[52:53]
	v_fma_f64 v[118:119], v[114:115], v[50:51], -v[118:119]
	v_mul_f64 v[114:115], v[114:115], v[52:53]
	s_lshl_b32 s19, s19, 9
	v_add_f64 v[56:57], v[120:121], -v[122:123]
	v_fmac_f64_e32 v[114:115], v[116:117], v[50:51]
	s_add_i32 s20, s20, s19
	v_add_f64 v[122:123], v[56:57], -v[118:119]
	v_add_f64 v[56:57], v[54:55], -v[114:115]
	v_mov_b32_e32 v54, s20
	s_add_i32 s20, s5, -10
	s_lshl_b32 s21, s20, 4
	ds_read_b128 v[114:117], v54
	s_add_i32 s22, s21, s6
	v_mov_b32_e32 v54, s22
	ds_read_b128 v[118:121], v54
	s_add_i32 s22, s21, s10
	s_waitcnt lgkmcnt(1)
	v_mul_f64 v[54:55], v[116:117], v[56:57]
	v_mul_f64 v[56:57], v[114:115], v[56:57]
	v_fma_f64 v[54:55], v[114:115], v[122:123], -v[54:55]
	v_fmac_f64_e32 v[56:57], v[116:117], v[122:123]
	v_add_u32_e32 v114, s19, v1
	ds_write_b128 v114, v[54:57]
	s_waitcnt lgkmcnt(1)
	v_mul_f64 v[114:115], v[120:121], v[16:17]
	v_fma_f64 v[114:115], v[118:119], v[14:15], -v[114:115]
	v_mul_f64 v[118:119], v[118:119], v[16:17]
	v_fmac_f64_e32 v[118:119], v[120:121], v[14:15]
	v_add_f64 v[120:121], v[62:63], -v[114:115]
	v_mov_b32_e32 v62, s22
	ds_read_b128 v[114:117], v62
	s_add_i32 s22, s21, s11
	v_mov_b32_e32 v62, s22
	v_add_f64 v[118:119], v[64:65], -v[118:119]
	ds_read_b128 v[62:65], v62
	s_waitcnt lgkmcnt(1)
	v_mul_f64 v[122:123], v[116:117], v[20:21]
	v_fma_f64 v[122:123], v[114:115], v[18:19], -v[122:123]
	v_mul_f64 v[114:115], v[114:115], v[20:21]
	v_fmac_f64_e32 v[114:115], v[116:117], v[18:19]
	v_add_f64 v[114:115], v[118:119], -v[114:115]
	s_waitcnt lgkmcnt(0)
	v_mul_f64 v[118:119], v[64:65], v[24:25]
	s_add_i32 s22, s21, s12
	v_add_f64 v[116:117], v[120:121], -v[122:123]
	v_fma_f64 v[118:119], v[62:63], v[22:23], -v[118:119]
	v_mul_f64 v[120:121], v[62:63], v[24:25]
	v_mov_b32_e32 v62, s22
	v_fmac_f64_e32 v[120:121], v[64:65], v[22:23]
	ds_read_b128 v[62:65], v62
	s_add_i32 s22, s21, s14
	v_add_f64 v[120:121], v[114:115], -v[120:121]
	v_mov_b32_e32 v114, s22
	v_add_f64 v[118:119], v[116:117], -v[118:119]
	ds_read_b128 v[114:117], v114
	s_waitcnt lgkmcnt(1)
	v_mul_f64 v[122:123], v[64:65], v[28:29]
	v_fma_f64 v[122:123], v[62:63], v[26:27], -v[122:123]
	v_mul_f64 v[62:63], v[62:63], v[28:29]
	v_fmac_f64_e32 v[62:63], v[64:65], v[26:27]
	v_add_f64 v[64:65], v[118:119], -v[122:123]
	v_add_f64 v[118:119], v[120:121], -v[62:63]
	s_waitcnt lgkmcnt(0)
	v_mul_f64 v[62:63], v[116:117], v[32:33]
	v_fma_f64 v[62:63], v[114:115], v[30:31], -v[62:63]
	s_add_i32 s22, s21, s15
	v_add_f64 v[120:121], v[64:65], -v[62:63]
	v_mov_b32_e32 v62, s22
	v_mul_f64 v[114:115], v[114:115], v[32:33]
	ds_read_b128 v[62:65], v62
	v_fmac_f64_e32 v[114:115], v[116:117], v[30:31]
	s_add_i32 s22, s21, s16
	v_add_f64 v[118:119], v[118:119], -v[114:115]
	v_mov_b32_e32 v114, s22
	ds_read_b128 v[114:117], v114
	s_waitcnt lgkmcnt(1)
	v_mul_f64 v[122:123], v[64:65], v[36:37]
	v_fma_f64 v[122:123], v[62:63], v[34:35], -v[122:123]
	v_mul_f64 v[62:63], v[62:63], v[36:37]
	v_fmac_f64_e32 v[62:63], v[64:65], v[34:35]
	v_add_f64 v[118:119], v[118:119], -v[62:63]
	s_waitcnt lgkmcnt(0)
	v_mul_f64 v[62:63], v[116:117], v[40:41]
	v_add_f64 v[64:65], v[120:121], -v[122:123]
	v_fma_f64 v[62:63], v[114:115], v[38:39], -v[62:63]
	s_add_i32 s22, s21, s17
	v_add_f64 v[120:121], v[64:65], -v[62:63]
	v_mov_b32_e32 v62, s22
	v_mul_f64 v[114:115], v[114:115], v[40:41]
	ds_read_b128 v[62:65], v62
	v_fmac_f64_e32 v[114:115], v[116:117], v[38:39]
	s_add_i32 s22, s21, s18
	v_add_f64 v[118:119], v[118:119], -v[114:115]
	v_mov_b32_e32 v114, s22
	ds_read_b128 v[114:117], v114
	s_waitcnt lgkmcnt(1)
	v_mul_f64 v[122:123], v[64:65], v[48:49]
	v_fma_f64 v[122:123], v[62:63], v[46:47], -v[122:123]
	v_mul_f64 v[62:63], v[62:63], v[48:49]
	v_fmac_f64_e32 v[62:63], v[64:65], v[46:47]
	v_add_f64 v[62:63], v[118:119], -v[62:63]
	s_waitcnt lgkmcnt(0)
	v_mul_f64 v[118:119], v[116:117], v[52:53]
	v_fma_f64 v[118:119], v[114:115], v[50:51], -v[118:119]
	v_mul_f64 v[114:115], v[114:115], v[52:53]
	v_fmac_f64_e32 v[114:115], v[116:117], v[50:51]
	s_add_i32 s22, s21, s19
	v_add_f64 v[64:65], v[120:121], -v[122:123]
	v_add_f64 v[120:121], v[62:63], -v[114:115]
	v_mov_b32_e32 v62, s22
	v_add_f64 v[118:119], v[64:65], -v[118:119]
	ds_read_b128 v[62:65], v62
	s_lshl_b32 s20, s20, 9
	s_add_i32 s21, s21, s20
	v_mov_b32_e32 v114, s21
	ds_read_b128 v[114:117], v114
	s_waitcnt lgkmcnt(1)
	v_mul_f64 v[122:123], v[64:65], v[56:57]
	v_fma_f64 v[122:123], v[62:63], v[54:55], -v[122:123]
	v_mul_f64 v[62:63], v[62:63], v[56:57]
	v_fmac_f64_e32 v[62:63], v[64:65], v[54:55]
	s_add_i32 s21, s5, -11
	v_add_f64 v[64:65], v[120:121], -v[62:63]
	s_lshl_b32 s22, s21, 4
	v_add_f64 v[118:119], v[118:119], -v[122:123]
	s_waitcnt lgkmcnt(0)
	v_mul_f64 v[62:63], v[116:117], v[64:65]
	s_add_i32 s23, s22, s6
	v_fma_f64 v[62:63], v[114:115], v[118:119], -v[62:63]
	v_mul_f64 v[64:65], v[114:115], v[64:65]
	v_mov_b32_e32 v114, s23
	v_fmac_f64_e32 v[64:65], v[116:117], v[118:119]
	ds_read_b128 v[114:117], v114
	v_add_u32_e32 v118, s20, v1
	s_add_i32 s23, s22, s10
	ds_write_b128 v118, v[62:65]
	v_mov_b32_e32 v118, s23
	ds_read_b128 v[118:121], v118
	s_waitcnt lgkmcnt(2)
	v_mul_f64 v[122:123], v[116:117], v[16:17]
	v_fma_f64 v[122:123], v[114:115], v[14:15], -v[122:123]
	v_mul_f64 v[114:115], v[114:115], v[16:17]
	v_fmac_f64_e32 v[114:115], v[116:117], v[14:15]
	v_add_f64 v[114:115], v[68:69], -v[114:115]
	s_waitcnt lgkmcnt(0)
	v_mul_f64 v[68:69], v[120:121], v[20:21]
	v_add_f64 v[66:67], v[66:67], -v[122:123]
	v_fma_f64 v[68:69], v[118:119], v[18:19], -v[68:69]
	s_add_i32 s23, s22, s11
	v_mul_f64 v[116:117], v[118:119], v[20:21]
	v_add_f64 v[118:119], v[66:67], -v[68:69]
	v_mov_b32_e32 v66, s23
	ds_read_b128 v[66:69], v66
	v_fmac_f64_e32 v[116:117], v[120:121], v[18:19]
	s_add_i32 s23, s22, s12
	v_add_f64 v[120:121], v[114:115], -v[116:117]
	v_mov_b32_e32 v114, s23
	ds_read_b128 v[114:117], v114
	s_waitcnt lgkmcnt(1)
	v_mul_f64 v[122:123], v[68:69], v[24:25]
	v_fma_f64 v[122:123], v[66:67], v[22:23], -v[122:123]
	v_mul_f64 v[66:67], v[66:67], v[24:25]
	v_fmac_f64_e32 v[66:67], v[68:69], v[22:23]
	v_add_f64 v[68:69], v[118:119], -v[122:123]
	v_add_f64 v[118:119], v[120:121], -v[66:67]
	s_waitcnt lgkmcnt(0)
	v_mul_f64 v[66:67], v[116:117], v[28:29]
	v_fma_f64 v[66:67], v[114:115], v[26:27], -v[66:67]
	s_add_i32 s23, s22, s14
	v_add_f64 v[120:121], v[68:69], -v[66:67]
	v_mov_b32_e32 v66, s23
	v_mul_f64 v[114:115], v[114:115], v[28:29]
	ds_read_b128 v[66:69], v66
	v_fmac_f64_e32 v[114:115], v[116:117], v[26:27]
	s_add_i32 s23, s22, s15
	v_add_f64 v[118:119], v[118:119], -v[114:115]
	v_mov_b32_e32 v114, s23
	ds_read_b128 v[114:117], v114
	s_waitcnt lgkmcnt(1)
	v_mul_f64 v[122:123], v[68:69], v[32:33]
	v_fma_f64 v[122:123], v[66:67], v[30:31], -v[122:123]
	v_mul_f64 v[66:67], v[66:67], v[32:33]
	v_fmac_f64_e32 v[66:67], v[68:69], v[30:31]
	v_add_f64 v[118:119], v[118:119], -v[66:67]
	s_waitcnt lgkmcnt(0)
	v_mul_f64 v[66:67], v[116:117], v[36:37]
	v_add_f64 v[68:69], v[120:121], -v[122:123]
	v_fma_f64 v[66:67], v[114:115], v[34:35], -v[66:67]
	s_add_i32 s23, s22, s16
	v_add_f64 v[120:121], v[68:69], -v[66:67]
	v_mov_b32_e32 v66, s23
	v_mul_f64 v[114:115], v[114:115], v[36:37]
	ds_read_b128 v[66:69], v66
	v_fmac_f64_e32 v[114:115], v[116:117], v[34:35]
	s_add_i32 s23, s22, s17
	v_add_f64 v[118:119], v[118:119], -v[114:115]
	v_mov_b32_e32 v114, s23
	ds_read_b128 v[114:117], v114
	s_waitcnt lgkmcnt(1)
	v_mul_f64 v[122:123], v[68:69], v[40:41]
	v_fma_f64 v[122:123], v[66:67], v[38:39], -v[122:123]
	v_mul_f64 v[66:67], v[66:67], v[40:41]
	v_fmac_f64_e32 v[66:67], v[68:69], v[38:39]
	v_add_f64 v[118:119], v[118:119], -v[66:67]
	s_waitcnt lgkmcnt(0)
	v_mul_f64 v[66:67], v[116:117], v[48:49]
	v_add_f64 v[68:69], v[120:121], -v[122:123]
	v_fma_f64 v[66:67], v[114:115], v[46:47], -v[66:67]
	s_add_i32 s23, s22, s18
	v_add_f64 v[120:121], v[68:69], -v[66:67]
	v_mov_b32_e32 v66, s23
	v_mul_f64 v[114:115], v[114:115], v[48:49]
	ds_read_b128 v[66:69], v66
	v_fmac_f64_e32 v[114:115], v[116:117], v[46:47]
	s_add_i32 s23, s22, s19
	v_add_f64 v[118:119], v[118:119], -v[114:115]
	v_mov_b32_e32 v114, s23
	ds_read_b128 v[114:117], v114
	s_waitcnt lgkmcnt(1)
	v_mul_f64 v[122:123], v[68:69], v[52:53]
	v_fma_f64 v[122:123], v[66:67], v[50:51], -v[122:123]
	v_mul_f64 v[66:67], v[66:67], v[52:53]
	v_fmac_f64_e32 v[66:67], v[68:69], v[50:51]
	v_add_f64 v[66:67], v[118:119], -v[66:67]
	s_waitcnt lgkmcnt(0)
	v_mul_f64 v[118:119], v[116:117], v[56:57]
	v_fma_f64 v[118:119], v[114:115], v[54:55], -v[118:119]
	v_mul_f64 v[114:115], v[114:115], v[56:57]
	v_fmac_f64_e32 v[114:115], v[116:117], v[54:55]
	s_add_i32 s23, s22, s20
	v_add_f64 v[68:69], v[120:121], -v[122:123]
	v_add_f64 v[120:121], v[66:67], -v[114:115]
	v_mov_b32_e32 v66, s23
	v_add_f64 v[118:119], v[68:69], -v[118:119]
	ds_read_b128 v[66:69], v66
	s_lshl_b32 s21, s21, 9
	s_add_i32 s22, s22, s21
	v_mov_b32_e32 v114, s22
	ds_read_b128 v[114:117], v114
	s_waitcnt lgkmcnt(1)
	v_mul_f64 v[122:123], v[68:69], v[64:65]
	v_fma_f64 v[122:123], v[66:67], v[62:63], -v[122:123]
	v_mul_f64 v[66:67], v[66:67], v[64:65]
	v_fmac_f64_e32 v[66:67], v[68:69], v[62:63]
	s_add_i32 s22, s5, -12
	v_add_f64 v[68:69], v[120:121], -v[66:67]
	s_lshl_b32 s23, s22, 4
	v_add_f64 v[118:119], v[118:119], -v[122:123]
	s_waitcnt lgkmcnt(0)
	v_mul_f64 v[66:67], v[116:117], v[68:69]
	s_add_i32 s25, s23, s6
	v_fma_f64 v[66:67], v[114:115], v[118:119], -v[66:67]
	v_mul_f64 v[68:69], v[114:115], v[68:69]
	v_mov_b32_e32 v114, s25
	v_fmac_f64_e32 v[68:69], v[116:117], v[118:119]
	ds_read_b128 v[114:117], v114
	v_add_u32_e32 v118, s21, v1
	s_add_i32 s25, s23, s10
	ds_write_b128 v118, v[66:69]
	v_mov_b32_e32 v118, s25
	ds_read_b128 v[118:121], v118
	s_waitcnt lgkmcnt(2)
	v_mul_f64 v[122:123], v[116:117], v[16:17]
	v_fma_f64 v[122:123], v[114:115], v[14:15], -v[122:123]
	v_mul_f64 v[114:115], v[114:115], v[16:17]
	v_fmac_f64_e32 v[114:115], v[116:117], v[14:15]
	v_add_f64 v[114:115], v[76:77], -v[114:115]
	s_waitcnt lgkmcnt(0)
	v_mul_f64 v[76:77], v[120:121], v[20:21]
	v_add_f64 v[74:75], v[74:75], -v[122:123]
	v_fma_f64 v[76:77], v[118:119], v[18:19], -v[76:77]
	s_add_i32 s25, s23, s11
	v_mul_f64 v[116:117], v[118:119], v[20:21]
	v_add_f64 v[118:119], v[74:75], -v[76:77]
	v_mov_b32_e32 v74, s25
	ds_read_b128 v[74:77], v74
	v_fmac_f64_e32 v[116:117], v[120:121], v[18:19]
	s_add_i32 s25, s23, s12
	v_add_f64 v[120:121], v[114:115], -v[116:117]
	v_mov_b32_e32 v114, s25
	ds_read_b128 v[114:117], v114
	s_waitcnt lgkmcnt(1)
	v_mul_f64 v[122:123], v[76:77], v[24:25]
	v_fma_f64 v[122:123], v[74:75], v[22:23], -v[122:123]
	v_mul_f64 v[74:75], v[74:75], v[24:25]
	v_fmac_f64_e32 v[74:75], v[76:77], v[22:23]
	v_add_f64 v[76:77], v[118:119], -v[122:123]
	v_add_f64 v[118:119], v[120:121], -v[74:75]
	s_waitcnt lgkmcnt(0)
	v_mul_f64 v[74:75], v[116:117], v[28:29]
	v_fma_f64 v[74:75], v[114:115], v[26:27], -v[74:75]
	s_add_i32 s25, s23, s14
	v_add_f64 v[120:121], v[76:77], -v[74:75]
	v_mov_b32_e32 v74, s25
	v_mul_f64 v[114:115], v[114:115], v[28:29]
	ds_read_b128 v[74:77], v74
	v_fmac_f64_e32 v[114:115], v[116:117], v[26:27]
	s_add_i32 s25, s23, s15
	v_add_f64 v[118:119], v[118:119], -v[114:115]
	v_mov_b32_e32 v114, s25
	ds_read_b128 v[114:117], v114
	s_waitcnt lgkmcnt(1)
	v_mul_f64 v[122:123], v[76:77], v[32:33]
	v_fma_f64 v[122:123], v[74:75], v[30:31], -v[122:123]
	v_mul_f64 v[74:75], v[74:75], v[32:33]
	v_fmac_f64_e32 v[74:75], v[76:77], v[30:31]
	v_add_f64 v[118:119], v[118:119], -v[74:75]
	s_waitcnt lgkmcnt(0)
	v_mul_f64 v[74:75], v[116:117], v[36:37]
	v_add_f64 v[76:77], v[120:121], -v[122:123]
	v_fma_f64 v[74:75], v[114:115], v[34:35], -v[74:75]
	s_add_i32 s25, s23, s16
	v_add_f64 v[120:121], v[76:77], -v[74:75]
	v_mov_b32_e32 v74, s25
	v_mul_f64 v[114:115], v[114:115], v[36:37]
	ds_read_b128 v[74:77], v74
	v_fmac_f64_e32 v[114:115], v[116:117], v[34:35]
	s_add_i32 s25, s23, s17
	v_add_f64 v[118:119], v[118:119], -v[114:115]
	v_mov_b32_e32 v114, s25
	ds_read_b128 v[114:117], v114
	s_waitcnt lgkmcnt(1)
	v_mul_f64 v[122:123], v[76:77], v[40:41]
	v_fma_f64 v[122:123], v[74:75], v[38:39], -v[122:123]
	v_mul_f64 v[74:75], v[74:75], v[40:41]
	v_fmac_f64_e32 v[74:75], v[76:77], v[38:39]
	v_add_f64 v[118:119], v[118:119], -v[74:75]
	s_waitcnt lgkmcnt(0)
	v_mul_f64 v[74:75], v[116:117], v[48:49]
	v_add_f64 v[76:77], v[120:121], -v[122:123]
	v_fma_f64 v[74:75], v[114:115], v[46:47], -v[74:75]
	s_add_i32 s25, s23, s18
	v_add_f64 v[120:121], v[76:77], -v[74:75]
	v_mov_b32_e32 v74, s25
	v_mul_f64 v[114:115], v[114:115], v[48:49]
	ds_read_b128 v[74:77], v74
	v_fmac_f64_e32 v[114:115], v[116:117], v[46:47]
	s_add_i32 s25, s23, s19
	v_add_f64 v[118:119], v[118:119], -v[114:115]
	v_mov_b32_e32 v114, s25
	ds_read_b128 v[114:117], v114
	s_waitcnt lgkmcnt(1)
	v_mul_f64 v[122:123], v[76:77], v[52:53]
	v_fma_f64 v[122:123], v[74:75], v[50:51], -v[122:123]
	v_mul_f64 v[74:75], v[74:75], v[52:53]
	v_fmac_f64_e32 v[74:75], v[76:77], v[50:51]
	v_add_f64 v[118:119], v[118:119], -v[74:75]
	s_waitcnt lgkmcnt(0)
	v_mul_f64 v[74:75], v[116:117], v[56:57]
	v_add_f64 v[76:77], v[120:121], -v[122:123]
	v_fma_f64 v[74:75], v[114:115], v[54:55], -v[74:75]
	s_add_i32 s25, s23, s20
	v_add_f64 v[120:121], v[76:77], -v[74:75]
	v_mov_b32_e32 v74, s25
	v_mul_f64 v[114:115], v[114:115], v[56:57]
	ds_read_b128 v[74:77], v74
	v_fmac_f64_e32 v[114:115], v[116:117], v[54:55]
	s_add_i32 s25, s23, s21
	v_add_f64 v[118:119], v[118:119], -v[114:115]
	v_mov_b32_e32 v114, s25
	ds_read_b128 v[114:117], v114
	s_waitcnt lgkmcnt(1)
	v_mul_f64 v[122:123], v[76:77], v[64:65]
	v_fma_f64 v[122:123], v[74:75], v[62:63], -v[122:123]
	v_mul_f64 v[74:75], v[74:75], v[64:65]
	v_fmac_f64_e32 v[74:75], v[76:77], v[62:63]
	v_add_f64 v[74:75], v[118:119], -v[74:75]
	s_waitcnt lgkmcnt(0)
	v_mul_f64 v[118:119], v[116:117], v[68:69]
	v_fma_f64 v[118:119], v[114:115], v[66:67], -v[118:119]
	v_mul_f64 v[114:115], v[114:115], v[68:69]
	s_lshl_b32 s22, s22, 9
	v_add_f64 v[76:77], v[120:121], -v[122:123]
	v_fmac_f64_e32 v[114:115], v[116:117], v[66:67]
	s_add_i32 s23, s23, s22
	v_add_f64 v[122:123], v[76:77], -v[118:119]
	v_add_f64 v[76:77], v[74:75], -v[114:115]
	v_mov_b32_e32 v74, s23
	s_add_i32 s23, s5, -13
	s_lshl_b32 s25, s23, 4
	ds_read_b128 v[114:117], v74
	s_add_i32 s26, s25, s6
	v_mov_b32_e32 v74, s26
	ds_read_b128 v[118:121], v74
	s_add_i32 s26, s25, s10
	s_waitcnt lgkmcnt(1)
	v_mul_f64 v[74:75], v[116:117], v[76:77]
	v_mul_f64 v[76:77], v[114:115], v[76:77]
	v_fma_f64 v[74:75], v[114:115], v[122:123], -v[74:75]
	v_fmac_f64_e32 v[76:77], v[116:117], v[122:123]
	v_add_u32_e32 v114, s22, v1
	ds_write_b128 v114, v[74:77]
	s_waitcnt lgkmcnt(1)
	v_mul_f64 v[114:115], v[120:121], v[16:17]
	v_fma_f64 v[114:115], v[118:119], v[14:15], -v[114:115]
	v_mul_f64 v[118:119], v[118:119], v[16:17]
	v_fmac_f64_e32 v[118:119], v[120:121], v[14:15]
	v_add_f64 v[120:121], v[82:83], -v[114:115]
	v_mov_b32_e32 v82, s26
	ds_read_b128 v[114:117], v82
	s_add_i32 s26, s25, s11
	v_mov_b32_e32 v82, s26
	v_add_f64 v[118:119], v[84:85], -v[118:119]
	ds_read_b128 v[82:85], v82
	s_waitcnt lgkmcnt(1)
	v_mul_f64 v[122:123], v[116:117], v[20:21]
	v_fma_f64 v[122:123], v[114:115], v[18:19], -v[122:123]
	v_mul_f64 v[114:115], v[114:115], v[20:21]
	v_fmac_f64_e32 v[114:115], v[116:117], v[18:19]
	v_add_f64 v[114:115], v[118:119], -v[114:115]
	s_waitcnt lgkmcnt(0)
	v_mul_f64 v[118:119], v[84:85], v[24:25]
	s_add_i32 s26, s25, s12
	v_add_f64 v[116:117], v[120:121], -v[122:123]
	v_fma_f64 v[118:119], v[82:83], v[22:23], -v[118:119]
	v_mul_f64 v[120:121], v[82:83], v[24:25]
	v_mov_b32_e32 v82, s26
	v_fmac_f64_e32 v[120:121], v[84:85], v[22:23]
	ds_read_b128 v[82:85], v82
	s_add_i32 s26, s25, s14
	v_add_f64 v[120:121], v[114:115], -v[120:121]
	v_mov_b32_e32 v114, s26
	v_add_f64 v[118:119], v[116:117], -v[118:119]
	ds_read_b128 v[114:117], v114
	s_waitcnt lgkmcnt(1)
	v_mul_f64 v[122:123], v[84:85], v[28:29]
	v_fma_f64 v[122:123], v[82:83], v[26:27], -v[122:123]
	v_mul_f64 v[82:83], v[82:83], v[28:29]
	v_fmac_f64_e32 v[82:83], v[84:85], v[26:27]
	v_add_f64 v[84:85], v[118:119], -v[122:123]
	v_add_f64 v[118:119], v[120:121], -v[82:83]
	s_waitcnt lgkmcnt(0)
	v_mul_f64 v[82:83], v[116:117], v[32:33]
	v_fma_f64 v[82:83], v[114:115], v[30:31], -v[82:83]
	s_add_i32 s26, s25, s15
	v_add_f64 v[120:121], v[84:85], -v[82:83]
	v_mov_b32_e32 v82, s26
	v_mul_f64 v[114:115], v[114:115], v[32:33]
	ds_read_b128 v[82:85], v82
	v_fmac_f64_e32 v[114:115], v[116:117], v[30:31]
	s_add_i32 s26, s25, s16
	v_add_f64 v[118:119], v[118:119], -v[114:115]
	v_mov_b32_e32 v114, s26
	ds_read_b128 v[114:117], v114
	s_waitcnt lgkmcnt(1)
	v_mul_f64 v[122:123], v[84:85], v[36:37]
	v_fma_f64 v[122:123], v[82:83], v[34:35], -v[122:123]
	v_mul_f64 v[82:83], v[82:83], v[36:37]
	v_fmac_f64_e32 v[82:83], v[84:85], v[34:35]
	v_add_f64 v[118:119], v[118:119], -v[82:83]
	s_waitcnt lgkmcnt(0)
	v_mul_f64 v[82:83], v[116:117], v[40:41]
	v_add_f64 v[84:85], v[120:121], -v[122:123]
	v_fma_f64 v[82:83], v[114:115], v[38:39], -v[82:83]
	s_add_i32 s26, s25, s17
	v_add_f64 v[120:121], v[84:85], -v[82:83]
	v_mov_b32_e32 v82, s26
	v_mul_f64 v[114:115], v[114:115], v[40:41]
	ds_read_b128 v[82:85], v82
	v_fmac_f64_e32 v[114:115], v[116:117], v[38:39]
	s_add_i32 s26, s25, s18
	v_add_f64 v[118:119], v[118:119], -v[114:115]
	v_mov_b32_e32 v114, s26
	ds_read_b128 v[114:117], v114
	s_waitcnt lgkmcnt(1)
	v_mul_f64 v[122:123], v[84:85], v[48:49]
	v_fma_f64 v[122:123], v[82:83], v[46:47], -v[122:123]
	v_mul_f64 v[82:83], v[82:83], v[48:49]
	v_fmac_f64_e32 v[82:83], v[84:85], v[46:47]
	v_add_f64 v[118:119], v[118:119], -v[82:83]
	s_waitcnt lgkmcnt(0)
	v_mul_f64 v[82:83], v[116:117], v[52:53]
	v_add_f64 v[84:85], v[120:121], -v[122:123]
	;; [unrolled: 20-line block ×3, first 2 shown]
	v_fma_f64 v[82:83], v[114:115], v[62:63], -v[82:83]
	s_add_i32 s26, s25, s21
	v_add_f64 v[120:121], v[84:85], -v[82:83]
	v_mov_b32_e32 v82, s26
	v_mul_f64 v[114:115], v[114:115], v[64:65]
	ds_read_b128 v[82:85], v82
	v_fmac_f64_e32 v[114:115], v[116:117], v[62:63]
	s_add_i32 s26, s25, s22
	v_add_f64 v[118:119], v[118:119], -v[114:115]
	v_mov_b32_e32 v114, s26
	ds_read_b128 v[114:117], v114
	s_waitcnt lgkmcnt(1)
	v_mul_f64 v[122:123], v[84:85], v[68:69]
	v_fma_f64 v[122:123], v[82:83], v[66:67], -v[122:123]
	v_mul_f64 v[82:83], v[82:83], v[68:69]
	v_fmac_f64_e32 v[82:83], v[84:85], v[66:67]
	v_add_f64 v[82:83], v[118:119], -v[82:83]
	s_waitcnt lgkmcnt(0)
	v_mul_f64 v[118:119], v[116:117], v[76:77]
	v_fma_f64 v[118:119], v[114:115], v[74:75], -v[118:119]
	v_mul_f64 v[114:115], v[114:115], v[76:77]
	s_lshl_b32 s23, s23, 9
	v_add_f64 v[84:85], v[120:121], -v[122:123]
	v_fmac_f64_e32 v[114:115], v[116:117], v[74:75]
	s_add_i32 s25, s25, s23
	v_add_f64 v[122:123], v[84:85], -v[118:119]
	v_add_f64 v[84:85], v[82:83], -v[114:115]
	v_mov_b32_e32 v82, s25
	s_add_i32 s25, s5, -14
	s_lshl_b32 s26, s25, 4
	ds_read_b128 v[114:117], v82
	s_add_i32 s27, s26, s6
	v_mov_b32_e32 v82, s27
	ds_read_b128 v[118:121], v82
	s_add_i32 s27, s26, s10
	s_waitcnt lgkmcnt(1)
	v_mul_f64 v[82:83], v[116:117], v[84:85]
	v_mul_f64 v[84:85], v[114:115], v[84:85]
	v_fma_f64 v[82:83], v[114:115], v[122:123], -v[82:83]
	v_fmac_f64_e32 v[84:85], v[116:117], v[122:123]
	v_add_u32_e32 v114, s23, v1
	ds_write_b128 v114, v[82:85]
	s_waitcnt lgkmcnt(1)
	v_mul_f64 v[114:115], v[120:121], v[16:17]
	v_fma_f64 v[114:115], v[118:119], v[14:15], -v[114:115]
	v_mul_f64 v[118:119], v[118:119], v[16:17]
	v_fmac_f64_e32 v[118:119], v[120:121], v[14:15]
	v_add_f64 v[120:121], v[86:87], -v[114:115]
	v_mov_b32_e32 v86, s27
	ds_read_b128 v[114:117], v86
	s_add_i32 s27, s26, s11
	v_mov_b32_e32 v86, s27
	v_add_f64 v[118:119], v[88:89], -v[118:119]
	ds_read_b128 v[86:89], v86
	s_waitcnt lgkmcnt(1)
	v_mul_f64 v[122:123], v[116:117], v[20:21]
	v_fma_f64 v[122:123], v[114:115], v[18:19], -v[122:123]
	v_mul_f64 v[114:115], v[114:115], v[20:21]
	v_fmac_f64_e32 v[114:115], v[116:117], v[18:19]
	v_add_f64 v[114:115], v[118:119], -v[114:115]
	s_waitcnt lgkmcnt(0)
	v_mul_f64 v[118:119], v[88:89], v[24:25]
	s_add_i32 s27, s26, s12
	v_add_f64 v[116:117], v[120:121], -v[122:123]
	v_fma_f64 v[118:119], v[86:87], v[22:23], -v[118:119]
	v_mul_f64 v[120:121], v[86:87], v[24:25]
	v_mov_b32_e32 v86, s27
	v_fmac_f64_e32 v[120:121], v[88:89], v[22:23]
	ds_read_b128 v[86:89], v86
	s_add_i32 s27, s26, s14
	v_add_f64 v[120:121], v[114:115], -v[120:121]
	v_mov_b32_e32 v114, s27
	v_add_f64 v[118:119], v[116:117], -v[118:119]
	ds_read_b128 v[114:117], v114
	s_waitcnt lgkmcnt(1)
	v_mul_f64 v[122:123], v[88:89], v[28:29]
	v_fma_f64 v[122:123], v[86:87], v[26:27], -v[122:123]
	v_mul_f64 v[86:87], v[86:87], v[28:29]
	v_fmac_f64_e32 v[86:87], v[88:89], v[26:27]
	v_add_f64 v[88:89], v[118:119], -v[122:123]
	v_add_f64 v[118:119], v[120:121], -v[86:87]
	s_waitcnt lgkmcnt(0)
	v_mul_f64 v[86:87], v[116:117], v[32:33]
	v_fma_f64 v[86:87], v[114:115], v[30:31], -v[86:87]
	s_add_i32 s27, s26, s15
	v_add_f64 v[120:121], v[88:89], -v[86:87]
	v_mov_b32_e32 v86, s27
	v_mul_f64 v[114:115], v[114:115], v[32:33]
	ds_read_b128 v[86:89], v86
	v_fmac_f64_e32 v[114:115], v[116:117], v[30:31]
	s_add_i32 s27, s26, s16
	v_add_f64 v[118:119], v[118:119], -v[114:115]
	v_mov_b32_e32 v114, s27
	ds_read_b128 v[114:117], v114
	s_waitcnt lgkmcnt(1)
	v_mul_f64 v[122:123], v[88:89], v[36:37]
	v_fma_f64 v[122:123], v[86:87], v[34:35], -v[122:123]
	v_mul_f64 v[86:87], v[86:87], v[36:37]
	v_fmac_f64_e32 v[86:87], v[88:89], v[34:35]
	v_add_f64 v[118:119], v[118:119], -v[86:87]
	s_waitcnt lgkmcnt(0)
	v_mul_f64 v[86:87], v[116:117], v[40:41]
	v_add_f64 v[88:89], v[120:121], -v[122:123]
	v_fma_f64 v[86:87], v[114:115], v[38:39], -v[86:87]
	s_add_i32 s27, s26, s17
	v_add_f64 v[120:121], v[88:89], -v[86:87]
	v_mov_b32_e32 v86, s27
	v_mul_f64 v[114:115], v[114:115], v[40:41]
	ds_read_b128 v[86:89], v86
	v_fmac_f64_e32 v[114:115], v[116:117], v[38:39]
	s_add_i32 s27, s26, s18
	v_add_f64 v[118:119], v[118:119], -v[114:115]
	v_mov_b32_e32 v114, s27
	ds_read_b128 v[114:117], v114
	s_waitcnt lgkmcnt(1)
	v_mul_f64 v[122:123], v[88:89], v[48:49]
	v_fma_f64 v[122:123], v[86:87], v[46:47], -v[122:123]
	v_mul_f64 v[86:87], v[86:87], v[48:49]
	v_fmac_f64_e32 v[86:87], v[88:89], v[46:47]
	v_add_f64 v[118:119], v[118:119], -v[86:87]
	s_waitcnt lgkmcnt(0)
	v_mul_f64 v[86:87], v[116:117], v[52:53]
	v_add_f64 v[88:89], v[120:121], -v[122:123]
	;; [unrolled: 20-line block ×3, first 2 shown]
	v_fma_f64 v[86:87], v[114:115], v[62:63], -v[86:87]
	s_add_i32 s27, s26, s21
	v_add_f64 v[120:121], v[88:89], -v[86:87]
	v_mov_b32_e32 v86, s27
	v_mul_f64 v[114:115], v[114:115], v[64:65]
	ds_read_b128 v[86:89], v86
	v_fmac_f64_e32 v[114:115], v[116:117], v[62:63]
	s_add_i32 s27, s26, s22
	v_add_f64 v[118:119], v[118:119], -v[114:115]
	v_mov_b32_e32 v114, s27
	ds_read_b128 v[114:117], v114
	s_waitcnt lgkmcnt(1)
	v_mul_f64 v[122:123], v[88:89], v[68:69]
	v_fma_f64 v[122:123], v[86:87], v[66:67], -v[122:123]
	v_mul_f64 v[86:87], v[86:87], v[68:69]
	v_fmac_f64_e32 v[86:87], v[88:89], v[66:67]
	v_add_f64 v[86:87], v[118:119], -v[86:87]
	s_waitcnt lgkmcnt(0)
	v_mul_f64 v[118:119], v[116:117], v[76:77]
	v_fma_f64 v[118:119], v[114:115], v[74:75], -v[118:119]
	v_mul_f64 v[114:115], v[114:115], v[76:77]
	v_fmac_f64_e32 v[114:115], v[116:117], v[74:75]
	s_add_i32 s27, s26, s23
	v_add_f64 v[88:89], v[120:121], -v[122:123]
	v_add_f64 v[120:121], v[86:87], -v[114:115]
	v_mov_b32_e32 v86, s27
	v_add_f64 v[118:119], v[88:89], -v[118:119]
	ds_read_b128 v[86:89], v86
	s_lshl_b32 s25, s25, 9
	s_add_i32 s26, s26, s25
	v_mov_b32_e32 v114, s26
	ds_read_b128 v[114:117], v114
	s_waitcnt lgkmcnt(1)
	v_mul_f64 v[122:123], v[88:89], v[84:85]
	v_fma_f64 v[122:123], v[86:87], v[82:83], -v[122:123]
	v_mul_f64 v[86:87], v[86:87], v[84:85]
	v_fmac_f64_e32 v[86:87], v[88:89], v[82:83]
	s_add_i32 s26, s5, -15
	v_add_f64 v[88:89], v[120:121], -v[86:87]
	s_lshl_b32 s27, s26, 4
	v_add_f64 v[118:119], v[118:119], -v[122:123]
	s_waitcnt lgkmcnt(0)
	v_mul_f64 v[86:87], v[116:117], v[88:89]
	s_add_i32 s28, s27, s6
	v_fma_f64 v[86:87], v[114:115], v[118:119], -v[86:87]
	v_mul_f64 v[88:89], v[114:115], v[88:89]
	v_mov_b32_e32 v114, s28
	v_fmac_f64_e32 v[88:89], v[116:117], v[118:119]
	ds_read_b128 v[114:117], v114
	v_add_u32_e32 v118, s25, v1
	s_add_i32 s28, s27, s10
	ds_write_b128 v118, v[86:89]
	v_mov_b32_e32 v118, s28
	ds_read_b128 v[118:121], v118
	s_waitcnt lgkmcnt(2)
	v_mul_f64 v[122:123], v[116:117], v[16:17]
	v_fma_f64 v[122:123], v[114:115], v[14:15], -v[122:123]
	v_mul_f64 v[114:115], v[114:115], v[16:17]
	v_fmac_f64_e32 v[114:115], v[116:117], v[14:15]
	v_add_f64 v[114:115], v[96:97], -v[114:115]
	s_waitcnt lgkmcnt(0)
	v_mul_f64 v[96:97], v[120:121], v[20:21]
	v_add_f64 v[94:95], v[94:95], -v[122:123]
	v_fma_f64 v[96:97], v[118:119], v[18:19], -v[96:97]
	s_add_i32 s28, s27, s11
	v_mul_f64 v[116:117], v[118:119], v[20:21]
	v_add_f64 v[118:119], v[94:95], -v[96:97]
	v_mov_b32_e32 v94, s28
	ds_read_b128 v[94:97], v94
	v_fmac_f64_e32 v[116:117], v[120:121], v[18:19]
	s_add_i32 s28, s27, s12
	v_add_f64 v[120:121], v[114:115], -v[116:117]
	v_mov_b32_e32 v114, s28
	ds_read_b128 v[114:117], v114
	s_waitcnt lgkmcnt(1)
	v_mul_f64 v[122:123], v[96:97], v[24:25]
	v_fma_f64 v[122:123], v[94:95], v[22:23], -v[122:123]
	v_mul_f64 v[94:95], v[94:95], v[24:25]
	v_fmac_f64_e32 v[94:95], v[96:97], v[22:23]
	v_add_f64 v[96:97], v[118:119], -v[122:123]
	v_add_f64 v[118:119], v[120:121], -v[94:95]
	s_waitcnt lgkmcnt(0)
	v_mul_f64 v[94:95], v[116:117], v[28:29]
	v_fma_f64 v[94:95], v[114:115], v[26:27], -v[94:95]
	s_add_i32 s28, s27, s14
	v_add_f64 v[120:121], v[96:97], -v[94:95]
	v_mov_b32_e32 v94, s28
	v_mul_f64 v[114:115], v[114:115], v[28:29]
	ds_read_b128 v[94:97], v94
	v_fmac_f64_e32 v[114:115], v[116:117], v[26:27]
	s_add_i32 s28, s27, s15
	v_add_f64 v[118:119], v[118:119], -v[114:115]
	v_mov_b32_e32 v114, s28
	ds_read_b128 v[114:117], v114
	s_waitcnt lgkmcnt(1)
	v_mul_f64 v[122:123], v[96:97], v[32:33]
	v_fma_f64 v[122:123], v[94:95], v[30:31], -v[122:123]
	v_mul_f64 v[94:95], v[94:95], v[32:33]
	v_fmac_f64_e32 v[94:95], v[96:97], v[30:31]
	v_add_f64 v[118:119], v[118:119], -v[94:95]
	s_waitcnt lgkmcnt(0)
	v_mul_f64 v[94:95], v[116:117], v[36:37]
	v_add_f64 v[96:97], v[120:121], -v[122:123]
	v_fma_f64 v[94:95], v[114:115], v[34:35], -v[94:95]
	s_add_i32 s28, s27, s16
	v_add_f64 v[120:121], v[96:97], -v[94:95]
	v_mov_b32_e32 v94, s28
	v_mul_f64 v[114:115], v[114:115], v[36:37]
	ds_read_b128 v[94:97], v94
	v_fmac_f64_e32 v[114:115], v[116:117], v[34:35]
	s_add_i32 s28, s27, s17
	v_add_f64 v[118:119], v[118:119], -v[114:115]
	v_mov_b32_e32 v114, s28
	ds_read_b128 v[114:117], v114
	s_waitcnt lgkmcnt(1)
	v_mul_f64 v[122:123], v[96:97], v[40:41]
	v_fma_f64 v[122:123], v[94:95], v[38:39], -v[122:123]
	v_mul_f64 v[94:95], v[94:95], v[40:41]
	v_fmac_f64_e32 v[94:95], v[96:97], v[38:39]
	v_add_f64 v[118:119], v[118:119], -v[94:95]
	s_waitcnt lgkmcnt(0)
	v_mul_f64 v[94:95], v[116:117], v[48:49]
	v_add_f64 v[96:97], v[120:121], -v[122:123]
	;; [unrolled: 20-line block ×4, first 2 shown]
	v_fma_f64 v[94:95], v[114:115], v[66:67], -v[94:95]
	s_add_i32 s28, s27, s22
	v_add_f64 v[120:121], v[96:97], -v[94:95]
	v_mov_b32_e32 v94, s28
	v_mul_f64 v[114:115], v[114:115], v[68:69]
	ds_read_b128 v[94:97], v94
	v_fmac_f64_e32 v[114:115], v[116:117], v[66:67]
	s_add_i32 s28, s27, s23
	v_add_f64 v[118:119], v[118:119], -v[114:115]
	v_mov_b32_e32 v114, s28
	ds_read_b128 v[114:117], v114
	s_waitcnt lgkmcnt(1)
	v_mul_f64 v[122:123], v[96:97], v[76:77]
	v_fma_f64 v[122:123], v[94:95], v[74:75], -v[122:123]
	v_mul_f64 v[94:95], v[94:95], v[76:77]
	v_fmac_f64_e32 v[94:95], v[96:97], v[74:75]
	v_add_f64 v[94:95], v[118:119], -v[94:95]
	s_waitcnt lgkmcnt(0)
	v_mul_f64 v[118:119], v[116:117], v[84:85]
	v_fma_f64 v[118:119], v[114:115], v[82:83], -v[118:119]
	v_mul_f64 v[114:115], v[114:115], v[84:85]
	v_fmac_f64_e32 v[114:115], v[116:117], v[82:83]
	s_add_i32 s28, s27, s25
	v_add_f64 v[96:97], v[120:121], -v[122:123]
	v_add_f64 v[120:121], v[94:95], -v[114:115]
	v_mov_b32_e32 v94, s28
	v_add_f64 v[118:119], v[96:97], -v[118:119]
	ds_read_b128 v[94:97], v94
	s_lshl_b32 s26, s26, 9
	s_add_i32 s27, s27, s26
	v_mov_b32_e32 v114, s27
	ds_read_b128 v[114:117], v114
	s_waitcnt lgkmcnt(1)
	v_mul_f64 v[122:123], v[96:97], v[88:89]
	v_fma_f64 v[122:123], v[94:95], v[86:87], -v[122:123]
	v_mul_f64 v[94:95], v[94:95], v[88:89]
	v_fmac_f64_e32 v[94:95], v[96:97], v[86:87]
	s_add_i32 s27, s5, -16
	v_add_f64 v[96:97], v[120:121], -v[94:95]
	s_lshl_b32 s28, s27, 4
	v_add_f64 v[118:119], v[118:119], -v[122:123]
	s_waitcnt lgkmcnt(0)
	v_mul_f64 v[94:95], v[116:117], v[96:97]
	s_add_i32 s29, s28, s6
	v_fma_f64 v[94:95], v[114:115], v[118:119], -v[94:95]
	v_mul_f64 v[96:97], v[114:115], v[96:97]
	v_mov_b32_e32 v114, s29
	v_fmac_f64_e32 v[96:97], v[116:117], v[118:119]
	ds_read_b128 v[114:117], v114
	v_add_u32_e32 v118, s26, v1
	s_add_i32 s29, s28, s10
	ds_write_b128 v118, v[94:97]
	v_mov_b32_e32 v118, s29
	ds_read_b128 v[118:121], v118
	s_waitcnt lgkmcnt(2)
	v_mul_f64 v[122:123], v[116:117], v[16:17]
	v_fma_f64 v[122:123], v[114:115], v[14:15], -v[122:123]
	v_mul_f64 v[114:115], v[114:115], v[16:17]
	v_fmac_f64_e32 v[114:115], v[116:117], v[14:15]
	v_add_f64 v[114:115], v[104:105], -v[114:115]
	s_waitcnt lgkmcnt(0)
	v_mul_f64 v[104:105], v[120:121], v[20:21]
	v_add_f64 v[102:103], v[102:103], -v[122:123]
	v_fma_f64 v[104:105], v[118:119], v[18:19], -v[104:105]
	s_add_i32 s29, s28, s11
	v_mul_f64 v[116:117], v[118:119], v[20:21]
	v_add_f64 v[118:119], v[102:103], -v[104:105]
	v_mov_b32_e32 v102, s29
	ds_read_b128 v[102:105], v102
	v_fmac_f64_e32 v[116:117], v[120:121], v[18:19]
	s_add_i32 s29, s28, s12
	v_add_f64 v[120:121], v[114:115], -v[116:117]
	v_mov_b32_e32 v114, s29
	ds_read_b128 v[114:117], v114
	s_waitcnt lgkmcnt(1)
	v_mul_f64 v[122:123], v[104:105], v[24:25]
	v_fma_f64 v[122:123], v[102:103], v[22:23], -v[122:123]
	v_mul_f64 v[102:103], v[102:103], v[24:25]
	v_fmac_f64_e32 v[102:103], v[104:105], v[22:23]
	v_add_f64 v[104:105], v[118:119], -v[122:123]
	v_add_f64 v[118:119], v[120:121], -v[102:103]
	s_waitcnt lgkmcnt(0)
	v_mul_f64 v[102:103], v[116:117], v[28:29]
	v_fma_f64 v[102:103], v[114:115], v[26:27], -v[102:103]
	s_add_i32 s29, s28, s14
	v_add_f64 v[120:121], v[104:105], -v[102:103]
	v_mov_b32_e32 v102, s29
	v_mul_f64 v[114:115], v[114:115], v[28:29]
	ds_read_b128 v[102:105], v102
	v_fmac_f64_e32 v[114:115], v[116:117], v[26:27]
	s_add_i32 s29, s28, s15
	v_add_f64 v[118:119], v[118:119], -v[114:115]
	v_mov_b32_e32 v114, s29
	ds_read_b128 v[114:117], v114
	s_waitcnt lgkmcnt(1)
	v_mul_f64 v[122:123], v[104:105], v[32:33]
	v_fma_f64 v[122:123], v[102:103], v[30:31], -v[122:123]
	v_mul_f64 v[102:103], v[102:103], v[32:33]
	v_fmac_f64_e32 v[102:103], v[104:105], v[30:31]
	v_add_f64 v[118:119], v[118:119], -v[102:103]
	s_waitcnt lgkmcnt(0)
	v_mul_f64 v[102:103], v[116:117], v[36:37]
	v_add_f64 v[104:105], v[120:121], -v[122:123]
	v_fma_f64 v[102:103], v[114:115], v[34:35], -v[102:103]
	s_add_i32 s29, s28, s16
	v_add_f64 v[120:121], v[104:105], -v[102:103]
	v_mov_b32_e32 v102, s29
	v_mul_f64 v[114:115], v[114:115], v[36:37]
	ds_read_b128 v[102:105], v102
	v_fmac_f64_e32 v[114:115], v[116:117], v[34:35]
	s_add_i32 s29, s28, s17
	v_add_f64 v[118:119], v[118:119], -v[114:115]
	v_mov_b32_e32 v114, s29
	ds_read_b128 v[114:117], v114
	s_waitcnt lgkmcnt(1)
	v_mul_f64 v[122:123], v[104:105], v[40:41]
	v_fma_f64 v[122:123], v[102:103], v[38:39], -v[122:123]
	v_mul_f64 v[102:103], v[102:103], v[40:41]
	v_fmac_f64_e32 v[102:103], v[104:105], v[38:39]
	v_add_f64 v[118:119], v[118:119], -v[102:103]
	s_waitcnt lgkmcnt(0)
	v_mul_f64 v[102:103], v[116:117], v[48:49]
	v_add_f64 v[104:105], v[120:121], -v[122:123]
	;; [unrolled: 20-line block ×5, first 2 shown]
	v_fma_f64 v[102:103], v[114:115], v[82:83], -v[102:103]
	s_add_i32 s29, s28, s25
	v_add_f64 v[120:121], v[104:105], -v[102:103]
	v_mov_b32_e32 v102, s29
	v_mul_f64 v[114:115], v[114:115], v[84:85]
	ds_read_b128 v[102:105], v102
	v_fmac_f64_e32 v[114:115], v[116:117], v[82:83]
	s_add_i32 s28, s28, s26
	v_add_f64 v[118:119], v[118:119], -v[114:115]
	v_mov_b32_e32 v114, s28
	ds_read_b128 v[114:117], v114
	s_waitcnt lgkmcnt(1)
	v_mul_f64 v[122:123], v[104:105], v[88:89]
	v_fma_f64 v[122:123], v[102:103], v[86:87], -v[122:123]
	v_mul_f64 v[102:103], v[102:103], v[88:89]
	v_fmac_f64_e32 v[102:103], v[104:105], v[86:87]
	v_add_f64 v[102:103], v[118:119], -v[102:103]
	s_waitcnt lgkmcnt(0)
	v_mul_f64 v[118:119], v[116:117], v[96:97]
	v_fma_f64 v[118:119], v[114:115], v[94:95], -v[118:119]
	v_mul_f64 v[114:115], v[114:115], v[96:97]
	v_add_f64 v[104:105], v[120:121], -v[122:123]
	v_fmac_f64_e32 v[114:115], v[116:117], v[94:95]
	s_add_i32 s28, s7, 0xffffdf00
	v_add_f64 v[122:123], v[104:105], -v[118:119]
	v_add_f64 v[104:105], v[102:103], -v[114:115]
	v_mov_b32_e32 v102, s28
	s_sub_i32 s28, s5, 17
	s_lshl_b32 s29, s28, 4
	ds_read_b128 v[114:117], v102
	s_add_i32 s30, s29, s6
	v_mov_b32_e32 v102, s30
	ds_read_b128 v[118:121], v102
	s_lshl_b32 s27, s27, 9
	s_waitcnt lgkmcnt(1)
	v_mul_f64 v[102:103], v[116:117], v[104:105]
	v_mul_f64 v[104:105], v[114:115], v[104:105]
	v_fma_f64 v[102:103], v[114:115], v[122:123], -v[102:103]
	v_fmac_f64_e32 v[104:105], v[116:117], v[122:123]
	v_add_u32_e32 v114, s27, v1
	ds_write_b128 v114, v[102:105]
	s_waitcnt lgkmcnt(1)
	v_mul_f64 v[114:115], v[120:121], v[16:17]
	v_fma_f64 v[114:115], v[118:119], v[14:15], -v[114:115]
	v_mul_f64 v[118:119], v[118:119], v[16:17]
	s_add_i32 s30, s29, s10
	v_fmac_f64_e32 v[118:119], v[120:121], v[14:15]
	v_add_f64 v[120:121], v[110:111], -v[114:115]
	v_mov_b32_e32 v110, s30
	ds_read_b128 v[114:117], v110
	s_add_i32 s30, s29, s11
	v_mov_b32_e32 v110, s30
	v_add_f64 v[118:119], v[112:113], -v[118:119]
	ds_read_b128 v[110:113], v110
	s_waitcnt lgkmcnt(1)
	v_mul_f64 v[122:123], v[116:117], v[20:21]
	v_fma_f64 v[122:123], v[114:115], v[18:19], -v[122:123]
	v_mul_f64 v[114:115], v[114:115], v[20:21]
	v_fmac_f64_e32 v[114:115], v[116:117], v[18:19]
	v_add_f64 v[114:115], v[118:119], -v[114:115]
	s_waitcnt lgkmcnt(0)
	v_mul_f64 v[118:119], v[112:113], v[24:25]
	s_add_i32 s30, s29, s12
	v_add_f64 v[116:117], v[120:121], -v[122:123]
	v_fma_f64 v[118:119], v[110:111], v[22:23], -v[118:119]
	v_mul_f64 v[120:121], v[110:111], v[24:25]
	v_mov_b32_e32 v110, s30
	v_fmac_f64_e32 v[120:121], v[112:113], v[22:23]
	ds_read_b128 v[110:113], v110
	s_add_i32 s30, s29, s14
	v_add_f64 v[120:121], v[114:115], -v[120:121]
	v_mov_b32_e32 v114, s30
	v_add_f64 v[118:119], v[116:117], -v[118:119]
	ds_read_b128 v[114:117], v114
	s_waitcnt lgkmcnt(1)
	v_mul_f64 v[122:123], v[112:113], v[28:29]
	v_fma_f64 v[122:123], v[110:111], v[26:27], -v[122:123]
	v_mul_f64 v[110:111], v[110:111], v[28:29]
	v_fmac_f64_e32 v[110:111], v[112:113], v[26:27]
	v_add_f64 v[112:113], v[118:119], -v[122:123]
	v_add_f64 v[118:119], v[120:121], -v[110:111]
	s_waitcnt lgkmcnt(0)
	v_mul_f64 v[110:111], v[116:117], v[32:33]
	v_fma_f64 v[110:111], v[114:115], v[30:31], -v[110:111]
	s_add_i32 s30, s29, s15
	v_add_f64 v[120:121], v[112:113], -v[110:111]
	v_mov_b32_e32 v110, s30
	v_mul_f64 v[114:115], v[114:115], v[32:33]
	ds_read_b128 v[110:113], v110
	v_fmac_f64_e32 v[114:115], v[116:117], v[30:31]
	s_add_i32 s30, s29, s16
	v_add_f64 v[118:119], v[118:119], -v[114:115]
	v_mov_b32_e32 v114, s30
	ds_read_b128 v[114:117], v114
	s_waitcnt lgkmcnt(1)
	v_mul_f64 v[122:123], v[112:113], v[36:37]
	v_fma_f64 v[122:123], v[110:111], v[34:35], -v[122:123]
	v_mul_f64 v[110:111], v[110:111], v[36:37]
	v_fmac_f64_e32 v[110:111], v[112:113], v[34:35]
	v_add_f64 v[118:119], v[118:119], -v[110:111]
	s_waitcnt lgkmcnt(0)
	v_mul_f64 v[110:111], v[116:117], v[40:41]
	v_add_f64 v[112:113], v[120:121], -v[122:123]
	v_fma_f64 v[110:111], v[114:115], v[38:39], -v[110:111]
	s_add_i32 s30, s29, s17
	v_add_f64 v[120:121], v[112:113], -v[110:111]
	v_mov_b32_e32 v110, s30
	v_mul_f64 v[114:115], v[114:115], v[40:41]
	ds_read_b128 v[110:113], v110
	v_fmac_f64_e32 v[114:115], v[116:117], v[38:39]
	s_add_i32 s30, s29, s18
	v_add_f64 v[118:119], v[118:119], -v[114:115]
	v_mov_b32_e32 v114, s30
	ds_read_b128 v[114:117], v114
	s_waitcnt lgkmcnt(1)
	v_mul_f64 v[122:123], v[112:113], v[48:49]
	v_fma_f64 v[122:123], v[110:111], v[46:47], -v[122:123]
	v_mul_f64 v[110:111], v[110:111], v[48:49]
	v_fmac_f64_e32 v[110:111], v[112:113], v[46:47]
	v_add_f64 v[118:119], v[118:119], -v[110:111]
	s_waitcnt lgkmcnt(0)
	v_mul_f64 v[110:111], v[116:117], v[52:53]
	v_add_f64 v[112:113], v[120:121], -v[122:123]
	;; [unrolled: 20-line block ×5, first 2 shown]
	v_fma_f64 v[110:111], v[114:115], v[86:87], -v[110:111]
	s_add_i32 s30, s29, s26
	v_add_f64 v[120:121], v[112:113], -v[110:111]
	v_mov_b32_e32 v110, s30
	v_mul_f64 v[114:115], v[114:115], v[88:89]
	ds_read_b128 v[110:113], v110
	v_fmac_f64_e32 v[114:115], v[116:117], v[86:87]
	s_add_i32 s29, s29, s27
	v_add_f64 v[118:119], v[118:119], -v[114:115]
	v_mov_b32_e32 v114, s29
	ds_read_b128 v[114:117], v114
	s_waitcnt lgkmcnt(1)
	v_mul_f64 v[122:123], v[112:113], v[96:97]
	v_fma_f64 v[122:123], v[110:111], v[94:95], -v[122:123]
	v_mul_f64 v[110:111], v[110:111], v[96:97]
	v_fmac_f64_e32 v[110:111], v[112:113], v[94:95]
	v_add_f64 v[110:111], v[118:119], -v[110:111]
	s_waitcnt lgkmcnt(0)
	v_mul_f64 v[118:119], v[116:117], v[104:105]
	v_fma_f64 v[118:119], v[114:115], v[102:103], -v[118:119]
	v_mul_f64 v[114:115], v[114:115], v[104:105]
	v_fmac_f64_e32 v[114:115], v[116:117], v[102:103]
	s_add_i32 s29, s7, 0xffffdcf0
	v_add_f64 v[112:113], v[120:121], -v[122:123]
	v_add_f64 v[122:123], v[110:111], -v[114:115]
	v_mov_b32_e32 v110, s29
	s_sub_i32 s29, s5, 18
	v_add_f64 v[120:121], v[112:113], -v[118:119]
	ds_read_b128 v[112:115], v110
	s_lshl_b32 s30, s29, 4
	s_add_i32 s31, s30, s6
	v_mov_b32_e32 v110, s31
	ds_read_b128 v[116:119], v110
	s_waitcnt lgkmcnt(1)
	v_mul_f64 v[110:111], v[114:115], v[122:123]
	v_fma_f64 v[110:111], v[112:113], v[120:121], -v[110:111]
	v_mul_f64 v[112:113], v[112:113], v[122:123]
	s_lshl_b32 s28, s28, 9
	v_fmac_f64_e32 v[112:113], v[114:115], v[120:121]
	v_add_u32_e32 v114, s28, v1
	ds_write_b128 v114, v[110:113]
	s_waitcnt lgkmcnt(1)
	v_mul_f64 v[114:115], v[118:119], v[16:17]
	v_fma_f64 v[114:115], v[116:117], v[14:15], -v[114:115]
	v_mul_f64 v[120:121], v[116:117], v[16:17]
	s_add_i32 s31, s30, s10
	v_fmac_f64_e32 v[120:121], v[118:119], v[14:15]
	v_add_f64 v[118:119], v[106:107], -v[114:115]
	v_mov_b32_e32 v106, s31
	ds_read_b128 v[114:117], v106
	s_add_i32 s31, s30, s11
	v_mov_b32_e32 v106, s31
	v_add_f64 v[120:121], v[108:109], -v[120:121]
	ds_read_b128 v[106:109], v106
	s_waitcnt lgkmcnt(1)
	v_mul_f64 v[122:123], v[116:117], v[20:21]
	v_fma_f64 v[122:123], v[114:115], v[18:19], -v[122:123]
	v_mul_f64 v[114:115], v[114:115], v[20:21]
	v_fmac_f64_e32 v[114:115], v[116:117], v[18:19]
	v_add_f64 v[116:117], v[118:119], -v[122:123]
	s_waitcnt lgkmcnt(0)
	v_mul_f64 v[118:119], v[108:109], v[24:25]
	s_add_i32 s31, s30, s12
	v_add_f64 v[114:115], v[120:121], -v[114:115]
	v_fma_f64 v[118:119], v[106:107], v[22:23], -v[118:119]
	v_mul_f64 v[120:121], v[106:107], v[24:25]
	v_mov_b32_e32 v106, s31
	v_fmac_f64_e32 v[120:121], v[108:109], v[22:23]
	ds_read_b128 v[106:109], v106
	s_add_i32 s31, s30, s14
	v_add_f64 v[120:121], v[114:115], -v[120:121]
	v_mov_b32_e32 v114, s31
	v_add_f64 v[118:119], v[116:117], -v[118:119]
	ds_read_b128 v[114:117], v114
	s_waitcnt lgkmcnt(1)
	v_mul_f64 v[122:123], v[108:109], v[28:29]
	v_fma_f64 v[122:123], v[106:107], v[26:27], -v[122:123]
	v_mul_f64 v[106:107], v[106:107], v[28:29]
	v_fmac_f64_e32 v[106:107], v[108:109], v[26:27]
	v_add_f64 v[108:109], v[118:119], -v[122:123]
	v_add_f64 v[118:119], v[120:121], -v[106:107]
	s_waitcnt lgkmcnt(0)
	v_mul_f64 v[106:107], v[116:117], v[32:33]
	v_fma_f64 v[106:107], v[114:115], v[30:31], -v[106:107]
	s_add_i32 s31, s30, s15
	v_add_f64 v[120:121], v[108:109], -v[106:107]
	v_mov_b32_e32 v106, s31
	v_mul_f64 v[114:115], v[114:115], v[32:33]
	ds_read_b128 v[106:109], v106
	v_fmac_f64_e32 v[114:115], v[116:117], v[30:31]
	s_add_i32 s31, s30, s16
	v_add_f64 v[118:119], v[118:119], -v[114:115]
	v_mov_b32_e32 v114, s31
	ds_read_b128 v[114:117], v114
	s_waitcnt lgkmcnt(1)
	v_mul_f64 v[122:123], v[108:109], v[36:37]
	v_fma_f64 v[122:123], v[106:107], v[34:35], -v[122:123]
	v_mul_f64 v[106:107], v[106:107], v[36:37]
	v_fmac_f64_e32 v[106:107], v[108:109], v[34:35]
	v_add_f64 v[118:119], v[118:119], -v[106:107]
	s_waitcnt lgkmcnt(0)
	v_mul_f64 v[106:107], v[116:117], v[40:41]
	v_add_f64 v[108:109], v[120:121], -v[122:123]
	v_fma_f64 v[106:107], v[114:115], v[38:39], -v[106:107]
	s_add_i32 s31, s30, s17
	v_add_f64 v[120:121], v[108:109], -v[106:107]
	v_mov_b32_e32 v106, s31
	v_mul_f64 v[114:115], v[114:115], v[40:41]
	ds_read_b128 v[106:109], v106
	v_fmac_f64_e32 v[114:115], v[116:117], v[38:39]
	s_add_i32 s31, s30, s18
	v_add_f64 v[118:119], v[118:119], -v[114:115]
	v_mov_b32_e32 v114, s31
	ds_read_b128 v[114:117], v114
	s_waitcnt lgkmcnt(1)
	v_mul_f64 v[122:123], v[108:109], v[48:49]
	v_fma_f64 v[122:123], v[106:107], v[46:47], -v[122:123]
	v_mul_f64 v[106:107], v[106:107], v[48:49]
	v_fmac_f64_e32 v[106:107], v[108:109], v[46:47]
	v_add_f64 v[118:119], v[118:119], -v[106:107]
	s_waitcnt lgkmcnt(0)
	v_mul_f64 v[106:107], v[116:117], v[52:53]
	v_add_f64 v[108:109], v[120:121], -v[122:123]
	;; [unrolled: 20-line block ×6, first 2 shown]
	v_fma_f64 v[106:107], v[114:115], v[102:103], -v[106:107]
	s_add_i32 s30, s30, s28
	v_add_f64 v[120:121], v[108:109], -v[106:107]
	v_mov_b32_e32 v106, s30
	ds_read_b128 v[106:109], v106
	v_mul_f64 v[114:115], v[114:115], v[104:105]
	v_fmac_f64_e32 v[114:115], v[116:117], v[102:103]
	s_add_i32 s30, s7, 0xffffdae0
	v_add_f64 v[118:119], v[118:119], -v[114:115]
	v_mov_b32_e32 v114, s30
	ds_read_b128 v[114:117], v114
	s_waitcnt lgkmcnt(1)
	v_mul_f64 v[122:123], v[108:109], v[112:113]
	v_fma_f64 v[122:123], v[106:107], v[110:111], -v[122:123]
	v_mul_f64 v[106:107], v[106:107], v[112:113]
	v_fmac_f64_e32 v[106:107], v[108:109], v[110:111]
	s_sub_i32 s30, s5, 19
	v_add_f64 v[108:109], v[118:119], -v[106:107]
	s_lshl_b32 s31, s30, 4
	v_add_f64 v[120:121], v[120:121], -v[122:123]
	s_waitcnt lgkmcnt(0)
	v_mul_f64 v[106:107], v[116:117], v[108:109]
	s_add_i32 s33, s31, s6
	v_fma_f64 v[106:107], v[114:115], v[120:121], -v[106:107]
	v_mul_f64 v[108:109], v[114:115], v[108:109]
	v_mov_b32_e32 v114, s33
	v_fmac_f64_e32 v[108:109], v[116:117], v[120:121]
	s_lshl_b32 s29, s29, 9
	ds_read_b128 v[114:117], v114
	v_add_u32_e32 v118, s29, v1
	s_add_i32 s33, s31, s10
	ds_write_b128 v118, v[106:109]
	v_mov_b32_e32 v118, s33
	ds_read_b128 v[118:121], v118
	s_waitcnt lgkmcnt(2)
	v_mul_f64 v[122:123], v[116:117], v[16:17]
	v_fma_f64 v[122:123], v[114:115], v[14:15], -v[122:123]
	v_mul_f64 v[114:115], v[114:115], v[16:17]
	v_fmac_f64_e32 v[114:115], v[116:117], v[14:15]
	v_add_f64 v[114:115], v[100:101], -v[114:115]
	s_waitcnt lgkmcnt(0)
	v_mul_f64 v[100:101], v[120:121], v[20:21]
	v_add_f64 v[98:99], v[98:99], -v[122:123]
	v_fma_f64 v[100:101], v[118:119], v[18:19], -v[100:101]
	s_add_i32 s33, s31, s11
	v_mul_f64 v[116:117], v[118:119], v[20:21]
	v_add_f64 v[118:119], v[98:99], -v[100:101]
	v_mov_b32_e32 v98, s33
	ds_read_b128 v[98:101], v98
	v_fmac_f64_e32 v[116:117], v[120:121], v[18:19]
	s_add_i32 s33, s31, s12
	v_add_f64 v[120:121], v[114:115], -v[116:117]
	v_mov_b32_e32 v114, s33
	ds_read_b128 v[114:117], v114
	s_waitcnt lgkmcnt(1)
	v_mul_f64 v[122:123], v[100:101], v[24:25]
	v_fma_f64 v[122:123], v[98:99], v[22:23], -v[122:123]
	v_mul_f64 v[98:99], v[98:99], v[24:25]
	v_fmac_f64_e32 v[98:99], v[100:101], v[22:23]
	v_add_f64 v[100:101], v[118:119], -v[122:123]
	v_add_f64 v[118:119], v[120:121], -v[98:99]
	s_waitcnt lgkmcnt(0)
	v_mul_f64 v[98:99], v[116:117], v[28:29]
	v_fma_f64 v[98:99], v[114:115], v[26:27], -v[98:99]
	s_add_i32 s33, s31, s14
	v_add_f64 v[120:121], v[100:101], -v[98:99]
	v_mov_b32_e32 v98, s33
	v_mul_f64 v[114:115], v[114:115], v[28:29]
	ds_read_b128 v[98:101], v98
	v_fmac_f64_e32 v[114:115], v[116:117], v[26:27]
	s_add_i32 s33, s31, s15
	v_add_f64 v[118:119], v[118:119], -v[114:115]
	v_mov_b32_e32 v114, s33
	ds_read_b128 v[114:117], v114
	s_waitcnt lgkmcnt(1)
	v_mul_f64 v[122:123], v[100:101], v[32:33]
	v_fma_f64 v[122:123], v[98:99], v[30:31], -v[122:123]
	v_mul_f64 v[98:99], v[98:99], v[32:33]
	v_fmac_f64_e32 v[98:99], v[100:101], v[30:31]
	v_add_f64 v[118:119], v[118:119], -v[98:99]
	s_waitcnt lgkmcnt(0)
	v_mul_f64 v[98:99], v[116:117], v[36:37]
	v_add_f64 v[100:101], v[120:121], -v[122:123]
	v_fma_f64 v[98:99], v[114:115], v[34:35], -v[98:99]
	s_add_i32 s33, s31, s16
	v_add_f64 v[120:121], v[100:101], -v[98:99]
	v_mov_b32_e32 v98, s33
	v_mul_f64 v[114:115], v[114:115], v[36:37]
	ds_read_b128 v[98:101], v98
	v_fmac_f64_e32 v[114:115], v[116:117], v[34:35]
	s_add_i32 s33, s31, s17
	v_add_f64 v[118:119], v[118:119], -v[114:115]
	v_mov_b32_e32 v114, s33
	ds_read_b128 v[114:117], v114
	s_waitcnt lgkmcnt(1)
	v_mul_f64 v[122:123], v[100:101], v[40:41]
	v_fma_f64 v[122:123], v[98:99], v[38:39], -v[122:123]
	v_mul_f64 v[98:99], v[98:99], v[40:41]
	v_fmac_f64_e32 v[98:99], v[100:101], v[38:39]
	v_add_f64 v[118:119], v[118:119], -v[98:99]
	s_waitcnt lgkmcnt(0)
	v_mul_f64 v[98:99], v[116:117], v[48:49]
	v_add_f64 v[100:101], v[120:121], -v[122:123]
	;; [unrolled: 20-line block ×7, first 2 shown]
	v_fma_f64 v[98:99], v[114:115], v[110:111], -v[98:99]
	s_add_i32 s31, s31, s29
	v_add_f64 v[120:121], v[100:101], -v[98:99]
	v_mov_b32_e32 v98, s31
	ds_read_b128 v[98:101], v98
	v_mul_f64 v[114:115], v[114:115], v[112:113]
	v_fmac_f64_e32 v[114:115], v[116:117], v[110:111]
	s_add_i32 s31, s7, 0xffffd8d0
	v_add_f64 v[118:119], v[118:119], -v[114:115]
	v_mov_b32_e32 v114, s31
	ds_read_b128 v[114:117], v114
	s_waitcnt lgkmcnt(1)
	v_mul_f64 v[122:123], v[100:101], v[108:109]
	v_fma_f64 v[122:123], v[98:99], v[106:107], -v[122:123]
	v_mul_f64 v[98:99], v[98:99], v[108:109]
	v_fmac_f64_e32 v[98:99], v[100:101], v[106:107]
	s_sub_i32 s31, s5, 20
	v_add_f64 v[100:101], v[118:119], -v[98:99]
	s_lshl_b32 s33, s31, 4
	v_add_f64 v[120:121], v[120:121], -v[122:123]
	s_waitcnt lgkmcnt(0)
	v_mul_f64 v[98:99], v[116:117], v[100:101]
	s_add_i32 s34, s33, s6
	v_fma_f64 v[98:99], v[114:115], v[120:121], -v[98:99]
	v_mul_f64 v[100:101], v[114:115], v[100:101]
	v_mov_b32_e32 v114, s34
	v_fmac_f64_e32 v[100:101], v[116:117], v[120:121]
	s_lshl_b32 s30, s30, 9
	ds_read_b128 v[114:117], v114
	v_add_u32_e32 v118, s30, v1
	s_add_i32 s34, s33, s10
	ds_write_b128 v118, v[98:101]
	v_mov_b32_e32 v118, s34
	ds_read_b128 v[118:121], v118
	s_waitcnt lgkmcnt(2)
	v_mul_f64 v[122:123], v[116:117], v[16:17]
	v_fma_f64 v[122:123], v[114:115], v[14:15], -v[122:123]
	v_mul_f64 v[114:115], v[114:115], v[16:17]
	v_fmac_f64_e32 v[114:115], v[116:117], v[14:15]
	v_add_f64 v[114:115], v[92:93], -v[114:115]
	s_waitcnt lgkmcnt(0)
	v_mul_f64 v[92:93], v[120:121], v[20:21]
	v_add_f64 v[90:91], v[90:91], -v[122:123]
	v_fma_f64 v[92:93], v[118:119], v[18:19], -v[92:93]
	s_add_i32 s34, s33, s11
	v_mul_f64 v[116:117], v[118:119], v[20:21]
	v_add_f64 v[118:119], v[90:91], -v[92:93]
	v_mov_b32_e32 v90, s34
	ds_read_b128 v[90:93], v90
	v_fmac_f64_e32 v[116:117], v[120:121], v[18:19]
	s_add_i32 s34, s33, s12
	v_add_f64 v[120:121], v[114:115], -v[116:117]
	v_mov_b32_e32 v114, s34
	ds_read_b128 v[114:117], v114
	s_waitcnt lgkmcnt(1)
	v_mul_f64 v[122:123], v[92:93], v[24:25]
	v_fma_f64 v[122:123], v[90:91], v[22:23], -v[122:123]
	v_mul_f64 v[90:91], v[90:91], v[24:25]
	v_fmac_f64_e32 v[90:91], v[92:93], v[22:23]
	v_add_f64 v[92:93], v[118:119], -v[122:123]
	v_add_f64 v[118:119], v[120:121], -v[90:91]
	s_waitcnt lgkmcnt(0)
	v_mul_f64 v[90:91], v[116:117], v[28:29]
	v_fma_f64 v[90:91], v[114:115], v[26:27], -v[90:91]
	s_add_i32 s34, s33, s14
	v_add_f64 v[120:121], v[92:93], -v[90:91]
	v_mov_b32_e32 v90, s34
	v_mul_f64 v[114:115], v[114:115], v[28:29]
	ds_read_b128 v[90:93], v90
	v_fmac_f64_e32 v[114:115], v[116:117], v[26:27]
	s_add_i32 s34, s33, s15
	v_add_f64 v[118:119], v[118:119], -v[114:115]
	v_mov_b32_e32 v114, s34
	ds_read_b128 v[114:117], v114
	s_waitcnt lgkmcnt(1)
	v_mul_f64 v[122:123], v[92:93], v[32:33]
	v_fma_f64 v[122:123], v[90:91], v[30:31], -v[122:123]
	v_mul_f64 v[90:91], v[90:91], v[32:33]
	v_fmac_f64_e32 v[90:91], v[92:93], v[30:31]
	v_add_f64 v[118:119], v[118:119], -v[90:91]
	s_waitcnt lgkmcnt(0)
	v_mul_f64 v[90:91], v[116:117], v[36:37]
	v_add_f64 v[92:93], v[120:121], -v[122:123]
	v_fma_f64 v[90:91], v[114:115], v[34:35], -v[90:91]
	s_add_i32 s34, s33, s16
	v_add_f64 v[120:121], v[92:93], -v[90:91]
	v_mov_b32_e32 v90, s34
	v_mul_f64 v[114:115], v[114:115], v[36:37]
	ds_read_b128 v[90:93], v90
	v_fmac_f64_e32 v[114:115], v[116:117], v[34:35]
	s_add_i32 s34, s33, s17
	v_add_f64 v[118:119], v[118:119], -v[114:115]
	v_mov_b32_e32 v114, s34
	ds_read_b128 v[114:117], v114
	s_waitcnt lgkmcnt(1)
	v_mul_f64 v[122:123], v[92:93], v[40:41]
	v_fma_f64 v[122:123], v[90:91], v[38:39], -v[122:123]
	v_mul_f64 v[90:91], v[90:91], v[40:41]
	v_fmac_f64_e32 v[90:91], v[92:93], v[38:39]
	v_add_f64 v[118:119], v[118:119], -v[90:91]
	s_waitcnt lgkmcnt(0)
	v_mul_f64 v[90:91], v[116:117], v[48:49]
	v_add_f64 v[92:93], v[120:121], -v[122:123]
	v_fma_f64 v[90:91], v[114:115], v[46:47], -v[90:91]
	s_add_i32 s34, s33, s18
	v_add_f64 v[120:121], v[92:93], -v[90:91]
	v_mov_b32_e32 v90, s34
	v_mul_f64 v[114:115], v[114:115], v[48:49]
	ds_read_b128 v[90:93], v90
	v_fmac_f64_e32 v[114:115], v[116:117], v[46:47]
	s_add_i32 s34, s33, s19
	v_add_f64 v[118:119], v[118:119], -v[114:115]
	v_mov_b32_e32 v114, s34
	ds_read_b128 v[114:117], v114
	s_waitcnt lgkmcnt(1)
	v_mul_f64 v[122:123], v[92:93], v[52:53]
	v_fma_f64 v[122:123], v[90:91], v[50:51], -v[122:123]
	v_mul_f64 v[90:91], v[90:91], v[52:53]
	v_fmac_f64_e32 v[90:91], v[92:93], v[50:51]
	v_add_f64 v[118:119], v[118:119], -v[90:91]
	s_waitcnt lgkmcnt(0)
	v_mul_f64 v[90:91], v[116:117], v[56:57]
	v_add_f64 v[92:93], v[120:121], -v[122:123]
	v_fma_f64 v[90:91], v[114:115], v[54:55], -v[90:91]
	s_add_i32 s34, s33, s20
	v_add_f64 v[120:121], v[92:93], -v[90:91]
	v_mov_b32_e32 v90, s34
	v_mul_f64 v[114:115], v[114:115], v[56:57]
	ds_read_b128 v[90:93], v90
	v_fmac_f64_e32 v[114:115], v[116:117], v[54:55]
	s_add_i32 s34, s33, s21
	v_add_f64 v[118:119], v[118:119], -v[114:115]
	v_mov_b32_e32 v114, s34
	ds_read_b128 v[114:117], v114
	s_waitcnt lgkmcnt(1)
	v_mul_f64 v[122:123], v[92:93], v[64:65]
	v_fma_f64 v[122:123], v[90:91], v[62:63], -v[122:123]
	v_mul_f64 v[90:91], v[90:91], v[64:65]
	v_fmac_f64_e32 v[90:91], v[92:93], v[62:63]
	v_add_f64 v[118:119], v[118:119], -v[90:91]
	s_waitcnt lgkmcnt(0)
	v_mul_f64 v[90:91], v[116:117], v[68:69]
	v_add_f64 v[92:93], v[120:121], -v[122:123]
	v_fma_f64 v[90:91], v[114:115], v[66:67], -v[90:91]
	s_add_i32 s34, s33, s22
	v_add_f64 v[120:121], v[92:93], -v[90:91]
	v_mov_b32_e32 v90, s34
	v_mul_f64 v[114:115], v[114:115], v[68:69]
	ds_read_b128 v[90:93], v90
	v_fmac_f64_e32 v[114:115], v[116:117], v[66:67]
	s_add_i32 s34, s33, s23
	v_add_f64 v[118:119], v[118:119], -v[114:115]
	v_mov_b32_e32 v114, s34
	ds_read_b128 v[114:117], v114
	s_waitcnt lgkmcnt(1)
	v_mul_f64 v[122:123], v[92:93], v[76:77]
	v_fma_f64 v[122:123], v[90:91], v[74:75], -v[122:123]
	v_mul_f64 v[90:91], v[90:91], v[76:77]
	v_fmac_f64_e32 v[90:91], v[92:93], v[74:75]
	v_add_f64 v[118:119], v[118:119], -v[90:91]
	s_waitcnt lgkmcnt(0)
	v_mul_f64 v[90:91], v[116:117], v[84:85]
	v_add_f64 v[92:93], v[120:121], -v[122:123]
	v_fma_f64 v[90:91], v[114:115], v[82:83], -v[90:91]
	s_add_i32 s34, s33, s25
	v_add_f64 v[120:121], v[92:93], -v[90:91]
	v_mov_b32_e32 v90, s34
	v_mul_f64 v[114:115], v[114:115], v[84:85]
	ds_read_b128 v[90:93], v90
	v_fmac_f64_e32 v[114:115], v[116:117], v[82:83]
	s_add_i32 s34, s33, s26
	v_add_f64 v[118:119], v[118:119], -v[114:115]
	v_mov_b32_e32 v114, s34
	ds_read_b128 v[114:117], v114
	s_waitcnt lgkmcnt(1)
	v_mul_f64 v[122:123], v[92:93], v[88:89]
	v_fma_f64 v[122:123], v[90:91], v[86:87], -v[122:123]
	v_mul_f64 v[90:91], v[90:91], v[88:89]
	v_fmac_f64_e32 v[90:91], v[92:93], v[86:87]
	v_add_f64 v[118:119], v[118:119], -v[90:91]
	s_waitcnt lgkmcnt(0)
	v_mul_f64 v[90:91], v[116:117], v[96:97]
	v_add_f64 v[92:93], v[120:121], -v[122:123]
	v_fma_f64 v[90:91], v[114:115], v[94:95], -v[90:91]
	s_add_i32 s34, s33, s27
	v_add_f64 v[120:121], v[92:93], -v[90:91]
	v_mov_b32_e32 v90, s34
	v_mul_f64 v[114:115], v[114:115], v[96:97]
	ds_read_b128 v[90:93], v90
	v_fmac_f64_e32 v[114:115], v[116:117], v[94:95]
	s_add_i32 s34, s33, s28
	v_add_f64 v[118:119], v[118:119], -v[114:115]
	v_mov_b32_e32 v114, s34
	ds_read_b128 v[114:117], v114
	s_waitcnt lgkmcnt(1)
	v_mul_f64 v[122:123], v[92:93], v[104:105]
	v_fma_f64 v[122:123], v[90:91], v[102:103], -v[122:123]
	v_mul_f64 v[90:91], v[90:91], v[104:105]
	v_fmac_f64_e32 v[90:91], v[92:93], v[102:103]
	v_add_f64 v[118:119], v[118:119], -v[90:91]
	s_waitcnt lgkmcnt(0)
	v_mul_f64 v[90:91], v[116:117], v[112:113]
	v_add_f64 v[92:93], v[120:121], -v[122:123]
	v_fma_f64 v[90:91], v[114:115], v[110:111], -v[90:91]
	s_add_i32 s34, s33, s29
	v_add_f64 v[120:121], v[92:93], -v[90:91]
	v_mov_b32_e32 v90, s34
	v_mul_f64 v[114:115], v[114:115], v[112:113]
	ds_read_b128 v[90:93], v90
	v_fmac_f64_e32 v[114:115], v[116:117], v[110:111]
	s_add_i32 s33, s33, s30
	v_add_f64 v[118:119], v[118:119], -v[114:115]
	v_mov_b32_e32 v114, s33
	ds_read_b128 v[114:117], v114
	s_waitcnt lgkmcnt(1)
	v_mul_f64 v[122:123], v[92:93], v[108:109]
	v_fma_f64 v[122:123], v[90:91], v[106:107], -v[122:123]
	v_mul_f64 v[90:91], v[90:91], v[108:109]
	v_fmac_f64_e32 v[90:91], v[92:93], v[106:107]
	v_add_f64 v[90:91], v[118:119], -v[90:91]
	s_waitcnt lgkmcnt(0)
	v_mul_f64 v[118:119], v[116:117], v[100:101]
	v_fma_f64 v[118:119], v[114:115], v[98:99], -v[118:119]
	v_mul_f64 v[114:115], v[114:115], v[100:101]
	v_add_f64 v[92:93], v[120:121], -v[122:123]
	v_fmac_f64_e32 v[114:115], v[116:117], v[98:99]
	s_add_i32 s33, s7, 0xffffd6c0
	v_add_f64 v[122:123], v[92:93], -v[118:119]
	v_add_f64 v[92:93], v[90:91], -v[114:115]
	v_mov_b32_e32 v90, s33
	s_sub_i32 s33, s5, 21
	s_lshl_b32 s34, s33, 4
	ds_read_b128 v[114:117], v90
	s_add_i32 s35, s34, s6
	v_mov_b32_e32 v90, s35
	ds_read_b128 v[118:121], v90
	s_lshl_b32 s31, s31, 9
	s_waitcnt lgkmcnt(1)
	v_mul_f64 v[90:91], v[116:117], v[92:93]
	v_mul_f64 v[92:93], v[114:115], v[92:93]
	v_fma_f64 v[90:91], v[114:115], v[122:123], -v[90:91]
	v_fmac_f64_e32 v[92:93], v[116:117], v[122:123]
	v_add_u32_e32 v114, s31, v1
	ds_write_b128 v114, v[90:93]
	s_waitcnt lgkmcnt(1)
	v_mul_f64 v[114:115], v[120:121], v[16:17]
	v_fma_f64 v[114:115], v[118:119], v[14:15], -v[114:115]
	v_mul_f64 v[118:119], v[118:119], v[16:17]
	s_add_i32 s35, s34, s10
	v_fmac_f64_e32 v[118:119], v[120:121], v[14:15]
	v_add_f64 v[120:121], v[78:79], -v[114:115]
	v_mov_b32_e32 v78, s35
	ds_read_b128 v[114:117], v78
	s_add_i32 s35, s34, s11
	v_mov_b32_e32 v78, s35
	v_add_f64 v[118:119], v[80:81], -v[118:119]
	ds_read_b128 v[78:81], v78
	s_waitcnt lgkmcnt(1)
	v_mul_f64 v[122:123], v[116:117], v[20:21]
	v_fma_f64 v[122:123], v[114:115], v[18:19], -v[122:123]
	v_mul_f64 v[114:115], v[114:115], v[20:21]
	v_fmac_f64_e32 v[114:115], v[116:117], v[18:19]
	v_add_f64 v[114:115], v[118:119], -v[114:115]
	s_waitcnt lgkmcnt(0)
	v_mul_f64 v[118:119], v[80:81], v[24:25]
	s_add_i32 s35, s34, s12
	v_add_f64 v[116:117], v[120:121], -v[122:123]
	v_fma_f64 v[118:119], v[78:79], v[22:23], -v[118:119]
	v_mul_f64 v[120:121], v[78:79], v[24:25]
	v_mov_b32_e32 v78, s35
	v_fmac_f64_e32 v[120:121], v[80:81], v[22:23]
	ds_read_b128 v[78:81], v78
	s_add_i32 s35, s34, s14
	v_add_f64 v[120:121], v[114:115], -v[120:121]
	v_mov_b32_e32 v114, s35
	v_add_f64 v[118:119], v[116:117], -v[118:119]
	ds_read_b128 v[114:117], v114
	s_waitcnt lgkmcnt(1)
	v_mul_f64 v[122:123], v[80:81], v[28:29]
	v_fma_f64 v[122:123], v[78:79], v[26:27], -v[122:123]
	v_mul_f64 v[78:79], v[78:79], v[28:29]
	v_fmac_f64_e32 v[78:79], v[80:81], v[26:27]
	v_add_f64 v[80:81], v[118:119], -v[122:123]
	v_add_f64 v[118:119], v[120:121], -v[78:79]
	s_waitcnt lgkmcnt(0)
	v_mul_f64 v[78:79], v[116:117], v[32:33]
	v_fma_f64 v[78:79], v[114:115], v[30:31], -v[78:79]
	s_add_i32 s35, s34, s15
	v_add_f64 v[120:121], v[80:81], -v[78:79]
	v_mov_b32_e32 v78, s35
	v_mul_f64 v[114:115], v[114:115], v[32:33]
	ds_read_b128 v[78:81], v78
	v_fmac_f64_e32 v[114:115], v[116:117], v[30:31]
	s_add_i32 s35, s34, s16
	v_add_f64 v[118:119], v[118:119], -v[114:115]
	v_mov_b32_e32 v114, s35
	ds_read_b128 v[114:117], v114
	s_waitcnt lgkmcnt(1)
	v_mul_f64 v[122:123], v[80:81], v[36:37]
	v_fma_f64 v[122:123], v[78:79], v[34:35], -v[122:123]
	v_mul_f64 v[78:79], v[78:79], v[36:37]
	v_fmac_f64_e32 v[78:79], v[80:81], v[34:35]
	v_add_f64 v[118:119], v[118:119], -v[78:79]
	s_waitcnt lgkmcnt(0)
	v_mul_f64 v[78:79], v[116:117], v[40:41]
	v_add_f64 v[80:81], v[120:121], -v[122:123]
	v_fma_f64 v[78:79], v[114:115], v[38:39], -v[78:79]
	s_add_i32 s35, s34, s17
	v_add_f64 v[120:121], v[80:81], -v[78:79]
	v_mov_b32_e32 v78, s35
	v_mul_f64 v[114:115], v[114:115], v[40:41]
	ds_read_b128 v[78:81], v78
	v_fmac_f64_e32 v[114:115], v[116:117], v[38:39]
	s_add_i32 s35, s34, s18
	v_add_f64 v[118:119], v[118:119], -v[114:115]
	v_mov_b32_e32 v114, s35
	ds_read_b128 v[114:117], v114
	s_waitcnt lgkmcnt(1)
	v_mul_f64 v[122:123], v[80:81], v[48:49]
	v_fma_f64 v[122:123], v[78:79], v[46:47], -v[122:123]
	v_mul_f64 v[78:79], v[78:79], v[48:49]
	v_fmac_f64_e32 v[78:79], v[80:81], v[46:47]
	v_add_f64 v[118:119], v[118:119], -v[78:79]
	s_waitcnt lgkmcnt(0)
	v_mul_f64 v[78:79], v[116:117], v[52:53]
	v_add_f64 v[80:81], v[120:121], -v[122:123]
	;; [unrolled: 20-line block ×7, first 2 shown]
	v_fma_f64 v[78:79], v[114:115], v[106:107], -v[78:79]
	s_add_i32 s35, s34, s30
	v_add_f64 v[120:121], v[80:81], -v[78:79]
	v_mov_b32_e32 v78, s35
	v_mul_f64 v[114:115], v[114:115], v[108:109]
	ds_read_b128 v[78:81], v78
	v_fmac_f64_e32 v[114:115], v[116:117], v[106:107]
	s_add_i32 s34, s34, s31
	v_add_f64 v[118:119], v[118:119], -v[114:115]
	v_mov_b32_e32 v114, s34
	ds_read_b128 v[114:117], v114
	s_waitcnt lgkmcnt(1)
	v_mul_f64 v[122:123], v[80:81], v[100:101]
	v_fma_f64 v[122:123], v[78:79], v[98:99], -v[122:123]
	v_mul_f64 v[78:79], v[78:79], v[100:101]
	v_fmac_f64_e32 v[78:79], v[80:81], v[98:99]
	v_add_f64 v[78:79], v[118:119], -v[78:79]
	s_waitcnt lgkmcnt(0)
	v_mul_f64 v[118:119], v[116:117], v[92:93]
	v_fma_f64 v[118:119], v[114:115], v[90:91], -v[118:119]
	v_mul_f64 v[114:115], v[114:115], v[92:93]
	v_add_f64 v[80:81], v[120:121], -v[122:123]
	v_fmac_f64_e32 v[114:115], v[116:117], v[90:91]
	s_add_i32 s34, s7, 0xffffd4b0
	v_add_f64 v[122:123], v[80:81], -v[118:119]
	v_add_f64 v[80:81], v[78:79], -v[114:115]
	v_mov_b32_e32 v78, s34
	s_sub_i32 s34, s5, 22
	s_lshl_b32 s35, s34, 4
	ds_read_b128 v[114:117], v78
	s_add_i32 s36, s35, s6
	v_mov_b32_e32 v78, s36
	ds_read_b128 v[118:121], v78
	s_lshl_b32 s33, s33, 9
	s_waitcnt lgkmcnt(1)
	v_mul_f64 v[78:79], v[116:117], v[80:81]
	v_mul_f64 v[80:81], v[114:115], v[80:81]
	v_fma_f64 v[78:79], v[114:115], v[122:123], -v[78:79]
	v_fmac_f64_e32 v[80:81], v[116:117], v[122:123]
	v_add_u32_e32 v114, s33, v1
	ds_write_b128 v114, v[78:81]
	s_waitcnt lgkmcnt(1)
	v_mul_f64 v[114:115], v[120:121], v[16:17]
	v_fma_f64 v[114:115], v[118:119], v[14:15], -v[114:115]
	v_mul_f64 v[118:119], v[118:119], v[16:17]
	s_add_i32 s36, s35, s10
	v_fmac_f64_e32 v[118:119], v[120:121], v[14:15]
	v_add_f64 v[120:121], v[70:71], -v[114:115]
	v_mov_b32_e32 v70, s36
	ds_read_b128 v[114:117], v70
	s_add_i32 s36, s35, s11
	v_mov_b32_e32 v70, s36
	v_add_f64 v[118:119], v[72:73], -v[118:119]
	ds_read_b128 v[70:73], v70
	s_waitcnt lgkmcnt(1)
	v_mul_f64 v[122:123], v[116:117], v[20:21]
	v_fma_f64 v[122:123], v[114:115], v[18:19], -v[122:123]
	v_mul_f64 v[114:115], v[114:115], v[20:21]
	v_fmac_f64_e32 v[114:115], v[116:117], v[18:19]
	v_add_f64 v[114:115], v[118:119], -v[114:115]
	s_waitcnt lgkmcnt(0)
	v_mul_f64 v[118:119], v[72:73], v[24:25]
	s_add_i32 s36, s35, s12
	v_add_f64 v[116:117], v[120:121], -v[122:123]
	v_fma_f64 v[118:119], v[70:71], v[22:23], -v[118:119]
	v_mul_f64 v[120:121], v[70:71], v[24:25]
	v_mov_b32_e32 v70, s36
	v_fmac_f64_e32 v[120:121], v[72:73], v[22:23]
	ds_read_b128 v[70:73], v70
	s_add_i32 s36, s35, s14
	v_add_f64 v[120:121], v[114:115], -v[120:121]
	v_mov_b32_e32 v114, s36
	v_add_f64 v[118:119], v[116:117], -v[118:119]
	ds_read_b128 v[114:117], v114
	s_waitcnt lgkmcnt(1)
	v_mul_f64 v[122:123], v[72:73], v[28:29]
	v_fma_f64 v[122:123], v[70:71], v[26:27], -v[122:123]
	v_mul_f64 v[70:71], v[70:71], v[28:29]
	v_fmac_f64_e32 v[70:71], v[72:73], v[26:27]
	v_add_f64 v[72:73], v[118:119], -v[122:123]
	v_add_f64 v[118:119], v[120:121], -v[70:71]
	s_waitcnt lgkmcnt(0)
	v_mul_f64 v[70:71], v[116:117], v[32:33]
	v_fma_f64 v[70:71], v[114:115], v[30:31], -v[70:71]
	s_add_i32 s36, s35, s15
	v_add_f64 v[120:121], v[72:73], -v[70:71]
	v_mov_b32_e32 v70, s36
	v_mul_f64 v[114:115], v[114:115], v[32:33]
	ds_read_b128 v[70:73], v70
	v_fmac_f64_e32 v[114:115], v[116:117], v[30:31]
	s_add_i32 s36, s35, s16
	v_add_f64 v[118:119], v[118:119], -v[114:115]
	v_mov_b32_e32 v114, s36
	ds_read_b128 v[114:117], v114
	s_waitcnt lgkmcnt(1)
	v_mul_f64 v[122:123], v[72:73], v[36:37]
	v_fma_f64 v[122:123], v[70:71], v[34:35], -v[122:123]
	v_mul_f64 v[70:71], v[70:71], v[36:37]
	v_fmac_f64_e32 v[70:71], v[72:73], v[34:35]
	v_add_f64 v[118:119], v[118:119], -v[70:71]
	s_waitcnt lgkmcnt(0)
	v_mul_f64 v[70:71], v[116:117], v[40:41]
	v_add_f64 v[72:73], v[120:121], -v[122:123]
	v_fma_f64 v[70:71], v[114:115], v[38:39], -v[70:71]
	s_add_i32 s36, s35, s17
	v_add_f64 v[120:121], v[72:73], -v[70:71]
	v_mov_b32_e32 v70, s36
	v_mul_f64 v[114:115], v[114:115], v[40:41]
	ds_read_b128 v[70:73], v70
	v_fmac_f64_e32 v[114:115], v[116:117], v[38:39]
	s_add_i32 s36, s35, s18
	v_add_f64 v[118:119], v[118:119], -v[114:115]
	v_mov_b32_e32 v114, s36
	ds_read_b128 v[114:117], v114
	s_waitcnt lgkmcnt(1)
	v_mul_f64 v[122:123], v[72:73], v[48:49]
	v_fma_f64 v[122:123], v[70:71], v[46:47], -v[122:123]
	v_mul_f64 v[70:71], v[70:71], v[48:49]
	v_fmac_f64_e32 v[70:71], v[72:73], v[46:47]
	v_add_f64 v[118:119], v[118:119], -v[70:71]
	s_waitcnt lgkmcnt(0)
	v_mul_f64 v[70:71], v[116:117], v[52:53]
	v_add_f64 v[72:73], v[120:121], -v[122:123]
	;; [unrolled: 20-line block ×8, first 2 shown]
	v_fma_f64 v[70:71], v[114:115], v[90:91], -v[70:71]
	s_add_i32 s35, s35, s33
	v_add_f64 v[120:121], v[72:73], -v[70:71]
	v_mov_b32_e32 v70, s35
	ds_read_b128 v[70:73], v70
	v_mul_f64 v[114:115], v[114:115], v[92:93]
	v_fmac_f64_e32 v[114:115], v[116:117], v[90:91]
	s_add_i32 s35, s7, 0xffffd2a0
	v_add_f64 v[118:119], v[118:119], -v[114:115]
	v_mov_b32_e32 v114, s35
	ds_read_b128 v[114:117], v114
	s_waitcnt lgkmcnt(1)
	v_mul_f64 v[122:123], v[72:73], v[80:81]
	v_fma_f64 v[122:123], v[70:71], v[78:79], -v[122:123]
	v_mul_f64 v[70:71], v[70:71], v[80:81]
	v_fmac_f64_e32 v[70:71], v[72:73], v[78:79]
	s_sub_i32 s35, s5, 23
	v_add_f64 v[72:73], v[118:119], -v[70:71]
	s_lshl_b32 s36, s35, 4
	v_add_f64 v[120:121], v[120:121], -v[122:123]
	s_waitcnt lgkmcnt(0)
	v_mul_f64 v[70:71], v[116:117], v[72:73]
	s_add_i32 s37, s36, s6
	v_fma_f64 v[70:71], v[114:115], v[120:121], -v[70:71]
	v_mul_f64 v[72:73], v[114:115], v[72:73]
	v_mov_b32_e32 v114, s37
	v_fmac_f64_e32 v[72:73], v[116:117], v[120:121]
	s_lshl_b32 s34, s34, 9
	ds_read_b128 v[114:117], v114
	v_add_u32_e32 v118, s34, v1
	s_add_i32 s37, s36, s10
	ds_write_b128 v118, v[70:73]
	v_mov_b32_e32 v118, s37
	ds_read_b128 v[118:121], v118
	s_waitcnt lgkmcnt(2)
	v_mul_f64 v[122:123], v[116:117], v[16:17]
	v_fma_f64 v[122:123], v[114:115], v[14:15], -v[122:123]
	v_mul_f64 v[114:115], v[114:115], v[16:17]
	v_fmac_f64_e32 v[114:115], v[116:117], v[14:15]
	v_add_f64 v[114:115], v[60:61], -v[114:115]
	s_waitcnt lgkmcnt(0)
	v_mul_f64 v[60:61], v[120:121], v[20:21]
	v_add_f64 v[58:59], v[58:59], -v[122:123]
	v_fma_f64 v[60:61], v[118:119], v[18:19], -v[60:61]
	s_add_i32 s37, s36, s11
	v_mul_f64 v[116:117], v[118:119], v[20:21]
	v_add_f64 v[118:119], v[58:59], -v[60:61]
	v_mov_b32_e32 v58, s37
	ds_read_b128 v[58:61], v58
	v_fmac_f64_e32 v[116:117], v[120:121], v[18:19]
	s_add_i32 s37, s36, s12
	v_add_f64 v[120:121], v[114:115], -v[116:117]
	v_mov_b32_e32 v114, s37
	ds_read_b128 v[114:117], v114
	s_waitcnt lgkmcnt(1)
	v_mul_f64 v[122:123], v[60:61], v[24:25]
	v_fma_f64 v[122:123], v[58:59], v[22:23], -v[122:123]
	v_mul_f64 v[58:59], v[58:59], v[24:25]
	v_fmac_f64_e32 v[58:59], v[60:61], v[22:23]
	v_add_f64 v[60:61], v[118:119], -v[122:123]
	v_add_f64 v[118:119], v[120:121], -v[58:59]
	s_waitcnt lgkmcnt(0)
	v_mul_f64 v[58:59], v[116:117], v[28:29]
	v_fma_f64 v[58:59], v[114:115], v[26:27], -v[58:59]
	s_add_i32 s37, s36, s14
	v_add_f64 v[120:121], v[60:61], -v[58:59]
	v_mov_b32_e32 v58, s37
	v_mul_f64 v[114:115], v[114:115], v[28:29]
	ds_read_b128 v[58:61], v58
	v_fmac_f64_e32 v[114:115], v[116:117], v[26:27]
	s_add_i32 s37, s36, s15
	v_add_f64 v[118:119], v[118:119], -v[114:115]
	v_mov_b32_e32 v114, s37
	ds_read_b128 v[114:117], v114
	s_waitcnt lgkmcnt(1)
	v_mul_f64 v[122:123], v[60:61], v[32:33]
	v_fma_f64 v[122:123], v[58:59], v[30:31], -v[122:123]
	v_mul_f64 v[58:59], v[58:59], v[32:33]
	v_fmac_f64_e32 v[58:59], v[60:61], v[30:31]
	v_add_f64 v[118:119], v[118:119], -v[58:59]
	s_waitcnt lgkmcnt(0)
	v_mul_f64 v[58:59], v[116:117], v[36:37]
	v_add_f64 v[60:61], v[120:121], -v[122:123]
	v_fma_f64 v[58:59], v[114:115], v[34:35], -v[58:59]
	s_add_i32 s37, s36, s16
	v_add_f64 v[120:121], v[60:61], -v[58:59]
	v_mov_b32_e32 v58, s37
	v_mul_f64 v[114:115], v[114:115], v[36:37]
	ds_read_b128 v[58:61], v58
	v_fmac_f64_e32 v[114:115], v[116:117], v[34:35]
	s_add_i32 s37, s36, s17
	v_add_f64 v[118:119], v[118:119], -v[114:115]
	v_mov_b32_e32 v114, s37
	ds_read_b128 v[114:117], v114
	s_waitcnt lgkmcnt(1)
	v_mul_f64 v[122:123], v[60:61], v[40:41]
	v_fma_f64 v[122:123], v[58:59], v[38:39], -v[122:123]
	v_mul_f64 v[58:59], v[58:59], v[40:41]
	v_fmac_f64_e32 v[58:59], v[60:61], v[38:39]
	v_add_f64 v[118:119], v[118:119], -v[58:59]
	s_waitcnt lgkmcnt(0)
	v_mul_f64 v[58:59], v[116:117], v[48:49]
	v_add_f64 v[60:61], v[120:121], -v[122:123]
	;; [unrolled: 20-line block ×9, first 2 shown]
	v_fma_f64 v[58:59], v[114:115], v[78:79], -v[58:59]
	s_add_i32 s36, s36, s34
	v_add_f64 v[120:121], v[60:61], -v[58:59]
	v_mov_b32_e32 v58, s36
	ds_read_b128 v[58:61], v58
	v_mul_f64 v[114:115], v[114:115], v[80:81]
	v_fmac_f64_e32 v[114:115], v[116:117], v[78:79]
	s_add_i32 s36, s7, 0xffffd090
	v_add_f64 v[118:119], v[118:119], -v[114:115]
	v_mov_b32_e32 v114, s36
	ds_read_b128 v[114:117], v114
	s_waitcnt lgkmcnt(1)
	v_mul_f64 v[122:123], v[60:61], v[72:73]
	v_fma_f64 v[122:123], v[58:59], v[70:71], -v[122:123]
	v_mul_f64 v[58:59], v[58:59], v[72:73]
	v_fmac_f64_e32 v[58:59], v[60:61], v[70:71]
	s_sub_i32 s36, s5, 24
	v_add_f64 v[60:61], v[118:119], -v[58:59]
	s_lshl_b32 s37, s36, 4
	v_add_f64 v[120:121], v[120:121], -v[122:123]
	s_waitcnt lgkmcnt(0)
	v_mul_f64 v[58:59], v[116:117], v[60:61]
	s_add_i32 s38, s37, s6
	v_fma_f64 v[58:59], v[114:115], v[120:121], -v[58:59]
	v_mul_f64 v[60:61], v[114:115], v[60:61]
	v_mov_b32_e32 v114, s38
	v_fmac_f64_e32 v[60:61], v[116:117], v[120:121]
	s_lshl_b32 s35, s35, 9
	ds_read_b128 v[114:117], v114
	v_add_u32_e32 v118, s35, v1
	s_add_i32 s38, s37, s10
	ds_write_b128 v118, v[58:61]
	v_mov_b32_e32 v118, s38
	ds_read_b128 v[118:121], v118
	s_waitcnt lgkmcnt(2)
	v_mul_f64 v[122:123], v[116:117], v[16:17]
	v_fma_f64 v[122:123], v[114:115], v[14:15], -v[122:123]
	v_mul_f64 v[114:115], v[114:115], v[16:17]
	v_fmac_f64_e32 v[114:115], v[116:117], v[14:15]
	v_add_f64 v[114:115], v[44:45], -v[114:115]
	s_waitcnt lgkmcnt(0)
	v_mul_f64 v[44:45], v[120:121], v[20:21]
	v_add_f64 v[42:43], v[42:43], -v[122:123]
	v_fma_f64 v[44:45], v[118:119], v[18:19], -v[44:45]
	s_add_i32 s38, s37, s11
	v_mul_f64 v[116:117], v[118:119], v[20:21]
	v_add_f64 v[118:119], v[42:43], -v[44:45]
	v_mov_b32_e32 v42, s38
	ds_read_b128 v[42:45], v42
	v_fmac_f64_e32 v[116:117], v[120:121], v[18:19]
	s_add_i32 s38, s37, s12
	v_add_f64 v[120:121], v[114:115], -v[116:117]
	v_mov_b32_e32 v114, s38
	ds_read_b128 v[114:117], v114
	s_waitcnt lgkmcnt(1)
	v_mul_f64 v[122:123], v[44:45], v[24:25]
	v_fma_f64 v[122:123], v[42:43], v[22:23], -v[122:123]
	v_mul_f64 v[42:43], v[42:43], v[24:25]
	v_fmac_f64_e32 v[42:43], v[44:45], v[22:23]
	v_add_f64 v[44:45], v[118:119], -v[122:123]
	v_add_f64 v[118:119], v[120:121], -v[42:43]
	s_waitcnt lgkmcnt(0)
	v_mul_f64 v[42:43], v[116:117], v[28:29]
	v_fma_f64 v[42:43], v[114:115], v[26:27], -v[42:43]
	s_add_i32 s38, s37, s14
	v_add_f64 v[120:121], v[44:45], -v[42:43]
	v_mov_b32_e32 v42, s38
	v_mul_f64 v[114:115], v[114:115], v[28:29]
	ds_read_b128 v[42:45], v42
	v_fmac_f64_e32 v[114:115], v[116:117], v[26:27]
	s_add_i32 s38, s37, s15
	v_add_f64 v[118:119], v[118:119], -v[114:115]
	v_mov_b32_e32 v114, s38
	ds_read_b128 v[114:117], v114
	s_waitcnt lgkmcnt(1)
	v_mul_f64 v[122:123], v[44:45], v[32:33]
	v_fma_f64 v[122:123], v[42:43], v[30:31], -v[122:123]
	v_mul_f64 v[42:43], v[42:43], v[32:33]
	v_fmac_f64_e32 v[42:43], v[44:45], v[30:31]
	v_add_f64 v[118:119], v[118:119], -v[42:43]
	s_waitcnt lgkmcnt(0)
	v_mul_f64 v[42:43], v[116:117], v[36:37]
	v_add_f64 v[44:45], v[120:121], -v[122:123]
	v_fma_f64 v[42:43], v[114:115], v[34:35], -v[42:43]
	s_add_i32 s38, s37, s16
	v_add_f64 v[120:121], v[44:45], -v[42:43]
	v_mov_b32_e32 v42, s38
	v_mul_f64 v[114:115], v[114:115], v[36:37]
	ds_read_b128 v[42:45], v42
	v_fmac_f64_e32 v[114:115], v[116:117], v[34:35]
	s_add_i32 s38, s37, s17
	v_add_f64 v[118:119], v[118:119], -v[114:115]
	v_mov_b32_e32 v114, s38
	ds_read_b128 v[114:117], v114
	s_waitcnt lgkmcnt(1)
	v_mul_f64 v[122:123], v[44:45], v[40:41]
	v_fma_f64 v[122:123], v[42:43], v[38:39], -v[122:123]
	v_mul_f64 v[42:43], v[42:43], v[40:41]
	v_fmac_f64_e32 v[42:43], v[44:45], v[38:39]
	v_add_f64 v[118:119], v[118:119], -v[42:43]
	s_waitcnt lgkmcnt(0)
	v_mul_f64 v[42:43], v[116:117], v[48:49]
	v_add_f64 v[44:45], v[120:121], -v[122:123]
	v_fma_f64 v[42:43], v[114:115], v[46:47], -v[42:43]
	s_add_i32 s38, s37, s18
	v_add_f64 v[120:121], v[44:45], -v[42:43]
	v_mov_b32_e32 v42, s38
	v_mul_f64 v[114:115], v[114:115], v[48:49]
	ds_read_b128 v[42:45], v42
	v_fmac_f64_e32 v[114:115], v[116:117], v[46:47]
	s_add_i32 s38, s37, s19
	v_add_f64 v[118:119], v[118:119], -v[114:115]
	v_mov_b32_e32 v114, s38
	ds_read_b128 v[114:117], v114
	s_waitcnt lgkmcnt(1)
	v_mul_f64 v[122:123], v[44:45], v[52:53]
	v_fma_f64 v[122:123], v[42:43], v[50:51], -v[122:123]
	v_mul_f64 v[42:43], v[42:43], v[52:53]
	v_fmac_f64_e32 v[42:43], v[44:45], v[50:51]
	v_add_f64 v[118:119], v[118:119], -v[42:43]
	s_waitcnt lgkmcnt(0)
	v_mul_f64 v[42:43], v[116:117], v[56:57]
	v_add_f64 v[44:45], v[120:121], -v[122:123]
	v_fma_f64 v[42:43], v[114:115], v[54:55], -v[42:43]
	s_add_i32 s38, s37, s20
	v_add_f64 v[120:121], v[44:45], -v[42:43]
	v_mov_b32_e32 v42, s38
	v_mul_f64 v[114:115], v[114:115], v[56:57]
	ds_read_b128 v[42:45], v42
	v_fmac_f64_e32 v[114:115], v[116:117], v[54:55]
	s_add_i32 s38, s37, s21
	v_add_f64 v[118:119], v[118:119], -v[114:115]
	v_mov_b32_e32 v114, s38
	ds_read_b128 v[114:117], v114
	s_waitcnt lgkmcnt(1)
	v_mul_f64 v[122:123], v[44:45], v[64:65]
	v_fma_f64 v[122:123], v[42:43], v[62:63], -v[122:123]
	v_mul_f64 v[42:43], v[42:43], v[64:65]
	v_fmac_f64_e32 v[42:43], v[44:45], v[62:63]
	v_add_f64 v[118:119], v[118:119], -v[42:43]
	s_waitcnt lgkmcnt(0)
	v_mul_f64 v[42:43], v[116:117], v[68:69]
	v_add_f64 v[44:45], v[120:121], -v[122:123]
	v_fma_f64 v[42:43], v[114:115], v[66:67], -v[42:43]
	s_add_i32 s38, s37, s22
	v_add_f64 v[120:121], v[44:45], -v[42:43]
	v_mov_b32_e32 v42, s38
	v_mul_f64 v[114:115], v[114:115], v[68:69]
	ds_read_b128 v[42:45], v42
	v_fmac_f64_e32 v[114:115], v[116:117], v[66:67]
	s_add_i32 s38, s37, s23
	v_add_f64 v[118:119], v[118:119], -v[114:115]
	v_mov_b32_e32 v114, s38
	ds_read_b128 v[114:117], v114
	s_waitcnt lgkmcnt(1)
	v_mul_f64 v[122:123], v[44:45], v[76:77]
	v_fma_f64 v[122:123], v[42:43], v[74:75], -v[122:123]
	v_mul_f64 v[42:43], v[42:43], v[76:77]
	v_fmac_f64_e32 v[42:43], v[44:45], v[74:75]
	v_add_f64 v[118:119], v[118:119], -v[42:43]
	s_waitcnt lgkmcnt(0)
	v_mul_f64 v[42:43], v[116:117], v[84:85]
	v_add_f64 v[44:45], v[120:121], -v[122:123]
	v_fma_f64 v[42:43], v[114:115], v[82:83], -v[42:43]
	s_add_i32 s38, s37, s25
	v_add_f64 v[120:121], v[44:45], -v[42:43]
	v_mov_b32_e32 v42, s38
	v_mul_f64 v[114:115], v[114:115], v[84:85]
	ds_read_b128 v[42:45], v42
	v_fmac_f64_e32 v[114:115], v[116:117], v[82:83]
	s_add_i32 s38, s37, s26
	v_add_f64 v[118:119], v[118:119], -v[114:115]
	v_mov_b32_e32 v114, s38
	ds_read_b128 v[114:117], v114
	s_waitcnt lgkmcnt(1)
	v_mul_f64 v[122:123], v[44:45], v[88:89]
	v_fma_f64 v[122:123], v[42:43], v[86:87], -v[122:123]
	v_mul_f64 v[42:43], v[42:43], v[88:89]
	v_fmac_f64_e32 v[42:43], v[44:45], v[86:87]
	v_add_f64 v[118:119], v[118:119], -v[42:43]
	s_waitcnt lgkmcnt(0)
	v_mul_f64 v[42:43], v[116:117], v[96:97]
	v_add_f64 v[44:45], v[120:121], -v[122:123]
	v_fma_f64 v[42:43], v[114:115], v[94:95], -v[42:43]
	s_add_i32 s38, s37, s27
	v_add_f64 v[120:121], v[44:45], -v[42:43]
	v_mov_b32_e32 v42, s38
	v_mul_f64 v[114:115], v[114:115], v[96:97]
	ds_read_b128 v[42:45], v42
	v_fmac_f64_e32 v[114:115], v[116:117], v[94:95]
	s_add_i32 s38, s37, s28
	v_add_f64 v[118:119], v[118:119], -v[114:115]
	v_mov_b32_e32 v114, s38
	ds_read_b128 v[114:117], v114
	s_waitcnt lgkmcnt(1)
	v_mul_f64 v[122:123], v[44:45], v[104:105]
	v_fma_f64 v[122:123], v[42:43], v[102:103], -v[122:123]
	v_mul_f64 v[42:43], v[42:43], v[104:105]
	v_fmac_f64_e32 v[42:43], v[44:45], v[102:103]
	v_add_f64 v[118:119], v[118:119], -v[42:43]
	s_waitcnt lgkmcnt(0)
	v_mul_f64 v[42:43], v[116:117], v[112:113]
	v_add_f64 v[44:45], v[120:121], -v[122:123]
	v_fma_f64 v[42:43], v[114:115], v[110:111], -v[42:43]
	s_add_i32 s38, s37, s29
	v_add_f64 v[120:121], v[44:45], -v[42:43]
	v_mov_b32_e32 v42, s38
	v_mul_f64 v[114:115], v[114:115], v[112:113]
	ds_read_b128 v[42:45], v42
	v_fmac_f64_e32 v[114:115], v[116:117], v[110:111]
	s_add_i32 s38, s37, s30
	v_add_f64 v[118:119], v[118:119], -v[114:115]
	v_mov_b32_e32 v114, s38
	ds_read_b128 v[114:117], v114
	s_waitcnt lgkmcnt(1)
	v_mul_f64 v[122:123], v[44:45], v[108:109]
	v_fma_f64 v[122:123], v[42:43], v[106:107], -v[122:123]
	v_mul_f64 v[42:43], v[42:43], v[108:109]
	v_fmac_f64_e32 v[42:43], v[44:45], v[106:107]
	v_add_f64 v[118:119], v[118:119], -v[42:43]
	s_waitcnt lgkmcnt(0)
	v_mul_f64 v[42:43], v[116:117], v[100:101]
	v_add_f64 v[44:45], v[120:121], -v[122:123]
	v_fma_f64 v[42:43], v[114:115], v[98:99], -v[42:43]
	s_add_i32 s38, s37, s31
	v_add_f64 v[120:121], v[44:45], -v[42:43]
	v_mov_b32_e32 v42, s38
	v_mul_f64 v[114:115], v[114:115], v[100:101]
	ds_read_b128 v[42:45], v42
	v_fmac_f64_e32 v[114:115], v[116:117], v[98:99]
	s_add_i32 s38, s37, s33
	v_add_f64 v[118:119], v[118:119], -v[114:115]
	v_mov_b32_e32 v114, s38
	ds_read_b128 v[114:117], v114
	s_waitcnt lgkmcnt(1)
	v_mul_f64 v[122:123], v[44:45], v[92:93]
	v_fma_f64 v[122:123], v[42:43], v[90:91], -v[122:123]
	v_mul_f64 v[42:43], v[42:43], v[92:93]
	v_fmac_f64_e32 v[42:43], v[44:45], v[90:91]
	v_add_f64 v[118:119], v[118:119], -v[42:43]
	s_waitcnt lgkmcnt(0)
	v_mul_f64 v[42:43], v[116:117], v[80:81]
	v_add_f64 v[44:45], v[120:121], -v[122:123]
	v_fma_f64 v[42:43], v[114:115], v[78:79], -v[42:43]
	s_add_i32 s38, s37, s34
	v_add_f64 v[120:121], v[44:45], -v[42:43]
	v_mov_b32_e32 v42, s38
	v_mul_f64 v[114:115], v[114:115], v[80:81]
	ds_read_b128 v[42:45], v42
	v_fmac_f64_e32 v[114:115], v[116:117], v[78:79]
	s_add_i32 s37, s37, s35
	v_add_f64 v[118:119], v[118:119], -v[114:115]
	v_mov_b32_e32 v114, s37
	ds_read_b128 v[114:117], v114
	s_waitcnt lgkmcnt(1)
	v_mul_f64 v[122:123], v[44:45], v[72:73]
	v_fma_f64 v[122:123], v[42:43], v[70:71], -v[122:123]
	v_mul_f64 v[42:43], v[42:43], v[72:73]
	v_fmac_f64_e32 v[42:43], v[44:45], v[70:71]
	v_add_f64 v[42:43], v[118:119], -v[42:43]
	s_waitcnt lgkmcnt(0)
	v_mul_f64 v[118:119], v[116:117], v[60:61]
	v_fma_f64 v[118:119], v[114:115], v[58:59], -v[118:119]
	v_mul_f64 v[114:115], v[114:115], v[60:61]
	v_add_f64 v[44:45], v[120:121], -v[122:123]
	v_fmac_f64_e32 v[114:115], v[116:117], v[58:59]
	s_add_i32 s37, s7, 0xffffce80
	v_add_f64 v[122:123], v[44:45], -v[118:119]
	v_add_f64 v[44:45], v[42:43], -v[114:115]
	v_mov_b32_e32 v42, s37
	s_sub_i32 s37, s5, 25
	s_lshl_b32 s38, s37, 4
	ds_read_b128 v[114:117], v42
	s_add_i32 s39, s38, s6
	v_mov_b32_e32 v42, s39
	ds_read_b128 v[118:121], v42
	s_lshl_b32 s36, s36, 9
	s_waitcnt lgkmcnt(1)
	v_mul_f64 v[42:43], v[116:117], v[44:45]
	v_mul_f64 v[44:45], v[114:115], v[44:45]
	v_fma_f64 v[42:43], v[114:115], v[122:123], -v[42:43]
	v_fmac_f64_e32 v[44:45], v[116:117], v[122:123]
	v_add_u32_e32 v114, s36, v1
	ds_write_b128 v114, v[42:45]
	s_waitcnt lgkmcnt(1)
	v_mul_f64 v[114:115], v[120:121], v[16:17]
	v_fma_f64 v[114:115], v[118:119], v[14:15], -v[114:115]
	v_mul_f64 v[118:119], v[118:119], v[16:17]
	s_add_i32 s39, s38, s10
	v_fmac_f64_e32 v[118:119], v[120:121], v[14:15]
	v_add_f64 v[120:121], v[10:11], -v[114:115]
	v_mov_b32_e32 v10, s39
	ds_read_b128 v[114:117], v10
	s_add_i32 s39, s38, s11
	v_mov_b32_e32 v10, s39
	v_add_f64 v[118:119], v[12:13], -v[118:119]
	ds_read_b128 v[10:13], v10
	s_waitcnt lgkmcnt(1)
	v_mul_f64 v[122:123], v[116:117], v[20:21]
	v_fma_f64 v[122:123], v[114:115], v[18:19], -v[122:123]
	v_mul_f64 v[114:115], v[114:115], v[20:21]
	v_fmac_f64_e32 v[114:115], v[116:117], v[18:19]
	v_add_f64 v[114:115], v[118:119], -v[114:115]
	s_waitcnt lgkmcnt(0)
	v_mul_f64 v[118:119], v[12:13], v[24:25]
	s_add_i32 s39, s38, s12
	v_add_f64 v[116:117], v[120:121], -v[122:123]
	v_fma_f64 v[118:119], v[10:11], v[22:23], -v[118:119]
	v_mul_f64 v[120:121], v[10:11], v[24:25]
	v_mov_b32_e32 v10, s39
	v_fmac_f64_e32 v[120:121], v[12:13], v[22:23]
	ds_read_b128 v[10:13], v10
	s_add_i32 s39, s38, s14
	v_add_f64 v[120:121], v[114:115], -v[120:121]
	v_mov_b32_e32 v114, s39
	v_add_f64 v[118:119], v[116:117], -v[118:119]
	ds_read_b128 v[114:117], v114
	s_waitcnt lgkmcnt(1)
	v_mul_f64 v[122:123], v[12:13], v[28:29]
	v_fma_f64 v[122:123], v[10:11], v[26:27], -v[122:123]
	v_mul_f64 v[10:11], v[10:11], v[28:29]
	v_fmac_f64_e32 v[10:11], v[12:13], v[26:27]
	v_add_f64 v[12:13], v[118:119], -v[122:123]
	v_add_f64 v[118:119], v[120:121], -v[10:11]
	s_waitcnt lgkmcnt(0)
	v_mul_f64 v[10:11], v[116:117], v[32:33]
	v_fma_f64 v[10:11], v[114:115], v[30:31], -v[10:11]
	s_add_i32 s39, s38, s15
	v_add_f64 v[120:121], v[12:13], -v[10:11]
	v_mov_b32_e32 v10, s39
	v_mul_f64 v[114:115], v[114:115], v[32:33]
	ds_read_b128 v[10:13], v10
	v_fmac_f64_e32 v[114:115], v[116:117], v[30:31]
	s_add_i32 s39, s38, s16
	v_add_f64 v[118:119], v[118:119], -v[114:115]
	v_mov_b32_e32 v114, s39
	ds_read_b128 v[114:117], v114
	s_waitcnt lgkmcnt(1)
	v_mul_f64 v[122:123], v[12:13], v[36:37]
	v_fma_f64 v[122:123], v[10:11], v[34:35], -v[122:123]
	v_mul_f64 v[10:11], v[10:11], v[36:37]
	v_fmac_f64_e32 v[10:11], v[12:13], v[34:35]
	v_add_f64 v[118:119], v[118:119], -v[10:11]
	s_waitcnt lgkmcnt(0)
	v_mul_f64 v[10:11], v[116:117], v[40:41]
	v_add_f64 v[12:13], v[120:121], -v[122:123]
	v_fma_f64 v[10:11], v[114:115], v[38:39], -v[10:11]
	s_add_i32 s39, s38, s17
	v_add_f64 v[120:121], v[12:13], -v[10:11]
	v_mov_b32_e32 v10, s39
	v_mul_f64 v[114:115], v[114:115], v[40:41]
	ds_read_b128 v[10:13], v10
	v_fmac_f64_e32 v[114:115], v[116:117], v[38:39]
	s_add_i32 s39, s38, s18
	v_add_f64 v[118:119], v[118:119], -v[114:115]
	v_mov_b32_e32 v114, s39
	ds_read_b128 v[114:117], v114
	s_waitcnt lgkmcnt(1)
	v_mul_f64 v[122:123], v[12:13], v[48:49]
	v_fma_f64 v[122:123], v[10:11], v[46:47], -v[122:123]
	v_mul_f64 v[10:11], v[10:11], v[48:49]
	v_fmac_f64_e32 v[10:11], v[12:13], v[46:47]
	v_add_f64 v[118:119], v[118:119], -v[10:11]
	s_waitcnt lgkmcnt(0)
	v_mul_f64 v[10:11], v[116:117], v[52:53]
	v_add_f64 v[12:13], v[120:121], -v[122:123]
	;; [unrolled: 20-line block ×9, first 2 shown]
	v_fma_f64 v[10:11], v[114:115], v[70:71], -v[10:11]
	s_add_i32 s39, s38, s35
	v_add_f64 v[120:121], v[12:13], -v[10:11]
	v_mov_b32_e32 v10, s39
	v_mul_f64 v[114:115], v[114:115], v[72:73]
	ds_read_b128 v[10:13], v10
	v_fmac_f64_e32 v[114:115], v[116:117], v[70:71]
	s_add_i32 s38, s38, s36
	v_add_f64 v[118:119], v[118:119], -v[114:115]
	v_mov_b32_e32 v114, s38
	ds_read_b128 v[114:117], v114
	s_waitcnt lgkmcnt(1)
	v_mul_f64 v[122:123], v[12:13], v[60:61]
	v_fma_f64 v[122:123], v[10:11], v[58:59], -v[122:123]
	v_mul_f64 v[10:11], v[10:11], v[60:61]
	v_fmac_f64_e32 v[10:11], v[12:13], v[58:59]
	v_add_f64 v[10:11], v[118:119], -v[10:11]
	s_waitcnt lgkmcnt(0)
	v_mul_f64 v[118:119], v[116:117], v[44:45]
	v_fma_f64 v[118:119], v[114:115], v[42:43], -v[118:119]
	v_mul_f64 v[114:115], v[114:115], v[44:45]
	v_add_f64 v[12:13], v[120:121], -v[122:123]
	v_fmac_f64_e32 v[114:115], v[116:117], v[42:43]
	s_add_i32 s38, s7, 0xffffcc70
	v_add_f64 v[122:123], v[12:13], -v[118:119]
	v_add_f64 v[12:13], v[10:11], -v[114:115]
	v_mov_b32_e32 v10, s38
	s_sub_i32 s38, s5, 26
	s_lshl_b32 s39, s38, 4
	ds_read_b128 v[114:117], v10
	s_add_i32 s40, s39, s6
	v_mov_b32_e32 v10, s40
	ds_read_b128 v[118:121], v10
	s_lshl_b32 s37, s37, 9
	s_waitcnt lgkmcnt(1)
	v_mul_f64 v[10:11], v[116:117], v[12:13]
	v_mul_f64 v[12:13], v[114:115], v[12:13]
	v_fma_f64 v[10:11], v[114:115], v[122:123], -v[10:11]
	v_fmac_f64_e32 v[12:13], v[116:117], v[122:123]
	v_add_u32_e32 v114, s37, v1
	ds_write_b128 v114, v[10:13]
	s_waitcnt lgkmcnt(1)
	v_mul_f64 v[114:115], v[120:121], v[16:17]
	v_fma_f64 v[114:115], v[118:119], v[14:15], -v[114:115]
	v_mul_f64 v[118:119], v[118:119], v[16:17]
	s_add_i32 s40, s39, s10
	v_fmac_f64_e32 v[118:119], v[120:121], v[14:15]
	v_add_f64 v[120:121], v[6:7], -v[114:115]
	v_mov_b32_e32 v6, s40
	ds_read_b128 v[114:117], v6
	s_add_i32 s40, s39, s11
	v_mov_b32_e32 v6, s40
	v_add_f64 v[118:119], v[8:9], -v[118:119]
	ds_read_b128 v[6:9], v6
	s_waitcnt lgkmcnt(1)
	v_mul_f64 v[122:123], v[116:117], v[20:21]
	v_fma_f64 v[122:123], v[114:115], v[18:19], -v[122:123]
	v_mul_f64 v[114:115], v[114:115], v[20:21]
	v_fmac_f64_e32 v[114:115], v[116:117], v[18:19]
	v_add_f64 v[114:115], v[118:119], -v[114:115]
	s_waitcnt lgkmcnt(0)
	v_mul_f64 v[118:119], v[8:9], v[24:25]
	s_add_i32 s40, s39, s12
	v_add_f64 v[116:117], v[120:121], -v[122:123]
	v_fma_f64 v[118:119], v[6:7], v[22:23], -v[118:119]
	v_mul_f64 v[120:121], v[6:7], v[24:25]
	v_mov_b32_e32 v6, s40
	v_fmac_f64_e32 v[120:121], v[8:9], v[22:23]
	ds_read_b128 v[6:9], v6
	s_add_i32 s40, s39, s14
	v_add_f64 v[120:121], v[114:115], -v[120:121]
	v_mov_b32_e32 v114, s40
	v_add_f64 v[118:119], v[116:117], -v[118:119]
	ds_read_b128 v[114:117], v114
	s_waitcnt lgkmcnt(1)
	v_mul_f64 v[122:123], v[8:9], v[28:29]
	v_fma_f64 v[122:123], v[6:7], v[26:27], -v[122:123]
	v_mul_f64 v[6:7], v[6:7], v[28:29]
	v_fmac_f64_e32 v[6:7], v[8:9], v[26:27]
	v_add_f64 v[8:9], v[118:119], -v[122:123]
	v_add_f64 v[118:119], v[120:121], -v[6:7]
	s_waitcnt lgkmcnt(0)
	v_mul_f64 v[6:7], v[116:117], v[32:33]
	v_fma_f64 v[6:7], v[114:115], v[30:31], -v[6:7]
	s_add_i32 s40, s39, s15
	v_add_f64 v[120:121], v[8:9], -v[6:7]
	v_mov_b32_e32 v6, s40
	v_mul_f64 v[114:115], v[114:115], v[32:33]
	ds_read_b128 v[6:9], v6
	v_fmac_f64_e32 v[114:115], v[116:117], v[30:31]
	s_add_i32 s40, s39, s16
	v_add_f64 v[118:119], v[118:119], -v[114:115]
	v_mov_b32_e32 v114, s40
	ds_read_b128 v[114:117], v114
	s_waitcnt lgkmcnt(1)
	v_mul_f64 v[122:123], v[8:9], v[36:37]
	v_fma_f64 v[122:123], v[6:7], v[34:35], -v[122:123]
	v_mul_f64 v[6:7], v[6:7], v[36:37]
	v_fmac_f64_e32 v[6:7], v[8:9], v[34:35]
	v_add_f64 v[118:119], v[118:119], -v[6:7]
	s_waitcnt lgkmcnt(0)
	v_mul_f64 v[6:7], v[116:117], v[40:41]
	v_add_f64 v[8:9], v[120:121], -v[122:123]
	v_fma_f64 v[6:7], v[114:115], v[38:39], -v[6:7]
	s_add_i32 s40, s39, s17
	v_add_f64 v[120:121], v[8:9], -v[6:7]
	v_mov_b32_e32 v6, s40
	v_mul_f64 v[114:115], v[114:115], v[40:41]
	ds_read_b128 v[6:9], v6
	v_fmac_f64_e32 v[114:115], v[116:117], v[38:39]
	s_add_i32 s40, s39, s18
	v_add_f64 v[118:119], v[118:119], -v[114:115]
	v_mov_b32_e32 v114, s40
	ds_read_b128 v[114:117], v114
	s_waitcnt lgkmcnt(1)
	v_mul_f64 v[122:123], v[8:9], v[48:49]
	v_fma_f64 v[122:123], v[6:7], v[46:47], -v[122:123]
	v_mul_f64 v[6:7], v[6:7], v[48:49]
	v_fmac_f64_e32 v[6:7], v[8:9], v[46:47]
	v_add_f64 v[118:119], v[118:119], -v[6:7]
	s_waitcnt lgkmcnt(0)
	v_mul_f64 v[6:7], v[116:117], v[52:53]
	v_add_f64 v[8:9], v[120:121], -v[122:123]
	;; [unrolled: 20-line block ×10, first 2 shown]
	v_fma_f64 v[6:7], v[114:115], v[42:43], -v[6:7]
	s_add_i32 s39, s39, s37
	v_add_f64 v[120:121], v[8:9], -v[6:7]
	v_mov_b32_e32 v6, s39
	ds_read_b128 v[6:9], v6
	v_mul_f64 v[114:115], v[114:115], v[44:45]
	v_fmac_f64_e32 v[114:115], v[116:117], v[42:43]
	s_add_i32 s39, s7, 0xffffca60
	v_add_f64 v[118:119], v[118:119], -v[114:115]
	v_mov_b32_e32 v114, s39
	ds_read_b128 v[114:117], v114
	s_waitcnt lgkmcnt(1)
	v_mul_f64 v[122:123], v[8:9], v[12:13]
	v_fma_f64 v[122:123], v[6:7], v[10:11], -v[122:123]
	v_mul_f64 v[6:7], v[6:7], v[12:13]
	v_fmac_f64_e32 v[6:7], v[8:9], v[10:11]
	s_lshl_b32 s39, s38, 9
	s_sub_i32 s38, s5, 27
	v_add_f64 v[8:9], v[118:119], -v[6:7]
	s_lshl_b32 s40, s38, 4
	v_add_f64 v[120:121], v[120:121], -v[122:123]
	s_waitcnt lgkmcnt(0)
	v_mul_f64 v[6:7], v[116:117], v[8:9]
	s_add_i32 s6, s40, s6
	v_fma_f64 v[6:7], v[114:115], v[120:121], -v[6:7]
	v_mul_f64 v[8:9], v[114:115], v[8:9]
	v_mov_b32_e32 v114, s6
	v_fmac_f64_e32 v[8:9], v[116:117], v[120:121]
	v_add_u32_e32 v118, s39, v1
	ds_read_b128 v[114:117], v114
	s_add_i32 s6, s40, s10
	ds_write_b128 v118, v[6:9]
	v_mov_b32_e32 v118, s6
	ds_read_b128 v[118:121], v118
	s_waitcnt lgkmcnt(2)
	v_mul_f64 v[122:123], v[116:117], v[16:17]
	v_mul_f64 v[16:17], v[114:115], v[16:17]
	v_fmac_f64_e32 v[16:17], v[116:117], v[14:15]
	v_fma_f64 v[122:123], v[114:115], v[14:15], -v[122:123]
	v_add_f64 v[14:15], v[4:5], -v[16:17]
	s_waitcnt lgkmcnt(0)
	v_mul_f64 v[4:5], v[120:121], v[20:21]
	v_add_f64 v[2:3], v[2:3], -v[122:123]
	v_fma_f64 v[4:5], v[118:119], v[18:19], -v[4:5]
	v_mul_f64 v[16:17], v[118:119], v[20:21]
	s_add_i32 s6, s40, s11
	v_fmac_f64_e32 v[16:17], v[120:121], v[18:19]
	v_add_f64 v[18:19], v[2:3], -v[4:5]
	v_mov_b32_e32 v2, s6
	ds_read_b128 v[2:5], v2
	s_add_i32 s6, s40, s12
	v_add_f64 v[20:21], v[14:15], -v[16:17]
	v_mov_b32_e32 v14, s6
	ds_read_b128 v[14:17], v14
	s_waitcnt lgkmcnt(1)
	v_mul_f64 v[114:115], v[4:5], v[24:25]
	v_fma_f64 v[114:115], v[2:3], v[22:23], -v[114:115]
	v_mul_f64 v[2:3], v[2:3], v[24:25]
	v_fmac_f64_e32 v[2:3], v[4:5], v[22:23]
	v_add_f64 v[4:5], v[18:19], -v[114:115]
	v_add_f64 v[18:19], v[20:21], -v[2:3]
	s_waitcnt lgkmcnt(0)
	v_mul_f64 v[2:3], v[16:17], v[28:29]
	v_fma_f64 v[2:3], v[14:15], v[26:27], -v[2:3]
	s_add_i32 s6, s40, s14
	v_add_f64 v[20:21], v[4:5], -v[2:3]
	v_mov_b32_e32 v2, s6
	v_mul_f64 v[14:15], v[14:15], v[28:29]
	ds_read_b128 v[2:5], v2
	v_fmac_f64_e32 v[14:15], v[16:17], v[26:27]
	s_add_i32 s6, s40, s15
	v_add_f64 v[18:19], v[18:19], -v[14:15]
	v_mov_b32_e32 v14, s6
	ds_read_b128 v[14:17], v14
	s_waitcnt lgkmcnt(1)
	v_mul_f64 v[22:23], v[4:5], v[32:33]
	v_fma_f64 v[22:23], v[2:3], v[30:31], -v[22:23]
	v_mul_f64 v[2:3], v[2:3], v[32:33]
	v_fmac_f64_e32 v[2:3], v[4:5], v[30:31]
	v_add_f64 v[18:19], v[18:19], -v[2:3]
	s_waitcnt lgkmcnt(0)
	v_mul_f64 v[2:3], v[16:17], v[36:37]
	v_add_f64 v[4:5], v[20:21], -v[22:23]
	v_fma_f64 v[2:3], v[14:15], v[34:35], -v[2:3]
	s_add_i32 s6, s40, s16
	v_add_f64 v[20:21], v[4:5], -v[2:3]
	v_mov_b32_e32 v2, s6
	v_mul_f64 v[14:15], v[14:15], v[36:37]
	ds_read_b128 v[2:5], v2
	v_fmac_f64_e32 v[14:15], v[16:17], v[34:35]
	s_add_i32 s6, s40, s17
	v_add_f64 v[18:19], v[18:19], -v[14:15]
	v_mov_b32_e32 v14, s6
	ds_read_b128 v[14:17], v14
	s_waitcnt lgkmcnt(1)
	v_mul_f64 v[22:23], v[4:5], v[40:41]
	v_fma_f64 v[22:23], v[2:3], v[38:39], -v[22:23]
	v_mul_f64 v[2:3], v[2:3], v[40:41]
	v_fmac_f64_e32 v[2:3], v[4:5], v[38:39]
	v_add_f64 v[18:19], v[18:19], -v[2:3]
	s_waitcnt lgkmcnt(0)
	v_mul_f64 v[2:3], v[16:17], v[48:49]
	v_add_f64 v[4:5], v[20:21], -v[22:23]
	;; [unrolled: 20-line block ×11, first 2 shown]
	v_fma_f64 v[2:3], v[14:15], v[10:11], -v[2:3]
	s_add_i32 s6, s40, s39
	v_mul_f64 v[12:13], v[14:15], v[12:13]
	v_add_f64 v[14:15], v[4:5], -v[2:3]
	v_mov_b32_e32 v2, s6
	ds_read_b128 v[2:5], v2
	s_add_i32 s6, s7, 0xffffc850
	v_fmac_f64_e32 v[12:13], v[16:17], v[10:11]
	v_mov_b32_e32 v10, s6
	v_add_f64 v[16:17], v[18:19], -v[12:13]
	ds_read_b128 v[10:13], v10
	s_waitcnt lgkmcnt(1)
	v_mul_f64 v[18:19], v[4:5], v[8:9]
	v_fma_f64 v[18:19], v[2:3], v[6:7], -v[18:19]
	v_mul_f64 v[2:3], v[2:3], v[8:9]
	v_fmac_f64_e32 v[2:3], v[4:5], v[6:7]
	v_add_f64 v[4:5], v[16:17], -v[2:3]
	v_add_f64 v[6:7], v[14:15], -v[18:19]
	s_waitcnt lgkmcnt(0)
	v_mul_f64 v[2:3], v[12:13], v[4:5]
	v_mul_f64 v[4:5], v[10:11], v[4:5]
	v_fma_f64 v[2:3], v[10:11], v[6:7], -v[2:3]
	v_fmac_f64_e32 v[4:5], v[12:13], v[6:7]
	v_lshl_add_u32 v6, s38, 9, v1
	s_sub_i32 s5, s5, 28
	ds_write_b128 v6, v[2:5]
.LBB234_38:
	s_cmp_lt_i32 s5, 0
	s_cbranch_scc1 .LBB234_51
; %bb.39:
	s_bitcmp1_b32 s5, 0
	s_cselect_b64 s[6:7], -1, 0
	s_and_b64 vcc, exec, s[6:7]
	s_mov_b32 s6, s5
	s_cbranch_vccnz .LBB234_44
; %bb.40:
	s_lshl_b32 s6, s5, 9
	v_add_u32_e32 v6, s6, v1
	ds_read_b128 v[2:5], v6
	s_cmp_le_i32 s4, s5
	s_cbranch_scc1 .LBB234_43
; %bb.41:
	s_lshl_b32 s7, s24, 9
	s_lshl_b32 s6, s5, 4
	s_add_i32 s6, s7, s6
	v_lshl_or_b32 v7, v0, 4, s7
	s_addk_i32 s6, 0xfe00
	v_add_u32_e32 v7, 0x3e00, v7
	s_mov_b32 s7, s4
.LBB234_42:                             ; =>This Inner Loop Header: Depth=1
	v_mov_b32_e32 v12, s6
	ds_read_b128 v[8:11], v7
	ds_read_b128 v[12:15], v12
	s_add_i32 s7, s7, -1
	s_addk_i32 s6, 0xfe00
	v_add_u32_e32 v7, 0xfffffe00, v7
	s_cmp_gt_i32 s7, s5
	s_waitcnt lgkmcnt(0)
	v_mul_f64 v[16:17], v[10:11], v[14:15]
	v_mul_f64 v[14:15], v[8:9], v[14:15]
	v_fma_f64 v[8:9], v[8:9], v[12:13], -v[16:17]
	v_fmac_f64_e32 v[14:15], v[10:11], v[12:13]
	v_add_f64 v[2:3], v[2:3], -v[8:9]
	v_add_f64 v[4:5], v[4:5], -v[14:15]
	s_cbranch_scc1 .LBB234_42
.LBB234_43:
	s_mul_i32 s6, s5, 0x210
	v_mov_b32_e32 v7, s6
	ds_read_b128 v[8:11], v7
	s_add_i32 s6, s5, -1
	s_waitcnt lgkmcnt(0)
	v_mul_f64 v[12:13], v[10:11], v[4:5]
	v_mul_f64 v[14:15], v[8:9], v[4:5]
	v_fma_f64 v[12:13], v[8:9], v[2:3], -v[12:13]
	v_fmac_f64_e32 v[14:15], v[10:11], v[2:3]
	ds_write_b128 v6, v[12:15]
.LBB234_44:
	s_cmp_eq_u32 s5, 0
	s_cbranch_scc1 .LBB234_51
; %bb.45:
	s_lshl_b32 s7, s24, 9
	s_lshl_b32 s5, s6, 4
	s_add_i32 s10, s7, s5
	v_lshl_or_b32 v2, v0, 4, s7
	s_add_i32 s5, s10, 0xfffffe00
	v_add_u32_e32 v10, 0x3e00, v2
	s_add_i32 s7, s10, 0xfffffdf0
	s_branch .LBB234_47
.LBB234_46:                             ;   in Loop: Header=BB234_47 Depth=1
	s_addk_i32 s10, 0xfdf0
	v_mov_b32_e32 v6, s10
	ds_read_b128 v[6:9], v6
	s_add_i32 s10, s6, -2
	s_sub_i32 s5, s5, 32
	s_sub_i32 s7, s7, 32
	s_cmp_lt_i32 s6, 2
	s_waitcnt lgkmcnt(0)
	v_mul_f64 v[12:13], v[8:9], v[4:5]
	v_mul_f64 v[14:15], v[6:7], v[4:5]
	v_fma_f64 v[12:13], v[6:7], v[2:3], -v[12:13]
	v_fmac_f64_e32 v[14:15], v[8:9], v[2:3]
	s_mov_b32 s6, s10
	ds_write_b128 v11, v[12:15]
	s_cbranch_scc1 .LBB234_51
.LBB234_47:                             ; =>This Loop Header: Depth=1
                                        ;     Child Loop BB234_48 Depth 2
                                        ;     Child Loop BB234_50 Depth 2
	s_lshl_b32 s11, s6, 9
	v_add_u32_e32 v12, s11, v1
	ds_read_b128 v[6:9], v12
	s_cmp_le_i32 s4, s6
	v_mov_b32_e32 v2, v10
	s_mov_b32 s10, s5
	s_mov_b32 s12, s4
	s_cbranch_scc1 .LBB234_49
.LBB234_48:                             ;   Parent Loop BB234_47 Depth=1
                                        ; =>  This Inner Loop Header: Depth=2
	v_mov_b32_e32 v3, s10
	ds_read_b128 v[14:17], v2
	ds_read_b128 v[18:21], v3
	s_add_i32 s12, s12, -1
	s_addk_i32 s10, 0xfe00
	v_add_u32_e32 v2, 0xfffffe00, v2
	s_cmp_gt_i32 s12, s6
	s_waitcnt lgkmcnt(0)
	v_mul_f64 v[4:5], v[16:17], v[20:21]
	v_mul_f64 v[20:21], v[14:15], v[20:21]
	v_fma_f64 v[4:5], v[14:15], v[18:19], -v[4:5]
	v_fmac_f64_e32 v[20:21], v[16:17], v[18:19]
	v_add_f64 v[6:7], v[6:7], -v[4:5]
	v_add_f64 v[8:9], v[8:9], -v[20:21]
	s_cbranch_scc1 .LBB234_48
.LBB234_49:                             ;   in Loop: Header=BB234_47 Depth=1
	s_mul_i32 s10, s6, 0x210
	v_mov_b32_e32 v2, s10
	ds_read_b128 v[14:17], v2
	s_addk_i32 s11, 0xfe00
	v_add_u32_e32 v11, s11, v1
	ds_read_b128 v[2:5], v11
	s_cmp_le_i32 s24, s6
	s_waitcnt lgkmcnt(1)
	v_mul_f64 v[18:19], v[16:17], v[8:9]
	v_mul_f64 v[20:21], v[14:15], v[8:9]
	v_fma_f64 v[18:19], v[14:15], v[6:7], -v[18:19]
	v_fmac_f64_e32 v[20:21], v[16:17], v[6:7]
	s_mov_b32 s11, s7
	v_mov_b32_e32 v6, v10
	s_mov_b32 s12, s24
	ds_write_b128 v12, v[18:21]
	s_cbranch_scc1 .LBB234_46
.LBB234_50:                             ;   Parent Loop BB234_47 Depth=1
                                        ; =>  This Inner Loop Header: Depth=2
	v_mov_b32_e32 v7, s11
	ds_read_b128 v[12:15], v6
	ds_read_b128 v[16:19], v7
	s_add_i32 s12, s12, -1
	s_addk_i32 s11, 0xfe00
	v_add_u32_e32 v6, 0xfffffe00, v6
	s_cmp_gt_i32 s12, s6
	s_waitcnt lgkmcnt(0)
	v_mul_f64 v[8:9], v[14:15], v[18:19]
	v_mul_f64 v[18:19], v[12:13], v[18:19]
	v_fma_f64 v[8:9], v[12:13], v[16:17], -v[8:9]
	v_fmac_f64_e32 v[18:19], v[14:15], v[16:17]
	v_add_f64 v[2:3], v[2:3], -v[8:9]
	v_add_f64 v[4:5], v[4:5], -v[18:19]
	s_cbranch_scc1 .LBB234_50
	s_branch .LBB234_46
.LBB234_51:
	s_waitcnt lgkmcnt(0)
	; wave barrier
	s_and_saveexec_b64 s[4:5], s[0:1]
	s_cbranch_execz .LBB234_55
; %bb.52:
	s_andn2_b64 vcc, exec, s[8:9]
	s_cbranch_vccnz .LBB234_55
; %bb.53:
	v_mad_i64_i32 v[2:3], s[0:1], s13, v0, 0
	v_mov_b32_e32 v1, 0x4000
	v_lshl_add_u64 v[2:3], v[2:3], 4, s[2:3]
	v_lshl_or_b32 v0, v0, 4, v1
.LBB234_54:                             ; =>This Inner Loop Header: Depth=1
	ds_read2_b64 v[4:7], v0 offset1:1
	s_add_i32 s24, s24, -1
	v_add_u32_e32 v0, 0x200, v0
	s_cmp_lg_u32 s24, 0
	s_waitcnt lgkmcnt(0)
	flat_store_dwordx4 v[2:3], v[4:7]
	v_lshl_add_u64 v[2:3], v[2:3], 0, 16
	s_cbranch_scc1 .LBB234_54
.LBB234_55:
	s_endpgm
	.section	.rodata,"a",@progbits
	.p2align	6, 0x0
	.amdhsa_kernel _ZL38rocblas_trsm_small_left_device_sharedBILi32ELi32ELb0E19rocblas_complex_numIdES1_PKPKS1_PKPS1_Ev13rocblas_fill_18rocblas_operation_17rocblas_diagonal_iiT3_T4_lilT5_lili
		.amdhsa_group_segment_fixed_size 32768
		.amdhsa_private_segment_fixed_size 0
		.amdhsa_kernarg_size 368
		.amdhsa_user_sgpr_count 2
		.amdhsa_user_sgpr_dispatch_ptr 0
		.amdhsa_user_sgpr_queue_ptr 0
		.amdhsa_user_sgpr_kernarg_segment_ptr 1
		.amdhsa_user_sgpr_dispatch_id 0
		.amdhsa_user_sgpr_kernarg_preload_length 0
		.amdhsa_user_sgpr_kernarg_preload_offset 0
		.amdhsa_user_sgpr_private_segment_size 0
		.amdhsa_uses_dynamic_stack 0
		.amdhsa_enable_private_segment 0
		.amdhsa_system_sgpr_workgroup_id_x 1
		.amdhsa_system_sgpr_workgroup_id_y 0
		.amdhsa_system_sgpr_workgroup_id_z 1
		.amdhsa_system_sgpr_workgroup_info 0
		.amdhsa_system_vgpr_workitem_id 0
		.amdhsa_next_free_vgpr 246
		.amdhsa_next_free_sgpr 96
		.amdhsa_accum_offset 248
		.amdhsa_reserve_vcc 1
		.amdhsa_float_round_mode_32 0
		.amdhsa_float_round_mode_16_64 0
		.amdhsa_float_denorm_mode_32 3
		.amdhsa_float_denorm_mode_16_64 3
		.amdhsa_dx10_clamp 1
		.amdhsa_ieee_mode 1
		.amdhsa_fp16_overflow 0
		.amdhsa_tg_split 0
		.amdhsa_exception_fp_ieee_invalid_op 0
		.amdhsa_exception_fp_denorm_src 0
		.amdhsa_exception_fp_ieee_div_zero 0
		.amdhsa_exception_fp_ieee_overflow 0
		.amdhsa_exception_fp_ieee_underflow 0
		.amdhsa_exception_fp_ieee_inexact 0
		.amdhsa_exception_int_div_zero 0
	.end_amdhsa_kernel
	.section	.text._ZL38rocblas_trsm_small_left_device_sharedBILi32ELi32ELb0E19rocblas_complex_numIdES1_PKPKS1_PKPS1_Ev13rocblas_fill_18rocblas_operation_17rocblas_diagonal_iiT3_T4_lilT5_lili,"axG",@progbits,_ZL38rocblas_trsm_small_left_device_sharedBILi32ELi32ELb0E19rocblas_complex_numIdES1_PKPKS1_PKPS1_Ev13rocblas_fill_18rocblas_operation_17rocblas_diagonal_iiT3_T4_lilT5_lili,comdat
.Lfunc_end234:
	.size	_ZL38rocblas_trsm_small_left_device_sharedBILi32ELi32ELb0E19rocblas_complex_numIdES1_PKPKS1_PKPS1_Ev13rocblas_fill_18rocblas_operation_17rocblas_diagonal_iiT3_T4_lilT5_lili, .Lfunc_end234-_ZL38rocblas_trsm_small_left_device_sharedBILi32ELi32ELb0E19rocblas_complex_numIdES1_PKPKS1_PKPS1_Ev13rocblas_fill_18rocblas_operation_17rocblas_diagonal_iiT3_T4_lilT5_lili
                                        ; -- End function
	.set _ZL38rocblas_trsm_small_left_device_sharedBILi32ELi32ELb0E19rocblas_complex_numIdES1_PKPKS1_PKPS1_Ev13rocblas_fill_18rocblas_operation_17rocblas_diagonal_iiT3_T4_lilT5_lili.num_vgpr, 246
	.set _ZL38rocblas_trsm_small_left_device_sharedBILi32ELi32ELb0E19rocblas_complex_numIdES1_PKPKS1_PKPS1_Ev13rocblas_fill_18rocblas_operation_17rocblas_diagonal_iiT3_T4_lilT5_lili.num_agpr, 0
	.set _ZL38rocblas_trsm_small_left_device_sharedBILi32ELi32ELb0E19rocblas_complex_numIdES1_PKPKS1_PKPS1_Ev13rocblas_fill_18rocblas_operation_17rocblas_diagonal_iiT3_T4_lilT5_lili.numbered_sgpr, 41
	.set _ZL38rocblas_trsm_small_left_device_sharedBILi32ELi32ELb0E19rocblas_complex_numIdES1_PKPKS1_PKPS1_Ev13rocblas_fill_18rocblas_operation_17rocblas_diagonal_iiT3_T4_lilT5_lili.num_named_barrier, 0
	.set _ZL38rocblas_trsm_small_left_device_sharedBILi32ELi32ELb0E19rocblas_complex_numIdES1_PKPKS1_PKPS1_Ev13rocblas_fill_18rocblas_operation_17rocblas_diagonal_iiT3_T4_lilT5_lili.private_seg_size, 0
	.set _ZL38rocblas_trsm_small_left_device_sharedBILi32ELi32ELb0E19rocblas_complex_numIdES1_PKPKS1_PKPS1_Ev13rocblas_fill_18rocblas_operation_17rocblas_diagonal_iiT3_T4_lilT5_lili.uses_vcc, 1
	.set _ZL38rocblas_trsm_small_left_device_sharedBILi32ELi32ELb0E19rocblas_complex_numIdES1_PKPKS1_PKPS1_Ev13rocblas_fill_18rocblas_operation_17rocblas_diagonal_iiT3_T4_lilT5_lili.uses_flat_scratch, 0
	.set _ZL38rocblas_trsm_small_left_device_sharedBILi32ELi32ELb0E19rocblas_complex_numIdES1_PKPKS1_PKPS1_Ev13rocblas_fill_18rocblas_operation_17rocblas_diagonal_iiT3_T4_lilT5_lili.has_dyn_sized_stack, 0
	.set _ZL38rocblas_trsm_small_left_device_sharedBILi32ELi32ELb0E19rocblas_complex_numIdES1_PKPKS1_PKPS1_Ev13rocblas_fill_18rocblas_operation_17rocblas_diagonal_iiT3_T4_lilT5_lili.has_recursion, 0
	.set _ZL38rocblas_trsm_small_left_device_sharedBILi32ELi32ELb0E19rocblas_complex_numIdES1_PKPKS1_PKPS1_Ev13rocblas_fill_18rocblas_operation_17rocblas_diagonal_iiT3_T4_lilT5_lili.has_indirect_call, 0
	.section	.AMDGPU.csdata,"",@progbits
; Kernel info:
; codeLenInByte = 114396
; TotalNumSgprs: 47
; NumVgprs: 246
; NumAgprs: 0
; TotalNumVgprs: 246
; ScratchSize: 0
; MemoryBound: 0
; FloatMode: 240
; IeeeMode: 1
; LDSByteSize: 32768 bytes/workgroup (compile time only)
; SGPRBlocks: 12
; VGPRBlocks: 30
; NumSGPRsForWavesPerEU: 102
; NumVGPRsForWavesPerEU: 246
; AccumOffset: 248
; Occupancy: 2
; WaveLimiterHint : 0
; COMPUTE_PGM_RSRC2:SCRATCH_EN: 0
; COMPUTE_PGM_RSRC2:USER_SGPR: 2
; COMPUTE_PGM_RSRC2:TRAP_HANDLER: 0
; COMPUTE_PGM_RSRC2:TGID_X_EN: 1
; COMPUTE_PGM_RSRC2:TGID_Y_EN: 0
; COMPUTE_PGM_RSRC2:TGID_Z_EN: 1
; COMPUTE_PGM_RSRC2:TIDIG_COMP_CNT: 0
; COMPUTE_PGM_RSRC3_GFX90A:ACCUM_OFFSET: 61
; COMPUTE_PGM_RSRC3_GFX90A:TG_SPLIT: 0
	.section	.text._ZL30rocblas_trsm_small_left_deviceILi32ELi32ELb0E19rocblas_complex_numIdES1_PKPKS1_PKPS1_Ev13rocblas_fill_18rocblas_operation_17rocblas_diagonal_iiT3_T4_lilT5_lili,"axG",@progbits,_ZL30rocblas_trsm_small_left_deviceILi32ELi32ELb0E19rocblas_complex_numIdES1_PKPKS1_PKPS1_Ev13rocblas_fill_18rocblas_operation_17rocblas_diagonal_iiT3_T4_lilT5_lili,comdat
	.globl	_ZL30rocblas_trsm_small_left_deviceILi32ELi32ELb0E19rocblas_complex_numIdES1_PKPKS1_PKPS1_Ev13rocblas_fill_18rocblas_operation_17rocblas_diagonal_iiT3_T4_lilT5_lili ; -- Begin function _ZL30rocblas_trsm_small_left_deviceILi32ELi32ELb0E19rocblas_complex_numIdES1_PKPKS1_PKPS1_Ev13rocblas_fill_18rocblas_operation_17rocblas_diagonal_iiT3_T4_lilT5_lili
	.p2align	8
	.type	_ZL30rocblas_trsm_small_left_deviceILi32ELi32ELb0E19rocblas_complex_numIdES1_PKPKS1_PKPS1_Ev13rocblas_fill_18rocblas_operation_17rocblas_diagonal_iiT3_T4_lilT5_lili,@function
_ZL30rocblas_trsm_small_left_deviceILi32ELi32ELb0E19rocblas_complex_numIdES1_PKPKS1_PKPS1_Ev13rocblas_fill_18rocblas_operation_17rocblas_diagonal_iiT3_T4_lilT5_lili: ; @_ZL30rocblas_trsm_small_left_deviceILi32ELi32ELb0E19rocblas_complex_numIdES1_PKPKS1_PKPS1_Ev13rocblas_fill_18rocblas_operation_17rocblas_diagonal_iiT3_T4_lilT5_lili
; %bb.0:
	s_load_dwordx4 s[12:15], s[0:1], 0x4
	s_load_dwordx4 s[16:19], s[0:1], 0x48
	s_load_dwordx8 s[4:11], s[0:1], 0x18
	s_mov_b32 s20, s3
	s_mov_b32 s21, 0
	s_lshl_b64 s[22:23], s[20:21], 3
	s_waitcnt lgkmcnt(0)
	s_add_u32 s16, s16, s22
	s_addc_u32 s17, s17, s23
	s_load_dword s3, s[0:1], 0x70
	s_min_i32 s24, s14, 32
	s_load_dwordx2 s[16:17], s[16:17], 0x0
	v_cmp_gt_i32_e32 vcc, s24, v0
	s_and_saveexec_b64 s[20:21], vcc
	s_cbranch_execz .LBB235_11
; %bb.1:
	s_load_dword s26, s[0:1], 0x38
	v_lshlrev_b32_e32 v2, 4, v0
	v_mov_b32_e32 v3, 0
	v_mov_b32_e32 v1, v2
	s_waitcnt lgkmcnt(0)
	s_ashr_i32 s27, s26, 31
	s_cmpk_eq_i32 s12, 0x71
	s_cselect_b64 vcc, -1, 0
	s_add_u32 s8, s8, s22
	s_addc_u32 s9, s9, s23
	s_load_dwordx2 s[8:9], s[8:9], 0x0
	s_lshl_b64 s[10:11], s[10:11], 4
	s_waitcnt lgkmcnt(0)
	s_add_u32 s10, s8, s10
	s_addc_u32 s11, s9, s11
	s_lshl_b64 s[8:9], s[26:27], 4
	v_lshl_add_u64 v[4:5], s[10:11], 0, v[2:3]
	s_mov_b32 s10, s24
.LBB235_2:                              ; =>This Inner Loop Header: Depth=1
	flat_load_dwordx4 v[6:9], v[4:5]
	s_add_i32 s10, s10, -1
	v_lshl_add_u64 v[4:5], v[4:5], 0, s[8:9]
	s_cmp_eq_u32 s10, 0
	s_waitcnt vmcnt(0) lgkmcnt(0)
	v_xor_b32_e32 v3, 0x80000000, v9
	v_cndmask_b32_e32 v9, v9, v3, vcc
	ds_write_b128 v1, v[6:9]
	v_add_u32_e32 v1, 0x200, v1
	s_cbranch_scc0 .LBB235_2
; %bb.3:
	v_lshlrev_b32_e32 v1, 9, v0
	s_cmpk_lg_i32 s13, 0x84
	v_add_u32_e32 v1, v2, v1
	s_cbranch_scc0 .LBB235_9
; %bb.4:
	ds_read_b128 v[2:5], v1
                                        ; implicit-def: $vgpr8_vgpr9
	s_waitcnt lgkmcnt(0)
	v_cmp_ngt_f64_e64 s[8:9], |v[2:3]|, |v[4:5]|
	s_and_saveexec_b64 s[10:11], s[8:9]
	s_xor_b64 s[8:9], exec, s[10:11]
	s_cbranch_execz .LBB235_6
; %bb.5:
	v_div_scale_f64 v[6:7], s[10:11], v[4:5], v[4:5], v[2:3]
	v_rcp_f64_e32 v[8:9], v[6:7]
	v_div_scale_f64 v[10:11], vcc, v[2:3], v[4:5], v[2:3]
	v_fma_f64 v[12:13], -v[6:7], v[8:9], 1.0
	v_fmac_f64_e32 v[8:9], v[8:9], v[12:13]
	v_fma_f64 v[12:13], -v[6:7], v[8:9], 1.0
	v_fmac_f64_e32 v[8:9], v[8:9], v[12:13]
	v_mul_f64 v[12:13], v[10:11], v[8:9]
	v_fma_f64 v[6:7], -v[6:7], v[12:13], v[10:11]
	v_div_fmas_f64 v[6:7], v[6:7], v[8:9], v[12:13]
	v_div_fixup_f64 v[8:9], v[6:7], v[4:5], v[2:3]
	v_fmac_f64_e32 v[4:5], v[2:3], v[8:9]
	v_div_scale_f64 v[2:3], s[10:11], v[4:5], v[4:5], 1.0
	v_rcp_f64_e32 v[6:7], v[2:3]
	s_nop 0
	v_fma_f64 v[10:11], -v[2:3], v[6:7], 1.0
	v_fmac_f64_e32 v[6:7], v[6:7], v[10:11]
	v_fma_f64 v[10:11], -v[2:3], v[6:7], 1.0
	v_fmac_f64_e32 v[6:7], v[6:7], v[10:11]
	v_div_scale_f64 v[10:11], vcc, 1.0, v[4:5], 1.0
	v_mul_f64 v[12:13], v[10:11], v[6:7]
	v_fma_f64 v[2:3], -v[2:3], v[12:13], v[10:11]
	s_nop 1
	v_div_fmas_f64 v[2:3], v[2:3], v[6:7], v[12:13]
	v_div_fixup_f64 v[2:3], v[2:3], v[4:5], 1.0
	v_add_f64 v[4:5], v[8:9], 0
	v_mul_f64 v[6:7], v[4:5], v[2:3]
	v_fma_f64 v[4:5], v[8:9], 0, -1.0
	v_mul_f64 v[8:9], v[4:5], v[2:3]
                                        ; implicit-def: $vgpr2_vgpr3
.LBB235_6:
	s_andn2_saveexec_b64 s[8:9], s[8:9]
	s_cbranch_execz .LBB235_8
; %bb.7:
	v_div_scale_f64 v[6:7], s[10:11], v[2:3], v[2:3], v[4:5]
	v_rcp_f64_e32 v[8:9], v[6:7]
	v_div_scale_f64 v[10:11], vcc, v[4:5], v[2:3], v[4:5]
	v_fma_f64 v[12:13], -v[6:7], v[8:9], 1.0
	v_fmac_f64_e32 v[8:9], v[8:9], v[12:13]
	v_fma_f64 v[12:13], -v[6:7], v[8:9], 1.0
	v_fmac_f64_e32 v[8:9], v[8:9], v[12:13]
	v_mul_f64 v[12:13], v[10:11], v[8:9]
	v_fma_f64 v[6:7], -v[6:7], v[12:13], v[10:11]
	v_div_fmas_f64 v[6:7], v[6:7], v[8:9], v[12:13]
	v_div_fixup_f64 v[8:9], v[6:7], v[2:3], v[4:5]
	v_fmac_f64_e32 v[2:3], v[4:5], v[8:9]
	v_div_scale_f64 v[4:5], s[10:11], v[2:3], v[2:3], 1.0
	v_rcp_f64_e32 v[6:7], v[4:5]
	s_nop 0
	v_fma_f64 v[10:11], -v[4:5], v[6:7], 1.0
	v_fmac_f64_e32 v[6:7], v[6:7], v[10:11]
	v_fma_f64 v[10:11], -v[4:5], v[6:7], 1.0
	v_fmac_f64_e32 v[6:7], v[6:7], v[10:11]
	v_div_scale_f64 v[10:11], vcc, 1.0, v[2:3], 1.0
	v_mul_f64 v[12:13], v[10:11], v[6:7]
	v_fma_f64 v[4:5], -v[4:5], v[12:13], v[10:11]
	s_nop 1
	v_div_fmas_f64 v[4:5], v[4:5], v[6:7], v[12:13]
	v_div_fixup_f64 v[2:3], v[4:5], v[2:3], 1.0
	v_fma_f64 v[4:5], v[8:9], 0, 1.0
	v_mul_f64 v[6:7], v[4:5], v[2:3]
	v_add_f64 v[4:5], -v[8:9], 0
	v_mul_f64 v[8:9], v[4:5], v[2:3]
.LBB235_8:
	s_or_b64 exec, exec, s[8:9]
	s_branch .LBB235_10
.LBB235_9:
	v_mov_b64_e32 v[8:9], 0
	v_mov_b64_e32 v[6:7], 1.0
.LBB235_10:
	ds_write_b128 v1, v[6:9]
.LBB235_11:
	s_or_b64 exec, exec, s[20:21]
	s_waitcnt lgkmcnt(0)
	s_add_i32 s8, s3, -1
	s_lshl_b32 s3, s2, 5
	s_sub_i32 s9, s15, s3
	s_cmp_ge_u32 s2, s8
	s_cselect_b32 s2, s9, 32
	v_cmp_gt_i32_e32 vcc, s2, v0
	; wave barrier
	s_and_saveexec_b64 s[8:9], vcc
	s_cbranch_execz .LBB235_54
; %bb.12:
	s_load_dword s2, s[0:1], 0x58
	s_lshl_b64 s[0:1], s[18:19], 4
	s_add_u32 s8, s16, s0
	v_add_u32_e32 v0, s3, v0
	s_addc_u32 s9, s17, s1
	s_waitcnt lgkmcnt(0)
	v_mad_i64_i32 v[6:7], s[2:3], s2, v0, 0
	v_lshl_add_u64 v[4:5], v[6:7], 4, s[8:9]
	s_cmpk_eq_i32 s12, 0x6f
	s_mov_b64 s[2:3], -1
	s_cbranch_scc1 .LBB235_34
; %bb.13:
	s_add_u32 s2, s16, s0
	s_addc_u32 s3, s17, s1
	v_lshl_add_u64 v[8:9], v[6:7], 4, s[2:3]
	s_mov_b32 s3, 0
	s_mov_b32 s8, s3
	s_mov_b32 s10, s3
	s_branch .LBB235_15
.LBB235_14:                             ;   in Loop: Header=BB235_15 Depth=1
	s_cmp_ge_i32 s10, s24
	s_cselect_b64 s[12:13], -1, 0
	s_add_i32 s8, s8, 1
	s_cmp_eq_u32 s8, 3
	s_cselect_b64 s[14:15], -1, 0
	s_or_b64 s[12:13], s[12:13], s[14:15]
	s_andn2_b64 vcc, exec, s[12:13]
	s_cbranch_vccz .LBB235_33
.LBB235_15:                             ; =>This Loop Header: Depth=1
                                        ;     Child Loop BB235_18 Depth 2
                                        ;       Child Loop BB235_19 Depth 3
                                        ;       Child Loop BB235_22 Depth 3
                                        ;         Child Loop BB235_23 Depth 4
                                        ;       Child Loop BB235_27 Depth 3
                                        ;         Child Loop BB235_29 Depth 4
	s_mov_b32 s9, s3
	s_lshl_b64 s[12:13], s[8:9], 2
	s_getpc_b64 s[14:15]
	s_add_u32 s14, s14, __const._ZL30rocblas_trsm_small_left_deviceILi32ELi32ELb0E19rocblas_complex_numIdES1_PKPKS1_PKPS1_Ev13rocblas_fill_18rocblas_operation_17rocblas_diagonal_iiT3_T4_lilT5_lili.step_sizes@rel32@lo+4
	s_addc_u32 s15, s15, __const._ZL30rocblas_trsm_small_left_deviceILi32ELi32ELb0E19rocblas_complex_numIdES1_PKPKS1_PKPS1_Ev13rocblas_fill_18rocblas_operation_17rocblas_diagonal_iiT3_T4_lilT5_lili.step_sizes@rel32@hi+12
	s_add_u32 s12, s14, s12
	s_addc_u32 s13, s15, s13
	s_load_dword s12, s[12:13], 0x0
	s_waitcnt lgkmcnt(0)
	s_add_i32 s9, s12, -1
	s_add_i32 s2, s9, s10
	s_cmp_ge_i32 s2, s24
	s_cbranch_scc1 .LBB235_14
; %bb.16:                               ;   in Loop: Header=BB235_15 Depth=1
	s_ashr_i32 s11, s10, 31
	s_ashr_i32 s13, s12, 31
	s_max_i32 s22, s12, 1
	v_lshl_add_u64 v[10:11], s[10:11], 4, v[8:9]
	s_lshl_b64 s[14:15], s[12:13], 4
	s_lshl_b32 s11, s10, 9
	s_lshl_b32 s13, s12, 9
	s_mul_i32 s23, s10, 0x210
	s_mul_i32 s25, s12, 0x210
	s_branch .LBB235_18
.LBB235_17:                             ;   in Loop: Header=BB235_18 Depth=2
	s_add_i32 s10, s10, s12
	s_add_i32 s2, s9, s10
	;; [unrolled: 1-line block ×4, first 2 shown]
	s_cmp_ge_i32 s2, s24
	v_lshl_add_u64 v[10:11], v[10:11], 0, s[14:15]
	s_cbranch_scc1 .LBB235_14
.LBB235_18:                             ;   Parent Loop BB235_15 Depth=1
                                        ; =>  This Loop Header: Depth=2
                                        ;       Child Loop BB235_19 Depth 3
                                        ;       Child Loop BB235_22 Depth 3
                                        ;         Child Loop BB235_23 Depth 4
                                        ;       Child Loop BB235_27 Depth 3
                                        ;         Child Loop BB235_29 Depth 4
	s_mov_b32 s2, 0
	v_mov_b64_e32 v[0:1], v[10:11]
	s_mov_b32 s18, s22
.LBB235_19:                             ;   Parent Loop BB235_15 Depth=1
                                        ;     Parent Loop BB235_18 Depth=2
                                        ; =>    This Inner Loop Header: Depth=3
	flat_load_dwordx4 v[12:15], v[0:1]
	s_add_i32 s18, s18, -1
	v_lshl_add_u64 v[0:1], v[0:1], 0, 16
	s_waitcnt vmcnt(0) lgkmcnt(0)
	v_mul_f64 v[2:3], s[6:7], v[14:15]
	v_mul_f64 v[16:17], s[4:5], v[14:15]
	v_fma_f64 v[14:15], s[4:5], v[12:13], -v[2:3]
	v_fmac_f64_e32 v[16:17], s[6:7], v[12:13]
	scratch_store_dwordx4 off, v[14:17], s2
	s_add_i32 s2, s2, 16
	s_cmp_eq_u32 s18, 0
	s_cbranch_scc0 .LBB235_19
; %bb.20:                               ;   in Loop: Header=BB235_18 Depth=2
	s_cmp_lt_i32 s10, 1
	s_cbranch_scc1 .LBB235_25
; %bb.21:                               ;   in Loop: Header=BB235_18 Depth=2
	s_mov_b32 s2, 0
	s_mov_b32 s18, s11
.LBB235_22:                             ;   Parent Loop BB235_15 Depth=1
                                        ;     Parent Loop BB235_18 Depth=2
                                        ; =>    This Loop Header: Depth=3
                                        ;         Child Loop BB235_23 Depth 4
	v_lshl_add_u64 v[0:1], s[2:3], 4, v[4:5]
	flat_load_dwordx4 v[0:3], v[0:1]
	s_mov_b32 s19, 0
	s_mov_b32 s20, s18
	s_mov_b32 s21, s22
.LBB235_23:                             ;   Parent Loop BB235_15 Depth=1
                                        ;     Parent Loop BB235_18 Depth=2
                                        ;       Parent Loop BB235_22 Depth=3
                                        ; =>      This Inner Loop Header: Depth=4
	scratch_load_dwordx4 v[12:15], off, s19
	v_mov_b32_e32 v16, s20
	ds_read_b128 v[16:19], v16
	s_add_i32 s21, s21, -1
	s_addk_i32 s20, 0x200
	s_waitcnt vmcnt(0) lgkmcnt(0)
	v_mul_f64 v[20:21], v[2:3], v[18:19]
	v_mul_f64 v[18:19], v[0:1], v[18:19]
	v_fma_f64 v[20:21], v[0:1], v[16:17], -v[20:21]
	v_fmac_f64_e32 v[18:19], v[2:3], v[16:17]
	v_add_f64 v[12:13], v[12:13], -v[20:21]
	v_add_f64 v[14:15], v[14:15], -v[18:19]
	scratch_store_dwordx4 off, v[12:15], s19
	s_add_i32 s19, s19, 16
	s_cmp_eq_u32 s21, 0
	s_cbranch_scc0 .LBB235_23
; %bb.24:                               ;   in Loop: Header=BB235_22 Depth=3
	s_add_i32 s2, s2, 1
	s_add_i32 s18, s18, 16
	s_cmp_eq_u32 s2, s10
	s_cbranch_scc0 .LBB235_22
.LBB235_25:                             ;   in Loop: Header=BB235_18 Depth=2
	s_mov_b32 s2, 0
	s_mov_b32 s26, s23
	s_branch .LBB235_27
.LBB235_26:                             ;   in Loop: Header=BB235_27 Depth=3
	s_mul_i32 s19, s18, 0x210
	v_mov_b32_e32 v12, s19
	ds_read_b128 v[12:15], v12
	s_lshl_b32 s19, s2, 4
	s_add_i32 s2, s2, 1
	s_addk_i32 s26, 0x200
	s_waitcnt vmcnt(0) lgkmcnt(0)
	v_mul_f64 v[16:17], v[14:15], v[2:3]
	v_mul_f64 v[18:19], v[12:13], v[2:3]
	v_fma_f64 v[16:17], v[12:13], v[0:1], -v[16:17]
	v_fmac_f64_e32 v[18:19], v[14:15], v[0:1]
	scratch_store_dwordx4 off, v[16:19], s19
	s_ashr_i32 s19, s18, 31
	v_lshl_add_u64 v[0:1], s[18:19], 4, v[4:5]
	s_cmp_eq_u32 s2, s22
	flat_store_dwordx4 v[0:1], v[16:19]
	s_cbranch_scc1 .LBB235_17
.LBB235_27:                             ;   Parent Loop BB235_15 Depth=1
                                        ;     Parent Loop BB235_18 Depth=2
                                        ; =>    This Loop Header: Depth=3
                                        ;         Child Loop BB235_29 Depth 4
	s_cmp_lg_u32 s2, 0
	s_cbranch_scc0 .LBB235_31
; %bb.28:                               ;   in Loop: Header=BB235_27 Depth=3
	s_lshl_b32 s19, s2, 4
	scratch_load_dwordx4 v[0:3], off, s19
	s_add_i32 s18, s2, s10
	s_mov_b32 s20, 0
	s_mov_b32 s21, s26
	;; [unrolled: 1-line block ×3, first 2 shown]
.LBB235_29:                             ;   Parent Loop BB235_15 Depth=1
                                        ;     Parent Loop BB235_18 Depth=2
                                        ;       Parent Loop BB235_27 Depth=3
                                        ; =>      This Inner Loop Header: Depth=4
	scratch_load_dwordx4 v[12:15], off, s20
	v_mov_b32_e32 v16, s21
	ds_read_b128 v[16:19], v16
	s_add_i32 s27, s27, -1
	s_add_i32 s20, s20, 16
	s_add_i32 s21, s21, 16
	s_cmp_eq_u32 s27, 0
	s_waitcnt vmcnt(0) lgkmcnt(0)
	v_mul_f64 v[20:21], v[18:19], v[14:15]
	v_mul_f64 v[14:15], v[16:17], v[14:15]
	v_fma_f64 v[16:17], v[16:17], v[12:13], -v[20:21]
	v_fmac_f64_e32 v[14:15], v[18:19], v[12:13]
	v_add_f64 v[0:1], v[0:1], -v[16:17]
	v_add_f64 v[2:3], v[2:3], -v[14:15]
	scratch_store_dwordx4 off, v[0:3], s19
	s_cbranch_scc0 .LBB235_29
; %bb.30:                               ;   in Loop: Header=BB235_27 Depth=3
	s_branch .LBB235_26
.LBB235_31:                             ;   in Loop: Header=BB235_27 Depth=3
                                        ; implicit-def: $vgpr0_vgpr1
                                        ; implicit-def: $sgpr18
	s_cbranch_execz .LBB235_26
; %bb.32:                               ;   in Loop: Header=BB235_27 Depth=3
	scratch_load_dwordx4 v[0:3], off, off
	s_mov_b32 s18, s10
	s_branch .LBB235_26
.LBB235_33:
	s_mov_b64 s[2:3], 0
.LBB235_34:
	s_and_b64 vcc, exec, s[2:3]
	s_cbranch_vccz .LBB235_54
; %bb.35:
	s_add_i32 s14, s24, -1
	s_add_u32 s0, s16, s0
	s_addc_u32 s1, s17, s1
	v_lshl_add_u64 v[6:7], v[6:7], 4, s[0:1]
	s_lshl_b32 s15, s24, 9
	s_mov_b32 s1, 0
	s_addk_i32 s15, 0xfe00
	s_mov_b32 s2, s14
	s_mov_b32 s0, s1
	s_branch .LBB235_37
.LBB235_36:                             ;   in Loop: Header=BB235_37 Depth=1
	s_cmp_lt_i32 s2, 0
	s_cselect_b64 s[8:9], -1, 0
	s_add_i32 s0, s0, 1
	s_cmp_eq_u32 s0, 3
	s_cselect_b64 s[10:11], -1, 0
	s_or_b64 s[8:9], s[8:9], s[10:11]
	s_and_b64 vcc, exec, s[8:9]
	s_cbranch_vccnz .LBB235_54
.LBB235_37:                             ; =>This Loop Header: Depth=1
                                        ;     Child Loop BB235_40 Depth 2
                                        ;       Child Loop BB235_41 Depth 3
                                        ;       Child Loop BB235_43 Depth 3
                                        ;         Child Loop BB235_44 Depth 4
                                        ;       Child Loop BB235_48 Depth 3
                                        ;         Child Loop BB235_50 Depth 4
	s_lshl_b64 s[8:9], s[0:1], 2
	s_getpc_b64 s[10:11]
	s_add_u32 s10, s10, __const._ZL30rocblas_trsm_small_left_deviceILi32ELi32ELb0E19rocblas_complex_numIdES1_PKPKS1_PKPS1_Ev13rocblas_fill_18rocblas_operation_17rocblas_diagonal_iiT3_T4_lilT5_lili.step_sizes@rel32@lo+4
	s_addc_u32 s11, s11, __const._ZL30rocblas_trsm_small_left_deviceILi32ELi32ELb0E19rocblas_complex_numIdES1_PKPKS1_PKPS1_Ev13rocblas_fill_18rocblas_operation_17rocblas_diagonal_iiT3_T4_lilT5_lili.step_sizes@rel32@hi+12
	s_add_u32 s8, s10, s8
	s_addc_u32 s9, s11, s9
	s_load_dword s16, s[8:9], 0x0
	s_waitcnt lgkmcnt(0)
	s_add_i32 s17, s16, -1
	s_cmp_lt_i32 s2, s17
	s_cbranch_scc1 .LBB235_36
; %bb.38:                               ;   in Loop: Header=BB235_37 Depth=1
	s_lshl_b32 s3, s2, 4
	s_add_i32 s19, s15, s3
	s_lshl_b32 s3, s16, 4
	s_max_i32 s18, s16, 1
	s_sub_i32 s20, 0, s3
	s_mul_i32 s21, s2, 0x210
	s_mul_i32 s22, s16, 0xfffffdf0
	s_branch .LBB235_40
.LBB235_39:                             ;   in Loop: Header=BB235_40 Depth=2
	s_sub_i32 s2, s2, s16
	s_add_i32 s19, s19, s20
	s_add_i32 s21, s21, s22
	s_cmp_lt_i32 s2, s17
	s_cbranch_scc1 .LBB235_36
.LBB235_40:                             ;   Parent Loop BB235_37 Depth=1
                                        ; =>  This Loop Header: Depth=2
                                        ;       Child Loop BB235_41 Depth 3
                                        ;       Child Loop BB235_43 Depth 3
                                        ;         Child Loop BB235_44 Depth 4
                                        ;       Child Loop BB235_48 Depth 3
                                        ;         Child Loop BB235_50 Depth 4
	s_ashr_i32 s3, s2, 31
	v_lshl_add_u64 v[0:1], s[2:3], 4, v[6:7]
	s_mov_b32 s8, 0
	s_mov_b32 s9, s18
.LBB235_41:                             ;   Parent Loop BB235_37 Depth=1
                                        ;     Parent Loop BB235_40 Depth=2
                                        ; =>    This Inner Loop Header: Depth=3
	flat_load_dwordx4 v[8:11], v[0:1]
	s_add_i32 s9, s9, -1
	v_lshl_add_u64 v[0:1], v[0:1], 0, -16
	s_waitcnt vmcnt(0) lgkmcnt(0)
	v_mul_f64 v[2:3], s[6:7], v[10:11]
	v_mul_f64 v[12:13], s[4:5], v[10:11]
	v_fma_f64 v[10:11], s[4:5], v[8:9], -v[2:3]
	v_fmac_f64_e32 v[12:13], s[6:7], v[8:9]
	scratch_store_dwordx4 off, v[10:13], s8
	s_add_i32 s8, s8, 16
	s_cmp_eq_u32 s9, 0
	s_cbranch_scc0 .LBB235_41
; %bb.42:                               ;   in Loop: Header=BB235_40 Depth=2
	s_cmp_le_i32 s14, s2
	s_mov_b32 s10, s19
	s_mov_b32 s8, s14
	s_cbranch_scc1 .LBB235_46
.LBB235_43:                             ;   Parent Loop BB235_37 Depth=1
                                        ;     Parent Loop BB235_40 Depth=2
                                        ; =>    This Loop Header: Depth=3
                                        ;         Child Loop BB235_44 Depth 4
	s_ashr_i32 s9, s8, 31
	v_lshl_add_u64 v[0:1], s[8:9], 4, v[4:5]
	flat_load_dwordx4 v[0:3], v[0:1]
	s_mov_b32 s9, 0
	s_mov_b32 s11, s10
	;; [unrolled: 1-line block ×3, first 2 shown]
.LBB235_44:                             ;   Parent Loop BB235_37 Depth=1
                                        ;     Parent Loop BB235_40 Depth=2
                                        ;       Parent Loop BB235_43 Depth=3
                                        ; =>      This Inner Loop Header: Depth=4
	scratch_load_dwordx4 v[8:11], off, s9
	v_mov_b32_e32 v12, s11
	ds_read_b128 v[12:15], v12
	s_add_i32 s12, s12, -1
	s_add_i32 s11, s11, -16
	s_waitcnt vmcnt(0) lgkmcnt(0)
	v_mul_f64 v[16:17], v[2:3], v[14:15]
	v_mul_f64 v[14:15], v[0:1], v[14:15]
	v_fma_f64 v[16:17], v[0:1], v[12:13], -v[16:17]
	v_fmac_f64_e32 v[14:15], v[2:3], v[12:13]
	v_add_f64 v[8:9], v[8:9], -v[16:17]
	v_add_f64 v[10:11], v[10:11], -v[14:15]
	scratch_store_dwordx4 off, v[8:11], s9
	s_add_i32 s9, s9, 16
	s_cmp_eq_u32 s12, 0
	s_cbranch_scc0 .LBB235_44
; %bb.45:                               ;   in Loop: Header=BB235_43 Depth=3
	s_add_i32 s8, s8, -1
	s_addk_i32 s10, 0xfe00
	s_cmp_le_i32 s8, s2
	s_cbranch_scc0 .LBB235_43
.LBB235_46:                             ;   in Loop: Header=BB235_40 Depth=2
	s_mov_b32 s23, 0
	s_mov_b32 s24, s21
	s_branch .LBB235_48
.LBB235_47:                             ;   in Loop: Header=BB235_48 Depth=3
	s_mulk_i32 s10, 0x210
	v_mov_b32_e32 v8, s10
	ds_read_b128 v[8:11], v8
	s_lshl_b32 s10, s23, 4
	s_add_i32 s23, s23, 1
	s_add_i32 s24, s24, -16
	s_cmp_eq_u32 s23, s18
	s_waitcnt vmcnt(0) lgkmcnt(0)
	v_mul_f64 v[12:13], v[10:11], v[2:3]
	v_mul_f64 v[14:15], v[8:9], v[2:3]
	v_fma_f64 v[12:13], v[8:9], v[0:1], -v[12:13]
	v_fmac_f64_e32 v[14:15], v[10:11], v[0:1]
	v_lshl_add_u64 v[0:1], s[8:9], 4, v[4:5]
	scratch_store_dwordx4 off, v[12:15], s10
	flat_store_dwordx4 v[0:1], v[12:15]
	s_cbranch_scc1 .LBB235_39
.LBB235_48:                             ;   Parent Loop BB235_37 Depth=1
                                        ;     Parent Loop BB235_40 Depth=2
                                        ; =>    This Loop Header: Depth=3
                                        ;         Child Loop BB235_50 Depth 4
	s_cmp_lg_u32 s23, 0
	s_cbranch_scc0 .LBB235_52
; %bb.49:                               ;   in Loop: Header=BB235_48 Depth=3
	s_lshl_b32 s8, s23, 4
	scratch_load_dwordx4 v[0:3], off, s8
	s_mov_b32 s9, 0
	s_mov_b32 s10, s24
	s_mov_b32 s11, s23
.LBB235_50:                             ;   Parent Loop BB235_37 Depth=1
                                        ;     Parent Loop BB235_40 Depth=2
                                        ;       Parent Loop BB235_48 Depth=3
                                        ; =>      This Inner Loop Header: Depth=4
	scratch_load_dwordx4 v[8:11], off, s9
	v_mov_b32_e32 v12, s10
	ds_read_b128 v[12:15], v12
	s_add_i32 s11, s11, -1
	s_addk_i32 s10, 0xfe00
	s_add_i32 s9, s9, 16
	s_cmp_eq_u32 s11, 0
	s_waitcnt vmcnt(0) lgkmcnt(0)
	v_mul_f64 v[16:17], v[14:15], v[10:11]
	v_mul_f64 v[10:11], v[12:13], v[10:11]
	v_fma_f64 v[12:13], v[12:13], v[8:9], -v[16:17]
	v_fmac_f64_e32 v[10:11], v[14:15], v[8:9]
	v_add_f64 v[0:1], v[0:1], -v[12:13]
	v_add_f64 v[2:3], v[2:3], -v[10:11]
	scratch_store_dwordx4 off, v[0:3], s8
	s_cbranch_scc0 .LBB235_50
; %bb.51:                               ;   in Loop: Header=BB235_48 Depth=3
	s_sub_i32 s10, s2, s23
	s_ashr_i32 s11, s10, 31
	s_mov_b64 s[8:9], s[10:11]
	s_branch .LBB235_47
.LBB235_52:                             ;   in Loop: Header=BB235_48 Depth=3
                                        ; implicit-def: $vgpr0_vgpr1
                                        ; implicit-def: $sgpr10
                                        ; implicit-def: $sgpr8_sgpr9
	s_cbranch_execz .LBB235_47
; %bb.53:                               ;   in Loop: Header=BB235_48 Depth=3
	scratch_load_dwordx4 v[0:3], off, off
	s_mov_b64 s[8:9], s[2:3]
	s_mov_b32 s10, s2
	s_branch .LBB235_47
.LBB235_54:
	s_endpgm
	.section	.rodata,"a",@progbits
	.p2align	6, 0x0
	.amdhsa_kernel _ZL30rocblas_trsm_small_left_deviceILi32ELi32ELb0E19rocblas_complex_numIdES1_PKPKS1_PKPS1_Ev13rocblas_fill_18rocblas_operation_17rocblas_diagonal_iiT3_T4_lilT5_lili
		.amdhsa_group_segment_fixed_size 16384
		.amdhsa_private_segment_fixed_size 528
		.amdhsa_kernarg_size 368
		.amdhsa_user_sgpr_count 2
		.amdhsa_user_sgpr_dispatch_ptr 0
		.amdhsa_user_sgpr_queue_ptr 0
		.amdhsa_user_sgpr_kernarg_segment_ptr 1
		.amdhsa_user_sgpr_dispatch_id 0
		.amdhsa_user_sgpr_kernarg_preload_length 0
		.amdhsa_user_sgpr_kernarg_preload_offset 0
		.amdhsa_user_sgpr_private_segment_size 0
		.amdhsa_uses_dynamic_stack 0
		.amdhsa_enable_private_segment 1
		.amdhsa_system_sgpr_workgroup_id_x 1
		.amdhsa_system_sgpr_workgroup_id_y 0
		.amdhsa_system_sgpr_workgroup_id_z 1
		.amdhsa_system_sgpr_workgroup_info 0
		.amdhsa_system_vgpr_workitem_id 0
		.amdhsa_next_free_vgpr 129
		.amdhsa_next_free_sgpr 96
		.amdhsa_accum_offset 24
		.amdhsa_reserve_vcc 1
		.amdhsa_float_round_mode_32 0
		.amdhsa_float_round_mode_16_64 0
		.amdhsa_float_denorm_mode_32 3
		.amdhsa_float_denorm_mode_16_64 3
		.amdhsa_dx10_clamp 1
		.amdhsa_ieee_mode 1
		.amdhsa_fp16_overflow 0
		.amdhsa_tg_split 0
		.amdhsa_exception_fp_ieee_invalid_op 0
		.amdhsa_exception_fp_denorm_src 0
		.amdhsa_exception_fp_ieee_div_zero 0
		.amdhsa_exception_fp_ieee_overflow 0
		.amdhsa_exception_fp_ieee_underflow 0
		.amdhsa_exception_fp_ieee_inexact 0
		.amdhsa_exception_int_div_zero 0
	.end_amdhsa_kernel
	.section	.text._ZL30rocblas_trsm_small_left_deviceILi32ELi32ELb0E19rocblas_complex_numIdES1_PKPKS1_PKPS1_Ev13rocblas_fill_18rocblas_operation_17rocblas_diagonal_iiT3_T4_lilT5_lili,"axG",@progbits,_ZL30rocblas_trsm_small_left_deviceILi32ELi32ELb0E19rocblas_complex_numIdES1_PKPKS1_PKPS1_Ev13rocblas_fill_18rocblas_operation_17rocblas_diagonal_iiT3_T4_lilT5_lili,comdat
.Lfunc_end235:
	.size	_ZL30rocblas_trsm_small_left_deviceILi32ELi32ELb0E19rocblas_complex_numIdES1_PKPKS1_PKPS1_Ev13rocblas_fill_18rocblas_operation_17rocblas_diagonal_iiT3_T4_lilT5_lili, .Lfunc_end235-_ZL30rocblas_trsm_small_left_deviceILi32ELi32ELb0E19rocblas_complex_numIdES1_PKPKS1_PKPS1_Ev13rocblas_fill_18rocblas_operation_17rocblas_diagonal_iiT3_T4_lilT5_lili
                                        ; -- End function
	.set _ZL30rocblas_trsm_small_left_deviceILi32ELi32ELb0E19rocblas_complex_numIdES1_PKPKS1_PKPS1_Ev13rocblas_fill_18rocblas_operation_17rocblas_diagonal_iiT3_T4_lilT5_lili.num_vgpr, 22
	.set _ZL30rocblas_trsm_small_left_deviceILi32ELi32ELb0E19rocblas_complex_numIdES1_PKPKS1_PKPS1_Ev13rocblas_fill_18rocblas_operation_17rocblas_diagonal_iiT3_T4_lilT5_lili.num_agpr, 0
	.set _ZL30rocblas_trsm_small_left_deviceILi32ELi32ELb0E19rocblas_complex_numIdES1_PKPKS1_PKPS1_Ev13rocblas_fill_18rocblas_operation_17rocblas_diagonal_iiT3_T4_lilT5_lili.numbered_sgpr, 28
	.set _ZL30rocblas_trsm_small_left_deviceILi32ELi32ELb0E19rocblas_complex_numIdES1_PKPKS1_PKPS1_Ev13rocblas_fill_18rocblas_operation_17rocblas_diagonal_iiT3_T4_lilT5_lili.num_named_barrier, 0
	.set _ZL30rocblas_trsm_small_left_deviceILi32ELi32ELb0E19rocblas_complex_numIdES1_PKPKS1_PKPS1_Ev13rocblas_fill_18rocblas_operation_17rocblas_diagonal_iiT3_T4_lilT5_lili.private_seg_size, 528
	.set _ZL30rocblas_trsm_small_left_deviceILi32ELi32ELb0E19rocblas_complex_numIdES1_PKPKS1_PKPS1_Ev13rocblas_fill_18rocblas_operation_17rocblas_diagonal_iiT3_T4_lilT5_lili.uses_vcc, 1
	.set _ZL30rocblas_trsm_small_left_deviceILi32ELi32ELb0E19rocblas_complex_numIdES1_PKPKS1_PKPS1_Ev13rocblas_fill_18rocblas_operation_17rocblas_diagonal_iiT3_T4_lilT5_lili.uses_flat_scratch, 0
	.set _ZL30rocblas_trsm_small_left_deviceILi32ELi32ELb0E19rocblas_complex_numIdES1_PKPKS1_PKPS1_Ev13rocblas_fill_18rocblas_operation_17rocblas_diagonal_iiT3_T4_lilT5_lili.has_dyn_sized_stack, 0
	.set _ZL30rocblas_trsm_small_left_deviceILi32ELi32ELb0E19rocblas_complex_numIdES1_PKPKS1_PKPS1_Ev13rocblas_fill_18rocblas_operation_17rocblas_diagonal_iiT3_T4_lilT5_lili.has_recursion, 0
	.set _ZL30rocblas_trsm_small_left_deviceILi32ELi32ELb0E19rocblas_complex_numIdES1_PKPKS1_PKPS1_Ev13rocblas_fill_18rocblas_operation_17rocblas_diagonal_iiT3_T4_lilT5_lili.has_indirect_call, 0
	.section	.AMDGPU.csdata,"",@progbits
; Kernel info:
; codeLenInByte = 2244
; TotalNumSgprs: 34
; NumVgprs: 22
; NumAgprs: 0
; TotalNumVgprs: 22
; ScratchSize: 528
; MemoryBound: 0
; FloatMode: 240
; IeeeMode: 1
; LDSByteSize: 16384 bytes/workgroup (compile time only)
; SGPRBlocks: 12
; VGPRBlocks: 16
; NumSGPRsForWavesPerEU: 102
; NumVGPRsForWavesPerEU: 129
; AccumOffset: 24
; Occupancy: 3
; WaveLimiterHint : 1
; COMPUTE_PGM_RSRC2:SCRATCH_EN: 1
; COMPUTE_PGM_RSRC2:USER_SGPR: 2
; COMPUTE_PGM_RSRC2:TRAP_HANDLER: 0
; COMPUTE_PGM_RSRC2:TGID_X_EN: 1
; COMPUTE_PGM_RSRC2:TGID_Y_EN: 0
; COMPUTE_PGM_RSRC2:TGID_Z_EN: 1
; COMPUTE_PGM_RSRC2:TIDIG_COMP_CNT: 0
; COMPUTE_PGM_RSRC3_GFX90A:ACCUM_OFFSET: 5
; COMPUTE_PGM_RSRC3_GFX90A:TG_SPLIT: 0
	.section	.text._ZL38rocblas_trsm_small_left_device_sharedBILi32ELi32ELb1E19rocblas_complex_numIdES1_PKPKS1_PKPS1_Ev13rocblas_fill_18rocblas_operation_17rocblas_diagonal_iiT3_T4_lilT5_lili,"axG",@progbits,_ZL38rocblas_trsm_small_left_device_sharedBILi32ELi32ELb1E19rocblas_complex_numIdES1_PKPKS1_PKPS1_Ev13rocblas_fill_18rocblas_operation_17rocblas_diagonal_iiT3_T4_lilT5_lili,comdat
	.globl	_ZL38rocblas_trsm_small_left_device_sharedBILi32ELi32ELb1E19rocblas_complex_numIdES1_PKPKS1_PKPS1_Ev13rocblas_fill_18rocblas_operation_17rocblas_diagonal_iiT3_T4_lilT5_lili ; -- Begin function _ZL38rocblas_trsm_small_left_device_sharedBILi32ELi32ELb1E19rocblas_complex_numIdES1_PKPKS1_PKPS1_Ev13rocblas_fill_18rocblas_operation_17rocblas_diagonal_iiT3_T4_lilT5_lili
	.p2align	8
	.type	_ZL38rocblas_trsm_small_left_device_sharedBILi32ELi32ELb1E19rocblas_complex_numIdES1_PKPKS1_PKPS1_Ev13rocblas_fill_18rocblas_operation_17rocblas_diagonal_iiT3_T4_lilT5_lili,@function
_ZL38rocblas_trsm_small_left_device_sharedBILi32ELi32ELb1E19rocblas_complex_numIdES1_PKPKS1_PKPS1_Ev13rocblas_fill_18rocblas_operation_17rocblas_diagonal_iiT3_T4_lilT5_lili: ; @_ZL38rocblas_trsm_small_left_device_sharedBILi32ELi32ELb1E19rocblas_complex_numIdES1_PKPKS1_PKPS1_Ev13rocblas_fill_18rocblas_operation_17rocblas_diagonal_iiT3_T4_lilT5_lili
; %bb.0:
	s_load_dwordx4 s[12:15], s[0:1], 0x4
	s_load_dwordx4 s[16:19], s[0:1], 0x48
	s_load_dwordx8 s[4:11], s[0:1], 0x18
	s_mov_b32 s20, s3
	s_mov_b32 s21, 0
	s_lshl_b64 s[22:23], s[20:21], 3
	s_waitcnt lgkmcnt(0)
	s_add_u32 s16, s16, s22
	s_addc_u32 s17, s17, s23
	s_load_dword s3, s[0:1], 0x70
	s_min_i32 s24, s14, 32
	s_load_dwordx2 s[16:17], s[16:17], 0x0
	v_cmp_gt_i32_e32 vcc, s24, v0
	s_and_saveexec_b64 s[20:21], vcc
	s_cbranch_execz .LBB236_11
; %bb.1:
	s_load_dword s26, s[0:1], 0x38
	v_lshlrev_b32_e32 v2, 4, v0
	v_mov_b32_e32 v3, 0
	v_mov_b32_e32 v1, v2
	s_waitcnt lgkmcnt(0)
	s_ashr_i32 s27, s26, 31
	s_cmpk_eq_i32 s12, 0x71
	s_cselect_b64 vcc, -1, 0
	s_add_u32 s8, s8, s22
	s_addc_u32 s9, s9, s23
	s_load_dwordx2 s[8:9], s[8:9], 0x0
	s_lshl_b64 s[10:11], s[10:11], 4
	s_waitcnt lgkmcnt(0)
	s_add_u32 s10, s8, s10
	s_addc_u32 s11, s9, s11
	s_lshl_b64 s[8:9], s[26:27], 4
	v_lshl_add_u64 v[4:5], s[10:11], 0, v[2:3]
	s_mov_b32 s10, s24
.LBB236_2:                              ; =>This Inner Loop Header: Depth=1
	flat_load_dwordx4 v[6:9], v[4:5]
	s_add_i32 s10, s10, -1
	v_lshl_add_u64 v[4:5], v[4:5], 0, s[8:9]
	s_cmp_eq_u32 s10, 0
	s_waitcnt vmcnt(0) lgkmcnt(0)
	v_xor_b32_e32 v3, 0x80000000, v9
	v_cndmask_b32_e32 v9, v9, v3, vcc
	ds_write_b128 v1, v[6:9]
	v_add_u32_e32 v1, 0x200, v1
	s_cbranch_scc0 .LBB236_2
; %bb.3:
	v_lshlrev_b32_e32 v1, 9, v0
	s_cmpk_lg_i32 s13, 0x84
	v_add_u32_e32 v1, v2, v1
	s_cbranch_scc0 .LBB236_9
; %bb.4:
	ds_read_b128 v[2:5], v1
                                        ; implicit-def: $vgpr8_vgpr9
	s_waitcnt lgkmcnt(0)
	v_cmp_ngt_f64_e64 s[8:9], |v[2:3]|, |v[4:5]|
	s_and_saveexec_b64 s[10:11], s[8:9]
	s_xor_b64 s[8:9], exec, s[10:11]
	s_cbranch_execz .LBB236_6
; %bb.5:
	v_div_scale_f64 v[6:7], s[10:11], v[4:5], v[4:5], v[2:3]
	v_rcp_f64_e32 v[8:9], v[6:7]
	v_div_scale_f64 v[10:11], vcc, v[2:3], v[4:5], v[2:3]
	v_fma_f64 v[12:13], -v[6:7], v[8:9], 1.0
	v_fmac_f64_e32 v[8:9], v[8:9], v[12:13]
	v_fma_f64 v[12:13], -v[6:7], v[8:9], 1.0
	v_fmac_f64_e32 v[8:9], v[8:9], v[12:13]
	v_mul_f64 v[12:13], v[10:11], v[8:9]
	v_fma_f64 v[6:7], -v[6:7], v[12:13], v[10:11]
	v_div_fmas_f64 v[6:7], v[6:7], v[8:9], v[12:13]
	v_div_fixup_f64 v[8:9], v[6:7], v[4:5], v[2:3]
	v_fmac_f64_e32 v[4:5], v[2:3], v[8:9]
	v_div_scale_f64 v[2:3], s[10:11], v[4:5], v[4:5], 1.0
	v_rcp_f64_e32 v[6:7], v[2:3]
	s_nop 0
	v_fma_f64 v[10:11], -v[2:3], v[6:7], 1.0
	v_fmac_f64_e32 v[6:7], v[6:7], v[10:11]
	v_fma_f64 v[10:11], -v[2:3], v[6:7], 1.0
	v_fmac_f64_e32 v[6:7], v[6:7], v[10:11]
	v_div_scale_f64 v[10:11], vcc, 1.0, v[4:5], 1.0
	v_mul_f64 v[12:13], v[10:11], v[6:7]
	v_fma_f64 v[2:3], -v[2:3], v[12:13], v[10:11]
	s_nop 1
	v_div_fmas_f64 v[2:3], v[2:3], v[6:7], v[12:13]
	v_div_fixup_f64 v[2:3], v[2:3], v[4:5], 1.0
	v_add_f64 v[4:5], v[8:9], 0
	v_mul_f64 v[6:7], v[4:5], v[2:3]
	v_fma_f64 v[4:5], v[8:9], 0, -1.0
	v_mul_f64 v[8:9], v[4:5], v[2:3]
                                        ; implicit-def: $vgpr2_vgpr3
.LBB236_6:
	s_andn2_saveexec_b64 s[8:9], s[8:9]
	s_cbranch_execz .LBB236_8
; %bb.7:
	v_div_scale_f64 v[6:7], s[10:11], v[2:3], v[2:3], v[4:5]
	v_rcp_f64_e32 v[8:9], v[6:7]
	v_div_scale_f64 v[10:11], vcc, v[4:5], v[2:3], v[4:5]
	v_fma_f64 v[12:13], -v[6:7], v[8:9], 1.0
	v_fmac_f64_e32 v[8:9], v[8:9], v[12:13]
	v_fma_f64 v[12:13], -v[6:7], v[8:9], 1.0
	v_fmac_f64_e32 v[8:9], v[8:9], v[12:13]
	v_mul_f64 v[12:13], v[10:11], v[8:9]
	v_fma_f64 v[6:7], -v[6:7], v[12:13], v[10:11]
	v_div_fmas_f64 v[6:7], v[6:7], v[8:9], v[12:13]
	v_div_fixup_f64 v[8:9], v[6:7], v[2:3], v[4:5]
	v_fmac_f64_e32 v[2:3], v[4:5], v[8:9]
	v_div_scale_f64 v[4:5], s[10:11], v[2:3], v[2:3], 1.0
	v_rcp_f64_e32 v[6:7], v[4:5]
	s_nop 0
	v_fma_f64 v[10:11], -v[4:5], v[6:7], 1.0
	v_fmac_f64_e32 v[6:7], v[6:7], v[10:11]
	v_fma_f64 v[10:11], -v[4:5], v[6:7], 1.0
	v_fmac_f64_e32 v[6:7], v[6:7], v[10:11]
	v_div_scale_f64 v[10:11], vcc, 1.0, v[2:3], 1.0
	v_mul_f64 v[12:13], v[10:11], v[6:7]
	v_fma_f64 v[4:5], -v[4:5], v[12:13], v[10:11]
	s_nop 1
	v_div_fmas_f64 v[4:5], v[4:5], v[6:7], v[12:13]
	v_div_fixup_f64 v[2:3], v[4:5], v[2:3], 1.0
	v_fma_f64 v[4:5], v[8:9], 0, 1.0
	v_mul_f64 v[6:7], v[4:5], v[2:3]
	v_add_f64 v[4:5], -v[8:9], 0
	v_mul_f64 v[8:9], v[4:5], v[2:3]
.LBB236_8:
	s_or_b64 exec, exec, s[8:9]
	s_branch .LBB236_10
.LBB236_9:
	v_mov_b64_e32 v[8:9], 0
	v_mov_b64_e32 v[6:7], 1.0
.LBB236_10:
	ds_write_b128 v1, v[6:9]
.LBB236_11:
	s_or_b64 exec, exec, s[20:21]
	s_load_dword s13, s[0:1], 0x58
	s_lshl_b64 s[0:1], s[18:19], 4
	s_waitcnt lgkmcnt(0)
	s_add_u32 s8, s16, s0
	s_addc_u32 s9, s17, s1
	s_lshl_b32 s0, s2, 5
	s_add_i32 s3, s3, -1
	s_sub_i32 s1, s15, s0
	s_cmp_ge_u32 s2, s3
	s_cselect_b32 s10, s1, 32
	s_mul_hi_i32 s1, s13, s0
	s_mul_i32 s0, s13, s0
	s_lshl_b64 s[0:1], s[0:1], 4
	s_add_u32 s2, s8, s0
	s_addc_u32 s3, s9, s1
	s_cmp_gt_i32 s14, 0
	v_cmp_gt_i32_e64 s[0:1], s10, v0
	s_cselect_b64 s[8:9], -1, 0
	s_and_b64 s[16:17], s[0:1], s[8:9]
	s_and_saveexec_b64 s[10:11], s[16:17]
	s_cbranch_execz .LBB236_14
; %bb.12:
	v_mad_i64_i32 v[2:3], s[16:17], s13, v0, 0
	v_mov_b32_e32 v1, 0x4000
	v_lshl_add_u64 v[2:3], v[2:3], 4, s[2:3]
	v_lshl_or_b32 v1, v0, 4, v1
	s_mov_b32 s15, s24
.LBB236_13:                             ; =>This Inner Loop Header: Depth=1
	flat_load_dwordx4 v[4:7], v[2:3]
	s_add_i32 s15, s15, -1
	v_lshl_add_u64 v[2:3], v[2:3], 0, 16
	s_cmp_lg_u32 s15, 0
	s_waitcnt vmcnt(0) lgkmcnt(0)
	v_mul_f64 v[10:11], s[6:7], v[6:7]
	v_mul_f64 v[8:9], s[4:5], v[6:7]
	v_fma_f64 v[6:7], s[4:5], v[4:5], -v[10:11]
	v_fmac_f64_e32 v[8:9], s[6:7], v[4:5]
	ds_write_b128 v1, v[6:9]
	v_add_u32_e32 v1, 0x200, v1
	s_cbranch_scc1 .LBB236_13
.LBB236_14:
	s_or_b64 exec, exec, s[10:11]
	v_mov_b32_e32 v1, 0x4000
	s_cmpk_eq_i32 s12, 0x6f
	v_lshl_or_b32 v1, v0, 4, v1
	s_mov_b64 s[4:5], -1
	s_waitcnt lgkmcnt(0)
	; wave barrier
	s_cbranch_scc1 .LBB236_37
; %bb.15:
	s_add_i32 s4, s24, -1
	s_cmp_gt_i32 s14, 31
	s_mov_b32 s5, s4
	s_cbranch_scc0 .LBB236_17
; %bb.16:
	v_mov_b32_e32 v130, 0
	ds_read_b128 v[10:13], v1 offset:15872
	ds_read_b128 v[14:17], v1 offset:15360
	;; [unrolled: 1-line block ×32, first 2 shown]
	ds_read_b128 v[2:5], v1
	ds_read_b128 v[140:143], v130 offset:15856
	s_waitcnt lgkmcnt(5)
	v_mul_f64 v[8:9], v[136:137], v[12:13]
	v_mul_f64 v[6:7], v[138:139], v[12:13]
	v_fmac_f64_e32 v[8:9], v[138:139], v[10:11]
	v_fma_f64 v[6:7], v[136:137], v[10:11], -v[6:7]
	s_waitcnt lgkmcnt(0)
	v_mul_f64 v[10:11], v[142:143], v[8:9]
	v_mul_f64 v[12:13], v[140:141], v[8:9]
	v_fma_f64 v[10:11], v[140:141], v[6:7], -v[10:11]
	ds_read_b128 v[136:139], v130 offset:15840
	v_fmac_f64_e32 v[12:13], v[142:143], v[6:7]
	v_add_f64 v[140:141], v[14:15], -v[10:11]
	v_add_f64 v[12:13], v[16:17], -v[12:13]
	ds_read_b128 v[14:17], v130 offset:15344
	s_waitcnt lgkmcnt(1)
	v_mul_f64 v[10:11], v[138:139], v[12:13]
	v_fma_f64 v[10:11], v[136:137], v[140:141], -v[10:11]
	v_mul_f64 v[12:13], v[136:137], v[12:13]
	v_fmac_f64_e32 v[12:13], v[138:139], v[140:141]
	s_waitcnt lgkmcnt(0)
	v_mul_f64 v[136:137], v[16:17], v[8:9]
	v_fma_f64 v[140:141], v[14:15], v[6:7], -v[136:137]
	ds_read_b128 v[136:139], v130 offset:15328
	v_mul_f64 v[14:15], v[14:15], v[8:9]
	v_fmac_f64_e32 v[14:15], v[16:17], v[6:7]
	v_add_f64 v[16:17], v[132:133], -v[140:141]
	v_add_f64 v[14:15], v[134:135], -v[14:15]
	ds_read_b128 v[132:135], v130 offset:15312
	s_waitcnt lgkmcnt(1)
	v_mul_f64 v[140:141], v[138:139], v[12:13]
	v_fma_f64 v[140:141], v[136:137], v[10:11], -v[140:141]
	v_mul_f64 v[136:137], v[136:137], v[12:13]
	v_fmac_f64_e32 v[136:137], v[138:139], v[10:11]
	v_add_f64 v[140:141], v[16:17], -v[140:141]
	v_add_f64 v[16:17], v[14:15], -v[136:137]
	ds_read_b128 v[136:139], v130 offset:14832
	s_waitcnt lgkmcnt(1)
	v_mul_f64 v[14:15], v[134:135], v[16:17]
	v_mul_f64 v[16:17], v[132:133], v[16:17]
	v_fma_f64 v[14:15], v[132:133], v[140:141], -v[14:15]
	v_fmac_f64_e32 v[16:17], v[134:135], v[140:141]
	ds_read_b128 v[132:135], v130 offset:14816
	s_waitcnt lgkmcnt(1)
	v_mul_f64 v[140:141], v[138:139], v[8:9]
	v_fma_f64 v[140:141], v[136:137], v[6:7], -v[140:141]
	v_mul_f64 v[136:137], v[136:137], v[8:9]
	v_fmac_f64_e32 v[136:137], v[138:139], v[6:7]
	v_add_f64 v[138:139], v[18:19], -v[140:141]
	s_waitcnt lgkmcnt(0)
	v_mul_f64 v[18:19], v[134:135], v[12:13]
	v_add_f64 v[136:137], v[20:21], -v[136:137]
	v_fma_f64 v[140:141], v[132:133], v[10:11], -v[18:19]
	ds_read_b128 v[18:21], v130 offset:14800
	v_mul_f64 v[132:133], v[132:133], v[12:13]
	v_add_f64 v[138:139], v[138:139], -v[140:141]
	v_fmac_f64_e32 v[132:133], v[134:135], v[10:11]
	v_add_f64 v[136:137], v[136:137], -v[132:133]
	s_waitcnt lgkmcnt(0)
	v_mul_f64 v[140:141], v[20:21], v[16:17]
	v_fma_f64 v[140:141], v[18:19], v[14:15], -v[140:141]
	v_mul_f64 v[18:19], v[18:19], v[16:17]
	ds_read_b128 v[132:135], v130 offset:14784
	v_fmac_f64_e32 v[18:19], v[20:21], v[14:15]
	v_add_f64 v[140:141], v[138:139], -v[140:141]
	v_add_f64 v[20:21], v[136:137], -v[18:19]
	ds_read_b128 v[136:139], v130 offset:14320
	s_waitcnt lgkmcnt(1)
	v_mul_f64 v[18:19], v[134:135], v[20:21]
	v_mul_f64 v[20:21], v[132:133], v[20:21]
	v_fma_f64 v[18:19], v[132:133], v[140:141], -v[18:19]
	v_fmac_f64_e32 v[20:21], v[134:135], v[140:141]
	s_waitcnt lgkmcnt(0)
	v_mul_f64 v[140:141], v[138:139], v[8:9]
	ds_read_b128 v[132:135], v130 offset:14304
	v_fma_f64 v[140:141], v[136:137], v[6:7], -v[140:141]
	v_mul_f64 v[136:137], v[136:137], v[8:9]
	ds_write_b128 v1, v[6:9] offset:15872
	ds_write_b128 v1, v[10:13] offset:15360
	;; [unrolled: 1-line block ×4, first 2 shown]
	v_fmac_f64_e32 v[136:137], v[138:139], v[6:7]
	v_add_f64 v[144:145], v[22:23], -v[140:141]
	v_add_f64 v[146:147], v[24:25], -v[136:137]
	ds_read_b128 v[136:139], v130 offset:14256
	ds_read_b128 v[22:25], v130 offset:14272
	;; [unrolled: 1-line block ×3, first 2 shown]
	s_waitcnt lgkmcnt(7)
	v_mul_f64 v[148:149], v[134:135], v[12:13]
	v_fma_f64 v[148:149], v[132:133], v[10:11], -v[148:149]
	v_mul_f64 v[132:133], v[132:133], v[12:13]
	v_fmac_f64_e32 v[132:133], v[134:135], v[10:11]
	v_add_f64 v[134:135], v[144:145], -v[148:149]
	s_waitcnt lgkmcnt(0)
	v_mul_f64 v[144:145], v[142:143], v[16:17]
	v_fma_f64 v[144:145], v[140:141], v[14:15], -v[144:145]
	v_mul_f64 v[140:141], v[140:141], v[16:17]
	v_add_f64 v[132:133], v[146:147], -v[132:133]
	v_fmac_f64_e32 v[140:141], v[142:143], v[14:15]
	v_add_f64 v[132:133], v[132:133], -v[140:141]
	v_mul_f64 v[140:141], v[24:25], v[20:21]
	v_fma_f64 v[140:141], v[22:23], v[18:19], -v[140:141]
	v_mul_f64 v[22:23], v[22:23], v[20:21]
	v_add_f64 v[134:135], v[134:135], -v[144:145]
	v_fmac_f64_e32 v[22:23], v[24:25], v[18:19]
	v_add_f64 v[140:141], v[134:135], -v[140:141]
	v_add_f64 v[24:25], v[132:133], -v[22:23]
	ds_read_b128 v[132:135], v130 offset:13808
	v_mul_f64 v[22:23], v[138:139], v[24:25]
	v_fma_f64 v[22:23], v[136:137], v[140:141], -v[22:23]
	v_mul_f64 v[24:25], v[136:137], v[24:25]
	v_fmac_f64_e32 v[24:25], v[138:139], v[140:141]
	s_waitcnt lgkmcnt(0)
	v_mul_f64 v[136:137], v[134:135], v[8:9]
	v_fma_f64 v[140:141], v[132:133], v[6:7], -v[136:137]
	ds_read_b128 v[136:139], v130 offset:13792
	v_mul_f64 v[132:133], v[132:133], v[8:9]
	v_fmac_f64_e32 v[132:133], v[134:135], v[6:7]
	v_add_f64 v[134:135], v[26:27], -v[140:141]
	v_add_f64 v[132:133], v[28:29], -v[132:133]
	ds_read_b128 v[26:29], v130 offset:13776
	s_waitcnt lgkmcnt(1)
	v_mul_f64 v[140:141], v[138:139], v[12:13]
	v_fma_f64 v[140:141], v[136:137], v[10:11], -v[140:141]
	v_mul_f64 v[136:137], v[136:137], v[12:13]
	v_fmac_f64_e32 v[136:137], v[138:139], v[10:11]
	v_add_f64 v[136:137], v[132:133], -v[136:137]
	s_waitcnt lgkmcnt(0)
	v_mul_f64 v[132:133], v[28:29], v[16:17]
	v_add_f64 v[138:139], v[134:135], -v[140:141]
	v_fma_f64 v[140:141], v[26:27], v[14:15], -v[132:133]
	ds_read_b128 v[132:135], v130 offset:13760
	v_mul_f64 v[26:27], v[26:27], v[16:17]
	v_fmac_f64_e32 v[26:27], v[28:29], v[14:15]
	v_add_f64 v[136:137], v[136:137], -v[26:27]
	ds_read_b128 v[26:29], v130 offset:13744
	v_add_f64 v[138:139], v[138:139], -v[140:141]
	s_waitcnt lgkmcnt(1)
	v_mul_f64 v[140:141], v[134:135], v[20:21]
	v_fma_f64 v[140:141], v[132:133], v[18:19], -v[140:141]
	v_mul_f64 v[132:133], v[132:133], v[20:21]
	v_fmac_f64_e32 v[132:133], v[134:135], v[18:19]
	v_add_f64 v[136:137], v[136:137], -v[132:133]
	s_waitcnt lgkmcnt(0)
	v_mul_f64 v[132:133], v[28:29], v[24:25]
	v_add_f64 v[138:139], v[138:139], -v[140:141]
	v_fma_f64 v[140:141], v[26:27], v[22:23], -v[132:133]
	v_mul_f64 v[26:27], v[26:27], v[24:25]
	ds_read_b128 v[132:135], v130 offset:13728
	v_fmac_f64_e32 v[26:27], v[28:29], v[22:23]
	v_add_f64 v[140:141], v[138:139], -v[140:141]
	v_add_f64 v[28:29], v[136:137], -v[26:27]
	ds_read_b128 v[136:139], v130 offset:13296
	s_waitcnt lgkmcnt(1)
	v_mul_f64 v[26:27], v[134:135], v[28:29]
	v_fma_f64 v[26:27], v[132:133], v[140:141], -v[26:27]
	v_mul_f64 v[28:29], v[132:133], v[28:29]
	v_fmac_f64_e32 v[28:29], v[134:135], v[140:141]
	s_waitcnt lgkmcnt(0)
	v_mul_f64 v[132:133], v[138:139], v[8:9]
	v_fma_f64 v[140:141], v[136:137], v[6:7], -v[132:133]
	ds_read_b128 v[132:135], v130 offset:13280
	v_mul_f64 v[136:137], v[136:137], v[8:9]
	v_fmac_f64_e32 v[136:137], v[138:139], v[6:7]
	v_add_f64 v[138:139], v[30:31], -v[140:141]
	v_add_f64 v[136:137], v[32:33], -v[136:137]
	ds_read_b128 v[30:33], v130 offset:13264
	s_waitcnt lgkmcnt(1)
	v_mul_f64 v[140:141], v[134:135], v[12:13]
	v_fma_f64 v[140:141], v[132:133], v[10:11], -v[140:141]
	v_mul_f64 v[132:133], v[132:133], v[12:13]
	v_fmac_f64_e32 v[132:133], v[134:135], v[10:11]
	v_add_f64 v[136:137], v[136:137], -v[132:133]
	s_waitcnt lgkmcnt(0)
	v_mul_f64 v[132:133], v[32:33], v[16:17]
	v_add_f64 v[138:139], v[138:139], -v[140:141]
	v_fma_f64 v[140:141], v[30:31], v[14:15], -v[132:133]
	ds_read_b128 v[132:135], v130 offset:13248
	v_mul_f64 v[30:31], v[30:31], v[16:17]
	v_fmac_f64_e32 v[30:31], v[32:33], v[14:15]
	v_add_f64 v[136:137], v[136:137], -v[30:31]
	ds_read_b128 v[30:33], v130 offset:13232
	v_add_f64 v[138:139], v[138:139], -v[140:141]
	s_waitcnt lgkmcnt(1)
	v_mul_f64 v[140:141], v[134:135], v[20:21]
	v_fma_f64 v[140:141], v[132:133], v[18:19], -v[140:141]
	v_mul_f64 v[132:133], v[132:133], v[20:21]
	v_fmac_f64_e32 v[132:133], v[134:135], v[18:19]
	v_add_f64 v[136:137], v[136:137], -v[132:133]
	s_waitcnt lgkmcnt(0)
	v_mul_f64 v[132:133], v[32:33], v[24:25]
	v_add_f64 v[138:139], v[138:139], -v[140:141]
	v_fma_f64 v[140:141], v[30:31], v[22:23], -v[132:133]
	ds_read_b128 v[132:135], v130 offset:13216
	v_mul_f64 v[30:31], v[30:31], v[24:25]
	v_fmac_f64_e32 v[30:31], v[32:33], v[22:23]
	v_add_f64 v[32:33], v[138:139], -v[140:141]
	v_add_f64 v[30:31], v[136:137], -v[30:31]
	ds_read_b128 v[136:139], v130 offset:13200
	s_waitcnt lgkmcnt(1)
	v_mul_f64 v[140:141], v[134:135], v[28:29]
	v_fma_f64 v[140:141], v[132:133], v[26:27], -v[140:141]
	v_mul_f64 v[132:133], v[132:133], v[28:29]
	v_fmac_f64_e32 v[132:133], v[134:135], v[26:27]
	v_add_f64 v[140:141], v[32:33], -v[140:141]
	v_add_f64 v[32:33], v[30:31], -v[132:133]
	ds_read_b128 v[132:135], v130 offset:12784
	s_waitcnt lgkmcnt(1)
	v_mul_f64 v[30:31], v[138:139], v[32:33]
	v_mul_f64 v[32:33], v[136:137], v[32:33]
	v_fma_f64 v[30:31], v[136:137], v[140:141], -v[30:31]
	v_fmac_f64_e32 v[32:33], v[138:139], v[140:141]
	ds_read_b128 v[136:139], v130 offset:12768
	s_waitcnt lgkmcnt(1)
	v_mul_f64 v[140:141], v[134:135], v[8:9]
	v_fma_f64 v[140:141], v[132:133], v[6:7], -v[140:141]
	v_mul_f64 v[132:133], v[132:133], v[8:9]
	v_fmac_f64_e32 v[132:133], v[134:135], v[6:7]
	v_add_f64 v[134:135], v[34:35], -v[140:141]
	s_waitcnt lgkmcnt(0)
	v_mul_f64 v[34:35], v[138:139], v[12:13]
	v_add_f64 v[132:133], v[36:37], -v[132:133]
	v_fma_f64 v[140:141], v[136:137], v[10:11], -v[34:35]
	ds_read_b128 v[34:37], v130 offset:12752
	v_mul_f64 v[136:137], v[136:137], v[12:13]
	v_fmac_f64_e32 v[136:137], v[138:139], v[10:11]
	v_add_f64 v[138:139], v[134:135], -v[140:141]
	v_add_f64 v[136:137], v[132:133], -v[136:137]
	ds_read_b128 v[132:135], v130 offset:12736
	s_waitcnt lgkmcnt(1)
	v_mul_f64 v[140:141], v[36:37], v[16:17]
	v_fma_f64 v[140:141], v[34:35], v[14:15], -v[140:141]
	v_mul_f64 v[34:35], v[34:35], v[16:17]
	v_fmac_f64_e32 v[34:35], v[36:37], v[14:15]
	ds_write_b128 v1, v[22:25] offset:13824
	ds_write_b128 v1, v[26:29] offset:13312
	ds_write_b128 v1, v[30:33] offset:12800
	v_add_f64 v[136:137], v[136:137], -v[34:35]
	s_waitcnt lgkmcnt(3)
	v_mul_f64 v[34:35], v[134:135], v[20:21]
	v_mul_f64 v[142:143], v[132:133], v[20:21]
	v_add_f64 v[138:139], v[138:139], -v[140:141]
	v_fma_f64 v[140:141], v[132:133], v[18:19], -v[34:35]
	v_fmac_f64_e32 v[142:143], v[134:135], v[18:19]
	ds_read_b128 v[34:37], v130 offset:12704
	ds_read_b128 v[132:135], v130 offset:12720
	v_add_f64 v[144:145], v[138:139], -v[140:141]
	v_add_f64 v[146:147], v[136:137], -v[142:143]
	ds_read_b128 v[136:139], v130 offset:12672
	ds_read_b128 v[140:143], v130 offset:12688
	s_mov_b32 s5, -1
	s_waitcnt lgkmcnt(2)
	v_mul_f64 v[148:149], v[134:135], v[24:25]
	v_fma_f64 v[148:149], v[132:133], v[22:23], -v[148:149]
	v_mul_f64 v[132:133], v[132:133], v[24:25]
	v_fmac_f64_e32 v[132:133], v[134:135], v[22:23]
	v_add_f64 v[134:135], v[144:145], -v[148:149]
	v_mul_f64 v[144:145], v[36:37], v[28:29]
	v_fma_f64 v[144:145], v[34:35], v[26:27], -v[144:145]
	v_mul_f64 v[34:35], v[34:35], v[28:29]
	v_add_f64 v[132:133], v[146:147], -v[132:133]
	v_fmac_f64_e32 v[34:35], v[36:37], v[26:27]
	v_add_f64 v[36:37], v[134:135], -v[144:145]
	v_add_f64 v[34:35], v[132:133], -v[34:35]
	s_waitcnt lgkmcnt(0)
	v_mul_f64 v[132:133], v[142:143], v[32:33]
	v_mul_f64 v[134:135], v[140:141], v[32:33]
	v_fma_f64 v[132:133], v[140:141], v[30:31], -v[132:133]
	v_fmac_f64_e32 v[134:135], v[142:143], v[30:31]
	v_add_f64 v[140:141], v[36:37], -v[132:133]
	v_add_f64 v[36:37], v[34:35], -v[134:135]
	ds_read_b128 v[132:135], v130 offset:12272
	v_mul_f64 v[34:35], v[138:139], v[36:37]
	v_mul_f64 v[36:37], v[136:137], v[36:37]
	v_fma_f64 v[34:35], v[136:137], v[140:141], -v[34:35]
	v_fmac_f64_e32 v[36:37], v[138:139], v[140:141]
	ds_read_b128 v[136:139], v130 offset:12256
	s_waitcnt lgkmcnt(1)
	v_mul_f64 v[140:141], v[134:135], v[8:9]
	v_fma_f64 v[140:141], v[132:133], v[6:7], -v[140:141]
	v_mul_f64 v[132:133], v[132:133], v[8:9]
	v_fmac_f64_e32 v[132:133], v[134:135], v[6:7]
	v_add_f64 v[134:135], v[42:43], -v[140:141]
	s_waitcnt lgkmcnt(0)
	v_mul_f64 v[42:43], v[138:139], v[12:13]
	v_add_f64 v[132:133], v[44:45], -v[132:133]
	v_fma_f64 v[140:141], v[136:137], v[10:11], -v[42:43]
	ds_read_b128 v[42:45], v130 offset:12240
	v_mul_f64 v[136:137], v[136:137], v[12:13]
	v_fmac_f64_e32 v[136:137], v[138:139], v[10:11]
	v_add_f64 v[138:139], v[134:135], -v[140:141]
	v_add_f64 v[136:137], v[132:133], -v[136:137]
	ds_read_b128 v[132:135], v130 offset:12224
	s_waitcnt lgkmcnt(1)
	v_mul_f64 v[140:141], v[44:45], v[16:17]
	v_fma_f64 v[140:141], v[42:43], v[14:15], -v[140:141]
	v_mul_f64 v[42:43], v[42:43], v[16:17]
	v_fmac_f64_e32 v[42:43], v[44:45], v[14:15]
	v_add_f64 v[136:137], v[136:137], -v[42:43]
	s_waitcnt lgkmcnt(0)
	v_mul_f64 v[42:43], v[134:135], v[20:21]
	v_add_f64 v[138:139], v[138:139], -v[140:141]
	v_fma_f64 v[140:141], v[132:133], v[18:19], -v[42:43]
	ds_read_b128 v[42:45], v130 offset:12208
	v_mul_f64 v[132:133], v[132:133], v[20:21]
	v_fmac_f64_e32 v[132:133], v[134:135], v[18:19]
	v_add_f64 v[136:137], v[136:137], -v[132:133]
	ds_read_b128 v[132:135], v130 offset:12192
	v_add_f64 v[138:139], v[138:139], -v[140:141]
	s_waitcnt lgkmcnt(1)
	v_mul_f64 v[140:141], v[44:45], v[24:25]
	v_fma_f64 v[140:141], v[42:43], v[22:23], -v[140:141]
	v_mul_f64 v[42:43], v[42:43], v[24:25]
	v_fmac_f64_e32 v[42:43], v[44:45], v[22:23]
	v_add_f64 v[136:137], v[136:137], -v[42:43]
	s_waitcnt lgkmcnt(0)
	v_mul_f64 v[42:43], v[134:135], v[28:29]
	v_add_f64 v[138:139], v[138:139], -v[140:141]
	v_fma_f64 v[140:141], v[132:133], v[26:27], -v[42:43]
	ds_read_b128 v[42:45], v130 offset:12176
	v_mul_f64 v[132:133], v[132:133], v[28:29]
	v_fmac_f64_e32 v[132:133], v[134:135], v[26:27]
	v_add_f64 v[136:137], v[136:137], -v[132:133]
	ds_read_b128 v[132:135], v130 offset:12160
	v_add_f64 v[138:139], v[138:139], -v[140:141]
	s_waitcnt lgkmcnt(1)
	v_mul_f64 v[140:141], v[44:45], v[32:33]
	v_fma_f64 v[140:141], v[42:43], v[30:31], -v[140:141]
	v_mul_f64 v[42:43], v[42:43], v[32:33]
	v_fmac_f64_e32 v[42:43], v[44:45], v[30:31]
	v_add_f64 v[42:43], v[136:137], -v[42:43]
	s_waitcnt lgkmcnt(0)
	v_mul_f64 v[136:137], v[134:135], v[36:37]
	v_add_f64 v[44:45], v[138:139], -v[140:141]
	v_fma_f64 v[140:141], v[132:133], v[34:35], -v[136:137]
	v_mul_f64 v[132:133], v[132:133], v[36:37]
	ds_read_b128 v[136:139], v130 offset:12144
	v_fmac_f64_e32 v[132:133], v[134:135], v[34:35]
	v_add_f64 v[140:141], v[44:45], -v[140:141]
	v_add_f64 v[44:45], v[42:43], -v[132:133]
	ds_read_b128 v[132:135], v130 offset:11760
	s_waitcnt lgkmcnt(1)
	v_mul_f64 v[42:43], v[138:139], v[44:45]
	v_fma_f64 v[42:43], v[136:137], v[140:141], -v[42:43]
	v_mul_f64 v[44:45], v[136:137], v[44:45]
	v_fmac_f64_e32 v[44:45], v[138:139], v[140:141]
	s_waitcnt lgkmcnt(0)
	v_mul_f64 v[136:137], v[134:135], v[8:9]
	v_fma_f64 v[140:141], v[132:133], v[6:7], -v[136:137]
	ds_read_b128 v[136:139], v130 offset:11744
	v_mul_f64 v[132:133], v[132:133], v[8:9]
	v_fmac_f64_e32 v[132:133], v[134:135], v[6:7]
	v_add_f64 v[134:135], v[46:47], -v[140:141]
	v_add_f64 v[132:133], v[48:49], -v[132:133]
	ds_read_b128 v[46:49], v130 offset:11728
	s_waitcnt lgkmcnt(1)
	v_mul_f64 v[140:141], v[138:139], v[12:13]
	v_fma_f64 v[140:141], v[136:137], v[10:11], -v[140:141]
	v_mul_f64 v[136:137], v[136:137], v[12:13]
	v_fmac_f64_e32 v[136:137], v[138:139], v[10:11]
	v_add_f64 v[136:137], v[132:133], -v[136:137]
	s_waitcnt lgkmcnt(0)
	v_mul_f64 v[132:133], v[48:49], v[16:17]
	v_add_f64 v[138:139], v[134:135], -v[140:141]
	v_fma_f64 v[140:141], v[46:47], v[14:15], -v[132:133]
	ds_read_b128 v[132:135], v130 offset:11712
	v_mul_f64 v[46:47], v[46:47], v[16:17]
	v_fmac_f64_e32 v[46:47], v[48:49], v[14:15]
	v_add_f64 v[136:137], v[136:137], -v[46:47]
	ds_read_b128 v[46:49], v130 offset:11696
	v_add_f64 v[138:139], v[138:139], -v[140:141]
	s_waitcnt lgkmcnt(1)
	v_mul_f64 v[140:141], v[134:135], v[20:21]
	v_fma_f64 v[140:141], v[132:133], v[18:19], -v[140:141]
	v_mul_f64 v[132:133], v[132:133], v[20:21]
	v_fmac_f64_e32 v[132:133], v[134:135], v[18:19]
	v_add_f64 v[136:137], v[136:137], -v[132:133]
	s_waitcnt lgkmcnt(0)
	v_mul_f64 v[132:133], v[48:49], v[24:25]
	v_add_f64 v[138:139], v[138:139], -v[140:141]
	v_fma_f64 v[140:141], v[46:47], v[22:23], -v[132:133]
	ds_read_b128 v[132:135], v130 offset:11680
	v_mul_f64 v[46:47], v[46:47], v[24:25]
	v_fmac_f64_e32 v[46:47], v[48:49], v[22:23]
	v_add_f64 v[138:139], v[138:139], -v[140:141]
	v_add_f64 v[136:137], v[136:137], -v[46:47]
	s_waitcnt lgkmcnt(0)
	v_mul_f64 v[140:141], v[134:135], v[28:29]
	ds_read_b128 v[46:49], v130 offset:11664
	v_fma_f64 v[140:141], v[132:133], v[26:27], -v[140:141]
	v_mul_f64 v[132:133], v[132:133], v[28:29]
	ds_write_b128 v1, v[34:37] offset:12288
	ds_write_b128 v1, v[42:45] offset:11776
	v_fmac_f64_e32 v[132:133], v[134:135], v[26:27]
	v_add_f64 v[144:145], v[138:139], -v[140:141]
	v_add_f64 v[146:147], v[136:137], -v[132:133]
	ds_read_b128 v[132:135], v130 offset:11616
	ds_read_b128 v[136:139], v130 offset:11632
	;; [unrolled: 1-line block ×3, first 2 shown]
	s_waitcnt lgkmcnt(5)
	v_mul_f64 v[148:149], v[48:49], v[32:33]
	v_fma_f64 v[148:149], v[46:47], v[30:31], -v[148:149]
	v_mul_f64 v[46:47], v[46:47], v[32:33]
	v_fmac_f64_e32 v[46:47], v[48:49], v[30:31]
	v_add_f64 v[48:49], v[144:145], -v[148:149]
	s_waitcnt lgkmcnt(0)
	v_mul_f64 v[144:145], v[142:143], v[36:37]
	v_fma_f64 v[144:145], v[140:141], v[34:35], -v[144:145]
	v_mul_f64 v[140:141], v[140:141], v[36:37]
	v_add_f64 v[46:47], v[146:147], -v[46:47]
	v_fmac_f64_e32 v[140:141], v[142:143], v[34:35]
	v_add_f64 v[46:47], v[46:47], -v[140:141]
	v_mul_f64 v[140:141], v[138:139], v[44:45]
	v_fma_f64 v[140:141], v[136:137], v[42:43], -v[140:141]
	v_mul_f64 v[136:137], v[136:137], v[44:45]
	v_add_f64 v[48:49], v[48:49], -v[144:145]
	v_fmac_f64_e32 v[136:137], v[138:139], v[42:43]
	v_add_f64 v[140:141], v[48:49], -v[140:141]
	v_add_f64 v[48:49], v[46:47], -v[136:137]
	ds_read_b128 v[136:139], v130 offset:11248
	v_mul_f64 v[46:47], v[134:135], v[48:49]
	v_fma_f64 v[46:47], v[132:133], v[140:141], -v[46:47]
	v_mul_f64 v[48:49], v[132:133], v[48:49]
	v_fmac_f64_e32 v[48:49], v[134:135], v[140:141]
	s_waitcnt lgkmcnt(0)
	v_mul_f64 v[132:133], v[138:139], v[8:9]
	v_fma_f64 v[140:141], v[136:137], v[6:7], -v[132:133]
	ds_read_b128 v[132:135], v130 offset:11232
	v_mul_f64 v[136:137], v[136:137], v[8:9]
	v_fmac_f64_e32 v[136:137], v[138:139], v[6:7]
	v_add_f64 v[138:139], v[50:51], -v[140:141]
	v_add_f64 v[136:137], v[52:53], -v[136:137]
	ds_read_b128 v[50:53], v130 offset:11216
	s_waitcnt lgkmcnt(1)
	v_mul_f64 v[140:141], v[134:135], v[12:13]
	v_fma_f64 v[140:141], v[132:133], v[10:11], -v[140:141]
	v_mul_f64 v[132:133], v[132:133], v[12:13]
	v_fmac_f64_e32 v[132:133], v[134:135], v[10:11]
	v_add_f64 v[136:137], v[136:137], -v[132:133]
	s_waitcnt lgkmcnt(0)
	v_mul_f64 v[132:133], v[52:53], v[16:17]
	v_add_f64 v[138:139], v[138:139], -v[140:141]
	v_fma_f64 v[140:141], v[50:51], v[14:15], -v[132:133]
	ds_read_b128 v[132:135], v130 offset:11200
	v_mul_f64 v[50:51], v[50:51], v[16:17]
	v_fmac_f64_e32 v[50:51], v[52:53], v[14:15]
	v_add_f64 v[136:137], v[136:137], -v[50:51]
	ds_read_b128 v[50:53], v130 offset:11184
	v_add_f64 v[138:139], v[138:139], -v[140:141]
	s_waitcnt lgkmcnt(1)
	v_mul_f64 v[140:141], v[134:135], v[20:21]
	v_fma_f64 v[140:141], v[132:133], v[18:19], -v[140:141]
	v_mul_f64 v[132:133], v[132:133], v[20:21]
	v_fmac_f64_e32 v[132:133], v[134:135], v[18:19]
	v_add_f64 v[136:137], v[136:137], -v[132:133]
	s_waitcnt lgkmcnt(0)
	v_mul_f64 v[132:133], v[52:53], v[24:25]
	v_add_f64 v[138:139], v[138:139], -v[140:141]
	v_fma_f64 v[140:141], v[50:51], v[22:23], -v[132:133]
	ds_read_b128 v[132:135], v130 offset:11168
	v_mul_f64 v[50:51], v[50:51], v[24:25]
	v_fmac_f64_e32 v[50:51], v[52:53], v[22:23]
	v_add_f64 v[136:137], v[136:137], -v[50:51]
	ds_read_b128 v[50:53], v130 offset:11152
	v_add_f64 v[138:139], v[138:139], -v[140:141]
	s_waitcnt lgkmcnt(1)
	v_mul_f64 v[140:141], v[134:135], v[28:29]
	v_fma_f64 v[140:141], v[132:133], v[26:27], -v[140:141]
	v_mul_f64 v[132:133], v[132:133], v[28:29]
	v_fmac_f64_e32 v[132:133], v[134:135], v[26:27]
	ds_write_b128 v1, v[46:49] offset:11264
	v_add_f64 v[136:137], v[136:137], -v[132:133]
	s_waitcnt lgkmcnt(1)
	v_mul_f64 v[132:133], v[52:53], v[32:33]
	v_mul_f64 v[142:143], v[50:51], v[32:33]
	v_add_f64 v[138:139], v[138:139], -v[140:141]
	v_fma_f64 v[140:141], v[50:51], v[30:31], -v[132:133]
	v_fmac_f64_e32 v[142:143], v[52:53], v[30:31]
	ds_read_b128 v[50:53], v130 offset:11120
	ds_read_b128 v[132:135], v130 offset:11136
	v_add_f64 v[144:145], v[138:139], -v[140:141]
	v_add_f64 v[146:147], v[136:137], -v[142:143]
	ds_read_b128 v[136:139], v130 offset:11088
	ds_read_b128 v[140:143], v130 offset:11104
	s_waitcnt lgkmcnt(2)
	v_mul_f64 v[148:149], v[134:135], v[36:37]
	v_fma_f64 v[148:149], v[132:133], v[34:35], -v[148:149]
	v_mul_f64 v[132:133], v[132:133], v[36:37]
	v_fmac_f64_e32 v[132:133], v[134:135], v[34:35]
	v_add_f64 v[134:135], v[144:145], -v[148:149]
	v_mul_f64 v[144:145], v[52:53], v[44:45]
	v_fma_f64 v[144:145], v[50:51], v[42:43], -v[144:145]
	v_mul_f64 v[50:51], v[50:51], v[44:45]
	v_add_f64 v[132:133], v[146:147], -v[132:133]
	v_fmac_f64_e32 v[50:51], v[52:53], v[42:43]
	v_add_f64 v[52:53], v[134:135], -v[144:145]
	v_add_f64 v[50:51], v[132:133], -v[50:51]
	s_waitcnt lgkmcnt(0)
	v_mul_f64 v[132:133], v[142:143], v[48:49]
	v_mul_f64 v[134:135], v[140:141], v[48:49]
	v_fma_f64 v[132:133], v[140:141], v[46:47], -v[132:133]
	v_fmac_f64_e32 v[134:135], v[142:143], v[46:47]
	v_add_f64 v[140:141], v[52:53], -v[132:133]
	v_add_f64 v[52:53], v[50:51], -v[134:135]
	ds_read_b128 v[132:135], v130 offset:10736
	v_mul_f64 v[50:51], v[138:139], v[52:53]
	v_mul_f64 v[52:53], v[136:137], v[52:53]
	v_fma_f64 v[50:51], v[136:137], v[140:141], -v[50:51]
	v_fmac_f64_e32 v[52:53], v[138:139], v[140:141]
	ds_read_b128 v[136:139], v130 offset:10720
	s_waitcnt lgkmcnt(1)
	v_mul_f64 v[140:141], v[134:135], v[8:9]
	v_fma_f64 v[140:141], v[132:133], v[6:7], -v[140:141]
	v_mul_f64 v[132:133], v[132:133], v[8:9]
	v_fmac_f64_e32 v[132:133], v[134:135], v[6:7]
	v_add_f64 v[134:135], v[58:59], -v[140:141]
	s_waitcnt lgkmcnt(0)
	v_mul_f64 v[58:59], v[138:139], v[12:13]
	v_add_f64 v[132:133], v[60:61], -v[132:133]
	v_fma_f64 v[140:141], v[136:137], v[10:11], -v[58:59]
	ds_read_b128 v[58:61], v130 offset:10704
	v_mul_f64 v[136:137], v[136:137], v[12:13]
	v_fmac_f64_e32 v[136:137], v[138:139], v[10:11]
	v_add_f64 v[138:139], v[134:135], -v[140:141]
	v_add_f64 v[136:137], v[132:133], -v[136:137]
	ds_read_b128 v[132:135], v130 offset:10688
	s_waitcnt lgkmcnt(1)
	v_mul_f64 v[140:141], v[60:61], v[16:17]
	v_fma_f64 v[140:141], v[58:59], v[14:15], -v[140:141]
	v_mul_f64 v[58:59], v[58:59], v[16:17]
	v_fmac_f64_e32 v[58:59], v[60:61], v[14:15]
	v_add_f64 v[136:137], v[136:137], -v[58:59]
	s_waitcnt lgkmcnt(0)
	v_mul_f64 v[58:59], v[134:135], v[20:21]
	v_add_f64 v[138:139], v[138:139], -v[140:141]
	v_fma_f64 v[140:141], v[132:133], v[18:19], -v[58:59]
	ds_read_b128 v[58:61], v130 offset:10672
	v_mul_f64 v[132:133], v[132:133], v[20:21]
	v_fmac_f64_e32 v[132:133], v[134:135], v[18:19]
	v_add_f64 v[136:137], v[136:137], -v[132:133]
	ds_read_b128 v[132:135], v130 offset:10656
	v_add_f64 v[138:139], v[138:139], -v[140:141]
	s_waitcnt lgkmcnt(1)
	v_mul_f64 v[140:141], v[60:61], v[24:25]
	v_fma_f64 v[140:141], v[58:59], v[22:23], -v[140:141]
	v_mul_f64 v[58:59], v[58:59], v[24:25]
	v_fmac_f64_e32 v[58:59], v[60:61], v[22:23]
	v_add_f64 v[136:137], v[136:137], -v[58:59]
	s_waitcnt lgkmcnt(0)
	v_mul_f64 v[58:59], v[134:135], v[28:29]
	v_add_f64 v[138:139], v[138:139], -v[140:141]
	v_fma_f64 v[140:141], v[132:133], v[26:27], -v[58:59]
	ds_read_b128 v[58:61], v130 offset:10640
	v_mul_f64 v[132:133], v[132:133], v[28:29]
	v_fmac_f64_e32 v[132:133], v[134:135], v[26:27]
	v_add_f64 v[136:137], v[136:137], -v[132:133]
	ds_read_b128 v[132:135], v130 offset:10624
	v_add_f64 v[138:139], v[138:139], -v[140:141]
	s_waitcnt lgkmcnt(1)
	v_mul_f64 v[140:141], v[60:61], v[32:33]
	v_fma_f64 v[140:141], v[58:59], v[30:31], -v[140:141]
	v_mul_f64 v[58:59], v[58:59], v[32:33]
	v_fmac_f64_e32 v[58:59], v[60:61], v[30:31]
	ds_write_b128 v1, v[50:53] offset:10752
	v_add_f64 v[136:137], v[136:137], -v[58:59]
	s_waitcnt lgkmcnt(1)
	v_mul_f64 v[58:59], v[134:135], v[36:37]
	v_mul_f64 v[142:143], v[132:133], v[36:37]
	v_add_f64 v[138:139], v[138:139], -v[140:141]
	v_fma_f64 v[140:141], v[132:133], v[34:35], -v[58:59]
	v_fmac_f64_e32 v[142:143], v[134:135], v[34:35]
	ds_read_b128 v[58:61], v130 offset:10592
	ds_read_b128 v[132:135], v130 offset:10608
	v_add_f64 v[144:145], v[138:139], -v[140:141]
	v_add_f64 v[146:147], v[136:137], -v[142:143]
	ds_read_b128 v[136:139], v130 offset:10560
	ds_read_b128 v[140:143], v130 offset:10576
	s_waitcnt lgkmcnt(2)
	v_mul_f64 v[148:149], v[134:135], v[44:45]
	v_fma_f64 v[148:149], v[132:133], v[42:43], -v[148:149]
	v_mul_f64 v[132:133], v[132:133], v[44:45]
	v_fmac_f64_e32 v[132:133], v[134:135], v[42:43]
	v_add_f64 v[134:135], v[144:145], -v[148:149]
	v_mul_f64 v[144:145], v[60:61], v[48:49]
	v_fma_f64 v[144:145], v[58:59], v[46:47], -v[144:145]
	v_mul_f64 v[58:59], v[58:59], v[48:49]
	v_add_f64 v[132:133], v[146:147], -v[132:133]
	v_fmac_f64_e32 v[58:59], v[60:61], v[46:47]
	v_add_f64 v[60:61], v[134:135], -v[144:145]
	v_add_f64 v[58:59], v[132:133], -v[58:59]
	s_waitcnt lgkmcnt(0)
	v_mul_f64 v[132:133], v[142:143], v[52:53]
	v_mul_f64 v[134:135], v[140:141], v[52:53]
	v_fma_f64 v[132:133], v[140:141], v[50:51], -v[132:133]
	v_fmac_f64_e32 v[134:135], v[142:143], v[50:51]
	v_add_f64 v[140:141], v[60:61], -v[132:133]
	v_add_f64 v[60:61], v[58:59], -v[134:135]
	ds_read_b128 v[132:135], v130 offset:10224
	v_mul_f64 v[58:59], v[138:139], v[60:61]
	v_mul_f64 v[60:61], v[136:137], v[60:61]
	v_fma_f64 v[58:59], v[136:137], v[140:141], -v[58:59]
	v_fmac_f64_e32 v[60:61], v[138:139], v[140:141]
	ds_read_b128 v[136:139], v130 offset:10208
	s_waitcnt lgkmcnt(1)
	v_mul_f64 v[140:141], v[134:135], v[8:9]
	v_fma_f64 v[140:141], v[132:133], v[6:7], -v[140:141]
	v_mul_f64 v[132:133], v[132:133], v[8:9]
	v_fmac_f64_e32 v[132:133], v[134:135], v[6:7]
	v_add_f64 v[134:135], v[62:63], -v[140:141]
	s_waitcnt lgkmcnt(0)
	v_mul_f64 v[62:63], v[138:139], v[12:13]
	v_add_f64 v[132:133], v[64:65], -v[132:133]
	v_fma_f64 v[140:141], v[136:137], v[10:11], -v[62:63]
	ds_read_b128 v[62:65], v130 offset:10192
	v_mul_f64 v[136:137], v[136:137], v[12:13]
	v_fmac_f64_e32 v[136:137], v[138:139], v[10:11]
	v_add_f64 v[138:139], v[134:135], -v[140:141]
	v_add_f64 v[136:137], v[132:133], -v[136:137]
	ds_read_b128 v[132:135], v130 offset:10176
	s_waitcnt lgkmcnt(1)
	v_mul_f64 v[140:141], v[64:65], v[16:17]
	v_fma_f64 v[140:141], v[62:63], v[14:15], -v[140:141]
	v_mul_f64 v[62:63], v[62:63], v[16:17]
	v_fmac_f64_e32 v[62:63], v[64:65], v[14:15]
	v_add_f64 v[136:137], v[136:137], -v[62:63]
	s_waitcnt lgkmcnt(0)
	v_mul_f64 v[62:63], v[134:135], v[20:21]
	v_add_f64 v[138:139], v[138:139], -v[140:141]
	v_fma_f64 v[140:141], v[132:133], v[18:19], -v[62:63]
	ds_read_b128 v[62:65], v130 offset:10160
	v_mul_f64 v[132:133], v[132:133], v[20:21]
	v_fmac_f64_e32 v[132:133], v[134:135], v[18:19]
	v_add_f64 v[136:137], v[136:137], -v[132:133]
	ds_read_b128 v[132:135], v130 offset:10144
	v_add_f64 v[138:139], v[138:139], -v[140:141]
	s_waitcnt lgkmcnt(1)
	v_mul_f64 v[140:141], v[64:65], v[24:25]
	v_fma_f64 v[140:141], v[62:63], v[22:23], -v[140:141]
	v_mul_f64 v[62:63], v[62:63], v[24:25]
	v_fmac_f64_e32 v[62:63], v[64:65], v[22:23]
	v_add_f64 v[136:137], v[136:137], -v[62:63]
	s_waitcnt lgkmcnt(0)
	v_mul_f64 v[62:63], v[134:135], v[28:29]
	v_add_f64 v[138:139], v[138:139], -v[140:141]
	v_fma_f64 v[140:141], v[132:133], v[26:27], -v[62:63]
	ds_read_b128 v[62:65], v130 offset:10128
	v_mul_f64 v[132:133], v[132:133], v[28:29]
	v_fmac_f64_e32 v[132:133], v[134:135], v[26:27]
	v_add_f64 v[136:137], v[136:137], -v[132:133]
	ds_read_b128 v[132:135], v130 offset:10112
	v_add_f64 v[138:139], v[138:139], -v[140:141]
	s_waitcnt lgkmcnt(1)
	v_mul_f64 v[140:141], v[64:65], v[32:33]
	v_fma_f64 v[140:141], v[62:63], v[30:31], -v[140:141]
	v_mul_f64 v[62:63], v[62:63], v[32:33]
	v_fmac_f64_e32 v[62:63], v[64:65], v[30:31]
	v_add_f64 v[136:137], v[136:137], -v[62:63]
	s_waitcnt lgkmcnt(0)
	v_mul_f64 v[62:63], v[134:135], v[36:37]
	v_add_f64 v[138:139], v[138:139], -v[140:141]
	v_fma_f64 v[140:141], v[132:133], v[34:35], -v[62:63]
	ds_read_b128 v[62:65], v130 offset:10096
	v_mul_f64 v[132:133], v[132:133], v[36:37]
	v_fmac_f64_e32 v[132:133], v[134:135], v[34:35]
	v_add_f64 v[138:139], v[138:139], -v[140:141]
	v_add_f64 v[136:137], v[136:137], -v[132:133]
	s_waitcnt lgkmcnt(0)
	v_mul_f64 v[140:141], v[64:65], v[44:45]
	ds_read_b128 v[132:135], v130 offset:10080
	v_fma_f64 v[140:141], v[62:63], v[42:43], -v[140:141]
	v_mul_f64 v[62:63], v[62:63], v[44:45]
	ds_write_b128 v1, v[58:61] offset:10240
	v_fmac_f64_e32 v[62:63], v[64:65], v[42:43]
	v_add_f64 v[144:145], v[138:139], -v[140:141]
	v_add_f64 v[146:147], v[136:137], -v[62:63]
	ds_read_b128 v[136:139], v130 offset:10032
	ds_read_b128 v[62:65], v130 offset:10048
	;; [unrolled: 1-line block ×3, first 2 shown]
	s_waitcnt lgkmcnt(4)
	v_mul_f64 v[148:149], v[134:135], v[48:49]
	v_fma_f64 v[148:149], v[132:133], v[46:47], -v[148:149]
	v_mul_f64 v[132:133], v[132:133], v[48:49]
	v_fmac_f64_e32 v[132:133], v[134:135], v[46:47]
	v_add_f64 v[134:135], v[144:145], -v[148:149]
	s_waitcnt lgkmcnt(0)
	v_mul_f64 v[144:145], v[142:143], v[52:53]
	v_fma_f64 v[144:145], v[140:141], v[50:51], -v[144:145]
	v_mul_f64 v[140:141], v[140:141], v[52:53]
	v_add_f64 v[132:133], v[146:147], -v[132:133]
	v_fmac_f64_e32 v[140:141], v[142:143], v[50:51]
	v_add_f64 v[132:133], v[132:133], -v[140:141]
	v_mul_f64 v[140:141], v[64:65], v[60:61]
	v_fma_f64 v[140:141], v[62:63], v[58:59], -v[140:141]
	v_mul_f64 v[62:63], v[62:63], v[60:61]
	v_add_f64 v[134:135], v[134:135], -v[144:145]
	v_fmac_f64_e32 v[62:63], v[64:65], v[58:59]
	v_add_f64 v[140:141], v[134:135], -v[140:141]
	v_add_f64 v[64:65], v[132:133], -v[62:63]
	ds_read_b128 v[132:135], v130 offset:9712
	v_mul_f64 v[62:63], v[138:139], v[64:65]
	v_fma_f64 v[62:63], v[136:137], v[140:141], -v[62:63]
	v_mul_f64 v[64:65], v[136:137], v[64:65]
	v_fmac_f64_e32 v[64:65], v[138:139], v[140:141]
	s_waitcnt lgkmcnt(0)
	v_mul_f64 v[136:137], v[134:135], v[8:9]
	v_fma_f64 v[140:141], v[132:133], v[6:7], -v[136:137]
	ds_read_b128 v[136:139], v130 offset:9696
	v_mul_f64 v[132:133], v[132:133], v[8:9]
	v_fmac_f64_e32 v[132:133], v[134:135], v[6:7]
	v_add_f64 v[134:135], v[70:71], -v[140:141]
	v_add_f64 v[132:133], v[72:73], -v[132:133]
	ds_read_b128 v[70:73], v130 offset:9680
	s_waitcnt lgkmcnt(1)
	v_mul_f64 v[140:141], v[138:139], v[12:13]
	v_fma_f64 v[140:141], v[136:137], v[10:11], -v[140:141]
	v_mul_f64 v[136:137], v[136:137], v[12:13]
	v_fmac_f64_e32 v[136:137], v[138:139], v[10:11]
	v_add_f64 v[136:137], v[132:133], -v[136:137]
	s_waitcnt lgkmcnt(0)
	v_mul_f64 v[132:133], v[72:73], v[16:17]
	v_add_f64 v[138:139], v[134:135], -v[140:141]
	v_fma_f64 v[140:141], v[70:71], v[14:15], -v[132:133]
	ds_read_b128 v[132:135], v130 offset:9664
	v_mul_f64 v[70:71], v[70:71], v[16:17]
	v_fmac_f64_e32 v[70:71], v[72:73], v[14:15]
	v_add_f64 v[136:137], v[136:137], -v[70:71]
	ds_read_b128 v[70:73], v130 offset:9648
	v_add_f64 v[138:139], v[138:139], -v[140:141]
	s_waitcnt lgkmcnt(1)
	v_mul_f64 v[140:141], v[134:135], v[20:21]
	v_fma_f64 v[140:141], v[132:133], v[18:19], -v[140:141]
	v_mul_f64 v[132:133], v[132:133], v[20:21]
	v_fmac_f64_e32 v[132:133], v[134:135], v[18:19]
	v_add_f64 v[136:137], v[136:137], -v[132:133]
	s_waitcnt lgkmcnt(0)
	v_mul_f64 v[132:133], v[72:73], v[24:25]
	v_add_f64 v[138:139], v[138:139], -v[140:141]
	v_fma_f64 v[140:141], v[70:71], v[22:23], -v[132:133]
	ds_read_b128 v[132:135], v130 offset:9632
	v_mul_f64 v[70:71], v[70:71], v[24:25]
	v_fmac_f64_e32 v[70:71], v[72:73], v[22:23]
	v_add_f64 v[136:137], v[136:137], -v[70:71]
	ds_read_b128 v[70:73], v130 offset:9616
	v_add_f64 v[138:139], v[138:139], -v[140:141]
	;; [unrolled: 16-line block ×3, first 2 shown]
	s_waitcnt lgkmcnt(1)
	v_mul_f64 v[140:141], v[134:135], v[36:37]
	v_fma_f64 v[140:141], v[132:133], v[34:35], -v[140:141]
	v_mul_f64 v[132:133], v[132:133], v[36:37]
	v_fmac_f64_e32 v[132:133], v[134:135], v[34:35]
	v_add_f64 v[136:137], v[136:137], -v[132:133]
	s_waitcnt lgkmcnt(0)
	v_mul_f64 v[132:133], v[72:73], v[44:45]
	v_add_f64 v[138:139], v[138:139], -v[140:141]
	v_fma_f64 v[140:141], v[70:71], v[42:43], -v[132:133]
	ds_read_b128 v[132:135], v130 offset:9568
	v_mul_f64 v[70:71], v[70:71], v[44:45]
	v_fmac_f64_e32 v[70:71], v[72:73], v[42:43]
	v_add_f64 v[138:139], v[138:139], -v[140:141]
	v_add_f64 v[136:137], v[136:137], -v[70:71]
	s_waitcnt lgkmcnt(0)
	v_mul_f64 v[140:141], v[134:135], v[48:49]
	ds_read_b128 v[70:73], v130 offset:9552
	v_fma_f64 v[140:141], v[132:133], v[46:47], -v[140:141]
	v_mul_f64 v[132:133], v[132:133], v[48:49]
	ds_write_b128 v1, v[62:65] offset:9728
	v_fmac_f64_e32 v[132:133], v[134:135], v[46:47]
	v_add_f64 v[144:145], v[138:139], -v[140:141]
	v_add_f64 v[146:147], v[136:137], -v[132:133]
	ds_read_b128 v[132:135], v130 offset:9504
	ds_read_b128 v[136:139], v130 offset:9520
	;; [unrolled: 1-line block ×3, first 2 shown]
	s_waitcnt lgkmcnt(4)
	v_mul_f64 v[148:149], v[72:73], v[52:53]
	v_fma_f64 v[148:149], v[70:71], v[50:51], -v[148:149]
	v_mul_f64 v[70:71], v[70:71], v[52:53]
	v_fmac_f64_e32 v[70:71], v[72:73], v[50:51]
	v_add_f64 v[72:73], v[144:145], -v[148:149]
	s_waitcnt lgkmcnt(0)
	v_mul_f64 v[144:145], v[142:143], v[60:61]
	v_fma_f64 v[144:145], v[140:141], v[58:59], -v[144:145]
	v_mul_f64 v[140:141], v[140:141], v[60:61]
	v_add_f64 v[70:71], v[146:147], -v[70:71]
	v_fmac_f64_e32 v[140:141], v[142:143], v[58:59]
	v_add_f64 v[70:71], v[70:71], -v[140:141]
	v_mul_f64 v[140:141], v[138:139], v[64:65]
	v_fma_f64 v[140:141], v[136:137], v[62:63], -v[140:141]
	v_mul_f64 v[136:137], v[136:137], v[64:65]
	v_add_f64 v[72:73], v[72:73], -v[144:145]
	v_fmac_f64_e32 v[136:137], v[138:139], v[62:63]
	v_add_f64 v[140:141], v[72:73], -v[140:141]
	v_add_f64 v[72:73], v[70:71], -v[136:137]
	ds_read_b128 v[136:139], v130 offset:9200
	v_mul_f64 v[70:71], v[134:135], v[72:73]
	v_fma_f64 v[70:71], v[132:133], v[140:141], -v[70:71]
	v_mul_f64 v[72:73], v[132:133], v[72:73]
	v_fmac_f64_e32 v[72:73], v[134:135], v[140:141]
	s_waitcnt lgkmcnt(0)
	v_mul_f64 v[132:133], v[138:139], v[8:9]
	v_fma_f64 v[140:141], v[136:137], v[6:7], -v[132:133]
	ds_read_b128 v[132:135], v130 offset:9184
	v_mul_f64 v[136:137], v[136:137], v[8:9]
	v_fmac_f64_e32 v[136:137], v[138:139], v[6:7]
	v_add_f64 v[138:139], v[74:75], -v[140:141]
	v_add_f64 v[136:137], v[76:77], -v[136:137]
	ds_read_b128 v[74:77], v130 offset:9168
	s_waitcnt lgkmcnt(1)
	v_mul_f64 v[140:141], v[134:135], v[12:13]
	v_fma_f64 v[140:141], v[132:133], v[10:11], -v[140:141]
	v_mul_f64 v[132:133], v[132:133], v[12:13]
	v_fmac_f64_e32 v[132:133], v[134:135], v[10:11]
	v_add_f64 v[136:137], v[136:137], -v[132:133]
	s_waitcnt lgkmcnt(0)
	v_mul_f64 v[132:133], v[76:77], v[16:17]
	v_add_f64 v[138:139], v[138:139], -v[140:141]
	v_fma_f64 v[140:141], v[74:75], v[14:15], -v[132:133]
	ds_read_b128 v[132:135], v130 offset:9152
	v_mul_f64 v[74:75], v[74:75], v[16:17]
	v_fmac_f64_e32 v[74:75], v[76:77], v[14:15]
	v_add_f64 v[136:137], v[136:137], -v[74:75]
	ds_read_b128 v[74:77], v130 offset:9136
	v_add_f64 v[138:139], v[138:139], -v[140:141]
	s_waitcnt lgkmcnt(1)
	v_mul_f64 v[140:141], v[134:135], v[20:21]
	v_fma_f64 v[140:141], v[132:133], v[18:19], -v[140:141]
	v_mul_f64 v[132:133], v[132:133], v[20:21]
	v_fmac_f64_e32 v[132:133], v[134:135], v[18:19]
	v_add_f64 v[136:137], v[136:137], -v[132:133]
	s_waitcnt lgkmcnt(0)
	v_mul_f64 v[132:133], v[76:77], v[24:25]
	v_add_f64 v[138:139], v[138:139], -v[140:141]
	v_fma_f64 v[140:141], v[74:75], v[22:23], -v[132:133]
	ds_read_b128 v[132:135], v130 offset:9120
	v_mul_f64 v[74:75], v[74:75], v[24:25]
	v_fmac_f64_e32 v[74:75], v[76:77], v[22:23]
	v_add_f64 v[136:137], v[136:137], -v[74:75]
	ds_read_b128 v[74:77], v130 offset:9104
	v_add_f64 v[138:139], v[138:139], -v[140:141]
	;; [unrolled: 16-line block ×4, first 2 shown]
	s_waitcnt lgkmcnt(1)
	v_mul_f64 v[140:141], v[134:135], v[48:49]
	v_fma_f64 v[140:141], v[132:133], v[46:47], -v[140:141]
	v_mul_f64 v[132:133], v[132:133], v[48:49]
	v_fmac_f64_e32 v[132:133], v[134:135], v[46:47]
	ds_write_b128 v1, v[70:73] offset:9216
	v_add_f64 v[136:137], v[136:137], -v[132:133]
	s_waitcnt lgkmcnt(1)
	v_mul_f64 v[132:133], v[76:77], v[52:53]
	v_mul_f64 v[142:143], v[74:75], v[52:53]
	v_add_f64 v[138:139], v[138:139], -v[140:141]
	v_fma_f64 v[140:141], v[74:75], v[50:51], -v[132:133]
	v_fmac_f64_e32 v[142:143], v[76:77], v[50:51]
	ds_read_b128 v[74:77], v130 offset:9008
	ds_read_b128 v[132:135], v130 offset:9024
	v_add_f64 v[144:145], v[138:139], -v[140:141]
	v_add_f64 v[146:147], v[136:137], -v[142:143]
	ds_read_b128 v[136:139], v130 offset:8976
	ds_read_b128 v[140:143], v130 offset:8992
	s_waitcnt lgkmcnt(2)
	v_mul_f64 v[148:149], v[134:135], v[60:61]
	v_fma_f64 v[148:149], v[132:133], v[58:59], -v[148:149]
	v_mul_f64 v[132:133], v[132:133], v[60:61]
	v_fmac_f64_e32 v[132:133], v[134:135], v[58:59]
	v_add_f64 v[134:135], v[144:145], -v[148:149]
	v_mul_f64 v[144:145], v[76:77], v[64:65]
	v_fma_f64 v[144:145], v[74:75], v[62:63], -v[144:145]
	v_mul_f64 v[74:75], v[74:75], v[64:65]
	v_add_f64 v[132:133], v[146:147], -v[132:133]
	v_fmac_f64_e32 v[74:75], v[76:77], v[62:63]
	v_add_f64 v[76:77], v[134:135], -v[144:145]
	v_add_f64 v[74:75], v[132:133], -v[74:75]
	s_waitcnt lgkmcnt(0)
	v_mul_f64 v[132:133], v[142:143], v[72:73]
	v_mul_f64 v[134:135], v[140:141], v[72:73]
	v_fma_f64 v[132:133], v[140:141], v[70:71], -v[132:133]
	v_fmac_f64_e32 v[134:135], v[142:143], v[70:71]
	v_add_f64 v[140:141], v[76:77], -v[132:133]
	v_add_f64 v[76:77], v[74:75], -v[134:135]
	ds_read_b128 v[132:135], v130 offset:8688
	v_mul_f64 v[74:75], v[138:139], v[76:77]
	v_mul_f64 v[76:77], v[136:137], v[76:77]
	v_fma_f64 v[74:75], v[136:137], v[140:141], -v[74:75]
	v_fmac_f64_e32 v[76:77], v[138:139], v[140:141]
	ds_read_b128 v[136:139], v130 offset:8672
	s_waitcnt lgkmcnt(1)
	v_mul_f64 v[140:141], v[134:135], v[8:9]
	v_fma_f64 v[140:141], v[132:133], v[6:7], -v[140:141]
	v_mul_f64 v[132:133], v[132:133], v[8:9]
	v_fmac_f64_e32 v[132:133], v[134:135], v[6:7]
	v_add_f64 v[134:135], v[82:83], -v[140:141]
	s_waitcnt lgkmcnt(0)
	v_mul_f64 v[82:83], v[138:139], v[12:13]
	v_add_f64 v[132:133], v[84:85], -v[132:133]
	v_fma_f64 v[140:141], v[136:137], v[10:11], -v[82:83]
	ds_read_b128 v[82:85], v130 offset:8656
	v_mul_f64 v[136:137], v[136:137], v[12:13]
	v_fmac_f64_e32 v[136:137], v[138:139], v[10:11]
	v_add_f64 v[138:139], v[134:135], -v[140:141]
	v_add_f64 v[136:137], v[132:133], -v[136:137]
	ds_read_b128 v[132:135], v130 offset:8640
	s_waitcnt lgkmcnt(1)
	v_mul_f64 v[140:141], v[84:85], v[16:17]
	v_fma_f64 v[140:141], v[82:83], v[14:15], -v[140:141]
	v_mul_f64 v[82:83], v[82:83], v[16:17]
	v_fmac_f64_e32 v[82:83], v[84:85], v[14:15]
	v_add_f64 v[136:137], v[136:137], -v[82:83]
	s_waitcnt lgkmcnt(0)
	v_mul_f64 v[82:83], v[134:135], v[20:21]
	v_add_f64 v[138:139], v[138:139], -v[140:141]
	v_fma_f64 v[140:141], v[132:133], v[18:19], -v[82:83]
	ds_read_b128 v[82:85], v130 offset:8624
	v_mul_f64 v[132:133], v[132:133], v[20:21]
	v_fmac_f64_e32 v[132:133], v[134:135], v[18:19]
	v_add_f64 v[136:137], v[136:137], -v[132:133]
	ds_read_b128 v[132:135], v130 offset:8608
	v_add_f64 v[138:139], v[138:139], -v[140:141]
	s_waitcnt lgkmcnt(1)
	v_mul_f64 v[140:141], v[84:85], v[24:25]
	v_fma_f64 v[140:141], v[82:83], v[22:23], -v[140:141]
	v_mul_f64 v[82:83], v[82:83], v[24:25]
	v_fmac_f64_e32 v[82:83], v[84:85], v[22:23]
	v_add_f64 v[136:137], v[136:137], -v[82:83]
	s_waitcnt lgkmcnt(0)
	v_mul_f64 v[82:83], v[134:135], v[28:29]
	v_add_f64 v[138:139], v[138:139], -v[140:141]
	v_fma_f64 v[140:141], v[132:133], v[26:27], -v[82:83]
	ds_read_b128 v[82:85], v130 offset:8592
	v_mul_f64 v[132:133], v[132:133], v[28:29]
	v_fmac_f64_e32 v[132:133], v[134:135], v[26:27]
	v_add_f64 v[136:137], v[136:137], -v[132:133]
	ds_read_b128 v[132:135], v130 offset:8576
	v_add_f64 v[138:139], v[138:139], -v[140:141]
	;; [unrolled: 16-line block ×4, first 2 shown]
	s_waitcnt lgkmcnt(1)
	v_mul_f64 v[140:141], v[84:85], v[52:53]
	v_fma_f64 v[140:141], v[82:83], v[50:51], -v[140:141]
	v_mul_f64 v[82:83], v[82:83], v[52:53]
	v_fmac_f64_e32 v[82:83], v[84:85], v[50:51]
	ds_write_b128 v1, v[74:77] offset:8704
	v_add_f64 v[136:137], v[136:137], -v[82:83]
	s_waitcnt lgkmcnt(1)
	v_mul_f64 v[82:83], v[134:135], v[60:61]
	v_mul_f64 v[142:143], v[132:133], v[60:61]
	v_add_f64 v[138:139], v[138:139], -v[140:141]
	v_fma_f64 v[140:141], v[132:133], v[58:59], -v[82:83]
	v_fmac_f64_e32 v[142:143], v[134:135], v[58:59]
	ds_read_b128 v[82:85], v130 offset:8480
	ds_read_b128 v[132:135], v130 offset:8496
	v_add_f64 v[144:145], v[138:139], -v[140:141]
	v_add_f64 v[146:147], v[136:137], -v[142:143]
	ds_read_b128 v[136:139], v130 offset:8448
	ds_read_b128 v[140:143], v130 offset:8464
	s_waitcnt lgkmcnt(2)
	v_mul_f64 v[148:149], v[134:135], v[64:65]
	v_fma_f64 v[148:149], v[132:133], v[62:63], -v[148:149]
	v_mul_f64 v[132:133], v[132:133], v[64:65]
	v_fmac_f64_e32 v[132:133], v[134:135], v[62:63]
	v_add_f64 v[134:135], v[144:145], -v[148:149]
	v_mul_f64 v[144:145], v[84:85], v[72:73]
	v_fma_f64 v[144:145], v[82:83], v[70:71], -v[144:145]
	v_mul_f64 v[82:83], v[82:83], v[72:73]
	v_add_f64 v[132:133], v[146:147], -v[132:133]
	v_fmac_f64_e32 v[82:83], v[84:85], v[70:71]
	v_add_f64 v[84:85], v[134:135], -v[144:145]
	v_add_f64 v[82:83], v[132:133], -v[82:83]
	s_waitcnt lgkmcnt(0)
	v_mul_f64 v[132:133], v[142:143], v[76:77]
	v_mul_f64 v[134:135], v[140:141], v[76:77]
	v_fma_f64 v[132:133], v[140:141], v[74:75], -v[132:133]
	v_fmac_f64_e32 v[134:135], v[142:143], v[74:75]
	v_add_f64 v[140:141], v[84:85], -v[132:133]
	v_add_f64 v[84:85], v[82:83], -v[134:135]
	ds_read_b128 v[132:135], v130 offset:8176
	v_mul_f64 v[82:83], v[138:139], v[84:85]
	v_mul_f64 v[84:85], v[136:137], v[84:85]
	v_fma_f64 v[82:83], v[136:137], v[140:141], -v[82:83]
	v_fmac_f64_e32 v[84:85], v[138:139], v[140:141]
	ds_read_b128 v[136:139], v130 offset:8160
	s_waitcnt lgkmcnt(1)
	v_mul_f64 v[140:141], v[134:135], v[8:9]
	v_fma_f64 v[140:141], v[132:133], v[6:7], -v[140:141]
	v_mul_f64 v[132:133], v[132:133], v[8:9]
	v_fmac_f64_e32 v[132:133], v[134:135], v[6:7]
	v_add_f64 v[134:135], v[86:87], -v[140:141]
	s_waitcnt lgkmcnt(0)
	v_mul_f64 v[86:87], v[138:139], v[12:13]
	v_add_f64 v[132:133], v[88:89], -v[132:133]
	v_fma_f64 v[140:141], v[136:137], v[10:11], -v[86:87]
	ds_read_b128 v[86:89], v130 offset:8144
	v_mul_f64 v[136:137], v[136:137], v[12:13]
	v_fmac_f64_e32 v[136:137], v[138:139], v[10:11]
	v_add_f64 v[138:139], v[134:135], -v[140:141]
	v_add_f64 v[136:137], v[132:133], -v[136:137]
	ds_read_b128 v[132:135], v130 offset:8128
	s_waitcnt lgkmcnt(1)
	v_mul_f64 v[140:141], v[88:89], v[16:17]
	v_fma_f64 v[140:141], v[86:87], v[14:15], -v[140:141]
	v_mul_f64 v[86:87], v[86:87], v[16:17]
	v_fmac_f64_e32 v[86:87], v[88:89], v[14:15]
	v_add_f64 v[136:137], v[136:137], -v[86:87]
	s_waitcnt lgkmcnt(0)
	v_mul_f64 v[86:87], v[134:135], v[20:21]
	v_add_f64 v[138:139], v[138:139], -v[140:141]
	v_fma_f64 v[140:141], v[132:133], v[18:19], -v[86:87]
	ds_read_b128 v[86:89], v130 offset:8112
	v_mul_f64 v[132:133], v[132:133], v[20:21]
	v_fmac_f64_e32 v[132:133], v[134:135], v[18:19]
	v_add_f64 v[136:137], v[136:137], -v[132:133]
	ds_read_b128 v[132:135], v130 offset:8096
	v_add_f64 v[138:139], v[138:139], -v[140:141]
	s_waitcnt lgkmcnt(1)
	v_mul_f64 v[140:141], v[88:89], v[24:25]
	v_fma_f64 v[140:141], v[86:87], v[22:23], -v[140:141]
	v_mul_f64 v[86:87], v[86:87], v[24:25]
	v_fmac_f64_e32 v[86:87], v[88:89], v[22:23]
	v_add_f64 v[136:137], v[136:137], -v[86:87]
	s_waitcnt lgkmcnt(0)
	v_mul_f64 v[86:87], v[134:135], v[28:29]
	v_add_f64 v[138:139], v[138:139], -v[140:141]
	v_fma_f64 v[140:141], v[132:133], v[26:27], -v[86:87]
	ds_read_b128 v[86:89], v130 offset:8080
	v_mul_f64 v[132:133], v[132:133], v[28:29]
	v_fmac_f64_e32 v[132:133], v[134:135], v[26:27]
	v_add_f64 v[136:137], v[136:137], -v[132:133]
	ds_read_b128 v[132:135], v130 offset:8064
	v_add_f64 v[138:139], v[138:139], -v[140:141]
	;; [unrolled: 16-line block ×4, first 2 shown]
	s_waitcnt lgkmcnt(1)
	v_mul_f64 v[140:141], v[88:89], v[52:53]
	v_fma_f64 v[140:141], v[86:87], v[50:51], -v[140:141]
	v_mul_f64 v[86:87], v[86:87], v[52:53]
	v_fmac_f64_e32 v[86:87], v[88:89], v[50:51]
	v_add_f64 v[136:137], v[136:137], -v[86:87]
	s_waitcnt lgkmcnt(0)
	v_mul_f64 v[86:87], v[134:135], v[60:61]
	v_add_f64 v[138:139], v[138:139], -v[140:141]
	v_fma_f64 v[140:141], v[132:133], v[58:59], -v[86:87]
	ds_read_b128 v[86:89], v130 offset:7984
	v_mul_f64 v[132:133], v[132:133], v[60:61]
	v_fmac_f64_e32 v[132:133], v[134:135], v[58:59]
	v_add_f64 v[138:139], v[138:139], -v[140:141]
	v_add_f64 v[136:137], v[136:137], -v[132:133]
	s_waitcnt lgkmcnt(0)
	v_mul_f64 v[140:141], v[88:89], v[64:65]
	ds_read_b128 v[132:135], v130 offset:7968
	v_fma_f64 v[140:141], v[86:87], v[62:63], -v[140:141]
	v_mul_f64 v[86:87], v[86:87], v[64:65]
	ds_write_b128 v1, v[82:85] offset:8192
	v_fmac_f64_e32 v[86:87], v[88:89], v[62:63]
	v_add_f64 v[144:145], v[138:139], -v[140:141]
	v_add_f64 v[146:147], v[136:137], -v[86:87]
	ds_read_b128 v[136:139], v130 offset:7920
	ds_read_b128 v[86:89], v130 offset:7936
	;; [unrolled: 1-line block ×3, first 2 shown]
	s_waitcnt lgkmcnt(4)
	v_mul_f64 v[148:149], v[134:135], v[72:73]
	v_fma_f64 v[148:149], v[132:133], v[70:71], -v[148:149]
	v_mul_f64 v[132:133], v[132:133], v[72:73]
	v_fmac_f64_e32 v[132:133], v[134:135], v[70:71]
	v_add_f64 v[134:135], v[144:145], -v[148:149]
	s_waitcnt lgkmcnt(0)
	v_mul_f64 v[144:145], v[142:143], v[76:77]
	v_fma_f64 v[144:145], v[140:141], v[74:75], -v[144:145]
	v_mul_f64 v[140:141], v[140:141], v[76:77]
	v_add_f64 v[132:133], v[146:147], -v[132:133]
	v_fmac_f64_e32 v[140:141], v[142:143], v[74:75]
	v_add_f64 v[132:133], v[132:133], -v[140:141]
	v_mul_f64 v[140:141], v[88:89], v[84:85]
	v_fma_f64 v[140:141], v[86:87], v[82:83], -v[140:141]
	v_mul_f64 v[86:87], v[86:87], v[84:85]
	v_add_f64 v[134:135], v[134:135], -v[144:145]
	v_fmac_f64_e32 v[86:87], v[88:89], v[82:83]
	v_add_f64 v[140:141], v[134:135], -v[140:141]
	v_add_f64 v[88:89], v[132:133], -v[86:87]
	ds_read_b128 v[132:135], v130 offset:7664
	v_mul_f64 v[86:87], v[138:139], v[88:89]
	v_fma_f64 v[86:87], v[136:137], v[140:141], -v[86:87]
	v_mul_f64 v[88:89], v[136:137], v[88:89]
	v_fmac_f64_e32 v[88:89], v[138:139], v[140:141]
	s_waitcnt lgkmcnt(0)
	v_mul_f64 v[136:137], v[134:135], v[8:9]
	v_fma_f64 v[140:141], v[132:133], v[6:7], -v[136:137]
	ds_read_b128 v[136:139], v130 offset:7648
	v_mul_f64 v[132:133], v[132:133], v[8:9]
	v_fmac_f64_e32 v[132:133], v[134:135], v[6:7]
	v_add_f64 v[134:135], v[94:95], -v[140:141]
	v_add_f64 v[132:133], v[96:97], -v[132:133]
	ds_read_b128 v[94:97], v130 offset:7632
	s_waitcnt lgkmcnt(1)
	v_mul_f64 v[140:141], v[138:139], v[12:13]
	v_fma_f64 v[140:141], v[136:137], v[10:11], -v[140:141]
	v_mul_f64 v[136:137], v[136:137], v[12:13]
	v_fmac_f64_e32 v[136:137], v[138:139], v[10:11]
	v_add_f64 v[136:137], v[132:133], -v[136:137]
	s_waitcnt lgkmcnt(0)
	v_mul_f64 v[132:133], v[96:97], v[16:17]
	v_add_f64 v[138:139], v[134:135], -v[140:141]
	v_fma_f64 v[140:141], v[94:95], v[14:15], -v[132:133]
	ds_read_b128 v[132:135], v130 offset:7616
	v_mul_f64 v[94:95], v[94:95], v[16:17]
	v_fmac_f64_e32 v[94:95], v[96:97], v[14:15]
	v_add_f64 v[136:137], v[136:137], -v[94:95]
	ds_read_b128 v[94:97], v130 offset:7600
	v_add_f64 v[138:139], v[138:139], -v[140:141]
	s_waitcnt lgkmcnt(1)
	v_mul_f64 v[140:141], v[134:135], v[20:21]
	v_fma_f64 v[140:141], v[132:133], v[18:19], -v[140:141]
	v_mul_f64 v[132:133], v[132:133], v[20:21]
	v_fmac_f64_e32 v[132:133], v[134:135], v[18:19]
	v_add_f64 v[136:137], v[136:137], -v[132:133]
	s_waitcnt lgkmcnt(0)
	v_mul_f64 v[132:133], v[96:97], v[24:25]
	v_add_f64 v[138:139], v[138:139], -v[140:141]
	v_fma_f64 v[140:141], v[94:95], v[22:23], -v[132:133]
	ds_read_b128 v[132:135], v130 offset:7584
	v_mul_f64 v[94:95], v[94:95], v[24:25]
	v_fmac_f64_e32 v[94:95], v[96:97], v[22:23]
	v_add_f64 v[136:137], v[136:137], -v[94:95]
	ds_read_b128 v[94:97], v130 offset:7568
	v_add_f64 v[138:139], v[138:139], -v[140:141]
	;; [unrolled: 16-line block ×5, first 2 shown]
	s_waitcnt lgkmcnt(1)
	v_mul_f64 v[140:141], v[134:135], v[60:61]
	v_fma_f64 v[140:141], v[132:133], v[58:59], -v[140:141]
	v_mul_f64 v[132:133], v[132:133], v[60:61]
	v_fmac_f64_e32 v[132:133], v[134:135], v[58:59]
	v_add_f64 v[136:137], v[136:137], -v[132:133]
	s_waitcnt lgkmcnt(0)
	v_mul_f64 v[132:133], v[96:97], v[64:65]
	v_add_f64 v[138:139], v[138:139], -v[140:141]
	v_fma_f64 v[140:141], v[94:95], v[62:63], -v[132:133]
	ds_read_b128 v[132:135], v130 offset:7456
	v_mul_f64 v[94:95], v[94:95], v[64:65]
	v_fmac_f64_e32 v[94:95], v[96:97], v[62:63]
	v_add_f64 v[138:139], v[138:139], -v[140:141]
	v_add_f64 v[136:137], v[136:137], -v[94:95]
	s_waitcnt lgkmcnt(0)
	v_mul_f64 v[140:141], v[134:135], v[72:73]
	ds_read_b128 v[94:97], v130 offset:7440
	v_fma_f64 v[140:141], v[132:133], v[70:71], -v[140:141]
	v_mul_f64 v[132:133], v[132:133], v[72:73]
	ds_write_b128 v1, v[86:89] offset:7680
	v_fmac_f64_e32 v[132:133], v[134:135], v[70:71]
	v_add_f64 v[144:145], v[138:139], -v[140:141]
	v_add_f64 v[146:147], v[136:137], -v[132:133]
	ds_read_b128 v[132:135], v130 offset:7392
	ds_read_b128 v[136:139], v130 offset:7408
	;; [unrolled: 1-line block ×3, first 2 shown]
	s_waitcnt lgkmcnt(4)
	v_mul_f64 v[148:149], v[96:97], v[76:77]
	v_fma_f64 v[148:149], v[94:95], v[74:75], -v[148:149]
	v_mul_f64 v[94:95], v[94:95], v[76:77]
	v_fmac_f64_e32 v[94:95], v[96:97], v[74:75]
	v_add_f64 v[96:97], v[144:145], -v[148:149]
	s_waitcnt lgkmcnt(0)
	v_mul_f64 v[144:145], v[142:143], v[84:85]
	v_fma_f64 v[144:145], v[140:141], v[82:83], -v[144:145]
	v_mul_f64 v[140:141], v[140:141], v[84:85]
	v_add_f64 v[94:95], v[146:147], -v[94:95]
	v_fmac_f64_e32 v[140:141], v[142:143], v[82:83]
	v_add_f64 v[94:95], v[94:95], -v[140:141]
	v_mul_f64 v[140:141], v[138:139], v[88:89]
	v_fma_f64 v[140:141], v[136:137], v[86:87], -v[140:141]
	v_mul_f64 v[136:137], v[136:137], v[88:89]
	v_add_f64 v[96:97], v[96:97], -v[144:145]
	v_fmac_f64_e32 v[136:137], v[138:139], v[86:87]
	v_add_f64 v[140:141], v[96:97], -v[140:141]
	v_add_f64 v[96:97], v[94:95], -v[136:137]
	ds_read_b128 v[136:139], v130 offset:7152
	v_mul_f64 v[94:95], v[134:135], v[96:97]
	v_fma_f64 v[94:95], v[132:133], v[140:141], -v[94:95]
	v_mul_f64 v[96:97], v[132:133], v[96:97]
	v_fmac_f64_e32 v[96:97], v[134:135], v[140:141]
	s_waitcnt lgkmcnt(0)
	v_mul_f64 v[132:133], v[138:139], v[8:9]
	v_fma_f64 v[140:141], v[136:137], v[6:7], -v[132:133]
	ds_read_b128 v[132:135], v130 offset:7136
	v_mul_f64 v[136:137], v[136:137], v[8:9]
	v_fmac_f64_e32 v[136:137], v[138:139], v[6:7]
	v_add_f64 v[138:139], v[102:103], -v[140:141]
	v_add_f64 v[136:137], v[104:105], -v[136:137]
	ds_read_b128 v[102:105], v130 offset:7120
	s_waitcnt lgkmcnt(1)
	v_mul_f64 v[140:141], v[134:135], v[12:13]
	v_fma_f64 v[140:141], v[132:133], v[10:11], -v[140:141]
	v_mul_f64 v[132:133], v[132:133], v[12:13]
	v_fmac_f64_e32 v[132:133], v[134:135], v[10:11]
	v_add_f64 v[136:137], v[136:137], -v[132:133]
	s_waitcnt lgkmcnt(0)
	v_mul_f64 v[132:133], v[104:105], v[16:17]
	v_add_f64 v[138:139], v[138:139], -v[140:141]
	v_fma_f64 v[140:141], v[102:103], v[14:15], -v[132:133]
	ds_read_b128 v[132:135], v130 offset:7104
	v_mul_f64 v[102:103], v[102:103], v[16:17]
	v_fmac_f64_e32 v[102:103], v[104:105], v[14:15]
	v_add_f64 v[136:137], v[136:137], -v[102:103]
	ds_read_b128 v[102:105], v130 offset:7088
	v_add_f64 v[138:139], v[138:139], -v[140:141]
	s_waitcnt lgkmcnt(1)
	v_mul_f64 v[140:141], v[134:135], v[20:21]
	v_fma_f64 v[140:141], v[132:133], v[18:19], -v[140:141]
	v_mul_f64 v[132:133], v[132:133], v[20:21]
	v_fmac_f64_e32 v[132:133], v[134:135], v[18:19]
	v_add_f64 v[136:137], v[136:137], -v[132:133]
	s_waitcnt lgkmcnt(0)
	v_mul_f64 v[132:133], v[104:105], v[24:25]
	v_add_f64 v[138:139], v[138:139], -v[140:141]
	v_fma_f64 v[140:141], v[102:103], v[22:23], -v[132:133]
	ds_read_b128 v[132:135], v130 offset:7072
	v_mul_f64 v[102:103], v[102:103], v[24:25]
	v_fmac_f64_e32 v[102:103], v[104:105], v[22:23]
	v_add_f64 v[136:137], v[136:137], -v[102:103]
	ds_read_b128 v[102:105], v130 offset:7056
	v_add_f64 v[138:139], v[138:139], -v[140:141]
	;; [unrolled: 16-line block ×6, first 2 shown]
	s_waitcnt lgkmcnt(1)
	v_mul_f64 v[140:141], v[134:135], v[72:73]
	v_fma_f64 v[140:141], v[132:133], v[70:71], -v[140:141]
	v_mul_f64 v[132:133], v[132:133], v[72:73]
	v_fmac_f64_e32 v[132:133], v[134:135], v[70:71]
	ds_write_b128 v1, v[94:97] offset:7168
	v_add_f64 v[136:137], v[136:137], -v[132:133]
	s_waitcnt lgkmcnt(1)
	v_mul_f64 v[132:133], v[104:105], v[76:77]
	v_mul_f64 v[142:143], v[102:103], v[76:77]
	v_add_f64 v[138:139], v[138:139], -v[140:141]
	v_fma_f64 v[140:141], v[102:103], v[74:75], -v[132:133]
	v_fmac_f64_e32 v[142:143], v[104:105], v[74:75]
	ds_read_b128 v[102:105], v130 offset:6896
	ds_read_b128 v[132:135], v130 offset:6912
	v_add_f64 v[144:145], v[138:139], -v[140:141]
	v_add_f64 v[146:147], v[136:137], -v[142:143]
	ds_read_b128 v[136:139], v130 offset:6864
	ds_read_b128 v[140:143], v130 offset:6880
	s_waitcnt lgkmcnt(2)
	v_mul_f64 v[148:149], v[134:135], v[84:85]
	v_fma_f64 v[148:149], v[132:133], v[82:83], -v[148:149]
	v_mul_f64 v[132:133], v[132:133], v[84:85]
	v_fmac_f64_e32 v[132:133], v[134:135], v[82:83]
	v_add_f64 v[134:135], v[144:145], -v[148:149]
	v_mul_f64 v[144:145], v[104:105], v[88:89]
	v_fma_f64 v[144:145], v[102:103], v[86:87], -v[144:145]
	v_mul_f64 v[102:103], v[102:103], v[88:89]
	v_add_f64 v[132:133], v[146:147], -v[132:133]
	v_fmac_f64_e32 v[102:103], v[104:105], v[86:87]
	v_add_f64 v[104:105], v[134:135], -v[144:145]
	v_add_f64 v[102:103], v[132:133], -v[102:103]
	s_waitcnt lgkmcnt(0)
	v_mul_f64 v[132:133], v[142:143], v[96:97]
	v_mul_f64 v[134:135], v[140:141], v[96:97]
	v_fma_f64 v[132:133], v[140:141], v[94:95], -v[132:133]
	v_fmac_f64_e32 v[134:135], v[142:143], v[94:95]
	v_add_f64 v[140:141], v[104:105], -v[132:133]
	v_add_f64 v[104:105], v[102:103], -v[134:135]
	ds_read_b128 v[132:135], v130 offset:6640
	v_mul_f64 v[102:103], v[138:139], v[104:105]
	v_mul_f64 v[104:105], v[136:137], v[104:105]
	v_fma_f64 v[102:103], v[136:137], v[140:141], -v[102:103]
	v_fmac_f64_e32 v[104:105], v[138:139], v[140:141]
	ds_read_b128 v[136:139], v130 offset:6624
	s_waitcnt lgkmcnt(1)
	v_mul_f64 v[140:141], v[134:135], v[8:9]
	v_fma_f64 v[140:141], v[132:133], v[6:7], -v[140:141]
	v_mul_f64 v[132:133], v[132:133], v[8:9]
	v_fmac_f64_e32 v[132:133], v[134:135], v[6:7]
	v_add_f64 v[134:135], v[106:107], -v[140:141]
	s_waitcnt lgkmcnt(0)
	v_mul_f64 v[106:107], v[138:139], v[12:13]
	v_add_f64 v[132:133], v[108:109], -v[132:133]
	v_fma_f64 v[140:141], v[136:137], v[10:11], -v[106:107]
	ds_read_b128 v[106:109], v130 offset:6608
	v_mul_f64 v[136:137], v[136:137], v[12:13]
	v_fmac_f64_e32 v[136:137], v[138:139], v[10:11]
	v_add_f64 v[138:139], v[134:135], -v[140:141]
	v_add_f64 v[136:137], v[132:133], -v[136:137]
	ds_read_b128 v[132:135], v130 offset:6592
	s_waitcnt lgkmcnt(1)
	v_mul_f64 v[140:141], v[108:109], v[16:17]
	v_fma_f64 v[140:141], v[106:107], v[14:15], -v[140:141]
	v_mul_f64 v[106:107], v[106:107], v[16:17]
	v_fmac_f64_e32 v[106:107], v[108:109], v[14:15]
	v_add_f64 v[136:137], v[136:137], -v[106:107]
	s_waitcnt lgkmcnt(0)
	v_mul_f64 v[106:107], v[134:135], v[20:21]
	v_add_f64 v[138:139], v[138:139], -v[140:141]
	v_fma_f64 v[140:141], v[132:133], v[18:19], -v[106:107]
	ds_read_b128 v[106:109], v130 offset:6576
	v_mul_f64 v[132:133], v[132:133], v[20:21]
	v_fmac_f64_e32 v[132:133], v[134:135], v[18:19]
	v_add_f64 v[136:137], v[136:137], -v[132:133]
	ds_read_b128 v[132:135], v130 offset:6560
	v_add_f64 v[138:139], v[138:139], -v[140:141]
	s_waitcnt lgkmcnt(1)
	v_mul_f64 v[140:141], v[108:109], v[24:25]
	v_fma_f64 v[140:141], v[106:107], v[22:23], -v[140:141]
	v_mul_f64 v[106:107], v[106:107], v[24:25]
	v_fmac_f64_e32 v[106:107], v[108:109], v[22:23]
	v_add_f64 v[136:137], v[136:137], -v[106:107]
	s_waitcnt lgkmcnt(0)
	v_mul_f64 v[106:107], v[134:135], v[28:29]
	v_add_f64 v[138:139], v[138:139], -v[140:141]
	v_fma_f64 v[140:141], v[132:133], v[26:27], -v[106:107]
	ds_read_b128 v[106:109], v130 offset:6544
	v_mul_f64 v[132:133], v[132:133], v[28:29]
	v_fmac_f64_e32 v[132:133], v[134:135], v[26:27]
	v_add_f64 v[136:137], v[136:137], -v[132:133]
	ds_read_b128 v[132:135], v130 offset:6528
	v_add_f64 v[138:139], v[138:139], -v[140:141]
	;; [unrolled: 16-line block ×6, first 2 shown]
	s_waitcnt lgkmcnt(1)
	v_mul_f64 v[140:141], v[108:109], v[76:77]
	v_fma_f64 v[140:141], v[106:107], v[74:75], -v[140:141]
	v_mul_f64 v[106:107], v[106:107], v[76:77]
	v_fmac_f64_e32 v[106:107], v[108:109], v[74:75]
	ds_write_b128 v1, v[102:105] offset:6656
	v_add_f64 v[136:137], v[136:137], -v[106:107]
	s_waitcnt lgkmcnt(1)
	v_mul_f64 v[106:107], v[134:135], v[84:85]
	v_mul_f64 v[142:143], v[132:133], v[84:85]
	v_add_f64 v[138:139], v[138:139], -v[140:141]
	v_fma_f64 v[140:141], v[132:133], v[82:83], -v[106:107]
	v_fmac_f64_e32 v[142:143], v[134:135], v[82:83]
	ds_read_b128 v[106:109], v130 offset:6368
	ds_read_b128 v[132:135], v130 offset:6384
	v_add_f64 v[144:145], v[138:139], -v[140:141]
	v_add_f64 v[146:147], v[136:137], -v[142:143]
	ds_read_b128 v[136:139], v130 offset:6336
	ds_read_b128 v[140:143], v130 offset:6352
	s_waitcnt lgkmcnt(2)
	v_mul_f64 v[148:149], v[134:135], v[88:89]
	v_fma_f64 v[148:149], v[132:133], v[86:87], -v[148:149]
	v_mul_f64 v[132:133], v[132:133], v[88:89]
	v_fmac_f64_e32 v[132:133], v[134:135], v[86:87]
	v_add_f64 v[134:135], v[144:145], -v[148:149]
	v_mul_f64 v[144:145], v[108:109], v[96:97]
	v_fma_f64 v[144:145], v[106:107], v[94:95], -v[144:145]
	v_mul_f64 v[106:107], v[106:107], v[96:97]
	v_add_f64 v[132:133], v[146:147], -v[132:133]
	v_fmac_f64_e32 v[106:107], v[108:109], v[94:95]
	v_add_f64 v[108:109], v[134:135], -v[144:145]
	v_add_f64 v[106:107], v[132:133], -v[106:107]
	s_waitcnt lgkmcnt(0)
	v_mul_f64 v[132:133], v[142:143], v[104:105]
	v_mul_f64 v[134:135], v[140:141], v[104:105]
	v_fma_f64 v[132:133], v[140:141], v[102:103], -v[132:133]
	v_fmac_f64_e32 v[134:135], v[142:143], v[102:103]
	v_add_f64 v[140:141], v[108:109], -v[132:133]
	v_add_f64 v[108:109], v[106:107], -v[134:135]
	ds_read_b128 v[132:135], v130 offset:6128
	v_mul_f64 v[106:107], v[138:139], v[108:109]
	v_mul_f64 v[108:109], v[136:137], v[108:109]
	v_fma_f64 v[106:107], v[136:137], v[140:141], -v[106:107]
	v_fmac_f64_e32 v[108:109], v[138:139], v[140:141]
	ds_read_b128 v[136:139], v130 offset:6112
	s_waitcnt lgkmcnt(1)
	v_mul_f64 v[140:141], v[134:135], v[8:9]
	v_fma_f64 v[140:141], v[132:133], v[6:7], -v[140:141]
	v_mul_f64 v[132:133], v[132:133], v[8:9]
	v_fmac_f64_e32 v[132:133], v[134:135], v[6:7]
	v_add_f64 v[134:135], v[114:115], -v[140:141]
	s_waitcnt lgkmcnt(0)
	v_mul_f64 v[114:115], v[138:139], v[12:13]
	v_add_f64 v[132:133], v[116:117], -v[132:133]
	v_fma_f64 v[140:141], v[136:137], v[10:11], -v[114:115]
	ds_read_b128 v[114:117], v130 offset:6096
	v_mul_f64 v[136:137], v[136:137], v[12:13]
	v_fmac_f64_e32 v[136:137], v[138:139], v[10:11]
	v_add_f64 v[138:139], v[134:135], -v[140:141]
	v_add_f64 v[136:137], v[132:133], -v[136:137]
	ds_read_b128 v[132:135], v130 offset:6080
	s_waitcnt lgkmcnt(1)
	v_mul_f64 v[140:141], v[116:117], v[16:17]
	v_fma_f64 v[140:141], v[114:115], v[14:15], -v[140:141]
	v_mul_f64 v[114:115], v[114:115], v[16:17]
	v_fmac_f64_e32 v[114:115], v[116:117], v[14:15]
	v_add_f64 v[136:137], v[136:137], -v[114:115]
	s_waitcnt lgkmcnt(0)
	v_mul_f64 v[114:115], v[134:135], v[20:21]
	v_add_f64 v[138:139], v[138:139], -v[140:141]
	v_fma_f64 v[140:141], v[132:133], v[18:19], -v[114:115]
	ds_read_b128 v[114:117], v130 offset:6064
	v_mul_f64 v[132:133], v[132:133], v[20:21]
	v_fmac_f64_e32 v[132:133], v[134:135], v[18:19]
	v_add_f64 v[136:137], v[136:137], -v[132:133]
	ds_read_b128 v[132:135], v130 offset:6048
	v_add_f64 v[138:139], v[138:139], -v[140:141]
	s_waitcnt lgkmcnt(1)
	v_mul_f64 v[140:141], v[116:117], v[24:25]
	v_fma_f64 v[140:141], v[114:115], v[22:23], -v[140:141]
	v_mul_f64 v[114:115], v[114:115], v[24:25]
	v_fmac_f64_e32 v[114:115], v[116:117], v[22:23]
	v_add_f64 v[136:137], v[136:137], -v[114:115]
	s_waitcnt lgkmcnt(0)
	v_mul_f64 v[114:115], v[134:135], v[28:29]
	v_add_f64 v[138:139], v[138:139], -v[140:141]
	v_fma_f64 v[140:141], v[132:133], v[26:27], -v[114:115]
	ds_read_b128 v[114:117], v130 offset:6032
	v_mul_f64 v[132:133], v[132:133], v[28:29]
	v_fmac_f64_e32 v[132:133], v[134:135], v[26:27]
	v_add_f64 v[136:137], v[136:137], -v[132:133]
	ds_read_b128 v[132:135], v130 offset:6016
	v_add_f64 v[138:139], v[138:139], -v[140:141]
	;; [unrolled: 16-line block ×6, first 2 shown]
	s_waitcnt lgkmcnt(1)
	v_mul_f64 v[140:141], v[116:117], v[76:77]
	v_fma_f64 v[140:141], v[114:115], v[74:75], -v[140:141]
	v_mul_f64 v[114:115], v[114:115], v[76:77]
	v_fmac_f64_e32 v[114:115], v[116:117], v[74:75]
	v_add_f64 v[136:137], v[136:137], -v[114:115]
	s_waitcnt lgkmcnt(0)
	v_mul_f64 v[114:115], v[134:135], v[84:85]
	v_add_f64 v[138:139], v[138:139], -v[140:141]
	v_fma_f64 v[140:141], v[132:133], v[82:83], -v[114:115]
	ds_read_b128 v[114:117], v130 offset:5872
	v_mul_f64 v[132:133], v[132:133], v[84:85]
	v_fmac_f64_e32 v[132:133], v[134:135], v[82:83]
	v_add_f64 v[138:139], v[138:139], -v[140:141]
	v_add_f64 v[136:137], v[136:137], -v[132:133]
	s_waitcnt lgkmcnt(0)
	v_mul_f64 v[140:141], v[116:117], v[88:89]
	ds_read_b128 v[132:135], v130 offset:5856
	v_fma_f64 v[140:141], v[114:115], v[86:87], -v[140:141]
	v_mul_f64 v[114:115], v[114:115], v[88:89]
	ds_write_b128 v1, v[106:109] offset:6144
	v_fmac_f64_e32 v[114:115], v[116:117], v[86:87]
	v_add_f64 v[144:145], v[138:139], -v[140:141]
	v_add_f64 v[146:147], v[136:137], -v[114:115]
	ds_read_b128 v[136:139], v130 offset:5808
	ds_read_b128 v[114:117], v130 offset:5824
	;; [unrolled: 1-line block ×3, first 2 shown]
	s_waitcnt lgkmcnt(4)
	v_mul_f64 v[148:149], v[134:135], v[96:97]
	v_fma_f64 v[148:149], v[132:133], v[94:95], -v[148:149]
	v_mul_f64 v[132:133], v[132:133], v[96:97]
	v_fmac_f64_e32 v[132:133], v[134:135], v[94:95]
	v_add_f64 v[134:135], v[144:145], -v[148:149]
	s_waitcnt lgkmcnt(0)
	v_mul_f64 v[144:145], v[142:143], v[104:105]
	v_fma_f64 v[144:145], v[140:141], v[102:103], -v[144:145]
	v_mul_f64 v[140:141], v[140:141], v[104:105]
	v_add_f64 v[132:133], v[146:147], -v[132:133]
	v_fmac_f64_e32 v[140:141], v[142:143], v[102:103]
	v_add_f64 v[132:133], v[132:133], -v[140:141]
	v_mul_f64 v[140:141], v[116:117], v[108:109]
	v_fma_f64 v[140:141], v[114:115], v[106:107], -v[140:141]
	v_mul_f64 v[114:115], v[114:115], v[108:109]
	v_add_f64 v[134:135], v[134:135], -v[144:145]
	v_fmac_f64_e32 v[114:115], v[116:117], v[106:107]
	v_add_f64 v[140:141], v[134:135], -v[140:141]
	v_add_f64 v[116:117], v[132:133], -v[114:115]
	ds_read_b128 v[132:135], v130 offset:5616
	v_mul_f64 v[114:115], v[138:139], v[116:117]
	v_fma_f64 v[114:115], v[136:137], v[140:141], -v[114:115]
	v_mul_f64 v[116:117], v[136:137], v[116:117]
	v_fmac_f64_e32 v[116:117], v[138:139], v[140:141]
	s_waitcnt lgkmcnt(0)
	v_mul_f64 v[136:137], v[134:135], v[8:9]
	v_fma_f64 v[140:141], v[132:133], v[6:7], -v[136:137]
	ds_read_b128 v[136:139], v130 offset:5600
	v_mul_f64 v[132:133], v[132:133], v[8:9]
	v_fmac_f64_e32 v[132:133], v[134:135], v[6:7]
	v_add_f64 v[134:135], v[122:123], -v[140:141]
	v_add_f64 v[132:133], v[124:125], -v[132:133]
	ds_read_b128 v[122:125], v130 offset:5584
	s_waitcnt lgkmcnt(1)
	v_mul_f64 v[140:141], v[138:139], v[12:13]
	v_fma_f64 v[140:141], v[136:137], v[10:11], -v[140:141]
	v_mul_f64 v[136:137], v[136:137], v[12:13]
	v_fmac_f64_e32 v[136:137], v[138:139], v[10:11]
	v_add_f64 v[136:137], v[132:133], -v[136:137]
	s_waitcnt lgkmcnt(0)
	v_mul_f64 v[132:133], v[124:125], v[16:17]
	v_add_f64 v[138:139], v[134:135], -v[140:141]
	v_fma_f64 v[140:141], v[122:123], v[14:15], -v[132:133]
	ds_read_b128 v[132:135], v130 offset:5568
	v_mul_f64 v[122:123], v[122:123], v[16:17]
	v_fmac_f64_e32 v[122:123], v[124:125], v[14:15]
	v_add_f64 v[136:137], v[136:137], -v[122:123]
	ds_read_b128 v[122:125], v130 offset:5552
	v_add_f64 v[138:139], v[138:139], -v[140:141]
	s_waitcnt lgkmcnt(1)
	v_mul_f64 v[140:141], v[134:135], v[20:21]
	v_fma_f64 v[140:141], v[132:133], v[18:19], -v[140:141]
	v_mul_f64 v[132:133], v[132:133], v[20:21]
	v_fmac_f64_e32 v[132:133], v[134:135], v[18:19]
	v_add_f64 v[136:137], v[136:137], -v[132:133]
	s_waitcnt lgkmcnt(0)
	v_mul_f64 v[132:133], v[124:125], v[24:25]
	v_add_f64 v[138:139], v[138:139], -v[140:141]
	v_fma_f64 v[140:141], v[122:123], v[22:23], -v[132:133]
	ds_read_b128 v[132:135], v130 offset:5536
	v_mul_f64 v[122:123], v[122:123], v[24:25]
	v_fmac_f64_e32 v[122:123], v[124:125], v[22:23]
	v_add_f64 v[136:137], v[136:137], -v[122:123]
	ds_read_b128 v[122:125], v130 offset:5520
	v_add_f64 v[138:139], v[138:139], -v[140:141]
	;; [unrolled: 16-line block ×7, first 2 shown]
	s_waitcnt lgkmcnt(1)
	v_mul_f64 v[140:141], v[134:135], v[84:85]
	v_fma_f64 v[140:141], v[132:133], v[82:83], -v[140:141]
	v_mul_f64 v[132:133], v[132:133], v[84:85]
	v_fmac_f64_e32 v[132:133], v[134:135], v[82:83]
	v_add_f64 v[136:137], v[136:137], -v[132:133]
	s_waitcnt lgkmcnt(0)
	v_mul_f64 v[132:133], v[124:125], v[88:89]
	v_add_f64 v[138:139], v[138:139], -v[140:141]
	v_fma_f64 v[140:141], v[122:123], v[86:87], -v[132:133]
	ds_read_b128 v[132:135], v130 offset:5344
	v_mul_f64 v[122:123], v[122:123], v[88:89]
	v_fmac_f64_e32 v[122:123], v[124:125], v[86:87]
	v_add_f64 v[138:139], v[138:139], -v[140:141]
	v_add_f64 v[136:137], v[136:137], -v[122:123]
	s_waitcnt lgkmcnt(0)
	v_mul_f64 v[140:141], v[134:135], v[96:97]
	ds_read_b128 v[122:125], v130 offset:5328
	v_fma_f64 v[140:141], v[132:133], v[94:95], -v[140:141]
	v_mul_f64 v[132:133], v[132:133], v[96:97]
	ds_write_b128 v1, v[114:117] offset:5632
	v_fmac_f64_e32 v[132:133], v[134:135], v[94:95]
	v_add_f64 v[144:145], v[138:139], -v[140:141]
	v_add_f64 v[146:147], v[136:137], -v[132:133]
	ds_read_b128 v[132:135], v130 offset:5280
	ds_read_b128 v[136:139], v130 offset:5296
	;; [unrolled: 1-line block ×3, first 2 shown]
	s_waitcnt lgkmcnt(4)
	v_mul_f64 v[148:149], v[124:125], v[104:105]
	v_fma_f64 v[148:149], v[122:123], v[102:103], -v[148:149]
	v_mul_f64 v[122:123], v[122:123], v[104:105]
	v_fmac_f64_e32 v[122:123], v[124:125], v[102:103]
	v_add_f64 v[124:125], v[144:145], -v[148:149]
	s_waitcnt lgkmcnt(0)
	v_mul_f64 v[144:145], v[142:143], v[108:109]
	v_fma_f64 v[144:145], v[140:141], v[106:107], -v[144:145]
	v_mul_f64 v[140:141], v[140:141], v[108:109]
	v_add_f64 v[122:123], v[146:147], -v[122:123]
	v_fmac_f64_e32 v[140:141], v[142:143], v[106:107]
	v_add_f64 v[122:123], v[122:123], -v[140:141]
	v_mul_f64 v[140:141], v[138:139], v[116:117]
	v_fma_f64 v[140:141], v[136:137], v[114:115], -v[140:141]
	v_mul_f64 v[136:137], v[136:137], v[116:117]
	v_add_f64 v[124:125], v[124:125], -v[144:145]
	v_fmac_f64_e32 v[136:137], v[138:139], v[114:115]
	v_add_f64 v[140:141], v[124:125], -v[140:141]
	v_add_f64 v[124:125], v[122:123], -v[136:137]
	ds_read_b128 v[136:139], v130 offset:5104
	v_mul_f64 v[122:123], v[134:135], v[124:125]
	v_fma_f64 v[122:123], v[132:133], v[140:141], -v[122:123]
	v_mul_f64 v[124:125], v[132:133], v[124:125]
	v_fmac_f64_e32 v[124:125], v[134:135], v[140:141]
	s_waitcnt lgkmcnt(0)
	v_mul_f64 v[132:133], v[138:139], v[8:9]
	v_fma_f64 v[140:141], v[136:137], v[6:7], -v[132:133]
	ds_read_b128 v[132:135], v130 offset:5088
	v_mul_f64 v[136:137], v[136:137], v[8:9]
	v_fmac_f64_e32 v[136:137], v[138:139], v[6:7]
	v_add_f64 v[138:139], v[126:127], -v[140:141]
	v_add_f64 v[136:137], v[128:129], -v[136:137]
	ds_read_b128 v[126:129], v130 offset:5072
	s_waitcnt lgkmcnt(1)
	v_mul_f64 v[140:141], v[134:135], v[12:13]
	v_fma_f64 v[140:141], v[132:133], v[10:11], -v[140:141]
	v_mul_f64 v[132:133], v[132:133], v[12:13]
	v_fmac_f64_e32 v[132:133], v[134:135], v[10:11]
	v_add_f64 v[136:137], v[136:137], -v[132:133]
	s_waitcnt lgkmcnt(0)
	v_mul_f64 v[132:133], v[128:129], v[16:17]
	v_add_f64 v[138:139], v[138:139], -v[140:141]
	v_fma_f64 v[140:141], v[126:127], v[14:15], -v[132:133]
	ds_read_b128 v[132:135], v130 offset:5056
	v_mul_f64 v[126:127], v[126:127], v[16:17]
	v_fmac_f64_e32 v[126:127], v[128:129], v[14:15]
	v_add_f64 v[136:137], v[136:137], -v[126:127]
	ds_read_b128 v[126:129], v130 offset:5040
	v_add_f64 v[138:139], v[138:139], -v[140:141]
	s_waitcnt lgkmcnt(1)
	v_mul_f64 v[140:141], v[134:135], v[20:21]
	v_fma_f64 v[140:141], v[132:133], v[18:19], -v[140:141]
	v_mul_f64 v[132:133], v[132:133], v[20:21]
	v_fmac_f64_e32 v[132:133], v[134:135], v[18:19]
	v_add_f64 v[136:137], v[136:137], -v[132:133]
	s_waitcnt lgkmcnt(0)
	v_mul_f64 v[132:133], v[128:129], v[24:25]
	v_add_f64 v[138:139], v[138:139], -v[140:141]
	v_fma_f64 v[140:141], v[126:127], v[22:23], -v[132:133]
	ds_read_b128 v[132:135], v130 offset:5024
	v_mul_f64 v[126:127], v[126:127], v[24:25]
	v_fmac_f64_e32 v[126:127], v[128:129], v[22:23]
	v_add_f64 v[136:137], v[136:137], -v[126:127]
	ds_read_b128 v[126:129], v130 offset:5008
	v_add_f64 v[138:139], v[138:139], -v[140:141]
	;; [unrolled: 16-line block ×8, first 2 shown]
	s_waitcnt lgkmcnt(1)
	v_mul_f64 v[140:141], v[134:135], v[96:97]
	v_fma_f64 v[140:141], v[132:133], v[94:95], -v[140:141]
	v_mul_f64 v[132:133], v[132:133], v[96:97]
	v_fmac_f64_e32 v[132:133], v[134:135], v[94:95]
	ds_write_b128 v1, v[122:125] offset:5120
	v_add_f64 v[136:137], v[136:137], -v[132:133]
	s_waitcnt lgkmcnt(1)
	v_mul_f64 v[132:133], v[128:129], v[104:105]
	v_mul_f64 v[142:143], v[126:127], v[104:105]
	v_add_f64 v[138:139], v[138:139], -v[140:141]
	v_fma_f64 v[140:141], v[126:127], v[102:103], -v[132:133]
	v_fmac_f64_e32 v[142:143], v[128:129], v[102:103]
	ds_read_b128 v[126:129], v130 offset:4784
	ds_read_b128 v[132:135], v130 offset:4800
	v_add_f64 v[144:145], v[138:139], -v[140:141]
	v_add_f64 v[146:147], v[136:137], -v[142:143]
	ds_read_b128 v[136:139], v130 offset:4752
	ds_read_b128 v[140:143], v130 offset:4768
	s_waitcnt lgkmcnt(2)
	v_mul_f64 v[148:149], v[134:135], v[108:109]
	v_fma_f64 v[148:149], v[132:133], v[106:107], -v[148:149]
	v_mul_f64 v[132:133], v[132:133], v[108:109]
	v_fmac_f64_e32 v[132:133], v[134:135], v[106:107]
	v_add_f64 v[134:135], v[144:145], -v[148:149]
	v_mul_f64 v[144:145], v[128:129], v[116:117]
	v_fma_f64 v[144:145], v[126:127], v[114:115], -v[144:145]
	v_mul_f64 v[126:127], v[126:127], v[116:117]
	v_add_f64 v[132:133], v[146:147], -v[132:133]
	v_fmac_f64_e32 v[126:127], v[128:129], v[114:115]
	v_add_f64 v[128:129], v[134:135], -v[144:145]
	v_add_f64 v[126:127], v[132:133], -v[126:127]
	s_waitcnt lgkmcnt(0)
	v_mul_f64 v[132:133], v[142:143], v[124:125]
	v_mul_f64 v[134:135], v[140:141], v[124:125]
	v_fma_f64 v[132:133], v[140:141], v[122:123], -v[132:133]
	v_fmac_f64_e32 v[134:135], v[142:143], v[122:123]
	v_add_f64 v[140:141], v[128:129], -v[132:133]
	v_add_f64 v[128:129], v[126:127], -v[134:135]
	ds_read_b128 v[132:135], v130 offset:4592
	v_mul_f64 v[126:127], v[138:139], v[128:129]
	v_mul_f64 v[128:129], v[136:137], v[128:129]
	v_fma_f64 v[126:127], v[136:137], v[140:141], -v[126:127]
	v_fmac_f64_e32 v[128:129], v[138:139], v[140:141]
	ds_read_b128 v[136:139], v130 offset:4576
	s_waitcnt lgkmcnt(1)
	v_mul_f64 v[140:141], v[134:135], v[8:9]
	v_fma_f64 v[140:141], v[132:133], v[6:7], -v[140:141]
	v_mul_f64 v[132:133], v[132:133], v[8:9]
	v_fmac_f64_e32 v[132:133], v[134:135], v[6:7]
	v_add_f64 v[134:135], v[118:119], -v[140:141]
	s_waitcnt lgkmcnt(0)
	v_mul_f64 v[118:119], v[138:139], v[12:13]
	v_add_f64 v[132:133], v[120:121], -v[132:133]
	v_fma_f64 v[140:141], v[136:137], v[10:11], -v[118:119]
	ds_read_b128 v[118:121], v130 offset:4560
	v_mul_f64 v[136:137], v[136:137], v[12:13]
	v_fmac_f64_e32 v[136:137], v[138:139], v[10:11]
	v_add_f64 v[138:139], v[134:135], -v[140:141]
	v_add_f64 v[136:137], v[132:133], -v[136:137]
	ds_read_b128 v[132:135], v130 offset:4544
	s_waitcnt lgkmcnt(1)
	v_mul_f64 v[140:141], v[120:121], v[16:17]
	v_fma_f64 v[140:141], v[118:119], v[14:15], -v[140:141]
	v_mul_f64 v[118:119], v[118:119], v[16:17]
	v_fmac_f64_e32 v[118:119], v[120:121], v[14:15]
	v_add_f64 v[136:137], v[136:137], -v[118:119]
	s_waitcnt lgkmcnt(0)
	v_mul_f64 v[118:119], v[134:135], v[20:21]
	v_add_f64 v[138:139], v[138:139], -v[140:141]
	v_fma_f64 v[140:141], v[132:133], v[18:19], -v[118:119]
	ds_read_b128 v[118:121], v130 offset:4528
	v_mul_f64 v[132:133], v[132:133], v[20:21]
	v_fmac_f64_e32 v[132:133], v[134:135], v[18:19]
	v_add_f64 v[136:137], v[136:137], -v[132:133]
	ds_read_b128 v[132:135], v130 offset:4512
	v_add_f64 v[138:139], v[138:139], -v[140:141]
	s_waitcnt lgkmcnt(1)
	v_mul_f64 v[140:141], v[120:121], v[24:25]
	v_fma_f64 v[140:141], v[118:119], v[22:23], -v[140:141]
	v_mul_f64 v[118:119], v[118:119], v[24:25]
	v_fmac_f64_e32 v[118:119], v[120:121], v[22:23]
	v_add_f64 v[136:137], v[136:137], -v[118:119]
	s_waitcnt lgkmcnt(0)
	v_mul_f64 v[118:119], v[134:135], v[28:29]
	v_add_f64 v[138:139], v[138:139], -v[140:141]
	v_fma_f64 v[140:141], v[132:133], v[26:27], -v[118:119]
	ds_read_b128 v[118:121], v130 offset:4496
	v_mul_f64 v[132:133], v[132:133], v[28:29]
	v_fmac_f64_e32 v[132:133], v[134:135], v[26:27]
	v_add_f64 v[136:137], v[136:137], -v[132:133]
	ds_read_b128 v[132:135], v130 offset:4480
	v_add_f64 v[138:139], v[138:139], -v[140:141]
	s_waitcnt lgkmcnt(1)
	v_mul_f64 v[140:141], v[120:121], v[32:33]
	v_fma_f64 v[140:141], v[118:119], v[30:31], -v[140:141]
	v_mul_f64 v[118:119], v[118:119], v[32:33]
	v_fmac_f64_e32 v[118:119], v[120:121], v[30:31]
	v_add_f64 v[136:137], v[136:137], -v[118:119]
	s_waitcnt lgkmcnt(0)
	v_mul_f64 v[118:119], v[134:135], v[36:37]
	v_add_f64 v[138:139], v[138:139], -v[140:141]
	v_fma_f64 v[140:141], v[132:133], v[34:35], -v[118:119]
	ds_read_b128 v[118:121], v130 offset:4464
	v_mul_f64 v[132:133], v[132:133], v[36:37]
	v_fmac_f64_e32 v[132:133], v[134:135], v[34:35]
	v_add_f64 v[136:137], v[136:137], -v[132:133]
	ds_read_b128 v[132:135], v130 offset:4448
	v_add_f64 v[138:139], v[138:139], -v[140:141]
	s_waitcnt lgkmcnt(1)
	v_mul_f64 v[140:141], v[120:121], v[44:45]
	v_fma_f64 v[140:141], v[118:119], v[42:43], -v[140:141]
	v_mul_f64 v[118:119], v[118:119], v[44:45]
	v_fmac_f64_e32 v[118:119], v[120:121], v[42:43]
	v_add_f64 v[136:137], v[136:137], -v[118:119]
	s_waitcnt lgkmcnt(0)
	v_mul_f64 v[118:119], v[134:135], v[48:49]
	v_add_f64 v[138:139], v[138:139], -v[140:141]
	v_fma_f64 v[140:141], v[132:133], v[46:47], -v[118:119]
	ds_read_b128 v[118:121], v130 offset:4432
	v_mul_f64 v[132:133], v[132:133], v[48:49]
	v_fmac_f64_e32 v[132:133], v[134:135], v[46:47]
	v_add_f64 v[136:137], v[136:137], -v[132:133]
	ds_read_b128 v[132:135], v130 offset:4416
	v_add_f64 v[138:139], v[138:139], -v[140:141]
	s_waitcnt lgkmcnt(1)
	v_mul_f64 v[140:141], v[120:121], v[52:53]
	v_fma_f64 v[140:141], v[118:119], v[50:51], -v[140:141]
	v_mul_f64 v[118:119], v[118:119], v[52:53]
	v_fmac_f64_e32 v[118:119], v[120:121], v[50:51]
	v_add_f64 v[136:137], v[136:137], -v[118:119]
	s_waitcnt lgkmcnt(0)
	v_mul_f64 v[118:119], v[134:135], v[60:61]
	v_add_f64 v[138:139], v[138:139], -v[140:141]
	v_fma_f64 v[140:141], v[132:133], v[58:59], -v[118:119]
	ds_read_b128 v[118:121], v130 offset:4400
	v_mul_f64 v[132:133], v[132:133], v[60:61]
	v_fmac_f64_e32 v[132:133], v[134:135], v[58:59]
	v_add_f64 v[136:137], v[136:137], -v[132:133]
	ds_read_b128 v[132:135], v130 offset:4384
	v_add_f64 v[138:139], v[138:139], -v[140:141]
	s_waitcnt lgkmcnt(1)
	v_mul_f64 v[140:141], v[120:121], v[64:65]
	v_fma_f64 v[140:141], v[118:119], v[62:63], -v[140:141]
	v_mul_f64 v[118:119], v[118:119], v[64:65]
	v_fmac_f64_e32 v[118:119], v[120:121], v[62:63]
	v_add_f64 v[136:137], v[136:137], -v[118:119]
	s_waitcnt lgkmcnt(0)
	v_mul_f64 v[118:119], v[134:135], v[72:73]
	v_add_f64 v[138:139], v[138:139], -v[140:141]
	v_fma_f64 v[140:141], v[132:133], v[70:71], -v[118:119]
	ds_read_b128 v[118:121], v130 offset:4368
	v_mul_f64 v[132:133], v[132:133], v[72:73]
	v_fmac_f64_e32 v[132:133], v[134:135], v[70:71]
	v_add_f64 v[136:137], v[136:137], -v[132:133]
	ds_read_b128 v[132:135], v130 offset:4352
	v_add_f64 v[138:139], v[138:139], -v[140:141]
	s_waitcnt lgkmcnt(1)
	v_mul_f64 v[140:141], v[120:121], v[76:77]
	v_fma_f64 v[140:141], v[118:119], v[74:75], -v[140:141]
	v_mul_f64 v[118:119], v[118:119], v[76:77]
	v_fmac_f64_e32 v[118:119], v[120:121], v[74:75]
	v_add_f64 v[136:137], v[136:137], -v[118:119]
	s_waitcnt lgkmcnt(0)
	v_mul_f64 v[118:119], v[134:135], v[84:85]
	v_add_f64 v[138:139], v[138:139], -v[140:141]
	v_fma_f64 v[140:141], v[132:133], v[82:83], -v[118:119]
	ds_read_b128 v[118:121], v130 offset:4336
	v_mul_f64 v[132:133], v[132:133], v[84:85]
	v_fmac_f64_e32 v[132:133], v[134:135], v[82:83]
	v_add_f64 v[136:137], v[136:137], -v[132:133]
	ds_read_b128 v[132:135], v130 offset:4320
	v_add_f64 v[138:139], v[138:139], -v[140:141]
	s_waitcnt lgkmcnt(1)
	v_mul_f64 v[140:141], v[120:121], v[88:89]
	v_fma_f64 v[140:141], v[118:119], v[86:87], -v[140:141]
	v_mul_f64 v[118:119], v[118:119], v[88:89]
	v_fmac_f64_e32 v[118:119], v[120:121], v[86:87]
	v_add_f64 v[136:137], v[136:137], -v[118:119]
	s_waitcnt lgkmcnt(0)
	v_mul_f64 v[118:119], v[134:135], v[96:97]
	v_add_f64 v[138:139], v[138:139], -v[140:141]
	v_fma_f64 v[140:141], v[132:133], v[94:95], -v[118:119]
	ds_read_b128 v[118:121], v130 offset:4304
	v_mul_f64 v[132:133], v[132:133], v[96:97]
	v_fmac_f64_e32 v[132:133], v[134:135], v[94:95]
	v_add_f64 v[136:137], v[136:137], -v[132:133]
	ds_read_b128 v[132:135], v130 offset:4288
	v_add_f64 v[138:139], v[138:139], -v[140:141]
	s_waitcnt lgkmcnt(1)
	v_mul_f64 v[140:141], v[120:121], v[104:105]
	v_fma_f64 v[140:141], v[118:119], v[102:103], -v[140:141]
	v_mul_f64 v[118:119], v[118:119], v[104:105]
	v_fmac_f64_e32 v[118:119], v[120:121], v[102:103]
	ds_write_b128 v1, v[126:129] offset:4608
	v_add_f64 v[136:137], v[136:137], -v[118:119]
	s_waitcnt lgkmcnt(1)
	v_mul_f64 v[118:119], v[134:135], v[108:109]
	v_mul_f64 v[142:143], v[132:133], v[108:109]
	v_add_f64 v[138:139], v[138:139], -v[140:141]
	v_fma_f64 v[140:141], v[132:133], v[106:107], -v[118:119]
	v_fmac_f64_e32 v[142:143], v[134:135], v[106:107]
	ds_read_b128 v[118:121], v130 offset:4256
	ds_read_b128 v[132:135], v130 offset:4272
	v_add_f64 v[144:145], v[138:139], -v[140:141]
	v_add_f64 v[146:147], v[136:137], -v[142:143]
	ds_read_b128 v[136:139], v130 offset:4224
	ds_read_b128 v[140:143], v130 offset:4240
	s_waitcnt lgkmcnt(2)
	v_mul_f64 v[148:149], v[134:135], v[116:117]
	v_fma_f64 v[148:149], v[132:133], v[114:115], -v[148:149]
	v_mul_f64 v[132:133], v[132:133], v[116:117]
	v_fmac_f64_e32 v[132:133], v[134:135], v[114:115]
	v_add_f64 v[134:135], v[144:145], -v[148:149]
	v_mul_f64 v[144:145], v[120:121], v[124:125]
	v_fma_f64 v[144:145], v[118:119], v[122:123], -v[144:145]
	v_mul_f64 v[118:119], v[118:119], v[124:125]
	v_add_f64 v[132:133], v[146:147], -v[132:133]
	v_fmac_f64_e32 v[118:119], v[120:121], v[122:123]
	v_add_f64 v[120:121], v[134:135], -v[144:145]
	v_add_f64 v[118:119], v[132:133], -v[118:119]
	s_waitcnt lgkmcnt(0)
	v_mul_f64 v[132:133], v[142:143], v[128:129]
	v_mul_f64 v[134:135], v[140:141], v[128:129]
	v_fma_f64 v[132:133], v[140:141], v[126:127], -v[132:133]
	v_fmac_f64_e32 v[134:135], v[142:143], v[126:127]
	v_add_f64 v[140:141], v[120:121], -v[132:133]
	v_add_f64 v[120:121], v[118:119], -v[134:135]
	ds_read_b128 v[132:135], v130 offset:4080
	v_mul_f64 v[118:119], v[138:139], v[120:121]
	v_mul_f64 v[120:121], v[136:137], v[120:121]
	v_fma_f64 v[118:119], v[136:137], v[140:141], -v[118:119]
	v_fmac_f64_e32 v[120:121], v[138:139], v[140:141]
	ds_read_b128 v[136:139], v130 offset:4064
	s_waitcnt lgkmcnt(1)
	v_mul_f64 v[140:141], v[134:135], v[8:9]
	v_fma_f64 v[140:141], v[132:133], v[6:7], -v[140:141]
	v_mul_f64 v[132:133], v[132:133], v[8:9]
	v_fmac_f64_e32 v[132:133], v[134:135], v[6:7]
	v_add_f64 v[134:135], v[110:111], -v[140:141]
	s_waitcnt lgkmcnt(0)
	v_mul_f64 v[110:111], v[138:139], v[12:13]
	v_add_f64 v[132:133], v[112:113], -v[132:133]
	v_fma_f64 v[140:141], v[136:137], v[10:11], -v[110:111]
	ds_read_b128 v[110:113], v130 offset:4048
	v_mul_f64 v[136:137], v[136:137], v[12:13]
	v_fmac_f64_e32 v[136:137], v[138:139], v[10:11]
	v_add_f64 v[138:139], v[134:135], -v[140:141]
	v_add_f64 v[136:137], v[132:133], -v[136:137]
	ds_read_b128 v[132:135], v130 offset:4032
	s_waitcnt lgkmcnt(1)
	v_mul_f64 v[140:141], v[112:113], v[16:17]
	v_fma_f64 v[140:141], v[110:111], v[14:15], -v[140:141]
	v_mul_f64 v[110:111], v[110:111], v[16:17]
	v_fmac_f64_e32 v[110:111], v[112:113], v[14:15]
	v_add_f64 v[136:137], v[136:137], -v[110:111]
	s_waitcnt lgkmcnt(0)
	v_mul_f64 v[110:111], v[134:135], v[20:21]
	v_add_f64 v[138:139], v[138:139], -v[140:141]
	v_fma_f64 v[140:141], v[132:133], v[18:19], -v[110:111]
	ds_read_b128 v[110:113], v130 offset:4016
	v_mul_f64 v[132:133], v[132:133], v[20:21]
	v_fmac_f64_e32 v[132:133], v[134:135], v[18:19]
	v_add_f64 v[136:137], v[136:137], -v[132:133]
	ds_read_b128 v[132:135], v130 offset:4000
	v_add_f64 v[138:139], v[138:139], -v[140:141]
	s_waitcnt lgkmcnt(1)
	v_mul_f64 v[140:141], v[112:113], v[24:25]
	v_fma_f64 v[140:141], v[110:111], v[22:23], -v[140:141]
	v_mul_f64 v[110:111], v[110:111], v[24:25]
	v_fmac_f64_e32 v[110:111], v[112:113], v[22:23]
	v_add_f64 v[136:137], v[136:137], -v[110:111]
	s_waitcnt lgkmcnt(0)
	v_mul_f64 v[110:111], v[134:135], v[28:29]
	v_add_f64 v[138:139], v[138:139], -v[140:141]
	v_fma_f64 v[140:141], v[132:133], v[26:27], -v[110:111]
	ds_read_b128 v[110:113], v130 offset:3984
	v_mul_f64 v[132:133], v[132:133], v[28:29]
	v_fmac_f64_e32 v[132:133], v[134:135], v[26:27]
	v_add_f64 v[136:137], v[136:137], -v[132:133]
	ds_read_b128 v[132:135], v130 offset:3968
	v_add_f64 v[138:139], v[138:139], -v[140:141]
	;; [unrolled: 16-line block ×8, first 2 shown]
	s_waitcnt lgkmcnt(1)
	v_mul_f64 v[140:141], v[112:113], v[104:105]
	v_fma_f64 v[140:141], v[110:111], v[102:103], -v[140:141]
	v_mul_f64 v[110:111], v[110:111], v[104:105]
	v_fmac_f64_e32 v[110:111], v[112:113], v[102:103]
	v_add_f64 v[136:137], v[136:137], -v[110:111]
	s_waitcnt lgkmcnt(0)
	v_mul_f64 v[110:111], v[134:135], v[108:109]
	v_add_f64 v[138:139], v[138:139], -v[140:141]
	v_fma_f64 v[140:141], v[132:133], v[106:107], -v[110:111]
	ds_read_b128 v[110:113], v130 offset:3760
	v_mul_f64 v[132:133], v[132:133], v[108:109]
	v_fmac_f64_e32 v[132:133], v[134:135], v[106:107]
	v_add_f64 v[138:139], v[138:139], -v[140:141]
	v_add_f64 v[136:137], v[136:137], -v[132:133]
	s_waitcnt lgkmcnt(0)
	v_mul_f64 v[140:141], v[112:113], v[116:117]
	ds_read_b128 v[132:135], v130 offset:3744
	v_fma_f64 v[140:141], v[110:111], v[114:115], -v[140:141]
	v_mul_f64 v[110:111], v[110:111], v[116:117]
	ds_write_b128 v1, v[118:121] offset:4096
	v_fmac_f64_e32 v[110:111], v[112:113], v[114:115]
	v_add_f64 v[144:145], v[138:139], -v[140:141]
	v_add_f64 v[146:147], v[136:137], -v[110:111]
	ds_read_b128 v[136:139], v130 offset:3696
	ds_read_b128 v[110:113], v130 offset:3712
	;; [unrolled: 1-line block ×3, first 2 shown]
	s_waitcnt lgkmcnt(4)
	v_mul_f64 v[148:149], v[134:135], v[124:125]
	v_fma_f64 v[148:149], v[132:133], v[122:123], -v[148:149]
	v_mul_f64 v[132:133], v[132:133], v[124:125]
	v_fmac_f64_e32 v[132:133], v[134:135], v[122:123]
	v_add_f64 v[134:135], v[144:145], -v[148:149]
	s_waitcnt lgkmcnt(0)
	v_mul_f64 v[144:145], v[142:143], v[128:129]
	v_fma_f64 v[144:145], v[140:141], v[126:127], -v[144:145]
	v_mul_f64 v[140:141], v[140:141], v[128:129]
	v_add_f64 v[132:133], v[146:147], -v[132:133]
	v_fmac_f64_e32 v[140:141], v[142:143], v[126:127]
	v_add_f64 v[132:133], v[132:133], -v[140:141]
	v_mul_f64 v[140:141], v[112:113], v[120:121]
	v_fma_f64 v[140:141], v[110:111], v[118:119], -v[140:141]
	v_mul_f64 v[110:111], v[110:111], v[120:121]
	v_add_f64 v[134:135], v[134:135], -v[144:145]
	v_fmac_f64_e32 v[110:111], v[112:113], v[118:119]
	v_add_f64 v[140:141], v[134:135], -v[140:141]
	v_add_f64 v[112:113], v[132:133], -v[110:111]
	ds_read_b128 v[132:135], v130 offset:3568
	v_mul_f64 v[110:111], v[138:139], v[112:113]
	v_fma_f64 v[110:111], v[136:137], v[140:141], -v[110:111]
	v_mul_f64 v[112:113], v[136:137], v[112:113]
	v_fmac_f64_e32 v[112:113], v[138:139], v[140:141]
	s_waitcnt lgkmcnt(0)
	v_mul_f64 v[136:137], v[134:135], v[8:9]
	v_fma_f64 v[140:141], v[132:133], v[6:7], -v[136:137]
	ds_read_b128 v[136:139], v130 offset:3552
	v_mul_f64 v[132:133], v[132:133], v[8:9]
	v_fmac_f64_e32 v[132:133], v[134:135], v[6:7]
	v_add_f64 v[134:135], v[98:99], -v[140:141]
	v_add_f64 v[132:133], v[100:101], -v[132:133]
	ds_read_b128 v[98:101], v130 offset:3536
	s_waitcnt lgkmcnt(1)
	v_mul_f64 v[140:141], v[138:139], v[12:13]
	v_fma_f64 v[140:141], v[136:137], v[10:11], -v[140:141]
	v_mul_f64 v[136:137], v[136:137], v[12:13]
	v_fmac_f64_e32 v[136:137], v[138:139], v[10:11]
	v_add_f64 v[136:137], v[132:133], -v[136:137]
	s_waitcnt lgkmcnt(0)
	v_mul_f64 v[132:133], v[100:101], v[16:17]
	v_add_f64 v[138:139], v[134:135], -v[140:141]
	v_fma_f64 v[140:141], v[98:99], v[14:15], -v[132:133]
	ds_read_b128 v[132:135], v130 offset:3520
	v_mul_f64 v[98:99], v[98:99], v[16:17]
	v_fmac_f64_e32 v[98:99], v[100:101], v[14:15]
	v_add_f64 v[136:137], v[136:137], -v[98:99]
	ds_read_b128 v[98:101], v130 offset:3504
	v_add_f64 v[138:139], v[138:139], -v[140:141]
	s_waitcnt lgkmcnt(1)
	v_mul_f64 v[140:141], v[134:135], v[20:21]
	v_fma_f64 v[140:141], v[132:133], v[18:19], -v[140:141]
	v_mul_f64 v[132:133], v[132:133], v[20:21]
	v_fmac_f64_e32 v[132:133], v[134:135], v[18:19]
	v_add_f64 v[136:137], v[136:137], -v[132:133]
	s_waitcnt lgkmcnt(0)
	v_mul_f64 v[132:133], v[100:101], v[24:25]
	v_add_f64 v[138:139], v[138:139], -v[140:141]
	v_fma_f64 v[140:141], v[98:99], v[22:23], -v[132:133]
	ds_read_b128 v[132:135], v130 offset:3488
	v_mul_f64 v[98:99], v[98:99], v[24:25]
	v_fmac_f64_e32 v[98:99], v[100:101], v[22:23]
	v_add_f64 v[136:137], v[136:137], -v[98:99]
	ds_read_b128 v[98:101], v130 offset:3472
	v_add_f64 v[138:139], v[138:139], -v[140:141]
	;; [unrolled: 16-line block ×9, first 2 shown]
	s_waitcnt lgkmcnt(1)
	v_mul_f64 v[140:141], v[134:135], v[108:109]
	v_fma_f64 v[140:141], v[132:133], v[106:107], -v[140:141]
	v_mul_f64 v[132:133], v[132:133], v[108:109]
	v_fmac_f64_e32 v[132:133], v[134:135], v[106:107]
	v_add_f64 v[136:137], v[136:137], -v[132:133]
	s_waitcnt lgkmcnt(0)
	v_mul_f64 v[132:133], v[100:101], v[116:117]
	v_add_f64 v[138:139], v[138:139], -v[140:141]
	v_fma_f64 v[140:141], v[98:99], v[114:115], -v[132:133]
	ds_read_b128 v[132:135], v130 offset:3232
	v_mul_f64 v[98:99], v[98:99], v[116:117]
	v_fmac_f64_e32 v[98:99], v[100:101], v[114:115]
	v_add_f64 v[138:139], v[138:139], -v[140:141]
	v_add_f64 v[136:137], v[136:137], -v[98:99]
	s_waitcnt lgkmcnt(0)
	v_mul_f64 v[140:141], v[134:135], v[124:125]
	ds_read_b128 v[98:101], v130 offset:3216
	v_fma_f64 v[140:141], v[132:133], v[122:123], -v[140:141]
	v_mul_f64 v[132:133], v[132:133], v[124:125]
	ds_write_b128 v1, v[110:113] offset:3584
	v_fmac_f64_e32 v[132:133], v[134:135], v[122:123]
	v_add_f64 v[144:145], v[138:139], -v[140:141]
	v_add_f64 v[146:147], v[136:137], -v[132:133]
	ds_read_b128 v[132:135], v130 offset:3168
	ds_read_b128 v[136:139], v130 offset:3184
	;; [unrolled: 1-line block ×3, first 2 shown]
	s_waitcnt lgkmcnt(4)
	v_mul_f64 v[148:149], v[100:101], v[128:129]
	v_fma_f64 v[148:149], v[98:99], v[126:127], -v[148:149]
	v_mul_f64 v[98:99], v[98:99], v[128:129]
	v_fmac_f64_e32 v[98:99], v[100:101], v[126:127]
	v_add_f64 v[100:101], v[144:145], -v[148:149]
	s_waitcnt lgkmcnt(0)
	v_mul_f64 v[144:145], v[142:143], v[120:121]
	v_fma_f64 v[144:145], v[140:141], v[118:119], -v[144:145]
	v_mul_f64 v[140:141], v[140:141], v[120:121]
	v_add_f64 v[98:99], v[146:147], -v[98:99]
	v_fmac_f64_e32 v[140:141], v[142:143], v[118:119]
	v_add_f64 v[98:99], v[98:99], -v[140:141]
	v_mul_f64 v[140:141], v[138:139], v[112:113]
	v_fma_f64 v[140:141], v[136:137], v[110:111], -v[140:141]
	v_mul_f64 v[136:137], v[136:137], v[112:113]
	v_add_f64 v[100:101], v[100:101], -v[144:145]
	v_fmac_f64_e32 v[136:137], v[138:139], v[110:111]
	v_add_f64 v[140:141], v[100:101], -v[140:141]
	v_add_f64 v[100:101], v[98:99], -v[136:137]
	ds_read_b128 v[136:139], v130 offset:3056
	v_mul_f64 v[98:99], v[134:135], v[100:101]
	v_fma_f64 v[98:99], v[132:133], v[140:141], -v[98:99]
	v_mul_f64 v[100:101], v[132:133], v[100:101]
	v_fmac_f64_e32 v[100:101], v[134:135], v[140:141]
	s_waitcnt lgkmcnt(0)
	v_mul_f64 v[132:133], v[138:139], v[8:9]
	v_fma_f64 v[140:141], v[136:137], v[6:7], -v[132:133]
	ds_read_b128 v[132:135], v130 offset:3040
	v_mul_f64 v[136:137], v[136:137], v[8:9]
	v_fmac_f64_e32 v[136:137], v[138:139], v[6:7]
	v_add_f64 v[138:139], v[90:91], -v[140:141]
	v_add_f64 v[136:137], v[92:93], -v[136:137]
	ds_read_b128 v[90:93], v130 offset:3024
	s_waitcnt lgkmcnt(1)
	v_mul_f64 v[140:141], v[134:135], v[12:13]
	v_fma_f64 v[140:141], v[132:133], v[10:11], -v[140:141]
	v_mul_f64 v[132:133], v[132:133], v[12:13]
	v_fmac_f64_e32 v[132:133], v[134:135], v[10:11]
	v_add_f64 v[136:137], v[136:137], -v[132:133]
	s_waitcnt lgkmcnt(0)
	v_mul_f64 v[132:133], v[92:93], v[16:17]
	v_add_f64 v[138:139], v[138:139], -v[140:141]
	v_fma_f64 v[140:141], v[90:91], v[14:15], -v[132:133]
	ds_read_b128 v[132:135], v130 offset:3008
	v_mul_f64 v[90:91], v[90:91], v[16:17]
	v_fmac_f64_e32 v[90:91], v[92:93], v[14:15]
	v_add_f64 v[136:137], v[136:137], -v[90:91]
	ds_read_b128 v[90:93], v130 offset:2992
	v_add_f64 v[138:139], v[138:139], -v[140:141]
	s_waitcnt lgkmcnt(1)
	v_mul_f64 v[140:141], v[134:135], v[20:21]
	v_fma_f64 v[140:141], v[132:133], v[18:19], -v[140:141]
	v_mul_f64 v[132:133], v[132:133], v[20:21]
	v_fmac_f64_e32 v[132:133], v[134:135], v[18:19]
	v_add_f64 v[136:137], v[136:137], -v[132:133]
	s_waitcnt lgkmcnt(0)
	v_mul_f64 v[132:133], v[92:93], v[24:25]
	v_add_f64 v[138:139], v[138:139], -v[140:141]
	v_fma_f64 v[140:141], v[90:91], v[22:23], -v[132:133]
	ds_read_b128 v[132:135], v130 offset:2976
	v_mul_f64 v[90:91], v[90:91], v[24:25]
	v_fmac_f64_e32 v[90:91], v[92:93], v[22:23]
	v_add_f64 v[136:137], v[136:137], -v[90:91]
	ds_read_b128 v[90:93], v130 offset:2960
	v_add_f64 v[138:139], v[138:139], -v[140:141]
	;; [unrolled: 16-line block ×10, first 2 shown]
	s_waitcnt lgkmcnt(1)
	v_mul_f64 v[140:141], v[134:135], v[124:125]
	v_fma_f64 v[140:141], v[132:133], v[122:123], -v[140:141]
	v_mul_f64 v[132:133], v[132:133], v[124:125]
	v_fmac_f64_e32 v[132:133], v[134:135], v[122:123]
	ds_write_b128 v1, v[98:101] offset:3072
	v_add_f64 v[136:137], v[136:137], -v[132:133]
	s_waitcnt lgkmcnt(1)
	v_mul_f64 v[132:133], v[92:93], v[128:129]
	v_mul_f64 v[142:143], v[90:91], v[128:129]
	v_add_f64 v[138:139], v[138:139], -v[140:141]
	v_fma_f64 v[140:141], v[90:91], v[126:127], -v[132:133]
	v_fmac_f64_e32 v[142:143], v[92:93], v[126:127]
	ds_read_b128 v[90:93], v130 offset:2672
	ds_read_b128 v[132:135], v130 offset:2688
	v_add_f64 v[144:145], v[138:139], -v[140:141]
	v_add_f64 v[146:147], v[136:137], -v[142:143]
	ds_read_b128 v[136:139], v130 offset:2640
	ds_read_b128 v[140:143], v130 offset:2656
	s_waitcnt lgkmcnt(2)
	v_mul_f64 v[148:149], v[134:135], v[120:121]
	v_fma_f64 v[148:149], v[132:133], v[118:119], -v[148:149]
	v_mul_f64 v[132:133], v[132:133], v[120:121]
	v_fmac_f64_e32 v[132:133], v[134:135], v[118:119]
	v_add_f64 v[134:135], v[144:145], -v[148:149]
	v_mul_f64 v[144:145], v[92:93], v[112:113]
	v_fma_f64 v[144:145], v[90:91], v[110:111], -v[144:145]
	v_mul_f64 v[90:91], v[90:91], v[112:113]
	v_add_f64 v[132:133], v[146:147], -v[132:133]
	v_fmac_f64_e32 v[90:91], v[92:93], v[110:111]
	v_add_f64 v[92:93], v[134:135], -v[144:145]
	v_add_f64 v[90:91], v[132:133], -v[90:91]
	s_waitcnt lgkmcnt(0)
	v_mul_f64 v[132:133], v[142:143], v[100:101]
	v_mul_f64 v[134:135], v[140:141], v[100:101]
	v_fma_f64 v[132:133], v[140:141], v[98:99], -v[132:133]
	v_fmac_f64_e32 v[134:135], v[142:143], v[98:99]
	v_add_f64 v[140:141], v[92:93], -v[132:133]
	v_add_f64 v[92:93], v[90:91], -v[134:135]
	ds_read_b128 v[132:135], v130 offset:2544
	v_mul_f64 v[90:91], v[138:139], v[92:93]
	v_mul_f64 v[92:93], v[136:137], v[92:93]
	v_fma_f64 v[90:91], v[136:137], v[140:141], -v[90:91]
	v_fmac_f64_e32 v[92:93], v[138:139], v[140:141]
	ds_read_b128 v[136:139], v130 offset:2528
	s_waitcnt lgkmcnt(1)
	v_mul_f64 v[140:141], v[134:135], v[8:9]
	v_fma_f64 v[140:141], v[132:133], v[6:7], -v[140:141]
	v_mul_f64 v[132:133], v[132:133], v[8:9]
	v_fmac_f64_e32 v[132:133], v[134:135], v[6:7]
	v_add_f64 v[134:135], v[78:79], -v[140:141]
	s_waitcnt lgkmcnt(0)
	v_mul_f64 v[78:79], v[138:139], v[12:13]
	v_add_f64 v[132:133], v[80:81], -v[132:133]
	v_fma_f64 v[140:141], v[136:137], v[10:11], -v[78:79]
	ds_read_b128 v[78:81], v130 offset:2512
	v_mul_f64 v[136:137], v[136:137], v[12:13]
	v_fmac_f64_e32 v[136:137], v[138:139], v[10:11]
	v_add_f64 v[138:139], v[134:135], -v[140:141]
	v_add_f64 v[136:137], v[132:133], -v[136:137]
	ds_read_b128 v[132:135], v130 offset:2496
	s_waitcnt lgkmcnt(1)
	v_mul_f64 v[140:141], v[80:81], v[16:17]
	v_fma_f64 v[140:141], v[78:79], v[14:15], -v[140:141]
	v_mul_f64 v[78:79], v[78:79], v[16:17]
	v_fmac_f64_e32 v[78:79], v[80:81], v[14:15]
	v_add_f64 v[136:137], v[136:137], -v[78:79]
	s_waitcnt lgkmcnt(0)
	v_mul_f64 v[78:79], v[134:135], v[20:21]
	v_add_f64 v[138:139], v[138:139], -v[140:141]
	v_fma_f64 v[140:141], v[132:133], v[18:19], -v[78:79]
	ds_read_b128 v[78:81], v130 offset:2480
	v_mul_f64 v[132:133], v[132:133], v[20:21]
	v_fmac_f64_e32 v[132:133], v[134:135], v[18:19]
	v_add_f64 v[136:137], v[136:137], -v[132:133]
	ds_read_b128 v[132:135], v130 offset:2464
	v_add_f64 v[138:139], v[138:139], -v[140:141]
	s_waitcnt lgkmcnt(1)
	v_mul_f64 v[140:141], v[80:81], v[24:25]
	v_fma_f64 v[140:141], v[78:79], v[22:23], -v[140:141]
	v_mul_f64 v[78:79], v[78:79], v[24:25]
	v_fmac_f64_e32 v[78:79], v[80:81], v[22:23]
	v_add_f64 v[136:137], v[136:137], -v[78:79]
	s_waitcnt lgkmcnt(0)
	v_mul_f64 v[78:79], v[134:135], v[28:29]
	v_add_f64 v[138:139], v[138:139], -v[140:141]
	v_fma_f64 v[140:141], v[132:133], v[26:27], -v[78:79]
	ds_read_b128 v[78:81], v130 offset:2448
	v_mul_f64 v[132:133], v[132:133], v[28:29]
	v_fmac_f64_e32 v[132:133], v[134:135], v[26:27]
	v_add_f64 v[136:137], v[136:137], -v[132:133]
	ds_read_b128 v[132:135], v130 offset:2432
	v_add_f64 v[138:139], v[138:139], -v[140:141]
	;; [unrolled: 16-line block ×10, first 2 shown]
	s_waitcnt lgkmcnt(1)
	v_mul_f64 v[140:141], v[80:81], v[128:129]
	v_fma_f64 v[140:141], v[78:79], v[126:127], -v[140:141]
	v_mul_f64 v[78:79], v[78:79], v[128:129]
	v_fmac_f64_e32 v[78:79], v[80:81], v[126:127]
	ds_write_b128 v1, v[90:93] offset:2560
	v_add_f64 v[136:137], v[136:137], -v[78:79]
	s_waitcnt lgkmcnt(1)
	v_mul_f64 v[78:79], v[134:135], v[120:121]
	v_mul_f64 v[142:143], v[132:133], v[120:121]
	v_add_f64 v[138:139], v[138:139], -v[140:141]
	v_fma_f64 v[140:141], v[132:133], v[118:119], -v[78:79]
	v_fmac_f64_e32 v[142:143], v[134:135], v[118:119]
	ds_read_b128 v[78:81], v130 offset:2144
	ds_read_b128 v[132:135], v130 offset:2160
	v_add_f64 v[144:145], v[138:139], -v[140:141]
	v_add_f64 v[146:147], v[136:137], -v[142:143]
	ds_read_b128 v[136:139], v130 offset:2112
	ds_read_b128 v[140:143], v130 offset:2128
	s_waitcnt lgkmcnt(2)
	v_mul_f64 v[148:149], v[134:135], v[112:113]
	v_fma_f64 v[148:149], v[132:133], v[110:111], -v[148:149]
	v_mul_f64 v[132:133], v[132:133], v[112:113]
	v_fmac_f64_e32 v[132:133], v[134:135], v[110:111]
	v_add_f64 v[134:135], v[144:145], -v[148:149]
	v_mul_f64 v[144:145], v[80:81], v[100:101]
	v_fma_f64 v[144:145], v[78:79], v[98:99], -v[144:145]
	v_mul_f64 v[78:79], v[78:79], v[100:101]
	v_add_f64 v[132:133], v[146:147], -v[132:133]
	v_fmac_f64_e32 v[78:79], v[80:81], v[98:99]
	v_add_f64 v[80:81], v[134:135], -v[144:145]
	v_add_f64 v[78:79], v[132:133], -v[78:79]
	s_waitcnt lgkmcnt(0)
	v_mul_f64 v[132:133], v[142:143], v[92:93]
	v_mul_f64 v[134:135], v[140:141], v[92:93]
	v_fma_f64 v[132:133], v[140:141], v[90:91], -v[132:133]
	v_fmac_f64_e32 v[134:135], v[142:143], v[90:91]
	v_add_f64 v[140:141], v[80:81], -v[132:133]
	v_add_f64 v[80:81], v[78:79], -v[134:135]
	ds_read_b128 v[132:135], v130 offset:2032
	v_mul_f64 v[78:79], v[138:139], v[80:81]
	v_mul_f64 v[80:81], v[136:137], v[80:81]
	v_fma_f64 v[78:79], v[136:137], v[140:141], -v[78:79]
	v_fmac_f64_e32 v[80:81], v[138:139], v[140:141]
	ds_read_b128 v[136:139], v130 offset:2016
	s_waitcnt lgkmcnt(1)
	v_mul_f64 v[140:141], v[134:135], v[8:9]
	v_fma_f64 v[140:141], v[132:133], v[6:7], -v[140:141]
	v_mul_f64 v[132:133], v[132:133], v[8:9]
	v_fmac_f64_e32 v[132:133], v[134:135], v[6:7]
	v_add_f64 v[134:135], v[66:67], -v[140:141]
	s_waitcnt lgkmcnt(0)
	v_mul_f64 v[66:67], v[138:139], v[12:13]
	v_add_f64 v[132:133], v[68:69], -v[132:133]
	v_fma_f64 v[140:141], v[136:137], v[10:11], -v[66:67]
	ds_read_b128 v[66:69], v130 offset:2000
	v_mul_f64 v[136:137], v[136:137], v[12:13]
	v_fmac_f64_e32 v[136:137], v[138:139], v[10:11]
	v_add_f64 v[138:139], v[134:135], -v[140:141]
	v_add_f64 v[136:137], v[132:133], -v[136:137]
	ds_read_b128 v[132:135], v130 offset:1984
	s_waitcnt lgkmcnt(1)
	v_mul_f64 v[140:141], v[68:69], v[16:17]
	v_fma_f64 v[140:141], v[66:67], v[14:15], -v[140:141]
	v_mul_f64 v[66:67], v[66:67], v[16:17]
	v_fmac_f64_e32 v[66:67], v[68:69], v[14:15]
	v_add_f64 v[136:137], v[136:137], -v[66:67]
	s_waitcnt lgkmcnt(0)
	v_mul_f64 v[66:67], v[134:135], v[20:21]
	v_add_f64 v[138:139], v[138:139], -v[140:141]
	v_fma_f64 v[140:141], v[132:133], v[18:19], -v[66:67]
	ds_read_b128 v[66:69], v130 offset:1968
	v_mul_f64 v[132:133], v[132:133], v[20:21]
	v_fmac_f64_e32 v[132:133], v[134:135], v[18:19]
	v_add_f64 v[136:137], v[136:137], -v[132:133]
	ds_read_b128 v[132:135], v130 offset:1952
	v_add_f64 v[138:139], v[138:139], -v[140:141]
	s_waitcnt lgkmcnt(1)
	v_mul_f64 v[140:141], v[68:69], v[24:25]
	v_fma_f64 v[140:141], v[66:67], v[22:23], -v[140:141]
	v_mul_f64 v[66:67], v[66:67], v[24:25]
	v_fmac_f64_e32 v[66:67], v[68:69], v[22:23]
	v_add_f64 v[136:137], v[136:137], -v[66:67]
	s_waitcnt lgkmcnt(0)
	v_mul_f64 v[66:67], v[134:135], v[28:29]
	v_add_f64 v[138:139], v[138:139], -v[140:141]
	v_fma_f64 v[140:141], v[132:133], v[26:27], -v[66:67]
	ds_read_b128 v[66:69], v130 offset:1936
	v_mul_f64 v[132:133], v[132:133], v[28:29]
	v_fmac_f64_e32 v[132:133], v[134:135], v[26:27]
	v_add_f64 v[136:137], v[136:137], -v[132:133]
	ds_read_b128 v[132:135], v130 offset:1920
	v_add_f64 v[138:139], v[138:139], -v[140:141]
	;; [unrolled: 16-line block ×10, first 2 shown]
	s_waitcnt lgkmcnt(1)
	v_mul_f64 v[140:141], v[68:69], v[128:129]
	v_fma_f64 v[140:141], v[66:67], v[126:127], -v[140:141]
	v_mul_f64 v[66:67], v[66:67], v[128:129]
	v_fmac_f64_e32 v[66:67], v[68:69], v[126:127]
	v_add_f64 v[136:137], v[136:137], -v[66:67]
	s_waitcnt lgkmcnt(0)
	v_mul_f64 v[66:67], v[134:135], v[120:121]
	v_add_f64 v[138:139], v[138:139], -v[140:141]
	v_fma_f64 v[140:141], v[132:133], v[118:119], -v[66:67]
	ds_read_b128 v[66:69], v130 offset:1648
	v_mul_f64 v[132:133], v[132:133], v[120:121]
	v_fmac_f64_e32 v[132:133], v[134:135], v[118:119]
	v_add_f64 v[138:139], v[138:139], -v[140:141]
	v_add_f64 v[136:137], v[136:137], -v[132:133]
	s_waitcnt lgkmcnt(0)
	v_mul_f64 v[140:141], v[68:69], v[112:113]
	ds_read_b128 v[132:135], v130 offset:1632
	v_fma_f64 v[140:141], v[66:67], v[110:111], -v[140:141]
	v_mul_f64 v[66:67], v[66:67], v[112:113]
	ds_write_b128 v1, v[78:81] offset:2048
	v_fmac_f64_e32 v[66:67], v[68:69], v[110:111]
	v_add_f64 v[144:145], v[138:139], -v[140:141]
	v_add_f64 v[146:147], v[136:137], -v[66:67]
	ds_read_b128 v[136:139], v130 offset:1584
	ds_read_b128 v[66:69], v130 offset:1600
	;; [unrolled: 1-line block ×3, first 2 shown]
	s_waitcnt lgkmcnt(4)
	v_mul_f64 v[148:149], v[134:135], v[100:101]
	v_fma_f64 v[148:149], v[132:133], v[98:99], -v[148:149]
	v_mul_f64 v[132:133], v[132:133], v[100:101]
	v_fmac_f64_e32 v[132:133], v[134:135], v[98:99]
	v_add_f64 v[134:135], v[144:145], -v[148:149]
	s_waitcnt lgkmcnt(0)
	v_mul_f64 v[144:145], v[142:143], v[92:93]
	v_fma_f64 v[144:145], v[140:141], v[90:91], -v[144:145]
	v_mul_f64 v[140:141], v[140:141], v[92:93]
	v_add_f64 v[132:133], v[146:147], -v[132:133]
	v_fmac_f64_e32 v[140:141], v[142:143], v[90:91]
	v_add_f64 v[132:133], v[132:133], -v[140:141]
	v_mul_f64 v[140:141], v[68:69], v[80:81]
	v_fma_f64 v[140:141], v[66:67], v[78:79], -v[140:141]
	v_mul_f64 v[66:67], v[66:67], v[80:81]
	v_add_f64 v[134:135], v[134:135], -v[144:145]
	v_fmac_f64_e32 v[66:67], v[68:69], v[78:79]
	v_add_f64 v[140:141], v[134:135], -v[140:141]
	v_add_f64 v[68:69], v[132:133], -v[66:67]
	ds_read_b128 v[132:135], v130 offset:1520
	v_mul_f64 v[66:67], v[138:139], v[68:69]
	v_fma_f64 v[66:67], v[136:137], v[140:141], -v[66:67]
	v_mul_f64 v[68:69], v[136:137], v[68:69]
	v_fmac_f64_e32 v[68:69], v[138:139], v[140:141]
	s_waitcnt lgkmcnt(0)
	v_mul_f64 v[136:137], v[134:135], v[8:9]
	v_fma_f64 v[140:141], v[132:133], v[6:7], -v[136:137]
	ds_read_b128 v[136:139], v130 offset:1504
	v_mul_f64 v[132:133], v[132:133], v[8:9]
	v_fmac_f64_e32 v[132:133], v[134:135], v[6:7]
	v_add_f64 v[134:135], v[54:55], -v[140:141]
	v_add_f64 v[132:133], v[56:57], -v[132:133]
	ds_read_b128 v[54:57], v130 offset:1488
	s_waitcnt lgkmcnt(1)
	v_mul_f64 v[140:141], v[138:139], v[12:13]
	v_fma_f64 v[140:141], v[136:137], v[10:11], -v[140:141]
	v_mul_f64 v[136:137], v[136:137], v[12:13]
	v_fmac_f64_e32 v[136:137], v[138:139], v[10:11]
	v_add_f64 v[136:137], v[132:133], -v[136:137]
	s_waitcnt lgkmcnt(0)
	v_mul_f64 v[132:133], v[56:57], v[16:17]
	v_add_f64 v[138:139], v[134:135], -v[140:141]
	v_fma_f64 v[140:141], v[54:55], v[14:15], -v[132:133]
	ds_read_b128 v[132:135], v130 offset:1472
	v_mul_f64 v[54:55], v[54:55], v[16:17]
	v_fmac_f64_e32 v[54:55], v[56:57], v[14:15]
	v_add_f64 v[136:137], v[136:137], -v[54:55]
	ds_read_b128 v[54:57], v130 offset:1456
	v_add_f64 v[138:139], v[138:139], -v[140:141]
	s_waitcnt lgkmcnt(1)
	v_mul_f64 v[140:141], v[134:135], v[20:21]
	v_fma_f64 v[140:141], v[132:133], v[18:19], -v[140:141]
	v_mul_f64 v[132:133], v[132:133], v[20:21]
	v_fmac_f64_e32 v[132:133], v[134:135], v[18:19]
	v_add_f64 v[136:137], v[136:137], -v[132:133]
	s_waitcnt lgkmcnt(0)
	v_mul_f64 v[132:133], v[56:57], v[24:25]
	v_add_f64 v[138:139], v[138:139], -v[140:141]
	v_fma_f64 v[140:141], v[54:55], v[22:23], -v[132:133]
	ds_read_b128 v[132:135], v130 offset:1440
	v_mul_f64 v[54:55], v[54:55], v[24:25]
	v_fmac_f64_e32 v[54:55], v[56:57], v[22:23]
	v_add_f64 v[136:137], v[136:137], -v[54:55]
	ds_read_b128 v[54:57], v130 offset:1424
	v_add_f64 v[138:139], v[138:139], -v[140:141]
	;; [unrolled: 16-line block ×11, first 2 shown]
	s_waitcnt lgkmcnt(1)
	v_mul_f64 v[140:141], v[134:135], v[120:121]
	v_fma_f64 v[140:141], v[132:133], v[118:119], -v[140:141]
	v_mul_f64 v[132:133], v[132:133], v[120:121]
	v_fmac_f64_e32 v[132:133], v[134:135], v[118:119]
	v_add_f64 v[136:137], v[136:137], -v[132:133]
	s_waitcnt lgkmcnt(0)
	v_mul_f64 v[132:133], v[56:57], v[112:113]
	v_add_f64 v[138:139], v[138:139], -v[140:141]
	v_fma_f64 v[140:141], v[54:55], v[110:111], -v[132:133]
	ds_read_b128 v[132:135], v130 offset:1120
	v_mul_f64 v[54:55], v[54:55], v[112:113]
	v_fmac_f64_e32 v[54:55], v[56:57], v[110:111]
	v_add_f64 v[138:139], v[138:139], -v[140:141]
	v_add_f64 v[136:137], v[136:137], -v[54:55]
	s_waitcnt lgkmcnt(0)
	v_mul_f64 v[140:141], v[134:135], v[100:101]
	ds_read_b128 v[54:57], v130 offset:1104
	v_fma_f64 v[140:141], v[132:133], v[98:99], -v[140:141]
	v_mul_f64 v[132:133], v[132:133], v[100:101]
	ds_write_b128 v1, v[66:69] offset:1536
	v_fmac_f64_e32 v[132:133], v[134:135], v[98:99]
	v_add_f64 v[144:145], v[138:139], -v[140:141]
	v_add_f64 v[146:147], v[136:137], -v[132:133]
	ds_read_b128 v[132:135], v130 offset:1056
	ds_read_b128 v[136:139], v130 offset:1072
	;; [unrolled: 1-line block ×3, first 2 shown]
	s_waitcnt lgkmcnt(4)
	v_mul_f64 v[148:149], v[56:57], v[92:93]
	v_fma_f64 v[148:149], v[54:55], v[90:91], -v[148:149]
	v_mul_f64 v[54:55], v[54:55], v[92:93]
	v_fmac_f64_e32 v[54:55], v[56:57], v[90:91]
	v_add_f64 v[56:57], v[144:145], -v[148:149]
	s_waitcnt lgkmcnt(0)
	v_mul_f64 v[144:145], v[142:143], v[80:81]
	v_fma_f64 v[144:145], v[140:141], v[78:79], -v[144:145]
	v_mul_f64 v[140:141], v[140:141], v[80:81]
	v_add_f64 v[54:55], v[146:147], -v[54:55]
	v_fmac_f64_e32 v[140:141], v[142:143], v[78:79]
	v_add_f64 v[54:55], v[54:55], -v[140:141]
	v_mul_f64 v[140:141], v[138:139], v[68:69]
	v_fma_f64 v[140:141], v[136:137], v[66:67], -v[140:141]
	v_mul_f64 v[136:137], v[136:137], v[68:69]
	v_add_f64 v[56:57], v[56:57], -v[144:145]
	v_fmac_f64_e32 v[136:137], v[138:139], v[66:67]
	v_add_f64 v[140:141], v[56:57], -v[140:141]
	v_add_f64 v[56:57], v[54:55], -v[136:137]
	ds_read_b128 v[136:139], v130 offset:1008
	v_mul_f64 v[54:55], v[134:135], v[56:57]
	v_fma_f64 v[54:55], v[132:133], v[140:141], -v[54:55]
	v_mul_f64 v[56:57], v[132:133], v[56:57]
	v_fmac_f64_e32 v[56:57], v[134:135], v[140:141]
	s_waitcnt lgkmcnt(0)
	v_mul_f64 v[132:133], v[138:139], v[8:9]
	v_fma_f64 v[140:141], v[136:137], v[6:7], -v[132:133]
	ds_read_b128 v[132:135], v130 offset:992
	v_mul_f64 v[136:137], v[136:137], v[8:9]
	v_fmac_f64_e32 v[136:137], v[138:139], v[6:7]
	v_add_f64 v[138:139], v[38:39], -v[140:141]
	v_add_f64 v[136:137], v[40:41], -v[136:137]
	ds_read_b128 v[38:41], v130 offset:976
	s_waitcnt lgkmcnt(1)
	v_mul_f64 v[140:141], v[134:135], v[12:13]
	v_fma_f64 v[140:141], v[132:133], v[10:11], -v[140:141]
	v_mul_f64 v[132:133], v[132:133], v[12:13]
	v_fmac_f64_e32 v[132:133], v[134:135], v[10:11]
	v_add_f64 v[136:137], v[136:137], -v[132:133]
	s_waitcnt lgkmcnt(0)
	v_mul_f64 v[132:133], v[40:41], v[16:17]
	v_add_f64 v[138:139], v[138:139], -v[140:141]
	v_fma_f64 v[140:141], v[38:39], v[14:15], -v[132:133]
	ds_read_b128 v[132:135], v130 offset:960
	v_mul_f64 v[38:39], v[38:39], v[16:17]
	v_fmac_f64_e32 v[38:39], v[40:41], v[14:15]
	v_add_f64 v[136:137], v[136:137], -v[38:39]
	ds_read_b128 v[38:41], v130 offset:944
	v_add_f64 v[138:139], v[138:139], -v[140:141]
	s_waitcnt lgkmcnt(1)
	v_mul_f64 v[140:141], v[134:135], v[20:21]
	v_fma_f64 v[140:141], v[132:133], v[18:19], -v[140:141]
	v_mul_f64 v[132:133], v[132:133], v[20:21]
	v_fmac_f64_e32 v[132:133], v[134:135], v[18:19]
	v_add_f64 v[136:137], v[136:137], -v[132:133]
	s_waitcnt lgkmcnt(0)
	v_mul_f64 v[132:133], v[40:41], v[24:25]
	v_add_f64 v[138:139], v[138:139], -v[140:141]
	v_fma_f64 v[140:141], v[38:39], v[22:23], -v[132:133]
	ds_read_b128 v[132:135], v130 offset:928
	v_mul_f64 v[38:39], v[38:39], v[24:25]
	v_fmac_f64_e32 v[38:39], v[40:41], v[22:23]
	v_add_f64 v[136:137], v[136:137], -v[38:39]
	ds_read_b128 v[38:41], v130 offset:912
	v_add_f64 v[138:139], v[138:139], -v[140:141]
	;; [unrolled: 16-line block ×12, first 2 shown]
	s_waitcnt lgkmcnt(1)
	v_mul_f64 v[140:141], v[134:135], v[100:101]
	v_fma_f64 v[140:141], v[132:133], v[98:99], -v[140:141]
	v_mul_f64 v[132:133], v[132:133], v[100:101]
	v_fmac_f64_e32 v[132:133], v[134:135], v[98:99]
	ds_write_b128 v1, v[54:57] offset:1024
	v_add_f64 v[136:137], v[136:137], -v[132:133]
	s_waitcnt lgkmcnt(1)
	v_mul_f64 v[132:133], v[40:41], v[92:93]
	v_mul_f64 v[142:143], v[38:39], v[92:93]
	v_add_f64 v[138:139], v[138:139], -v[140:141]
	v_fma_f64 v[140:141], v[38:39], v[90:91], -v[132:133]
	v_fmac_f64_e32 v[142:143], v[40:41], v[90:91]
	ds_read_b128 v[38:41], v130 offset:560
	ds_read_b128 v[132:135], v130 offset:576
	v_add_f64 v[144:145], v[138:139], -v[140:141]
	v_add_f64 v[146:147], v[136:137], -v[142:143]
	ds_read_b128 v[136:139], v130 offset:528
	ds_read_b128 v[140:143], v130 offset:544
	s_waitcnt lgkmcnt(2)
	v_mul_f64 v[148:149], v[134:135], v[80:81]
	v_fma_f64 v[148:149], v[132:133], v[78:79], -v[148:149]
	v_mul_f64 v[132:133], v[132:133], v[80:81]
	v_fmac_f64_e32 v[132:133], v[134:135], v[78:79]
	v_add_f64 v[134:135], v[144:145], -v[148:149]
	v_mul_f64 v[144:145], v[40:41], v[68:69]
	v_fma_f64 v[144:145], v[38:39], v[66:67], -v[144:145]
	v_mul_f64 v[38:39], v[38:39], v[68:69]
	v_add_f64 v[132:133], v[146:147], -v[132:133]
	v_fmac_f64_e32 v[38:39], v[40:41], v[66:67]
	v_add_f64 v[40:41], v[134:135], -v[144:145]
	v_add_f64 v[38:39], v[132:133], -v[38:39]
	s_waitcnt lgkmcnt(0)
	v_mul_f64 v[132:133], v[142:143], v[56:57]
	v_mul_f64 v[134:135], v[140:141], v[56:57]
	v_fma_f64 v[132:133], v[140:141], v[54:55], -v[132:133]
	v_fmac_f64_e32 v[134:135], v[142:143], v[54:55]
	v_add_f64 v[140:141], v[40:41], -v[132:133]
	v_add_f64 v[40:41], v[38:39], -v[134:135]
	ds_read_b128 v[132:135], v130 offset:496
	v_mul_f64 v[38:39], v[138:139], v[40:41]
	v_mul_f64 v[40:41], v[136:137], v[40:41]
	v_fma_f64 v[38:39], v[136:137], v[140:141], -v[38:39]
	v_fmac_f64_e32 v[40:41], v[138:139], v[140:141]
	ds_read_b128 v[136:139], v130 offset:480
	s_waitcnt lgkmcnt(1)
	v_mul_f64 v[140:141], v[134:135], v[8:9]
	v_fma_f64 v[140:141], v[132:133], v[6:7], -v[140:141]
	v_mul_f64 v[8:9], v[132:133], v[8:9]
	v_fmac_f64_e32 v[8:9], v[134:135], v[6:7]
	v_add_f64 v[6:7], v[2:3], -v[140:141]
	s_waitcnt lgkmcnt(0)
	v_mul_f64 v[2:3], v[138:139], v[12:13]
	v_add_f64 v[8:9], v[4:5], -v[8:9]
	v_fma_f64 v[132:133], v[136:137], v[10:11], -v[2:3]
	ds_read_b128 v[2:5], v130 offset:464
	v_mul_f64 v[12:13], v[136:137], v[12:13]
	v_fmac_f64_e32 v[12:13], v[138:139], v[10:11]
	v_add_f64 v[10:11], v[6:7], -v[132:133]
	v_add_f64 v[12:13], v[8:9], -v[12:13]
	ds_read_b128 v[6:9], v130 offset:448
	s_waitcnt lgkmcnt(1)
	v_mul_f64 v[132:133], v[4:5], v[16:17]
	v_fma_f64 v[132:133], v[2:3], v[14:15], -v[132:133]
	v_mul_f64 v[2:3], v[2:3], v[16:17]
	v_fmac_f64_e32 v[2:3], v[4:5], v[14:15]
	v_add_f64 v[12:13], v[12:13], -v[2:3]
	s_waitcnt lgkmcnt(0)
	v_mul_f64 v[2:3], v[8:9], v[20:21]
	v_fma_f64 v[14:15], v[6:7], v[18:19], -v[2:3]
	ds_read_b128 v[2:5], v130 offset:432
	v_mul_f64 v[6:7], v[6:7], v[20:21]
	v_fmac_f64_e32 v[6:7], v[8:9], v[18:19]
	v_add_f64 v[12:13], v[12:13], -v[6:7]
	ds_read_b128 v[6:9], v130 offset:416
	v_add_f64 v[10:11], v[10:11], -v[132:133]
	v_add_f64 v[10:11], v[10:11], -v[14:15]
	s_waitcnt lgkmcnt(1)
	v_mul_f64 v[14:15], v[4:5], v[24:25]
	v_fma_f64 v[14:15], v[2:3], v[22:23], -v[14:15]
	v_mul_f64 v[2:3], v[2:3], v[24:25]
	v_fmac_f64_e32 v[2:3], v[4:5], v[22:23]
	v_add_f64 v[12:13], v[12:13], -v[2:3]
	s_waitcnt lgkmcnt(0)
	v_mul_f64 v[2:3], v[8:9], v[28:29]
	v_add_f64 v[10:11], v[10:11], -v[14:15]
	v_fma_f64 v[14:15], v[6:7], v[26:27], -v[2:3]
	ds_read_b128 v[2:5], v130 offset:400
	v_mul_f64 v[6:7], v[6:7], v[28:29]
	v_fmac_f64_e32 v[6:7], v[8:9], v[26:27]
	v_add_f64 v[12:13], v[12:13], -v[6:7]
	ds_read_b128 v[6:9], v130 offset:384
	v_add_f64 v[10:11], v[10:11], -v[14:15]
	s_waitcnt lgkmcnt(1)
	v_mul_f64 v[14:15], v[4:5], v[32:33]
	v_fma_f64 v[14:15], v[2:3], v[30:31], -v[14:15]
	v_mul_f64 v[2:3], v[2:3], v[32:33]
	v_fmac_f64_e32 v[2:3], v[4:5], v[30:31]
	v_add_f64 v[12:13], v[12:13], -v[2:3]
	s_waitcnt lgkmcnt(0)
	v_mul_f64 v[2:3], v[8:9], v[36:37]
	v_add_f64 v[10:11], v[10:11], -v[14:15]
	v_fma_f64 v[14:15], v[6:7], v[34:35], -v[2:3]
	ds_read_b128 v[2:5], v130 offset:368
	v_mul_f64 v[6:7], v[6:7], v[36:37]
	v_fmac_f64_e32 v[6:7], v[8:9], v[34:35]
	v_add_f64 v[12:13], v[12:13], -v[6:7]
	ds_read_b128 v[6:9], v130 offset:352
	;; [unrolled: 16-line block ×11, first 2 shown]
	v_add_f64 v[10:11], v[10:11], -v[14:15]
	s_waitcnt lgkmcnt(1)
	v_mul_f64 v[14:15], v[4:5], v[92:93]
	v_fma_f64 v[14:15], v[2:3], v[90:91], -v[14:15]
	v_mul_f64 v[2:3], v[2:3], v[92:93]
	v_fmac_f64_e32 v[2:3], v[4:5], v[90:91]
	ds_write_b128 v1, v[38:41] offset:512
	v_add_f64 v[12:13], v[12:13], -v[2:3]
	s_waitcnt lgkmcnt(1)
	v_mul_f64 v[2:3], v[8:9], v[80:81]
	v_mul_f64 v[16:17], v[6:7], v[80:81]
	v_add_f64 v[10:11], v[10:11], -v[14:15]
	v_fma_f64 v[14:15], v[6:7], v[78:79], -v[2:3]
	v_fmac_f64_e32 v[16:17], v[8:9], v[78:79]
	ds_read_b128 v[2:5], v130 offset:32
	ds_read_b128 v[6:9], v130 offset:48
	v_add_f64 v[18:19], v[10:11], -v[14:15]
	v_add_f64 v[20:21], v[12:13], -v[16:17]
	ds_read_b128 v[10:13], v130
	ds_read_b128 v[14:17], v130 offset:16
	s_waitcnt lgkmcnt(2)
	v_mul_f64 v[22:23], v[8:9], v[68:69]
	v_fma_f64 v[22:23], v[6:7], v[66:67], -v[22:23]
	v_mul_f64 v[6:7], v[6:7], v[68:69]
	v_fmac_f64_e32 v[6:7], v[8:9], v[66:67]
	v_add_f64 v[8:9], v[18:19], -v[22:23]
	v_mul_f64 v[18:19], v[4:5], v[56:57]
	v_fma_f64 v[18:19], v[2:3], v[54:55], -v[18:19]
	v_mul_f64 v[2:3], v[2:3], v[56:57]
	v_add_f64 v[6:7], v[20:21], -v[6:7]
	v_fmac_f64_e32 v[2:3], v[4:5], v[54:55]
	v_add_f64 v[4:5], v[8:9], -v[18:19]
	v_add_f64 v[2:3], v[6:7], -v[2:3]
	s_waitcnt lgkmcnt(0)
	v_mul_f64 v[6:7], v[16:17], v[40:41]
	v_mul_f64 v[8:9], v[14:15], v[40:41]
	v_fma_f64 v[6:7], v[14:15], v[38:39], -v[6:7]
	v_fmac_f64_e32 v[8:9], v[16:17], v[38:39]
	v_add_f64 v[6:7], v[4:5], -v[6:7]
	v_add_f64 v[4:5], v[2:3], -v[8:9]
	v_mul_f64 v[2:3], v[12:13], v[4:5]
	v_mul_f64 v[4:5], v[10:11], v[4:5]
	v_fma_f64 v[2:3], v[10:11], v[6:7], -v[2:3]
	v_fmac_f64_e32 v[4:5], v[12:13], v[6:7]
	ds_write_b128 v1, v[2:5]
.LBB236_17:
	s_cmp_gt_i32 s5, -1
	s_cbranch_scc0 .LBB236_36
; %bb.18:
	s_cmp_lt_u32 s5, 27
	s_cbranch_scc1 .LBB236_23
; %bb.19:
	s_lshl_b32 s6, s5, 9
	v_add_u32_e32 v118, s6, v1
	v_add_u32_e32 v2, 0xfffffe00, v118
	ds_read_b128 v[114:117], v118
	ds_read_b128 v[18:21], v2
	v_add_u32_e32 v2, 0xfffffc00, v118
	v_add_u32_e32 v3, 0xfffffa00, v118
	ds_read_b128 v[22:25], v2
	ds_read_b128 v[26:29], v3
	;; [unrolled: 4-line block ×14, first 2 shown]
	s_cmp_le_i32 s4, s5
	s_cbranch_scc1 .LBB236_22
; %bb.20:
	v_lshlrev_b32_e32 v14, 4, v0
	s_lshl_b32 s7, s24, 4
	v_lshl_or_b32 v14, s24, 9, v14
	s_add_i32 s7, s6, s7
	v_add_u32_e32 v119, 0x3e00, v14
	s_addk_i32 s7, 0xc9f0
	s_mov_b32 s10, s4
.LBB236_21:                             ; =>This Inner Loop Header: Depth=1
	ds_read_b128 v[14:17], v119
	v_mov_b32_e32 v228, s7
	ds_read_b128 v[120:123], v228 offset:13824
	ds_read_b128 v[124:127], v228 offset:13312
	;; [unrolled: 1-line block ×27, first 2 shown]
	ds_read_b128 v[228:231], v228
	s_add_i32 s10, s10, -1
	s_add_i32 s7, s7, -16
	s_waitcnt lgkmcnt(14)
	v_mul_f64 v[232:233], v[16:17], v[122:123]
	v_mul_f64 v[122:123], v[14:15], v[122:123]
	;; [unrolled: 1-line block ×11, first 2 shown]
	v_fma_f64 v[232:233], v[14:15], v[120:121], -v[232:233]
	v_fmac_f64_e32 v[122:123], v[16:17], v[120:121]
	v_mul_f64 v[120:121], v[14:15], v[142:143]
	v_mul_f64 v[142:143], v[16:17], v[146:147]
	v_fma_f64 v[234:235], v[14:15], v[124:125], -v[234:235]
	v_fmac_f64_e32 v[126:127], v[16:17], v[124:125]
	v_mul_f64 v[124:125], v[14:15], v[146:147]
	v_mul_f64 v[146:147], v[16:17], v[150:151]
	;; [unrolled: 4-line block ×8, first 2 shown]
	v_fma_f64 v[150:151], v[14:15], v[152:153], -v[150:151]
	v_fmac_f64_e32 v[132:133], v[16:17], v[152:153]
	v_mul_f64 v[152:153], v[14:15], v[174:175]
	s_waitcnt lgkmcnt(13)
	v_mul_f64 v[174:175], v[16:17], v[178:179]
	v_fma_f64 v[154:155], v[14:15], v[156:157], -v[154:155]
	v_fmac_f64_e32 v[136:137], v[16:17], v[156:157]
	v_mul_f64 v[156:157], v[14:15], v[178:179]
	s_waitcnt lgkmcnt(12)
	v_mul_f64 v[178:179], v[16:17], v[182:183]
	;; [unrolled: 5-line block ×14, first 2 shown]
	v_fma_f64 v[206:207], v[14:15], v[208:209], -v[206:207]
	v_fmac_f64_e32 v[188:189], v[16:17], v[208:209]
	v_mul_f64 v[208:209], v[14:15], v[230:231]
	v_fma_f64 v[210:211], v[14:15], v[212:213], -v[210:211]
	v_fmac_f64_e32 v[192:193], v[16:17], v[212:213]
	v_fma_f64 v[212:213], v[14:15], v[216:217], -v[214:215]
	v_fmac_f64_e32 v[196:197], v[16:17], v[216:217]
	v_fma_f64 v[214:215], v[14:15], v[220:221], -v[218:219]
	v_fmac_f64_e32 v[200:201], v[16:17], v[220:221]
	v_fma_f64 v[216:217], v[14:15], v[224:225], -v[222:223]
	v_fmac_f64_e32 v[204:205], v[16:17], v[224:225]
	v_fma_f64 v[14:15], v[14:15], v[228:229], -v[226:227]
	v_fmac_f64_e32 v[208:209], v[16:17], v[228:229]
	v_add_u32_e32 v119, 0xfffffe00, v119
	s_cmp_gt_i32 s10, s5
	v_add_f64 v[114:115], v[114:115], -v[232:233]
	v_add_f64 v[116:117], v[116:117], -v[122:123]
	;; [unrolled: 1-line block ×56, first 2 shown]
	s_cbranch_scc1 .LBB236_21
.LBB236_22:
	s_mul_i32 s7, s5, 0x210
	s_add_i32 s11, s5, -1
	v_mov_b32_e32 v14, s7
	s_lshl_b32 s12, s11, 9
	s_lshl_b32 s10, s5, 4
	ds_read_b128 v[120:123], v14
	s_add_i32 s15, s12, s10
	v_mov_b32_e32 v14, s15
	ds_read_b128 v[124:127], v14
	s_lshl_b32 s11, s11, 4
	s_waitcnt lgkmcnt(1)
	v_mul_f64 v[16:17], v[120:121], v[116:117]
	v_mul_f64 v[14:15], v[122:123], v[116:117]
	v_fmac_f64_e32 v[16:17], v[122:123], v[114:115]
	v_fma_f64 v[14:15], v[120:121], v[114:115], -v[14:15]
	s_waitcnt lgkmcnt(0)
	v_mul_f64 v[114:115], v[126:127], v[16:17]
	v_fma_f64 v[114:115], v[124:125], v[14:15], -v[114:115]
	s_add_i32 s11, s12, s11
	v_mul_f64 v[116:117], v[124:125], v[16:17]
	v_add_f64 v[122:123], v[18:19], -v[114:115]
	v_mov_b32_e32 v18, s11
	s_add_i32 s11, s5, -2
	v_fmac_f64_e32 v[116:117], v[126:127], v[14:15]
	s_lshl_b32 s15, s11, 9
	v_add_f64 v[20:21], v[20:21], -v[116:117]
	ds_read_b128 v[114:117], v18
	s_add_i32 s16, s15, s10
	v_mov_b32_e32 v18, s16
	ds_write_b128 v118, v[14:17]
	ds_read_b128 v[118:121], v18
	s_waitcnt lgkmcnt(2)
	v_mul_f64 v[18:19], v[116:117], v[20:21]
	v_mul_f64 v[20:21], v[114:115], v[20:21]
	v_fma_f64 v[18:19], v[114:115], v[122:123], -v[18:19]
	v_fmac_f64_e32 v[20:21], v[116:117], v[122:123]
	v_add_u32_e32 v114, s12, v1
	ds_write_b128 v114, v[18:21]
	s_waitcnt lgkmcnt(1)
	v_mul_f64 v[114:115], v[120:121], v[16:17]
	v_fma_f64 v[114:115], v[118:119], v[14:15], -v[114:115]
	v_mul_f64 v[116:117], v[118:119], v[16:17]
	s_add_i32 s12, s16, -16
	v_fmac_f64_e32 v[116:117], v[120:121], v[14:15]
	v_add_f64 v[118:119], v[22:23], -v[114:115]
	v_mov_b32_e32 v22, s12
	v_add_f64 v[120:121], v[24:25], -v[116:117]
	ds_read_b128 v[22:25], v22
	s_lshl_b32 s11, s11, 4
	s_add_i32 s11, s15, s11
	v_mov_b32_e32 v114, s11
	ds_read_b128 v[114:117], v114
	s_waitcnt lgkmcnt(1)
	v_mul_f64 v[122:123], v[24:25], v[20:21]
	v_fma_f64 v[122:123], v[22:23], v[18:19], -v[122:123]
	v_mul_f64 v[22:23], v[22:23], v[20:21]
	v_fmac_f64_e32 v[22:23], v[24:25], v[18:19]
	v_add_f64 v[24:25], v[120:121], -v[22:23]
	s_add_i32 s11, s5, -3
	v_add_f64 v[118:119], v[118:119], -v[122:123]
	s_waitcnt lgkmcnt(0)
	v_mul_f64 v[22:23], v[116:117], v[24:25]
	v_mul_f64 v[24:25], v[114:115], v[24:25]
	s_lshl_b32 s12, s11, 9
	v_fma_f64 v[22:23], v[114:115], v[118:119], -v[22:23]
	v_fmac_f64_e32 v[24:25], v[116:117], v[118:119]
	v_add_u32_e32 v118, s15, v1
	s_add_i32 s15, s12, s10
	v_mov_b32_e32 v114, s15
	ds_read_b128 v[114:117], v114
	s_add_i32 s16, s15, -16
	ds_write_b128 v118, v[22:25]
	v_mov_b32_e32 v118, s16
	ds_read_b128 v[118:121], v118
	s_waitcnt lgkmcnt(2)
	v_mul_f64 v[122:123], v[116:117], v[16:17]
	v_fma_f64 v[122:123], v[114:115], v[14:15], -v[122:123]
	v_mul_f64 v[114:115], v[114:115], v[16:17]
	v_fmac_f64_e32 v[114:115], v[116:117], v[14:15]
	v_add_f64 v[28:29], v[28:29], -v[114:115]
	s_waitcnt lgkmcnt(0)
	v_mul_f64 v[114:115], v[120:121], v[20:21]
	v_add_f64 v[26:27], v[26:27], -v[122:123]
	v_fma_f64 v[114:115], v[118:119], v[18:19], -v[114:115]
	v_mul_f64 v[116:117], v[118:119], v[20:21]
	s_sub_i32 s15, s15, 32
	v_fmac_f64_e32 v[116:117], v[120:121], v[18:19]
	v_add_f64 v[118:119], v[26:27], -v[114:115]
	v_mov_b32_e32 v26, s15
	v_add_f64 v[120:121], v[28:29], -v[116:117]
	ds_read_b128 v[26:29], v26
	s_lshl_b32 s11, s11, 4
	s_add_i32 s11, s12, s11
	v_mov_b32_e32 v114, s11
	ds_read_b128 v[114:117], v114
	s_waitcnt lgkmcnt(1)
	v_mul_f64 v[122:123], v[28:29], v[24:25]
	v_fma_f64 v[122:123], v[26:27], v[22:23], -v[122:123]
	v_mul_f64 v[26:27], v[26:27], v[24:25]
	v_fmac_f64_e32 v[26:27], v[28:29], v[22:23]
	v_add_f64 v[28:29], v[120:121], -v[26:27]
	v_add_f64 v[118:119], v[118:119], -v[122:123]
	s_waitcnt lgkmcnt(0)
	v_mul_f64 v[26:27], v[116:117], v[28:29]
	v_mul_f64 v[28:29], v[114:115], v[28:29]
	s_add_i32 s11, s5, -4
	v_fma_f64 v[26:27], v[114:115], v[118:119], -v[26:27]
	v_fmac_f64_e32 v[28:29], v[116:117], v[118:119]
	v_add_u32_e32 v118, s12, v1
	s_lshl_b32 s12, s11, 9
	s_add_i32 s15, s12, s10
	v_mov_b32_e32 v114, s15
	ds_read_b128 v[114:117], v114
	s_add_i32 s16, s15, -16
	ds_write_b128 v118, v[26:29]
	v_mov_b32_e32 v118, s16
	ds_read_b128 v[118:121], v118
	s_waitcnt lgkmcnt(2)
	v_mul_f64 v[122:123], v[116:117], v[16:17]
	v_fma_f64 v[122:123], v[114:115], v[14:15], -v[122:123]
	v_mul_f64 v[114:115], v[114:115], v[16:17]
	v_fmac_f64_e32 v[114:115], v[116:117], v[14:15]
	v_add_f64 v[114:115], v[32:33], -v[114:115]
	s_waitcnt lgkmcnt(0)
	v_mul_f64 v[32:33], v[120:121], v[20:21]
	v_add_f64 v[30:31], v[30:31], -v[122:123]
	v_fma_f64 v[32:33], v[118:119], v[18:19], -v[32:33]
	s_sub_i32 s16, s15, 32
	v_mul_f64 v[116:117], v[118:119], v[20:21]
	v_add_f64 v[118:119], v[30:31], -v[32:33]
	v_mov_b32_e32 v30, s16
	v_fmac_f64_e32 v[116:117], v[120:121], v[18:19]
	ds_read_b128 v[30:33], v30
	s_sub_i32 s15, s15, 48
	v_add_f64 v[120:121], v[114:115], -v[116:117]
	v_mov_b32_e32 v114, s15
	ds_read_b128 v[114:117], v114
	s_waitcnt lgkmcnt(1)
	v_mul_f64 v[122:123], v[32:33], v[24:25]
	v_fma_f64 v[122:123], v[30:31], v[22:23], -v[122:123]
	v_mul_f64 v[30:31], v[30:31], v[24:25]
	v_fmac_f64_e32 v[30:31], v[32:33], v[22:23]
	v_add_f64 v[32:33], v[118:119], -v[122:123]
	s_waitcnt lgkmcnt(0)
	v_mul_f64 v[118:119], v[116:117], v[28:29]
	v_fma_f64 v[118:119], v[114:115], v[26:27], -v[118:119]
	v_mul_f64 v[114:115], v[114:115], v[28:29]
	s_lshl_b32 s11, s11, 4
	v_add_f64 v[30:31], v[120:121], -v[30:31]
	v_fmac_f64_e32 v[114:115], v[116:117], v[26:27]
	s_add_i32 s11, s12, s11
	v_add_f64 v[122:123], v[32:33], -v[118:119]
	v_add_f64 v[32:33], v[30:31], -v[114:115]
	v_mov_b32_e32 v30, s11
	s_add_i32 s11, s5, -5
	s_lshl_b32 s15, s11, 9
	ds_read_b128 v[114:117], v30
	s_add_i32 s16, s15, s10
	v_mov_b32_e32 v30, s16
	ds_read_b128 v[118:121], v30
	s_lshl_b32 s11, s11, 4
	s_waitcnt lgkmcnt(1)
	v_mul_f64 v[30:31], v[116:117], v[32:33]
	v_mul_f64 v[32:33], v[114:115], v[32:33]
	v_fma_f64 v[30:31], v[114:115], v[122:123], -v[30:31]
	v_fmac_f64_e32 v[32:33], v[116:117], v[122:123]
	v_add_u32_e32 v114, s12, v1
	ds_write_b128 v114, v[30:33]
	s_waitcnt lgkmcnt(1)
	v_mul_f64 v[114:115], v[120:121], v[16:17]
	v_fma_f64 v[114:115], v[118:119], v[14:15], -v[114:115]
	v_mul_f64 v[118:119], v[118:119], v[16:17]
	s_add_i32 s12, s16, -16
	v_fmac_f64_e32 v[118:119], v[120:121], v[14:15]
	v_add_f64 v[120:121], v[34:35], -v[114:115]
	v_mov_b32_e32 v34, s12
	ds_read_b128 v[114:117], v34
	s_sub_i32 s12, s16, 32
	v_mov_b32_e32 v34, s12
	v_add_f64 v[118:119], v[36:37], -v[118:119]
	ds_read_b128 v[34:37], v34
	s_waitcnt lgkmcnt(1)
	v_mul_f64 v[122:123], v[116:117], v[20:21]
	v_fma_f64 v[122:123], v[114:115], v[18:19], -v[122:123]
	v_mul_f64 v[114:115], v[114:115], v[20:21]
	v_fmac_f64_e32 v[114:115], v[116:117], v[18:19]
	v_add_f64 v[114:115], v[118:119], -v[114:115]
	s_waitcnt lgkmcnt(0)
	v_mul_f64 v[118:119], v[36:37], v[24:25]
	s_sub_i32 s12, s16, 48
	v_add_f64 v[116:117], v[120:121], -v[122:123]
	v_fma_f64 v[118:119], v[34:35], v[22:23], -v[118:119]
	v_mul_f64 v[120:121], v[34:35], v[24:25]
	v_mov_b32_e32 v34, s12
	v_fmac_f64_e32 v[120:121], v[36:37], v[22:23]
	ds_read_b128 v[34:37], v34
	s_sub_i32 s12, s16, 64
	v_add_f64 v[120:121], v[114:115], -v[120:121]
	v_mov_b32_e32 v114, s12
	v_add_f64 v[118:119], v[116:117], -v[118:119]
	ds_read_b128 v[114:117], v114
	s_waitcnt lgkmcnt(1)
	v_mul_f64 v[122:123], v[36:37], v[28:29]
	v_fma_f64 v[122:123], v[34:35], v[26:27], -v[122:123]
	v_mul_f64 v[34:35], v[34:35], v[28:29]
	v_fmac_f64_e32 v[34:35], v[36:37], v[26:27]
	v_add_f64 v[36:37], v[118:119], -v[122:123]
	s_waitcnt lgkmcnt(0)
	v_mul_f64 v[118:119], v[116:117], v[32:33]
	v_fma_f64 v[118:119], v[114:115], v[30:31], -v[118:119]
	v_mul_f64 v[114:115], v[114:115], v[32:33]
	v_add_f64 v[34:35], v[120:121], -v[34:35]
	v_fmac_f64_e32 v[114:115], v[116:117], v[30:31]
	s_add_i32 s11, s15, s11
	v_add_f64 v[122:123], v[36:37], -v[118:119]
	v_add_f64 v[36:37], v[34:35], -v[114:115]
	v_mov_b32_e32 v34, s11
	s_add_i32 s11, s5, -6
	s_lshl_b32 s12, s11, 9
	ds_read_b128 v[114:117], v34
	s_add_i32 s16, s12, s10
	v_mov_b32_e32 v34, s16
	ds_read_b128 v[118:121], v34
	s_lshl_b32 s11, s11, 4
	s_waitcnt lgkmcnt(1)
	v_mul_f64 v[34:35], v[116:117], v[36:37]
	v_mul_f64 v[36:37], v[114:115], v[36:37]
	v_fma_f64 v[34:35], v[114:115], v[122:123], -v[34:35]
	v_fmac_f64_e32 v[36:37], v[116:117], v[122:123]
	v_add_u32_e32 v114, s15, v1
	ds_write_b128 v114, v[34:37]
	s_waitcnt lgkmcnt(1)
	v_mul_f64 v[114:115], v[120:121], v[16:17]
	v_fma_f64 v[114:115], v[118:119], v[14:15], -v[114:115]
	v_mul_f64 v[118:119], v[118:119], v[16:17]
	s_add_i32 s15, s16, -16
	v_fmac_f64_e32 v[118:119], v[120:121], v[14:15]
	v_add_f64 v[120:121], v[38:39], -v[114:115]
	v_mov_b32_e32 v38, s15
	ds_read_b128 v[114:117], v38
	s_sub_i32 s15, s16, 32
	v_mov_b32_e32 v38, s15
	v_add_f64 v[118:119], v[40:41], -v[118:119]
	ds_read_b128 v[38:41], v38
	s_waitcnt lgkmcnt(1)
	v_mul_f64 v[122:123], v[116:117], v[20:21]
	v_fma_f64 v[122:123], v[114:115], v[18:19], -v[122:123]
	v_mul_f64 v[114:115], v[114:115], v[20:21]
	v_fmac_f64_e32 v[114:115], v[116:117], v[18:19]
	v_add_f64 v[114:115], v[118:119], -v[114:115]
	s_waitcnt lgkmcnt(0)
	v_mul_f64 v[118:119], v[40:41], v[24:25]
	s_sub_i32 s15, s16, 48
	v_add_f64 v[116:117], v[120:121], -v[122:123]
	v_fma_f64 v[118:119], v[38:39], v[22:23], -v[118:119]
	v_mul_f64 v[120:121], v[38:39], v[24:25]
	v_mov_b32_e32 v38, s15
	v_fmac_f64_e32 v[120:121], v[40:41], v[22:23]
	ds_read_b128 v[38:41], v38
	s_sub_i32 s15, s16, 64
	v_add_f64 v[120:121], v[114:115], -v[120:121]
	v_mov_b32_e32 v114, s15
	v_add_f64 v[118:119], v[116:117], -v[118:119]
	ds_read_b128 v[114:117], v114
	s_waitcnt lgkmcnt(1)
	v_mul_f64 v[122:123], v[40:41], v[28:29]
	v_fma_f64 v[122:123], v[38:39], v[26:27], -v[122:123]
	v_mul_f64 v[38:39], v[38:39], v[28:29]
	v_fmac_f64_e32 v[38:39], v[40:41], v[26:27]
	v_add_f64 v[40:41], v[118:119], -v[122:123]
	s_waitcnt lgkmcnt(0)
	v_mul_f64 v[118:119], v[116:117], v[32:33]
	v_fma_f64 v[118:119], v[114:115], v[30:31], -v[118:119]
	v_mul_f64 v[114:115], v[114:115], v[32:33]
	v_add_f64 v[38:39], v[120:121], -v[38:39]
	v_fmac_f64_e32 v[114:115], v[116:117], v[30:31]
	s_add_i32 s15, s16, 0xffffffb0
	v_add_f64 v[120:121], v[38:39], -v[114:115]
	v_mov_b32_e32 v38, s15
	v_add_f64 v[118:119], v[40:41], -v[118:119]
	ds_read_b128 v[38:41], v38
	s_add_i32 s11, s12, s11
	v_mov_b32_e32 v114, s11
	ds_read_b128 v[114:117], v114
	s_add_i32 s11, s5, -7
	s_waitcnt lgkmcnt(1)
	v_mul_f64 v[122:123], v[40:41], v[36:37]
	v_fma_f64 v[122:123], v[38:39], v[34:35], -v[122:123]
	v_mul_f64 v[38:39], v[38:39], v[36:37]
	v_fmac_f64_e32 v[38:39], v[40:41], v[34:35]
	v_add_f64 v[40:41], v[120:121], -v[38:39]
	v_add_f64 v[118:119], v[118:119], -v[122:123]
	s_waitcnt lgkmcnt(0)
	v_mul_f64 v[38:39], v[116:117], v[40:41]
	v_mul_f64 v[40:41], v[114:115], v[40:41]
	v_fma_f64 v[38:39], v[114:115], v[118:119], -v[38:39]
	v_fmac_f64_e32 v[40:41], v[116:117], v[118:119]
	v_add_u32_e32 v118, s12, v1
	s_lshl_b32 s12, s11, 9
	s_add_i32 s15, s12, s10
	v_mov_b32_e32 v114, s15
	ds_read_b128 v[114:117], v114
	s_add_i32 s16, s15, -16
	ds_write_b128 v118, v[38:41]
	v_mov_b32_e32 v118, s16
	ds_read_b128 v[118:121], v118
	s_waitcnt lgkmcnt(2)
	v_mul_f64 v[122:123], v[116:117], v[16:17]
	v_fma_f64 v[122:123], v[114:115], v[14:15], -v[122:123]
	v_mul_f64 v[114:115], v[114:115], v[16:17]
	v_fmac_f64_e32 v[114:115], v[116:117], v[14:15]
	v_add_f64 v[114:115], v[48:49], -v[114:115]
	s_waitcnt lgkmcnt(0)
	v_mul_f64 v[48:49], v[120:121], v[20:21]
	v_add_f64 v[46:47], v[46:47], -v[122:123]
	v_fma_f64 v[48:49], v[118:119], v[18:19], -v[48:49]
	s_sub_i32 s16, s15, 32
	v_mul_f64 v[116:117], v[118:119], v[20:21]
	v_add_f64 v[118:119], v[46:47], -v[48:49]
	v_mov_b32_e32 v46, s16
	ds_read_b128 v[46:49], v46
	v_fmac_f64_e32 v[116:117], v[120:121], v[18:19]
	s_sub_i32 s16, s15, 48
	v_add_f64 v[120:121], v[114:115], -v[116:117]
	v_mov_b32_e32 v114, s16
	ds_read_b128 v[114:117], v114
	s_waitcnt lgkmcnt(1)
	v_mul_f64 v[122:123], v[48:49], v[24:25]
	v_fma_f64 v[122:123], v[46:47], v[22:23], -v[122:123]
	v_mul_f64 v[46:47], v[46:47], v[24:25]
	v_fmac_f64_e32 v[46:47], v[48:49], v[22:23]
	v_add_f64 v[48:49], v[118:119], -v[122:123]
	v_add_f64 v[118:119], v[120:121], -v[46:47]
	s_waitcnt lgkmcnt(0)
	v_mul_f64 v[46:47], v[116:117], v[28:29]
	v_fma_f64 v[46:47], v[114:115], v[26:27], -v[46:47]
	s_sub_i32 s16, s15, 64
	v_add_f64 v[120:121], v[48:49], -v[46:47]
	v_mov_b32_e32 v46, s16
	v_mul_f64 v[114:115], v[114:115], v[28:29]
	ds_read_b128 v[46:49], v46
	v_fmac_f64_e32 v[114:115], v[116:117], v[26:27]
	s_add_i32 s16, s15, 0xffffffb0
	v_add_f64 v[118:119], v[118:119], -v[114:115]
	v_mov_b32_e32 v114, s16
	ds_read_b128 v[114:117], v114
	s_waitcnt lgkmcnt(1)
	v_mul_f64 v[122:123], v[48:49], v[32:33]
	v_fma_f64 v[122:123], v[46:47], v[30:31], -v[122:123]
	v_mul_f64 v[46:47], v[46:47], v[32:33]
	v_fmac_f64_e32 v[46:47], v[48:49], v[30:31]
	v_add_f64 v[46:47], v[118:119], -v[46:47]
	s_waitcnt lgkmcnt(0)
	v_mul_f64 v[118:119], v[116:117], v[36:37]
	v_fma_f64 v[118:119], v[114:115], v[34:35], -v[118:119]
	v_mul_f64 v[114:115], v[114:115], v[36:37]
	v_fmac_f64_e32 v[114:115], v[116:117], v[34:35]
	s_addk_i32 s15, 0xffa0
	v_add_f64 v[48:49], v[120:121], -v[122:123]
	v_add_f64 v[120:121], v[46:47], -v[114:115]
	v_mov_b32_e32 v46, s15
	v_add_f64 v[118:119], v[48:49], -v[118:119]
	ds_read_b128 v[46:49], v46
	s_lshl_b32 s11, s11, 4
	s_add_i32 s11, s12, s11
	v_mov_b32_e32 v114, s11
	ds_read_b128 v[114:117], v114
	s_waitcnt lgkmcnt(1)
	v_mul_f64 v[122:123], v[48:49], v[40:41]
	v_fma_f64 v[122:123], v[46:47], v[38:39], -v[122:123]
	v_mul_f64 v[46:47], v[46:47], v[40:41]
	v_fmac_f64_e32 v[46:47], v[48:49], v[38:39]
	v_add_f64 v[48:49], v[120:121], -v[46:47]
	v_add_f64 v[118:119], v[118:119], -v[122:123]
	s_waitcnt lgkmcnt(0)
	v_mul_f64 v[46:47], v[116:117], v[48:49]
	v_mul_f64 v[48:49], v[114:115], v[48:49]
	s_add_i32 s11, s5, -8
	v_fma_f64 v[46:47], v[114:115], v[118:119], -v[46:47]
	v_fmac_f64_e32 v[48:49], v[116:117], v[118:119]
	v_add_u32_e32 v118, s12, v1
	s_lshl_b32 s12, s11, 9
	s_add_i32 s15, s12, s10
	v_mov_b32_e32 v114, s15
	ds_read_b128 v[114:117], v114
	s_add_i32 s16, s15, -16
	ds_write_b128 v118, v[46:49]
	v_mov_b32_e32 v118, s16
	ds_read_b128 v[118:121], v118
	s_waitcnt lgkmcnt(2)
	v_mul_f64 v[122:123], v[116:117], v[16:17]
	v_fma_f64 v[122:123], v[114:115], v[14:15], -v[122:123]
	v_mul_f64 v[114:115], v[114:115], v[16:17]
	v_fmac_f64_e32 v[114:115], v[116:117], v[14:15]
	v_add_f64 v[114:115], v[52:53], -v[114:115]
	s_waitcnt lgkmcnt(0)
	v_mul_f64 v[52:53], v[120:121], v[20:21]
	v_add_f64 v[50:51], v[50:51], -v[122:123]
	v_fma_f64 v[52:53], v[118:119], v[18:19], -v[52:53]
	s_sub_i32 s16, s15, 32
	v_mul_f64 v[116:117], v[118:119], v[20:21]
	v_add_f64 v[118:119], v[50:51], -v[52:53]
	v_mov_b32_e32 v50, s16
	ds_read_b128 v[50:53], v50
	v_fmac_f64_e32 v[116:117], v[120:121], v[18:19]
	s_sub_i32 s16, s15, 48
	v_add_f64 v[120:121], v[114:115], -v[116:117]
	v_mov_b32_e32 v114, s16
	ds_read_b128 v[114:117], v114
	s_waitcnt lgkmcnt(1)
	v_mul_f64 v[122:123], v[52:53], v[24:25]
	v_fma_f64 v[122:123], v[50:51], v[22:23], -v[122:123]
	v_mul_f64 v[50:51], v[50:51], v[24:25]
	v_fmac_f64_e32 v[50:51], v[52:53], v[22:23]
	v_add_f64 v[52:53], v[118:119], -v[122:123]
	v_add_f64 v[118:119], v[120:121], -v[50:51]
	s_waitcnt lgkmcnt(0)
	v_mul_f64 v[50:51], v[116:117], v[28:29]
	v_fma_f64 v[50:51], v[114:115], v[26:27], -v[50:51]
	s_sub_i32 s16, s15, 64
	v_add_f64 v[120:121], v[52:53], -v[50:51]
	v_mov_b32_e32 v50, s16
	v_mul_f64 v[114:115], v[114:115], v[28:29]
	ds_read_b128 v[50:53], v50
	v_fmac_f64_e32 v[114:115], v[116:117], v[26:27]
	s_add_i32 s16, s15, 0xffffffb0
	v_add_f64 v[118:119], v[118:119], -v[114:115]
	v_mov_b32_e32 v114, s16
	ds_read_b128 v[114:117], v114
	s_waitcnt lgkmcnt(1)
	v_mul_f64 v[122:123], v[52:53], v[32:33]
	v_fma_f64 v[122:123], v[50:51], v[30:31], -v[122:123]
	v_mul_f64 v[50:51], v[50:51], v[32:33]
	v_fmac_f64_e32 v[50:51], v[52:53], v[30:31]
	v_add_f64 v[118:119], v[118:119], -v[50:51]
	s_waitcnt lgkmcnt(0)
	v_mul_f64 v[50:51], v[116:117], v[36:37]
	v_add_f64 v[52:53], v[120:121], -v[122:123]
	v_fma_f64 v[50:51], v[114:115], v[34:35], -v[50:51]
	s_add_i32 s16, s15, 0xffffffa0
	v_add_f64 v[120:121], v[52:53], -v[50:51]
	v_mov_b32_e32 v50, s16
	v_mul_f64 v[114:115], v[114:115], v[36:37]
	ds_read_b128 v[50:53], v50
	v_fmac_f64_e32 v[114:115], v[116:117], v[34:35]
	s_addk_i32 s15, 0xff90
	v_add_f64 v[118:119], v[118:119], -v[114:115]
	v_mov_b32_e32 v114, s15
	ds_read_b128 v[114:117], v114
	s_waitcnt lgkmcnt(1)
	v_mul_f64 v[122:123], v[52:53], v[40:41]
	v_fma_f64 v[122:123], v[50:51], v[38:39], -v[122:123]
	v_mul_f64 v[50:51], v[50:51], v[40:41]
	v_fmac_f64_e32 v[50:51], v[52:53], v[38:39]
	v_add_f64 v[50:51], v[118:119], -v[50:51]
	s_waitcnt lgkmcnt(0)
	v_mul_f64 v[118:119], v[116:117], v[48:49]
	v_fma_f64 v[118:119], v[114:115], v[46:47], -v[118:119]
	v_mul_f64 v[114:115], v[114:115], v[48:49]
	s_lshl_b32 s11, s11, 4
	v_add_f64 v[52:53], v[120:121], -v[122:123]
	v_fmac_f64_e32 v[114:115], v[116:117], v[46:47]
	s_add_i32 s11, s12, s11
	v_add_f64 v[122:123], v[52:53], -v[118:119]
	v_add_f64 v[52:53], v[50:51], -v[114:115]
	v_mov_b32_e32 v50, s11
	s_add_i32 s11, s5, -9
	s_lshl_b32 s15, s11, 9
	ds_read_b128 v[114:117], v50
	s_add_i32 s16, s15, s10
	v_mov_b32_e32 v50, s16
	ds_read_b128 v[118:121], v50
	s_lshl_b32 s11, s11, 4
	s_waitcnt lgkmcnt(1)
	v_mul_f64 v[50:51], v[116:117], v[52:53]
	v_mul_f64 v[52:53], v[114:115], v[52:53]
	v_fma_f64 v[50:51], v[114:115], v[122:123], -v[50:51]
	v_fmac_f64_e32 v[52:53], v[116:117], v[122:123]
	v_add_u32_e32 v114, s12, v1
	ds_write_b128 v114, v[50:53]
	s_waitcnt lgkmcnt(1)
	v_mul_f64 v[114:115], v[120:121], v[16:17]
	v_fma_f64 v[114:115], v[118:119], v[14:15], -v[114:115]
	v_mul_f64 v[118:119], v[118:119], v[16:17]
	s_add_i32 s12, s16, -16
	v_fmac_f64_e32 v[118:119], v[120:121], v[14:15]
	v_add_f64 v[120:121], v[58:59], -v[114:115]
	v_mov_b32_e32 v58, s12
	ds_read_b128 v[114:117], v58
	s_sub_i32 s12, s16, 32
	v_mov_b32_e32 v58, s12
	v_add_f64 v[118:119], v[60:61], -v[118:119]
	ds_read_b128 v[58:61], v58
	s_waitcnt lgkmcnt(1)
	v_mul_f64 v[122:123], v[116:117], v[20:21]
	v_fma_f64 v[122:123], v[114:115], v[18:19], -v[122:123]
	v_mul_f64 v[114:115], v[114:115], v[20:21]
	v_fmac_f64_e32 v[114:115], v[116:117], v[18:19]
	v_add_f64 v[114:115], v[118:119], -v[114:115]
	s_waitcnt lgkmcnt(0)
	v_mul_f64 v[118:119], v[60:61], v[24:25]
	s_sub_i32 s12, s16, 48
	v_add_f64 v[116:117], v[120:121], -v[122:123]
	v_fma_f64 v[118:119], v[58:59], v[22:23], -v[118:119]
	v_mul_f64 v[120:121], v[58:59], v[24:25]
	v_mov_b32_e32 v58, s12
	v_fmac_f64_e32 v[120:121], v[60:61], v[22:23]
	ds_read_b128 v[58:61], v58
	s_sub_i32 s12, s16, 64
	v_add_f64 v[120:121], v[114:115], -v[120:121]
	v_mov_b32_e32 v114, s12
	v_add_f64 v[118:119], v[116:117], -v[118:119]
	ds_read_b128 v[114:117], v114
	s_waitcnt lgkmcnt(1)
	v_mul_f64 v[122:123], v[60:61], v[28:29]
	v_fma_f64 v[122:123], v[58:59], v[26:27], -v[122:123]
	v_mul_f64 v[58:59], v[58:59], v[28:29]
	v_fmac_f64_e32 v[58:59], v[60:61], v[26:27]
	v_add_f64 v[60:61], v[118:119], -v[122:123]
	v_add_f64 v[118:119], v[120:121], -v[58:59]
	s_waitcnt lgkmcnt(0)
	v_mul_f64 v[58:59], v[116:117], v[32:33]
	v_fma_f64 v[58:59], v[114:115], v[30:31], -v[58:59]
	s_add_i32 s12, s16, 0xffffffb0
	v_add_f64 v[120:121], v[60:61], -v[58:59]
	v_mov_b32_e32 v58, s12
	v_mul_f64 v[114:115], v[114:115], v[32:33]
	ds_read_b128 v[58:61], v58
	v_fmac_f64_e32 v[114:115], v[116:117], v[30:31]
	s_add_i32 s12, s16, 0xffffffa0
	v_add_f64 v[118:119], v[118:119], -v[114:115]
	v_mov_b32_e32 v114, s12
	ds_read_b128 v[114:117], v114
	s_waitcnt lgkmcnt(1)
	v_mul_f64 v[122:123], v[60:61], v[36:37]
	v_fma_f64 v[122:123], v[58:59], v[34:35], -v[122:123]
	v_mul_f64 v[58:59], v[58:59], v[36:37]
	v_fmac_f64_e32 v[58:59], v[60:61], v[34:35]
	v_add_f64 v[118:119], v[118:119], -v[58:59]
	s_waitcnt lgkmcnt(0)
	v_mul_f64 v[58:59], v[116:117], v[40:41]
	v_add_f64 v[60:61], v[120:121], -v[122:123]
	v_fma_f64 v[58:59], v[114:115], v[38:39], -v[58:59]
	s_add_i32 s12, s16, 0xffffff90
	v_add_f64 v[120:121], v[60:61], -v[58:59]
	v_mov_b32_e32 v58, s12
	v_mul_f64 v[114:115], v[114:115], v[40:41]
	ds_read_b128 v[58:61], v58
	v_fmac_f64_e32 v[114:115], v[116:117], v[38:39]
	s_add_i32 s12, s16, 0xffffff80
	v_add_f64 v[118:119], v[118:119], -v[114:115]
	v_mov_b32_e32 v114, s12
	ds_read_b128 v[114:117], v114
	s_waitcnt lgkmcnt(1)
	v_mul_f64 v[122:123], v[60:61], v[48:49]
	v_fma_f64 v[122:123], v[58:59], v[46:47], -v[122:123]
	v_mul_f64 v[58:59], v[58:59], v[48:49]
	v_fmac_f64_e32 v[58:59], v[60:61], v[46:47]
	v_add_f64 v[58:59], v[118:119], -v[58:59]
	s_waitcnt lgkmcnt(0)
	v_mul_f64 v[118:119], v[116:117], v[52:53]
	v_fma_f64 v[118:119], v[114:115], v[50:51], -v[118:119]
	v_mul_f64 v[114:115], v[114:115], v[52:53]
	v_add_f64 v[60:61], v[120:121], -v[122:123]
	v_fmac_f64_e32 v[114:115], v[116:117], v[50:51]
	s_add_i32 s11, s15, s11
	v_add_f64 v[122:123], v[60:61], -v[118:119]
	v_add_f64 v[60:61], v[58:59], -v[114:115]
	v_mov_b32_e32 v58, s11
	s_add_i32 s11, s5, -10
	s_lshl_b32 s12, s11, 9
	ds_read_b128 v[114:117], v58
	s_add_i32 s16, s12, s10
	v_mov_b32_e32 v58, s16
	ds_read_b128 v[118:121], v58
	s_lshl_b32 s11, s11, 4
	s_waitcnt lgkmcnt(1)
	v_mul_f64 v[58:59], v[116:117], v[60:61]
	v_mul_f64 v[60:61], v[114:115], v[60:61]
	v_fma_f64 v[58:59], v[114:115], v[122:123], -v[58:59]
	v_fmac_f64_e32 v[60:61], v[116:117], v[122:123]
	v_add_u32_e32 v114, s15, v1
	ds_write_b128 v114, v[58:61]
	s_waitcnt lgkmcnt(1)
	v_mul_f64 v[114:115], v[120:121], v[16:17]
	v_fma_f64 v[114:115], v[118:119], v[14:15], -v[114:115]
	v_mul_f64 v[118:119], v[118:119], v[16:17]
	s_add_i32 s15, s16, -16
	v_fmac_f64_e32 v[118:119], v[120:121], v[14:15]
	v_add_f64 v[120:121], v[62:63], -v[114:115]
	v_mov_b32_e32 v62, s15
	ds_read_b128 v[114:117], v62
	s_sub_i32 s15, s16, 32
	v_mov_b32_e32 v62, s15
	v_add_f64 v[118:119], v[64:65], -v[118:119]
	ds_read_b128 v[62:65], v62
	s_waitcnt lgkmcnt(1)
	v_mul_f64 v[122:123], v[116:117], v[20:21]
	v_fma_f64 v[122:123], v[114:115], v[18:19], -v[122:123]
	v_mul_f64 v[114:115], v[114:115], v[20:21]
	v_fmac_f64_e32 v[114:115], v[116:117], v[18:19]
	v_add_f64 v[114:115], v[118:119], -v[114:115]
	s_waitcnt lgkmcnt(0)
	v_mul_f64 v[118:119], v[64:65], v[24:25]
	s_sub_i32 s15, s16, 48
	v_add_f64 v[116:117], v[120:121], -v[122:123]
	v_fma_f64 v[118:119], v[62:63], v[22:23], -v[118:119]
	v_mul_f64 v[120:121], v[62:63], v[24:25]
	v_mov_b32_e32 v62, s15
	v_fmac_f64_e32 v[120:121], v[64:65], v[22:23]
	ds_read_b128 v[62:65], v62
	s_sub_i32 s15, s16, 64
	v_add_f64 v[120:121], v[114:115], -v[120:121]
	v_mov_b32_e32 v114, s15
	v_add_f64 v[118:119], v[116:117], -v[118:119]
	ds_read_b128 v[114:117], v114
	s_waitcnt lgkmcnt(1)
	v_mul_f64 v[122:123], v[64:65], v[28:29]
	v_fma_f64 v[122:123], v[62:63], v[26:27], -v[122:123]
	v_mul_f64 v[62:63], v[62:63], v[28:29]
	v_fmac_f64_e32 v[62:63], v[64:65], v[26:27]
	v_add_f64 v[64:65], v[118:119], -v[122:123]
	v_add_f64 v[118:119], v[120:121], -v[62:63]
	s_waitcnt lgkmcnt(0)
	v_mul_f64 v[62:63], v[116:117], v[32:33]
	v_fma_f64 v[62:63], v[114:115], v[30:31], -v[62:63]
	s_add_i32 s15, s16, 0xffffffb0
	v_add_f64 v[120:121], v[64:65], -v[62:63]
	v_mov_b32_e32 v62, s15
	v_mul_f64 v[114:115], v[114:115], v[32:33]
	ds_read_b128 v[62:65], v62
	v_fmac_f64_e32 v[114:115], v[116:117], v[30:31]
	s_add_i32 s15, s16, 0xffffffa0
	v_add_f64 v[118:119], v[118:119], -v[114:115]
	v_mov_b32_e32 v114, s15
	ds_read_b128 v[114:117], v114
	s_waitcnt lgkmcnt(1)
	v_mul_f64 v[122:123], v[64:65], v[36:37]
	v_fma_f64 v[122:123], v[62:63], v[34:35], -v[122:123]
	v_mul_f64 v[62:63], v[62:63], v[36:37]
	v_fmac_f64_e32 v[62:63], v[64:65], v[34:35]
	v_add_f64 v[118:119], v[118:119], -v[62:63]
	s_waitcnt lgkmcnt(0)
	v_mul_f64 v[62:63], v[116:117], v[40:41]
	v_add_f64 v[64:65], v[120:121], -v[122:123]
	v_fma_f64 v[62:63], v[114:115], v[38:39], -v[62:63]
	s_add_i32 s15, s16, 0xffffff90
	v_add_f64 v[120:121], v[64:65], -v[62:63]
	v_mov_b32_e32 v62, s15
	v_mul_f64 v[114:115], v[114:115], v[40:41]
	ds_read_b128 v[62:65], v62
	v_fmac_f64_e32 v[114:115], v[116:117], v[38:39]
	s_add_i32 s15, s16, 0xffffff80
	v_add_f64 v[118:119], v[118:119], -v[114:115]
	v_mov_b32_e32 v114, s15
	ds_read_b128 v[114:117], v114
	s_waitcnt lgkmcnt(1)
	v_mul_f64 v[122:123], v[64:65], v[48:49]
	v_fma_f64 v[122:123], v[62:63], v[46:47], -v[122:123]
	v_mul_f64 v[62:63], v[62:63], v[48:49]
	v_fmac_f64_e32 v[62:63], v[64:65], v[46:47]
	v_add_f64 v[62:63], v[118:119], -v[62:63]
	s_waitcnt lgkmcnt(0)
	v_mul_f64 v[118:119], v[116:117], v[52:53]
	v_fma_f64 v[118:119], v[114:115], v[50:51], -v[118:119]
	v_mul_f64 v[114:115], v[114:115], v[52:53]
	v_fmac_f64_e32 v[114:115], v[116:117], v[50:51]
	s_add_i32 s15, s16, 0xffffff70
	v_add_f64 v[64:65], v[120:121], -v[122:123]
	v_add_f64 v[120:121], v[62:63], -v[114:115]
	v_mov_b32_e32 v62, s15
	v_add_f64 v[118:119], v[64:65], -v[118:119]
	ds_read_b128 v[62:65], v62
	s_add_i32 s11, s12, s11
	v_mov_b32_e32 v114, s11
	ds_read_b128 v[114:117], v114
	s_waitcnt lgkmcnt(1)
	v_mul_f64 v[122:123], v[64:65], v[60:61]
	v_fma_f64 v[122:123], v[62:63], v[58:59], -v[122:123]
	v_mul_f64 v[62:63], v[62:63], v[60:61]
	v_fmac_f64_e32 v[62:63], v[64:65], v[58:59]
	v_add_f64 v[64:65], v[120:121], -v[62:63]
	v_add_f64 v[118:119], v[118:119], -v[122:123]
	s_waitcnt lgkmcnt(0)
	v_mul_f64 v[62:63], v[116:117], v[64:65]
	v_mul_f64 v[64:65], v[114:115], v[64:65]
	v_fma_f64 v[62:63], v[114:115], v[118:119], -v[62:63]
	v_fmac_f64_e32 v[64:65], v[116:117], v[118:119]
	v_add_u32_e32 v118, s12, v1
	s_add_i32 s12, s5, -11
	s_lshl_b32 s11, s12, 9
	s_add_i32 s15, s11, s10
	v_mov_b32_e32 v114, s15
	ds_read_b128 v[114:117], v114
	s_add_i32 s16, s15, -16
	ds_write_b128 v118, v[62:65]
	v_mov_b32_e32 v118, s16
	ds_read_b128 v[118:121], v118
	s_waitcnt lgkmcnt(2)
	v_mul_f64 v[122:123], v[116:117], v[16:17]
	v_fma_f64 v[122:123], v[114:115], v[14:15], -v[122:123]
	v_mul_f64 v[114:115], v[114:115], v[16:17]
	v_fmac_f64_e32 v[114:115], v[116:117], v[14:15]
	v_add_f64 v[114:115], v[68:69], -v[114:115]
	s_waitcnt lgkmcnt(0)
	v_mul_f64 v[68:69], v[120:121], v[20:21]
	v_add_f64 v[66:67], v[66:67], -v[122:123]
	v_fma_f64 v[68:69], v[118:119], v[18:19], -v[68:69]
	s_sub_i32 s16, s15, 32
	v_mul_f64 v[116:117], v[118:119], v[20:21]
	v_add_f64 v[118:119], v[66:67], -v[68:69]
	v_mov_b32_e32 v66, s16
	ds_read_b128 v[66:69], v66
	v_fmac_f64_e32 v[116:117], v[120:121], v[18:19]
	s_sub_i32 s16, s15, 48
	v_add_f64 v[120:121], v[114:115], -v[116:117]
	v_mov_b32_e32 v114, s16
	ds_read_b128 v[114:117], v114
	s_waitcnt lgkmcnt(1)
	v_mul_f64 v[122:123], v[68:69], v[24:25]
	v_fma_f64 v[122:123], v[66:67], v[22:23], -v[122:123]
	v_mul_f64 v[66:67], v[66:67], v[24:25]
	v_fmac_f64_e32 v[66:67], v[68:69], v[22:23]
	v_add_f64 v[68:69], v[118:119], -v[122:123]
	v_add_f64 v[118:119], v[120:121], -v[66:67]
	s_waitcnt lgkmcnt(0)
	v_mul_f64 v[66:67], v[116:117], v[28:29]
	v_fma_f64 v[66:67], v[114:115], v[26:27], -v[66:67]
	s_sub_i32 s16, s15, 64
	v_add_f64 v[120:121], v[68:69], -v[66:67]
	v_mov_b32_e32 v66, s16
	v_mul_f64 v[114:115], v[114:115], v[28:29]
	ds_read_b128 v[66:69], v66
	v_fmac_f64_e32 v[114:115], v[116:117], v[26:27]
	s_add_i32 s16, s15, 0xffffffb0
	v_add_f64 v[118:119], v[118:119], -v[114:115]
	v_mov_b32_e32 v114, s16
	ds_read_b128 v[114:117], v114
	s_waitcnt lgkmcnt(1)
	v_mul_f64 v[122:123], v[68:69], v[32:33]
	v_fma_f64 v[122:123], v[66:67], v[30:31], -v[122:123]
	v_mul_f64 v[66:67], v[66:67], v[32:33]
	v_fmac_f64_e32 v[66:67], v[68:69], v[30:31]
	v_add_f64 v[118:119], v[118:119], -v[66:67]
	s_waitcnt lgkmcnt(0)
	v_mul_f64 v[66:67], v[116:117], v[36:37]
	v_add_f64 v[68:69], v[120:121], -v[122:123]
	v_fma_f64 v[66:67], v[114:115], v[34:35], -v[66:67]
	s_add_i32 s16, s15, 0xffffffa0
	v_add_f64 v[120:121], v[68:69], -v[66:67]
	v_mov_b32_e32 v66, s16
	v_mul_f64 v[114:115], v[114:115], v[36:37]
	ds_read_b128 v[66:69], v66
	v_fmac_f64_e32 v[114:115], v[116:117], v[34:35]
	s_add_i32 s16, s15, 0xffffff90
	v_add_f64 v[118:119], v[118:119], -v[114:115]
	v_mov_b32_e32 v114, s16
	ds_read_b128 v[114:117], v114
	s_waitcnt lgkmcnt(1)
	v_mul_f64 v[122:123], v[68:69], v[40:41]
	v_fma_f64 v[122:123], v[66:67], v[38:39], -v[122:123]
	v_mul_f64 v[66:67], v[66:67], v[40:41]
	v_fmac_f64_e32 v[66:67], v[68:69], v[38:39]
	v_add_f64 v[118:119], v[118:119], -v[66:67]
	s_waitcnt lgkmcnt(0)
	v_mul_f64 v[66:67], v[116:117], v[48:49]
	v_add_f64 v[68:69], v[120:121], -v[122:123]
	v_fma_f64 v[66:67], v[114:115], v[46:47], -v[66:67]
	s_add_i32 s16, s15, 0xffffff80
	v_add_f64 v[120:121], v[68:69], -v[66:67]
	v_mov_b32_e32 v66, s16
	v_mul_f64 v[114:115], v[114:115], v[48:49]
	ds_read_b128 v[66:69], v66
	v_fmac_f64_e32 v[114:115], v[116:117], v[46:47]
	s_add_i32 s16, s15, 0xffffff70
	v_add_f64 v[118:119], v[118:119], -v[114:115]
	v_mov_b32_e32 v114, s16
	ds_read_b128 v[114:117], v114
	s_waitcnt lgkmcnt(1)
	v_mul_f64 v[122:123], v[68:69], v[52:53]
	v_fma_f64 v[122:123], v[66:67], v[50:51], -v[122:123]
	v_mul_f64 v[66:67], v[66:67], v[52:53]
	v_fmac_f64_e32 v[66:67], v[68:69], v[50:51]
	v_add_f64 v[66:67], v[118:119], -v[66:67]
	s_waitcnt lgkmcnt(0)
	v_mul_f64 v[118:119], v[116:117], v[60:61]
	v_fma_f64 v[118:119], v[114:115], v[58:59], -v[118:119]
	v_mul_f64 v[114:115], v[114:115], v[60:61]
	v_fmac_f64_e32 v[114:115], v[116:117], v[58:59]
	s_addk_i32 s15, 0xff60
	v_add_f64 v[68:69], v[120:121], -v[122:123]
	v_add_f64 v[120:121], v[66:67], -v[114:115]
	v_mov_b32_e32 v66, s15
	v_add_f64 v[118:119], v[68:69], -v[118:119]
	ds_read_b128 v[66:69], v66
	s_lshl_b32 s12, s12, 4
	s_add_i32 s12, s11, s12
	v_mov_b32_e32 v114, s12
	ds_read_b128 v[114:117], v114
	s_waitcnt lgkmcnt(1)
	v_mul_f64 v[122:123], v[68:69], v[64:65]
	v_fma_f64 v[122:123], v[66:67], v[62:63], -v[122:123]
	v_mul_f64 v[66:67], v[66:67], v[64:65]
	v_fmac_f64_e32 v[66:67], v[68:69], v[62:63]
	v_add_f64 v[68:69], v[120:121], -v[66:67]
	v_add_f64 v[118:119], v[118:119], -v[122:123]
	s_waitcnt lgkmcnt(0)
	v_mul_f64 v[66:67], v[116:117], v[68:69]
	v_mul_f64 v[68:69], v[114:115], v[68:69]
	s_add_i32 s12, s5, -12
	v_fma_f64 v[66:67], v[114:115], v[118:119], -v[66:67]
	v_fmac_f64_e32 v[68:69], v[116:117], v[118:119]
	v_add_u32_e32 v118, s11, v1
	s_lshl_b32 s11, s12, 9
	s_add_i32 s15, s11, s10
	v_mov_b32_e32 v114, s15
	ds_read_b128 v[114:117], v114
	s_add_i32 s16, s15, -16
	ds_write_b128 v118, v[66:69]
	v_mov_b32_e32 v118, s16
	ds_read_b128 v[118:121], v118
	s_waitcnt lgkmcnt(2)
	v_mul_f64 v[122:123], v[116:117], v[16:17]
	v_fma_f64 v[122:123], v[114:115], v[14:15], -v[122:123]
	v_mul_f64 v[114:115], v[114:115], v[16:17]
	v_fmac_f64_e32 v[114:115], v[116:117], v[14:15]
	v_add_f64 v[114:115], v[76:77], -v[114:115]
	s_waitcnt lgkmcnt(0)
	v_mul_f64 v[76:77], v[120:121], v[20:21]
	v_add_f64 v[74:75], v[74:75], -v[122:123]
	v_fma_f64 v[76:77], v[118:119], v[18:19], -v[76:77]
	s_sub_i32 s16, s15, 32
	v_mul_f64 v[116:117], v[118:119], v[20:21]
	v_add_f64 v[118:119], v[74:75], -v[76:77]
	v_mov_b32_e32 v74, s16
	ds_read_b128 v[74:77], v74
	v_fmac_f64_e32 v[116:117], v[120:121], v[18:19]
	s_sub_i32 s16, s15, 48
	v_add_f64 v[120:121], v[114:115], -v[116:117]
	v_mov_b32_e32 v114, s16
	ds_read_b128 v[114:117], v114
	s_waitcnt lgkmcnt(1)
	v_mul_f64 v[122:123], v[76:77], v[24:25]
	v_fma_f64 v[122:123], v[74:75], v[22:23], -v[122:123]
	v_mul_f64 v[74:75], v[74:75], v[24:25]
	v_fmac_f64_e32 v[74:75], v[76:77], v[22:23]
	v_add_f64 v[76:77], v[118:119], -v[122:123]
	v_add_f64 v[118:119], v[120:121], -v[74:75]
	s_waitcnt lgkmcnt(0)
	v_mul_f64 v[74:75], v[116:117], v[28:29]
	v_fma_f64 v[74:75], v[114:115], v[26:27], -v[74:75]
	s_sub_i32 s16, s15, 64
	v_add_f64 v[120:121], v[76:77], -v[74:75]
	v_mov_b32_e32 v74, s16
	v_mul_f64 v[114:115], v[114:115], v[28:29]
	ds_read_b128 v[74:77], v74
	v_fmac_f64_e32 v[114:115], v[116:117], v[26:27]
	s_add_i32 s16, s15, 0xffffffb0
	v_add_f64 v[118:119], v[118:119], -v[114:115]
	v_mov_b32_e32 v114, s16
	ds_read_b128 v[114:117], v114
	s_waitcnt lgkmcnt(1)
	v_mul_f64 v[122:123], v[76:77], v[32:33]
	v_fma_f64 v[122:123], v[74:75], v[30:31], -v[122:123]
	v_mul_f64 v[74:75], v[74:75], v[32:33]
	v_fmac_f64_e32 v[74:75], v[76:77], v[30:31]
	v_add_f64 v[118:119], v[118:119], -v[74:75]
	s_waitcnt lgkmcnt(0)
	v_mul_f64 v[74:75], v[116:117], v[36:37]
	v_add_f64 v[76:77], v[120:121], -v[122:123]
	v_fma_f64 v[74:75], v[114:115], v[34:35], -v[74:75]
	s_add_i32 s16, s15, 0xffffffa0
	v_add_f64 v[120:121], v[76:77], -v[74:75]
	v_mov_b32_e32 v74, s16
	v_mul_f64 v[114:115], v[114:115], v[36:37]
	ds_read_b128 v[74:77], v74
	v_fmac_f64_e32 v[114:115], v[116:117], v[34:35]
	s_add_i32 s16, s15, 0xffffff90
	v_add_f64 v[118:119], v[118:119], -v[114:115]
	v_mov_b32_e32 v114, s16
	ds_read_b128 v[114:117], v114
	s_waitcnt lgkmcnt(1)
	v_mul_f64 v[122:123], v[76:77], v[40:41]
	v_fma_f64 v[122:123], v[74:75], v[38:39], -v[122:123]
	v_mul_f64 v[74:75], v[74:75], v[40:41]
	v_fmac_f64_e32 v[74:75], v[76:77], v[38:39]
	v_add_f64 v[118:119], v[118:119], -v[74:75]
	s_waitcnt lgkmcnt(0)
	v_mul_f64 v[74:75], v[116:117], v[48:49]
	v_add_f64 v[76:77], v[120:121], -v[122:123]
	v_fma_f64 v[74:75], v[114:115], v[46:47], -v[74:75]
	s_add_i32 s16, s15, 0xffffff80
	;; [unrolled: 20-line block ×3, first 2 shown]
	v_add_f64 v[120:121], v[76:77], -v[74:75]
	v_mov_b32_e32 v74, s16
	v_mul_f64 v[114:115], v[114:115], v[60:61]
	ds_read_b128 v[74:77], v74
	v_fmac_f64_e32 v[114:115], v[116:117], v[58:59]
	s_addk_i32 s15, 0xff50
	v_add_f64 v[118:119], v[118:119], -v[114:115]
	v_mov_b32_e32 v114, s15
	ds_read_b128 v[114:117], v114
	s_waitcnt lgkmcnt(1)
	v_mul_f64 v[122:123], v[76:77], v[64:65]
	v_fma_f64 v[122:123], v[74:75], v[62:63], -v[122:123]
	v_mul_f64 v[74:75], v[74:75], v[64:65]
	v_fmac_f64_e32 v[74:75], v[76:77], v[62:63]
	v_add_f64 v[74:75], v[118:119], -v[74:75]
	s_waitcnt lgkmcnt(0)
	v_mul_f64 v[118:119], v[116:117], v[68:69]
	v_fma_f64 v[118:119], v[114:115], v[66:67], -v[118:119]
	v_mul_f64 v[114:115], v[114:115], v[68:69]
	s_lshl_b32 s12, s12, 4
	v_add_f64 v[76:77], v[120:121], -v[122:123]
	v_fmac_f64_e32 v[114:115], v[116:117], v[66:67]
	s_add_i32 s12, s11, s12
	s_add_i32 s15, s5, -13
	v_add_f64 v[122:123], v[76:77], -v[118:119]
	v_add_f64 v[76:77], v[74:75], -v[114:115]
	v_mov_b32_e32 v74, s12
	s_lshl_b32 s12, s15, 9
	ds_read_b128 v[114:117], v74
	s_add_i32 s16, s12, s10
	v_mov_b32_e32 v74, s16
	ds_read_b128 v[118:121], v74
	s_waitcnt lgkmcnt(1)
	v_mul_f64 v[74:75], v[116:117], v[76:77]
	v_mul_f64 v[76:77], v[114:115], v[76:77]
	v_fma_f64 v[74:75], v[114:115], v[122:123], -v[74:75]
	v_fmac_f64_e32 v[76:77], v[116:117], v[122:123]
	v_add_u32_e32 v114, s11, v1
	ds_write_b128 v114, v[74:77]
	s_waitcnt lgkmcnt(1)
	v_mul_f64 v[114:115], v[120:121], v[16:17]
	v_fma_f64 v[114:115], v[118:119], v[14:15], -v[114:115]
	v_mul_f64 v[118:119], v[118:119], v[16:17]
	s_add_i32 s11, s16, -16
	v_fmac_f64_e32 v[118:119], v[120:121], v[14:15]
	v_add_f64 v[120:121], v[82:83], -v[114:115]
	v_mov_b32_e32 v82, s11
	ds_read_b128 v[114:117], v82
	s_sub_i32 s11, s16, 32
	v_mov_b32_e32 v82, s11
	v_add_f64 v[118:119], v[84:85], -v[118:119]
	ds_read_b128 v[82:85], v82
	s_waitcnt lgkmcnt(1)
	v_mul_f64 v[122:123], v[116:117], v[20:21]
	v_fma_f64 v[122:123], v[114:115], v[18:19], -v[122:123]
	v_mul_f64 v[114:115], v[114:115], v[20:21]
	v_fmac_f64_e32 v[114:115], v[116:117], v[18:19]
	v_add_f64 v[114:115], v[118:119], -v[114:115]
	s_waitcnt lgkmcnt(0)
	v_mul_f64 v[118:119], v[84:85], v[24:25]
	s_sub_i32 s11, s16, 48
	v_add_f64 v[116:117], v[120:121], -v[122:123]
	v_fma_f64 v[118:119], v[82:83], v[22:23], -v[118:119]
	v_mul_f64 v[120:121], v[82:83], v[24:25]
	v_mov_b32_e32 v82, s11
	v_fmac_f64_e32 v[120:121], v[84:85], v[22:23]
	ds_read_b128 v[82:85], v82
	s_sub_i32 s11, s16, 64
	v_add_f64 v[120:121], v[114:115], -v[120:121]
	v_mov_b32_e32 v114, s11
	v_add_f64 v[118:119], v[116:117], -v[118:119]
	ds_read_b128 v[114:117], v114
	s_waitcnt lgkmcnt(1)
	v_mul_f64 v[122:123], v[84:85], v[28:29]
	v_fma_f64 v[122:123], v[82:83], v[26:27], -v[122:123]
	v_mul_f64 v[82:83], v[82:83], v[28:29]
	v_fmac_f64_e32 v[82:83], v[84:85], v[26:27]
	v_add_f64 v[84:85], v[118:119], -v[122:123]
	v_add_f64 v[118:119], v[120:121], -v[82:83]
	s_waitcnt lgkmcnt(0)
	v_mul_f64 v[82:83], v[116:117], v[32:33]
	v_fma_f64 v[82:83], v[114:115], v[30:31], -v[82:83]
	s_add_i32 s11, s16, 0xffffffb0
	v_add_f64 v[120:121], v[84:85], -v[82:83]
	v_mov_b32_e32 v82, s11
	v_mul_f64 v[114:115], v[114:115], v[32:33]
	ds_read_b128 v[82:85], v82
	v_fmac_f64_e32 v[114:115], v[116:117], v[30:31]
	s_add_i32 s11, s16, 0xffffffa0
	v_add_f64 v[118:119], v[118:119], -v[114:115]
	v_mov_b32_e32 v114, s11
	ds_read_b128 v[114:117], v114
	s_waitcnt lgkmcnt(1)
	v_mul_f64 v[122:123], v[84:85], v[36:37]
	v_fma_f64 v[122:123], v[82:83], v[34:35], -v[122:123]
	v_mul_f64 v[82:83], v[82:83], v[36:37]
	v_fmac_f64_e32 v[82:83], v[84:85], v[34:35]
	v_add_f64 v[118:119], v[118:119], -v[82:83]
	s_waitcnt lgkmcnt(0)
	v_mul_f64 v[82:83], v[116:117], v[40:41]
	v_add_f64 v[84:85], v[120:121], -v[122:123]
	v_fma_f64 v[82:83], v[114:115], v[38:39], -v[82:83]
	s_add_i32 s11, s16, 0xffffff90
	v_add_f64 v[120:121], v[84:85], -v[82:83]
	v_mov_b32_e32 v82, s11
	v_mul_f64 v[114:115], v[114:115], v[40:41]
	ds_read_b128 v[82:85], v82
	v_fmac_f64_e32 v[114:115], v[116:117], v[38:39]
	s_add_i32 s11, s16, 0xffffff80
	v_add_f64 v[118:119], v[118:119], -v[114:115]
	v_mov_b32_e32 v114, s11
	ds_read_b128 v[114:117], v114
	s_waitcnt lgkmcnt(1)
	v_mul_f64 v[122:123], v[84:85], v[48:49]
	v_fma_f64 v[122:123], v[82:83], v[46:47], -v[122:123]
	v_mul_f64 v[82:83], v[82:83], v[48:49]
	v_fmac_f64_e32 v[82:83], v[84:85], v[46:47]
	v_add_f64 v[118:119], v[118:119], -v[82:83]
	s_waitcnt lgkmcnt(0)
	v_mul_f64 v[82:83], v[116:117], v[52:53]
	v_add_f64 v[84:85], v[120:121], -v[122:123]
	;; [unrolled: 20-line block ×3, first 2 shown]
	v_fma_f64 v[82:83], v[114:115], v[62:63], -v[82:83]
	s_add_i32 s11, s16, 0xffffff50
	v_add_f64 v[120:121], v[84:85], -v[82:83]
	v_mov_b32_e32 v82, s11
	v_mul_f64 v[114:115], v[114:115], v[64:65]
	ds_read_b128 v[82:85], v82
	v_fmac_f64_e32 v[114:115], v[116:117], v[62:63]
	s_add_i32 s11, s16, 0xffffff40
	v_add_f64 v[118:119], v[118:119], -v[114:115]
	v_mov_b32_e32 v114, s11
	ds_read_b128 v[114:117], v114
	s_waitcnt lgkmcnt(1)
	v_mul_f64 v[122:123], v[84:85], v[68:69]
	v_fma_f64 v[122:123], v[82:83], v[66:67], -v[122:123]
	v_mul_f64 v[82:83], v[82:83], v[68:69]
	v_fmac_f64_e32 v[82:83], v[84:85], v[66:67]
	v_add_f64 v[82:83], v[118:119], -v[82:83]
	s_waitcnt lgkmcnt(0)
	v_mul_f64 v[118:119], v[116:117], v[76:77]
	v_fma_f64 v[118:119], v[114:115], v[74:75], -v[118:119]
	v_mul_f64 v[114:115], v[114:115], v[76:77]
	s_lshl_b32 s11, s15, 4
	v_add_f64 v[84:85], v[120:121], -v[122:123]
	v_fmac_f64_e32 v[114:115], v[116:117], v[74:75]
	s_add_i32 s11, s12, s11
	s_add_i32 s15, s5, -14
	v_add_f64 v[122:123], v[84:85], -v[118:119]
	v_add_f64 v[84:85], v[82:83], -v[114:115]
	v_mov_b32_e32 v82, s11
	s_lshl_b32 s11, s15, 9
	ds_read_b128 v[114:117], v82
	s_add_i32 s16, s11, s10
	v_mov_b32_e32 v82, s16
	ds_read_b128 v[118:121], v82
	s_waitcnt lgkmcnt(1)
	v_mul_f64 v[82:83], v[116:117], v[84:85]
	v_mul_f64 v[84:85], v[114:115], v[84:85]
	v_fma_f64 v[82:83], v[114:115], v[122:123], -v[82:83]
	v_fmac_f64_e32 v[84:85], v[116:117], v[122:123]
	v_add_u32_e32 v114, s12, v1
	ds_write_b128 v114, v[82:85]
	s_waitcnt lgkmcnt(1)
	v_mul_f64 v[114:115], v[120:121], v[16:17]
	v_fma_f64 v[114:115], v[118:119], v[14:15], -v[114:115]
	v_mul_f64 v[118:119], v[118:119], v[16:17]
	s_add_i32 s12, s16, -16
	v_fmac_f64_e32 v[118:119], v[120:121], v[14:15]
	v_add_f64 v[120:121], v[86:87], -v[114:115]
	v_mov_b32_e32 v86, s12
	ds_read_b128 v[114:117], v86
	s_sub_i32 s12, s16, 32
	v_mov_b32_e32 v86, s12
	v_add_f64 v[118:119], v[88:89], -v[118:119]
	ds_read_b128 v[86:89], v86
	s_waitcnt lgkmcnt(1)
	v_mul_f64 v[122:123], v[116:117], v[20:21]
	v_fma_f64 v[122:123], v[114:115], v[18:19], -v[122:123]
	v_mul_f64 v[114:115], v[114:115], v[20:21]
	v_fmac_f64_e32 v[114:115], v[116:117], v[18:19]
	v_add_f64 v[114:115], v[118:119], -v[114:115]
	s_waitcnt lgkmcnt(0)
	v_mul_f64 v[118:119], v[88:89], v[24:25]
	s_sub_i32 s12, s16, 48
	v_add_f64 v[116:117], v[120:121], -v[122:123]
	v_fma_f64 v[118:119], v[86:87], v[22:23], -v[118:119]
	v_mul_f64 v[120:121], v[86:87], v[24:25]
	v_mov_b32_e32 v86, s12
	v_fmac_f64_e32 v[120:121], v[88:89], v[22:23]
	ds_read_b128 v[86:89], v86
	s_sub_i32 s12, s16, 64
	v_add_f64 v[120:121], v[114:115], -v[120:121]
	v_mov_b32_e32 v114, s12
	v_add_f64 v[118:119], v[116:117], -v[118:119]
	ds_read_b128 v[114:117], v114
	s_waitcnt lgkmcnt(1)
	v_mul_f64 v[122:123], v[88:89], v[28:29]
	v_fma_f64 v[122:123], v[86:87], v[26:27], -v[122:123]
	v_mul_f64 v[86:87], v[86:87], v[28:29]
	v_fmac_f64_e32 v[86:87], v[88:89], v[26:27]
	v_add_f64 v[88:89], v[118:119], -v[122:123]
	v_add_f64 v[118:119], v[120:121], -v[86:87]
	s_waitcnt lgkmcnt(0)
	v_mul_f64 v[86:87], v[116:117], v[32:33]
	v_fma_f64 v[86:87], v[114:115], v[30:31], -v[86:87]
	s_add_i32 s12, s16, 0xffffffb0
	v_add_f64 v[120:121], v[88:89], -v[86:87]
	v_mov_b32_e32 v86, s12
	v_mul_f64 v[114:115], v[114:115], v[32:33]
	ds_read_b128 v[86:89], v86
	v_fmac_f64_e32 v[114:115], v[116:117], v[30:31]
	s_add_i32 s12, s16, 0xffffffa0
	v_add_f64 v[118:119], v[118:119], -v[114:115]
	v_mov_b32_e32 v114, s12
	ds_read_b128 v[114:117], v114
	s_waitcnt lgkmcnt(1)
	v_mul_f64 v[122:123], v[88:89], v[36:37]
	v_fma_f64 v[122:123], v[86:87], v[34:35], -v[122:123]
	v_mul_f64 v[86:87], v[86:87], v[36:37]
	v_fmac_f64_e32 v[86:87], v[88:89], v[34:35]
	v_add_f64 v[118:119], v[118:119], -v[86:87]
	s_waitcnt lgkmcnt(0)
	v_mul_f64 v[86:87], v[116:117], v[40:41]
	v_add_f64 v[88:89], v[120:121], -v[122:123]
	v_fma_f64 v[86:87], v[114:115], v[38:39], -v[86:87]
	s_add_i32 s12, s16, 0xffffff90
	v_add_f64 v[120:121], v[88:89], -v[86:87]
	v_mov_b32_e32 v86, s12
	v_mul_f64 v[114:115], v[114:115], v[40:41]
	ds_read_b128 v[86:89], v86
	v_fmac_f64_e32 v[114:115], v[116:117], v[38:39]
	s_add_i32 s12, s16, 0xffffff80
	v_add_f64 v[118:119], v[118:119], -v[114:115]
	v_mov_b32_e32 v114, s12
	ds_read_b128 v[114:117], v114
	s_waitcnt lgkmcnt(1)
	v_mul_f64 v[122:123], v[88:89], v[48:49]
	v_fma_f64 v[122:123], v[86:87], v[46:47], -v[122:123]
	v_mul_f64 v[86:87], v[86:87], v[48:49]
	v_fmac_f64_e32 v[86:87], v[88:89], v[46:47]
	v_add_f64 v[118:119], v[118:119], -v[86:87]
	s_waitcnt lgkmcnt(0)
	v_mul_f64 v[86:87], v[116:117], v[52:53]
	v_add_f64 v[88:89], v[120:121], -v[122:123]
	;; [unrolled: 20-line block ×3, first 2 shown]
	v_fma_f64 v[86:87], v[114:115], v[62:63], -v[86:87]
	s_add_i32 s12, s16, 0xffffff50
	v_add_f64 v[120:121], v[88:89], -v[86:87]
	v_mov_b32_e32 v86, s12
	v_mul_f64 v[114:115], v[114:115], v[64:65]
	ds_read_b128 v[86:89], v86
	v_fmac_f64_e32 v[114:115], v[116:117], v[62:63]
	s_add_i32 s12, s16, 0xffffff40
	v_add_f64 v[118:119], v[118:119], -v[114:115]
	v_mov_b32_e32 v114, s12
	ds_read_b128 v[114:117], v114
	s_waitcnt lgkmcnt(1)
	v_mul_f64 v[122:123], v[88:89], v[68:69]
	v_fma_f64 v[122:123], v[86:87], v[66:67], -v[122:123]
	v_mul_f64 v[86:87], v[86:87], v[68:69]
	v_fmac_f64_e32 v[86:87], v[88:89], v[66:67]
	v_add_f64 v[86:87], v[118:119], -v[86:87]
	s_waitcnt lgkmcnt(0)
	v_mul_f64 v[118:119], v[116:117], v[76:77]
	v_fma_f64 v[118:119], v[114:115], v[74:75], -v[118:119]
	v_mul_f64 v[114:115], v[114:115], v[76:77]
	v_fmac_f64_e32 v[114:115], v[116:117], v[74:75]
	s_add_i32 s12, s16, 0xffffff30
	v_add_f64 v[88:89], v[120:121], -v[122:123]
	v_add_f64 v[120:121], v[86:87], -v[114:115]
	v_mov_b32_e32 v86, s12
	v_add_f64 v[118:119], v[88:89], -v[118:119]
	ds_read_b128 v[86:89], v86
	s_lshl_b32 s12, s15, 4
	s_add_i32 s12, s11, s12
	v_mov_b32_e32 v114, s12
	ds_read_b128 v[114:117], v114
	s_waitcnt lgkmcnt(1)
	v_mul_f64 v[122:123], v[88:89], v[84:85]
	v_fma_f64 v[122:123], v[86:87], v[82:83], -v[122:123]
	v_mul_f64 v[86:87], v[86:87], v[84:85]
	v_fmac_f64_e32 v[86:87], v[88:89], v[82:83]
	v_add_f64 v[88:89], v[120:121], -v[86:87]
	v_add_f64 v[118:119], v[118:119], -v[122:123]
	s_waitcnt lgkmcnt(0)
	v_mul_f64 v[86:87], v[116:117], v[88:89]
	v_mul_f64 v[88:89], v[114:115], v[88:89]
	s_add_i32 s12, s5, -15
	v_fma_f64 v[86:87], v[114:115], v[118:119], -v[86:87]
	v_fmac_f64_e32 v[88:89], v[116:117], v[118:119]
	v_add_u32_e32 v118, s11, v1
	s_lshl_b32 s11, s12, 9
	s_add_i32 s15, s11, s10
	v_mov_b32_e32 v114, s15
	ds_read_b128 v[114:117], v114
	s_add_i32 s16, s15, -16
	ds_write_b128 v118, v[86:89]
	v_mov_b32_e32 v118, s16
	ds_read_b128 v[118:121], v118
	s_waitcnt lgkmcnt(2)
	v_mul_f64 v[122:123], v[116:117], v[16:17]
	v_fma_f64 v[122:123], v[114:115], v[14:15], -v[122:123]
	v_mul_f64 v[114:115], v[114:115], v[16:17]
	v_fmac_f64_e32 v[114:115], v[116:117], v[14:15]
	v_add_f64 v[114:115], v[96:97], -v[114:115]
	s_waitcnt lgkmcnt(0)
	v_mul_f64 v[96:97], v[120:121], v[20:21]
	v_add_f64 v[94:95], v[94:95], -v[122:123]
	v_fma_f64 v[96:97], v[118:119], v[18:19], -v[96:97]
	s_sub_i32 s16, s15, 32
	v_mul_f64 v[116:117], v[118:119], v[20:21]
	v_add_f64 v[118:119], v[94:95], -v[96:97]
	v_mov_b32_e32 v94, s16
	ds_read_b128 v[94:97], v94
	v_fmac_f64_e32 v[116:117], v[120:121], v[18:19]
	s_sub_i32 s16, s15, 48
	v_add_f64 v[120:121], v[114:115], -v[116:117]
	v_mov_b32_e32 v114, s16
	ds_read_b128 v[114:117], v114
	s_waitcnt lgkmcnt(1)
	v_mul_f64 v[122:123], v[96:97], v[24:25]
	v_fma_f64 v[122:123], v[94:95], v[22:23], -v[122:123]
	v_mul_f64 v[94:95], v[94:95], v[24:25]
	v_fmac_f64_e32 v[94:95], v[96:97], v[22:23]
	v_add_f64 v[96:97], v[118:119], -v[122:123]
	v_add_f64 v[118:119], v[120:121], -v[94:95]
	s_waitcnt lgkmcnt(0)
	v_mul_f64 v[94:95], v[116:117], v[28:29]
	v_fma_f64 v[94:95], v[114:115], v[26:27], -v[94:95]
	s_sub_i32 s16, s15, 64
	v_add_f64 v[120:121], v[96:97], -v[94:95]
	v_mov_b32_e32 v94, s16
	v_mul_f64 v[114:115], v[114:115], v[28:29]
	ds_read_b128 v[94:97], v94
	v_fmac_f64_e32 v[114:115], v[116:117], v[26:27]
	s_add_i32 s16, s15, 0xffffffb0
	v_add_f64 v[118:119], v[118:119], -v[114:115]
	v_mov_b32_e32 v114, s16
	ds_read_b128 v[114:117], v114
	s_waitcnt lgkmcnt(1)
	v_mul_f64 v[122:123], v[96:97], v[32:33]
	v_fma_f64 v[122:123], v[94:95], v[30:31], -v[122:123]
	v_mul_f64 v[94:95], v[94:95], v[32:33]
	v_fmac_f64_e32 v[94:95], v[96:97], v[30:31]
	v_add_f64 v[118:119], v[118:119], -v[94:95]
	s_waitcnt lgkmcnt(0)
	v_mul_f64 v[94:95], v[116:117], v[36:37]
	v_add_f64 v[96:97], v[120:121], -v[122:123]
	v_fma_f64 v[94:95], v[114:115], v[34:35], -v[94:95]
	s_add_i32 s16, s15, 0xffffffa0
	v_add_f64 v[120:121], v[96:97], -v[94:95]
	v_mov_b32_e32 v94, s16
	v_mul_f64 v[114:115], v[114:115], v[36:37]
	ds_read_b128 v[94:97], v94
	v_fmac_f64_e32 v[114:115], v[116:117], v[34:35]
	s_add_i32 s16, s15, 0xffffff90
	v_add_f64 v[118:119], v[118:119], -v[114:115]
	v_mov_b32_e32 v114, s16
	ds_read_b128 v[114:117], v114
	s_waitcnt lgkmcnt(1)
	v_mul_f64 v[122:123], v[96:97], v[40:41]
	v_fma_f64 v[122:123], v[94:95], v[38:39], -v[122:123]
	v_mul_f64 v[94:95], v[94:95], v[40:41]
	v_fmac_f64_e32 v[94:95], v[96:97], v[38:39]
	v_add_f64 v[118:119], v[118:119], -v[94:95]
	s_waitcnt lgkmcnt(0)
	v_mul_f64 v[94:95], v[116:117], v[48:49]
	v_add_f64 v[96:97], v[120:121], -v[122:123]
	v_fma_f64 v[94:95], v[114:115], v[46:47], -v[94:95]
	s_add_i32 s16, s15, 0xffffff80
	v_add_f64 v[120:121], v[96:97], -v[94:95]
	v_mov_b32_e32 v94, s16
	v_mul_f64 v[114:115], v[114:115], v[48:49]
	ds_read_b128 v[94:97], v94
	v_fmac_f64_e32 v[114:115], v[116:117], v[46:47]
	s_add_i32 s16, s15, 0xffffff70
	v_add_f64 v[118:119], v[118:119], -v[114:115]
	v_mov_b32_e32 v114, s16
	ds_read_b128 v[114:117], v114
	s_waitcnt lgkmcnt(1)
	v_mul_f64 v[122:123], v[96:97], v[52:53]
	v_fma_f64 v[122:123], v[94:95], v[50:51], -v[122:123]
	v_mul_f64 v[94:95], v[94:95], v[52:53]
	v_fmac_f64_e32 v[94:95], v[96:97], v[50:51]
	v_add_f64 v[118:119], v[118:119], -v[94:95]
	s_waitcnt lgkmcnt(0)
	v_mul_f64 v[94:95], v[116:117], v[60:61]
	v_add_f64 v[96:97], v[120:121], -v[122:123]
	v_fma_f64 v[94:95], v[114:115], v[58:59], -v[94:95]
	s_add_i32 s16, s15, 0xffffff60
	v_add_f64 v[120:121], v[96:97], -v[94:95]
	v_mov_b32_e32 v94, s16
	v_mul_f64 v[114:115], v[114:115], v[60:61]
	ds_read_b128 v[94:97], v94
	v_fmac_f64_e32 v[114:115], v[116:117], v[58:59]
	s_add_i32 s16, s15, 0xffffff50
	v_add_f64 v[118:119], v[118:119], -v[114:115]
	v_mov_b32_e32 v114, s16
	ds_read_b128 v[114:117], v114
	s_waitcnt lgkmcnt(1)
	v_mul_f64 v[122:123], v[96:97], v[64:65]
	v_fma_f64 v[122:123], v[94:95], v[62:63], -v[122:123]
	v_mul_f64 v[94:95], v[94:95], v[64:65]
	v_fmac_f64_e32 v[94:95], v[96:97], v[62:63]
	v_add_f64 v[118:119], v[118:119], -v[94:95]
	s_waitcnt lgkmcnt(0)
	v_mul_f64 v[94:95], v[116:117], v[68:69]
	v_add_f64 v[96:97], v[120:121], -v[122:123]
	v_fma_f64 v[94:95], v[114:115], v[66:67], -v[94:95]
	s_add_i32 s16, s15, 0xffffff40
	v_add_f64 v[120:121], v[96:97], -v[94:95]
	v_mov_b32_e32 v94, s16
	v_mul_f64 v[114:115], v[114:115], v[68:69]
	ds_read_b128 v[94:97], v94
	v_fmac_f64_e32 v[114:115], v[116:117], v[66:67]
	s_add_i32 s16, s15, 0xffffff30
	v_add_f64 v[118:119], v[118:119], -v[114:115]
	v_mov_b32_e32 v114, s16
	ds_read_b128 v[114:117], v114
	s_waitcnt lgkmcnt(1)
	v_mul_f64 v[122:123], v[96:97], v[76:77]
	v_fma_f64 v[122:123], v[94:95], v[74:75], -v[122:123]
	v_mul_f64 v[94:95], v[94:95], v[76:77]
	v_fmac_f64_e32 v[94:95], v[96:97], v[74:75]
	v_add_f64 v[94:95], v[118:119], -v[94:95]
	s_waitcnt lgkmcnt(0)
	v_mul_f64 v[118:119], v[116:117], v[84:85]
	v_fma_f64 v[118:119], v[114:115], v[82:83], -v[118:119]
	v_mul_f64 v[114:115], v[114:115], v[84:85]
	v_fmac_f64_e32 v[114:115], v[116:117], v[82:83]
	s_addk_i32 s15, 0xff20
	v_add_f64 v[96:97], v[120:121], -v[122:123]
	v_add_f64 v[120:121], v[94:95], -v[114:115]
	v_mov_b32_e32 v94, s15
	v_add_f64 v[118:119], v[96:97], -v[118:119]
	ds_read_b128 v[94:97], v94
	s_lshl_b32 s12, s12, 4
	s_add_i32 s12, s11, s12
	v_mov_b32_e32 v114, s12
	ds_read_b128 v[114:117], v114
	s_waitcnt lgkmcnt(1)
	v_mul_f64 v[122:123], v[96:97], v[88:89]
	v_fma_f64 v[122:123], v[94:95], v[86:87], -v[122:123]
	v_mul_f64 v[94:95], v[94:95], v[88:89]
	v_fmac_f64_e32 v[94:95], v[96:97], v[86:87]
	v_add_f64 v[96:97], v[120:121], -v[94:95]
	v_add_f64 v[118:119], v[118:119], -v[122:123]
	s_waitcnt lgkmcnt(0)
	v_mul_f64 v[94:95], v[116:117], v[96:97]
	v_mul_f64 v[96:97], v[114:115], v[96:97]
	s_add_i32 s12, s5, -16
	v_fma_f64 v[94:95], v[114:115], v[118:119], -v[94:95]
	v_fmac_f64_e32 v[96:97], v[116:117], v[118:119]
	v_add_u32_e32 v118, s11, v1
	s_lshl_b32 s11, s12, 9
	s_add_i32 s15, s11, s10
	v_mov_b32_e32 v114, s15
	ds_read_b128 v[114:117], v114
	s_add_i32 s16, s15, -16
	ds_write_b128 v118, v[94:97]
	v_mov_b32_e32 v118, s16
	ds_read_b128 v[118:121], v118
	s_waitcnt lgkmcnt(2)
	v_mul_f64 v[122:123], v[116:117], v[16:17]
	v_fma_f64 v[122:123], v[114:115], v[14:15], -v[122:123]
	v_mul_f64 v[114:115], v[114:115], v[16:17]
	v_fmac_f64_e32 v[114:115], v[116:117], v[14:15]
	v_add_f64 v[114:115], v[104:105], -v[114:115]
	s_waitcnt lgkmcnt(0)
	v_mul_f64 v[104:105], v[120:121], v[20:21]
	v_add_f64 v[102:103], v[102:103], -v[122:123]
	v_fma_f64 v[104:105], v[118:119], v[18:19], -v[104:105]
	s_sub_i32 s16, s15, 32
	v_mul_f64 v[116:117], v[118:119], v[20:21]
	v_add_f64 v[118:119], v[102:103], -v[104:105]
	v_mov_b32_e32 v102, s16
	ds_read_b128 v[102:105], v102
	v_fmac_f64_e32 v[116:117], v[120:121], v[18:19]
	s_sub_i32 s16, s15, 48
	v_add_f64 v[120:121], v[114:115], -v[116:117]
	v_mov_b32_e32 v114, s16
	ds_read_b128 v[114:117], v114
	s_waitcnt lgkmcnt(1)
	v_mul_f64 v[122:123], v[104:105], v[24:25]
	v_fma_f64 v[122:123], v[102:103], v[22:23], -v[122:123]
	v_mul_f64 v[102:103], v[102:103], v[24:25]
	v_fmac_f64_e32 v[102:103], v[104:105], v[22:23]
	v_add_f64 v[104:105], v[118:119], -v[122:123]
	v_add_f64 v[118:119], v[120:121], -v[102:103]
	s_waitcnt lgkmcnt(0)
	v_mul_f64 v[102:103], v[116:117], v[28:29]
	v_fma_f64 v[102:103], v[114:115], v[26:27], -v[102:103]
	s_sub_i32 s16, s15, 64
	v_add_f64 v[120:121], v[104:105], -v[102:103]
	v_mov_b32_e32 v102, s16
	v_mul_f64 v[114:115], v[114:115], v[28:29]
	ds_read_b128 v[102:105], v102
	v_fmac_f64_e32 v[114:115], v[116:117], v[26:27]
	s_add_i32 s16, s15, 0xffffffb0
	v_add_f64 v[118:119], v[118:119], -v[114:115]
	v_mov_b32_e32 v114, s16
	ds_read_b128 v[114:117], v114
	s_waitcnt lgkmcnt(1)
	v_mul_f64 v[122:123], v[104:105], v[32:33]
	v_fma_f64 v[122:123], v[102:103], v[30:31], -v[122:123]
	v_mul_f64 v[102:103], v[102:103], v[32:33]
	v_fmac_f64_e32 v[102:103], v[104:105], v[30:31]
	v_add_f64 v[118:119], v[118:119], -v[102:103]
	s_waitcnt lgkmcnt(0)
	v_mul_f64 v[102:103], v[116:117], v[36:37]
	v_add_f64 v[104:105], v[120:121], -v[122:123]
	v_fma_f64 v[102:103], v[114:115], v[34:35], -v[102:103]
	s_add_i32 s16, s15, 0xffffffa0
	v_add_f64 v[120:121], v[104:105], -v[102:103]
	v_mov_b32_e32 v102, s16
	v_mul_f64 v[114:115], v[114:115], v[36:37]
	ds_read_b128 v[102:105], v102
	v_fmac_f64_e32 v[114:115], v[116:117], v[34:35]
	s_add_i32 s16, s15, 0xffffff90
	v_add_f64 v[118:119], v[118:119], -v[114:115]
	v_mov_b32_e32 v114, s16
	ds_read_b128 v[114:117], v114
	s_waitcnt lgkmcnt(1)
	v_mul_f64 v[122:123], v[104:105], v[40:41]
	v_fma_f64 v[122:123], v[102:103], v[38:39], -v[122:123]
	v_mul_f64 v[102:103], v[102:103], v[40:41]
	v_fmac_f64_e32 v[102:103], v[104:105], v[38:39]
	v_add_f64 v[118:119], v[118:119], -v[102:103]
	s_waitcnt lgkmcnt(0)
	v_mul_f64 v[102:103], v[116:117], v[48:49]
	v_add_f64 v[104:105], v[120:121], -v[122:123]
	v_fma_f64 v[102:103], v[114:115], v[46:47], -v[102:103]
	s_add_i32 s16, s15, 0xffffff80
	;; [unrolled: 20-line block ×5, first 2 shown]
	v_add_f64 v[120:121], v[104:105], -v[102:103]
	v_mov_b32_e32 v102, s16
	v_mul_f64 v[114:115], v[114:115], v[84:85]
	ds_read_b128 v[102:105], v102
	v_fmac_f64_e32 v[114:115], v[116:117], v[82:83]
	s_addk_i32 s15, 0xff10
	v_add_f64 v[118:119], v[118:119], -v[114:115]
	v_mov_b32_e32 v114, s15
	ds_read_b128 v[114:117], v114
	s_waitcnt lgkmcnt(1)
	v_mul_f64 v[122:123], v[104:105], v[88:89]
	v_fma_f64 v[122:123], v[102:103], v[86:87], -v[122:123]
	v_mul_f64 v[102:103], v[102:103], v[88:89]
	v_fmac_f64_e32 v[102:103], v[104:105], v[86:87]
	v_add_f64 v[102:103], v[118:119], -v[102:103]
	s_waitcnt lgkmcnt(0)
	v_mul_f64 v[118:119], v[116:117], v[96:97]
	v_fma_f64 v[118:119], v[114:115], v[94:95], -v[118:119]
	v_mul_f64 v[114:115], v[114:115], v[96:97]
	s_lshl_b32 s12, s12, 4
	v_add_f64 v[104:105], v[120:121], -v[122:123]
	v_fmac_f64_e32 v[114:115], v[116:117], v[94:95]
	s_add_i32 s12, s11, s12
	s_sub_i32 s15, s5, 17
	v_add_f64 v[122:123], v[104:105], -v[118:119]
	v_add_f64 v[104:105], v[102:103], -v[114:115]
	v_mov_b32_e32 v102, s12
	s_lshl_b32 s12, s15, 9
	ds_read_b128 v[114:117], v102
	s_add_i32 s16, s12, s10
	v_mov_b32_e32 v102, s16
	ds_read_b128 v[118:121], v102
	s_waitcnt lgkmcnt(1)
	v_mul_f64 v[102:103], v[116:117], v[104:105]
	v_mul_f64 v[104:105], v[114:115], v[104:105]
	v_fma_f64 v[102:103], v[114:115], v[122:123], -v[102:103]
	v_fmac_f64_e32 v[104:105], v[116:117], v[122:123]
	v_add_u32_e32 v114, s11, v1
	ds_write_b128 v114, v[102:105]
	s_waitcnt lgkmcnt(1)
	v_mul_f64 v[114:115], v[120:121], v[16:17]
	v_fma_f64 v[114:115], v[118:119], v[14:15], -v[114:115]
	v_mul_f64 v[118:119], v[118:119], v[16:17]
	s_add_i32 s11, s16, -16
	v_fmac_f64_e32 v[118:119], v[120:121], v[14:15]
	v_add_f64 v[120:121], v[110:111], -v[114:115]
	v_mov_b32_e32 v110, s11
	ds_read_b128 v[114:117], v110
	s_sub_i32 s11, s16, 32
	v_mov_b32_e32 v110, s11
	v_add_f64 v[118:119], v[112:113], -v[118:119]
	ds_read_b128 v[110:113], v110
	s_waitcnt lgkmcnt(1)
	v_mul_f64 v[122:123], v[116:117], v[20:21]
	v_fma_f64 v[122:123], v[114:115], v[18:19], -v[122:123]
	v_mul_f64 v[114:115], v[114:115], v[20:21]
	v_fmac_f64_e32 v[114:115], v[116:117], v[18:19]
	v_add_f64 v[114:115], v[118:119], -v[114:115]
	s_waitcnt lgkmcnt(0)
	v_mul_f64 v[118:119], v[112:113], v[24:25]
	s_sub_i32 s11, s16, 48
	v_add_f64 v[116:117], v[120:121], -v[122:123]
	v_fma_f64 v[118:119], v[110:111], v[22:23], -v[118:119]
	v_mul_f64 v[120:121], v[110:111], v[24:25]
	v_mov_b32_e32 v110, s11
	v_fmac_f64_e32 v[120:121], v[112:113], v[22:23]
	ds_read_b128 v[110:113], v110
	s_sub_i32 s11, s16, 64
	v_add_f64 v[120:121], v[114:115], -v[120:121]
	v_mov_b32_e32 v114, s11
	v_add_f64 v[118:119], v[116:117], -v[118:119]
	ds_read_b128 v[114:117], v114
	s_waitcnt lgkmcnt(1)
	v_mul_f64 v[122:123], v[112:113], v[28:29]
	v_fma_f64 v[122:123], v[110:111], v[26:27], -v[122:123]
	v_mul_f64 v[110:111], v[110:111], v[28:29]
	v_fmac_f64_e32 v[110:111], v[112:113], v[26:27]
	v_add_f64 v[112:113], v[118:119], -v[122:123]
	v_add_f64 v[118:119], v[120:121], -v[110:111]
	s_waitcnt lgkmcnt(0)
	v_mul_f64 v[110:111], v[116:117], v[32:33]
	v_fma_f64 v[110:111], v[114:115], v[30:31], -v[110:111]
	s_add_i32 s11, s16, 0xffffffb0
	v_add_f64 v[120:121], v[112:113], -v[110:111]
	v_mov_b32_e32 v110, s11
	v_mul_f64 v[114:115], v[114:115], v[32:33]
	ds_read_b128 v[110:113], v110
	v_fmac_f64_e32 v[114:115], v[116:117], v[30:31]
	s_add_i32 s11, s16, 0xffffffa0
	v_add_f64 v[118:119], v[118:119], -v[114:115]
	v_mov_b32_e32 v114, s11
	ds_read_b128 v[114:117], v114
	s_waitcnt lgkmcnt(1)
	v_mul_f64 v[122:123], v[112:113], v[36:37]
	v_fma_f64 v[122:123], v[110:111], v[34:35], -v[122:123]
	v_mul_f64 v[110:111], v[110:111], v[36:37]
	v_fmac_f64_e32 v[110:111], v[112:113], v[34:35]
	v_add_f64 v[118:119], v[118:119], -v[110:111]
	s_waitcnt lgkmcnt(0)
	v_mul_f64 v[110:111], v[116:117], v[40:41]
	v_add_f64 v[112:113], v[120:121], -v[122:123]
	v_fma_f64 v[110:111], v[114:115], v[38:39], -v[110:111]
	s_add_i32 s11, s16, 0xffffff90
	v_add_f64 v[120:121], v[112:113], -v[110:111]
	v_mov_b32_e32 v110, s11
	v_mul_f64 v[114:115], v[114:115], v[40:41]
	ds_read_b128 v[110:113], v110
	v_fmac_f64_e32 v[114:115], v[116:117], v[38:39]
	s_add_i32 s11, s16, 0xffffff80
	v_add_f64 v[118:119], v[118:119], -v[114:115]
	v_mov_b32_e32 v114, s11
	ds_read_b128 v[114:117], v114
	s_waitcnt lgkmcnt(1)
	v_mul_f64 v[122:123], v[112:113], v[48:49]
	v_fma_f64 v[122:123], v[110:111], v[46:47], -v[122:123]
	v_mul_f64 v[110:111], v[110:111], v[48:49]
	v_fmac_f64_e32 v[110:111], v[112:113], v[46:47]
	v_add_f64 v[118:119], v[118:119], -v[110:111]
	s_waitcnt lgkmcnt(0)
	v_mul_f64 v[110:111], v[116:117], v[52:53]
	v_add_f64 v[112:113], v[120:121], -v[122:123]
	;; [unrolled: 20-line block ×5, first 2 shown]
	v_fma_f64 v[110:111], v[114:115], v[86:87], -v[110:111]
	s_add_i32 s11, s16, 0xffffff10
	v_add_f64 v[120:121], v[112:113], -v[110:111]
	v_mov_b32_e32 v110, s11
	v_mul_f64 v[114:115], v[114:115], v[88:89]
	ds_read_b128 v[110:113], v110
	v_fmac_f64_e32 v[114:115], v[116:117], v[86:87]
	s_add_i32 s11, s16, 0xffffff00
	v_add_f64 v[118:119], v[118:119], -v[114:115]
	v_mov_b32_e32 v114, s11
	ds_read_b128 v[114:117], v114
	s_waitcnt lgkmcnt(1)
	v_mul_f64 v[122:123], v[112:113], v[96:97]
	v_fma_f64 v[122:123], v[110:111], v[94:95], -v[122:123]
	v_mul_f64 v[110:111], v[110:111], v[96:97]
	v_fmac_f64_e32 v[110:111], v[112:113], v[94:95]
	v_add_f64 v[110:111], v[118:119], -v[110:111]
	s_waitcnt lgkmcnt(0)
	v_mul_f64 v[118:119], v[116:117], v[104:105]
	v_fma_f64 v[118:119], v[114:115], v[102:103], -v[118:119]
	v_mul_f64 v[114:115], v[114:115], v[104:105]
	s_lshl_b32 s11, s15, 4
	v_fmac_f64_e32 v[114:115], v[116:117], v[102:103]
	s_add_i32 s11, s12, s11
	v_add_f64 v[112:113], v[120:121], -v[122:123]
	v_add_f64 v[122:123], v[110:111], -v[114:115]
	v_mov_b32_e32 v110, s11
	s_sub_i32 s15, s5, 18
	v_add_f64 v[120:121], v[112:113], -v[118:119]
	ds_read_b128 v[112:115], v110
	s_lshl_b32 s11, s15, 9
	s_add_i32 s16, s11, s10
	v_mov_b32_e32 v110, s16
	ds_read_b128 v[116:119], v110
	s_waitcnt lgkmcnt(1)
	v_mul_f64 v[110:111], v[114:115], v[122:123]
	v_fma_f64 v[110:111], v[112:113], v[120:121], -v[110:111]
	v_mul_f64 v[112:113], v[112:113], v[122:123]
	v_fmac_f64_e32 v[112:113], v[114:115], v[120:121]
	v_add_u32_e32 v114, s12, v1
	ds_write_b128 v114, v[110:113]
	s_waitcnt lgkmcnt(1)
	v_mul_f64 v[114:115], v[118:119], v[16:17]
	v_fma_f64 v[114:115], v[116:117], v[14:15], -v[114:115]
	v_mul_f64 v[120:121], v[116:117], v[16:17]
	s_add_i32 s12, s16, -16
	v_fmac_f64_e32 v[120:121], v[118:119], v[14:15]
	v_add_f64 v[118:119], v[106:107], -v[114:115]
	v_mov_b32_e32 v106, s12
	ds_read_b128 v[114:117], v106
	s_sub_i32 s12, s16, 32
	v_mov_b32_e32 v106, s12
	v_add_f64 v[120:121], v[108:109], -v[120:121]
	ds_read_b128 v[106:109], v106
	s_waitcnt lgkmcnt(1)
	v_mul_f64 v[122:123], v[116:117], v[20:21]
	v_fma_f64 v[122:123], v[114:115], v[18:19], -v[122:123]
	v_mul_f64 v[114:115], v[114:115], v[20:21]
	v_fmac_f64_e32 v[114:115], v[116:117], v[18:19]
	v_add_f64 v[116:117], v[118:119], -v[122:123]
	s_waitcnt lgkmcnt(0)
	v_mul_f64 v[118:119], v[108:109], v[24:25]
	s_sub_i32 s12, s16, 48
	v_add_f64 v[114:115], v[120:121], -v[114:115]
	v_fma_f64 v[118:119], v[106:107], v[22:23], -v[118:119]
	v_mul_f64 v[120:121], v[106:107], v[24:25]
	v_mov_b32_e32 v106, s12
	v_fmac_f64_e32 v[120:121], v[108:109], v[22:23]
	ds_read_b128 v[106:109], v106
	s_sub_i32 s12, s16, 64
	v_add_f64 v[120:121], v[114:115], -v[120:121]
	v_mov_b32_e32 v114, s12
	v_add_f64 v[118:119], v[116:117], -v[118:119]
	ds_read_b128 v[114:117], v114
	s_waitcnt lgkmcnt(1)
	v_mul_f64 v[122:123], v[108:109], v[28:29]
	v_fma_f64 v[122:123], v[106:107], v[26:27], -v[122:123]
	v_mul_f64 v[106:107], v[106:107], v[28:29]
	v_fmac_f64_e32 v[106:107], v[108:109], v[26:27]
	v_add_f64 v[108:109], v[118:119], -v[122:123]
	v_add_f64 v[118:119], v[120:121], -v[106:107]
	s_waitcnt lgkmcnt(0)
	v_mul_f64 v[106:107], v[116:117], v[32:33]
	v_fma_f64 v[106:107], v[114:115], v[30:31], -v[106:107]
	s_add_i32 s12, s16, 0xffffffb0
	v_add_f64 v[120:121], v[108:109], -v[106:107]
	v_mov_b32_e32 v106, s12
	v_mul_f64 v[114:115], v[114:115], v[32:33]
	ds_read_b128 v[106:109], v106
	v_fmac_f64_e32 v[114:115], v[116:117], v[30:31]
	s_add_i32 s12, s16, 0xffffffa0
	v_add_f64 v[118:119], v[118:119], -v[114:115]
	v_mov_b32_e32 v114, s12
	ds_read_b128 v[114:117], v114
	s_waitcnt lgkmcnt(1)
	v_mul_f64 v[122:123], v[108:109], v[36:37]
	v_fma_f64 v[122:123], v[106:107], v[34:35], -v[122:123]
	v_mul_f64 v[106:107], v[106:107], v[36:37]
	v_fmac_f64_e32 v[106:107], v[108:109], v[34:35]
	v_add_f64 v[118:119], v[118:119], -v[106:107]
	s_waitcnt lgkmcnt(0)
	v_mul_f64 v[106:107], v[116:117], v[40:41]
	v_add_f64 v[108:109], v[120:121], -v[122:123]
	v_fma_f64 v[106:107], v[114:115], v[38:39], -v[106:107]
	s_add_i32 s12, s16, 0xffffff90
	v_add_f64 v[120:121], v[108:109], -v[106:107]
	v_mov_b32_e32 v106, s12
	v_mul_f64 v[114:115], v[114:115], v[40:41]
	ds_read_b128 v[106:109], v106
	v_fmac_f64_e32 v[114:115], v[116:117], v[38:39]
	s_add_i32 s12, s16, 0xffffff80
	v_add_f64 v[118:119], v[118:119], -v[114:115]
	v_mov_b32_e32 v114, s12
	ds_read_b128 v[114:117], v114
	s_waitcnt lgkmcnt(1)
	v_mul_f64 v[122:123], v[108:109], v[48:49]
	v_fma_f64 v[122:123], v[106:107], v[46:47], -v[122:123]
	v_mul_f64 v[106:107], v[106:107], v[48:49]
	v_fmac_f64_e32 v[106:107], v[108:109], v[46:47]
	v_add_f64 v[118:119], v[118:119], -v[106:107]
	s_waitcnt lgkmcnt(0)
	v_mul_f64 v[106:107], v[116:117], v[52:53]
	v_add_f64 v[108:109], v[120:121], -v[122:123]
	;; [unrolled: 20-line block ×5, first 2 shown]
	v_fma_f64 v[106:107], v[114:115], v[86:87], -v[106:107]
	s_add_i32 s12, s16, 0xffffff10
	v_add_f64 v[120:121], v[108:109], -v[106:107]
	v_mov_b32_e32 v106, s12
	v_mul_f64 v[114:115], v[114:115], v[88:89]
	ds_read_b128 v[106:109], v106
	v_fmac_f64_e32 v[114:115], v[116:117], v[86:87]
	s_add_i32 s12, s16, 0xffffff00
	v_add_f64 v[118:119], v[118:119], -v[114:115]
	v_mov_b32_e32 v114, s12
	ds_read_b128 v[114:117], v114
	s_waitcnt lgkmcnt(1)
	v_mul_f64 v[122:123], v[108:109], v[96:97]
	v_fma_f64 v[122:123], v[106:107], v[94:95], -v[122:123]
	v_mul_f64 v[106:107], v[106:107], v[96:97]
	v_fmac_f64_e32 v[106:107], v[108:109], v[94:95]
	v_add_f64 v[106:107], v[118:119], -v[106:107]
	s_waitcnt lgkmcnt(0)
	v_mul_f64 v[118:119], v[116:117], v[104:105]
	v_fma_f64 v[118:119], v[114:115], v[102:103], -v[118:119]
	v_mul_f64 v[114:115], v[114:115], v[104:105]
	v_fmac_f64_e32 v[114:115], v[116:117], v[102:103]
	s_add_i32 s12, s16, 0xfffffef0
	v_add_f64 v[108:109], v[120:121], -v[122:123]
	v_add_f64 v[120:121], v[106:107], -v[114:115]
	v_mov_b32_e32 v106, s12
	v_add_f64 v[118:119], v[108:109], -v[118:119]
	ds_read_b128 v[106:109], v106
	s_lshl_b32 s12, s15, 4
	s_add_i32 s12, s11, s12
	v_mov_b32_e32 v114, s12
	ds_read_b128 v[114:117], v114
	s_waitcnt lgkmcnt(1)
	v_mul_f64 v[122:123], v[108:109], v[112:113]
	v_fma_f64 v[122:123], v[106:107], v[110:111], -v[122:123]
	v_mul_f64 v[106:107], v[106:107], v[112:113]
	v_fmac_f64_e32 v[106:107], v[108:109], v[110:111]
	v_add_f64 v[108:109], v[120:121], -v[106:107]
	v_add_f64 v[118:119], v[118:119], -v[122:123]
	s_waitcnt lgkmcnt(0)
	v_mul_f64 v[106:107], v[116:117], v[108:109]
	v_mul_f64 v[108:109], v[114:115], v[108:109]
	s_sub_i32 s12, s5, 19
	v_fma_f64 v[106:107], v[114:115], v[118:119], -v[106:107]
	v_fmac_f64_e32 v[108:109], v[116:117], v[118:119]
	v_add_u32_e32 v118, s11, v1
	s_lshl_b32 s11, s12, 9
	s_add_i32 s15, s11, s10
	v_mov_b32_e32 v114, s15
	ds_read_b128 v[114:117], v114
	s_add_i32 s16, s15, -16
	ds_write_b128 v118, v[106:109]
	v_mov_b32_e32 v118, s16
	ds_read_b128 v[118:121], v118
	s_waitcnt lgkmcnt(2)
	v_mul_f64 v[122:123], v[116:117], v[16:17]
	v_fma_f64 v[122:123], v[114:115], v[14:15], -v[122:123]
	v_mul_f64 v[114:115], v[114:115], v[16:17]
	v_fmac_f64_e32 v[114:115], v[116:117], v[14:15]
	v_add_f64 v[114:115], v[100:101], -v[114:115]
	s_waitcnt lgkmcnt(0)
	v_mul_f64 v[100:101], v[120:121], v[20:21]
	v_add_f64 v[98:99], v[98:99], -v[122:123]
	v_fma_f64 v[100:101], v[118:119], v[18:19], -v[100:101]
	s_sub_i32 s16, s15, 32
	v_mul_f64 v[116:117], v[118:119], v[20:21]
	v_add_f64 v[118:119], v[98:99], -v[100:101]
	v_mov_b32_e32 v98, s16
	ds_read_b128 v[98:101], v98
	v_fmac_f64_e32 v[116:117], v[120:121], v[18:19]
	s_sub_i32 s16, s15, 48
	v_add_f64 v[120:121], v[114:115], -v[116:117]
	v_mov_b32_e32 v114, s16
	ds_read_b128 v[114:117], v114
	s_waitcnt lgkmcnt(1)
	v_mul_f64 v[122:123], v[100:101], v[24:25]
	v_fma_f64 v[122:123], v[98:99], v[22:23], -v[122:123]
	v_mul_f64 v[98:99], v[98:99], v[24:25]
	v_fmac_f64_e32 v[98:99], v[100:101], v[22:23]
	v_add_f64 v[100:101], v[118:119], -v[122:123]
	v_add_f64 v[118:119], v[120:121], -v[98:99]
	s_waitcnt lgkmcnt(0)
	v_mul_f64 v[98:99], v[116:117], v[28:29]
	v_fma_f64 v[98:99], v[114:115], v[26:27], -v[98:99]
	s_sub_i32 s16, s15, 64
	v_add_f64 v[120:121], v[100:101], -v[98:99]
	v_mov_b32_e32 v98, s16
	v_mul_f64 v[114:115], v[114:115], v[28:29]
	ds_read_b128 v[98:101], v98
	v_fmac_f64_e32 v[114:115], v[116:117], v[26:27]
	s_add_i32 s16, s15, 0xffffffb0
	v_add_f64 v[118:119], v[118:119], -v[114:115]
	v_mov_b32_e32 v114, s16
	ds_read_b128 v[114:117], v114
	s_waitcnt lgkmcnt(1)
	v_mul_f64 v[122:123], v[100:101], v[32:33]
	v_fma_f64 v[122:123], v[98:99], v[30:31], -v[122:123]
	v_mul_f64 v[98:99], v[98:99], v[32:33]
	v_fmac_f64_e32 v[98:99], v[100:101], v[30:31]
	v_add_f64 v[118:119], v[118:119], -v[98:99]
	s_waitcnt lgkmcnt(0)
	v_mul_f64 v[98:99], v[116:117], v[36:37]
	v_add_f64 v[100:101], v[120:121], -v[122:123]
	v_fma_f64 v[98:99], v[114:115], v[34:35], -v[98:99]
	s_add_i32 s16, s15, 0xffffffa0
	v_add_f64 v[120:121], v[100:101], -v[98:99]
	v_mov_b32_e32 v98, s16
	v_mul_f64 v[114:115], v[114:115], v[36:37]
	ds_read_b128 v[98:101], v98
	v_fmac_f64_e32 v[114:115], v[116:117], v[34:35]
	s_add_i32 s16, s15, 0xffffff90
	v_add_f64 v[118:119], v[118:119], -v[114:115]
	v_mov_b32_e32 v114, s16
	ds_read_b128 v[114:117], v114
	s_waitcnt lgkmcnt(1)
	v_mul_f64 v[122:123], v[100:101], v[40:41]
	v_fma_f64 v[122:123], v[98:99], v[38:39], -v[122:123]
	v_mul_f64 v[98:99], v[98:99], v[40:41]
	v_fmac_f64_e32 v[98:99], v[100:101], v[38:39]
	v_add_f64 v[118:119], v[118:119], -v[98:99]
	s_waitcnt lgkmcnt(0)
	v_mul_f64 v[98:99], v[116:117], v[48:49]
	v_add_f64 v[100:101], v[120:121], -v[122:123]
	v_fma_f64 v[98:99], v[114:115], v[46:47], -v[98:99]
	s_add_i32 s16, s15, 0xffffff80
	;; [unrolled: 20-line block ×6, first 2 shown]
	v_add_f64 v[120:121], v[100:101], -v[98:99]
	v_mov_b32_e32 v98, s16
	v_mul_f64 v[114:115], v[114:115], v[96:97]
	ds_read_b128 v[98:101], v98
	v_fmac_f64_e32 v[114:115], v[116:117], v[94:95]
	s_add_i32 s16, s15, 0xfffffef0
	v_add_f64 v[118:119], v[118:119], -v[114:115]
	v_mov_b32_e32 v114, s16
	ds_read_b128 v[114:117], v114
	s_waitcnt lgkmcnt(1)
	v_mul_f64 v[122:123], v[100:101], v[104:105]
	v_fma_f64 v[122:123], v[98:99], v[102:103], -v[122:123]
	v_mul_f64 v[98:99], v[98:99], v[104:105]
	v_fmac_f64_e32 v[98:99], v[100:101], v[102:103]
	v_add_f64 v[98:99], v[118:119], -v[98:99]
	s_waitcnt lgkmcnt(0)
	v_mul_f64 v[118:119], v[116:117], v[112:113]
	v_fma_f64 v[118:119], v[114:115], v[110:111], -v[118:119]
	v_mul_f64 v[114:115], v[114:115], v[112:113]
	v_fmac_f64_e32 v[114:115], v[116:117], v[110:111]
	s_addk_i32 s15, 0xfee0
	v_add_f64 v[100:101], v[120:121], -v[122:123]
	v_add_f64 v[120:121], v[98:99], -v[114:115]
	v_mov_b32_e32 v98, s15
	v_add_f64 v[118:119], v[100:101], -v[118:119]
	ds_read_b128 v[98:101], v98
	s_lshl_b32 s12, s12, 4
	s_add_i32 s12, s11, s12
	v_mov_b32_e32 v114, s12
	ds_read_b128 v[114:117], v114
	s_waitcnt lgkmcnt(1)
	v_mul_f64 v[122:123], v[100:101], v[108:109]
	v_fma_f64 v[122:123], v[98:99], v[106:107], -v[122:123]
	v_mul_f64 v[98:99], v[98:99], v[108:109]
	v_fmac_f64_e32 v[98:99], v[100:101], v[106:107]
	v_add_f64 v[100:101], v[120:121], -v[98:99]
	v_add_f64 v[118:119], v[118:119], -v[122:123]
	s_waitcnt lgkmcnt(0)
	v_mul_f64 v[98:99], v[116:117], v[100:101]
	v_mul_f64 v[100:101], v[114:115], v[100:101]
	s_sub_i32 s12, s5, 20
	v_fma_f64 v[98:99], v[114:115], v[118:119], -v[98:99]
	v_fmac_f64_e32 v[100:101], v[116:117], v[118:119]
	v_add_u32_e32 v118, s11, v1
	s_lshl_b32 s11, s12, 9
	s_add_i32 s15, s11, s10
	v_mov_b32_e32 v114, s15
	ds_read_b128 v[114:117], v114
	s_add_i32 s16, s15, -16
	ds_write_b128 v118, v[98:101]
	v_mov_b32_e32 v118, s16
	ds_read_b128 v[118:121], v118
	s_waitcnt lgkmcnt(2)
	v_mul_f64 v[122:123], v[116:117], v[16:17]
	v_fma_f64 v[122:123], v[114:115], v[14:15], -v[122:123]
	v_mul_f64 v[114:115], v[114:115], v[16:17]
	v_fmac_f64_e32 v[114:115], v[116:117], v[14:15]
	v_add_f64 v[114:115], v[92:93], -v[114:115]
	s_waitcnt lgkmcnt(0)
	v_mul_f64 v[92:93], v[120:121], v[20:21]
	v_add_f64 v[90:91], v[90:91], -v[122:123]
	v_fma_f64 v[92:93], v[118:119], v[18:19], -v[92:93]
	s_sub_i32 s16, s15, 32
	v_mul_f64 v[116:117], v[118:119], v[20:21]
	v_add_f64 v[118:119], v[90:91], -v[92:93]
	v_mov_b32_e32 v90, s16
	ds_read_b128 v[90:93], v90
	v_fmac_f64_e32 v[116:117], v[120:121], v[18:19]
	s_sub_i32 s16, s15, 48
	v_add_f64 v[120:121], v[114:115], -v[116:117]
	v_mov_b32_e32 v114, s16
	ds_read_b128 v[114:117], v114
	s_waitcnt lgkmcnt(1)
	v_mul_f64 v[122:123], v[92:93], v[24:25]
	v_fma_f64 v[122:123], v[90:91], v[22:23], -v[122:123]
	v_mul_f64 v[90:91], v[90:91], v[24:25]
	v_fmac_f64_e32 v[90:91], v[92:93], v[22:23]
	v_add_f64 v[92:93], v[118:119], -v[122:123]
	v_add_f64 v[118:119], v[120:121], -v[90:91]
	s_waitcnt lgkmcnt(0)
	v_mul_f64 v[90:91], v[116:117], v[28:29]
	v_fma_f64 v[90:91], v[114:115], v[26:27], -v[90:91]
	s_sub_i32 s16, s15, 64
	v_add_f64 v[120:121], v[92:93], -v[90:91]
	v_mov_b32_e32 v90, s16
	v_mul_f64 v[114:115], v[114:115], v[28:29]
	ds_read_b128 v[90:93], v90
	v_fmac_f64_e32 v[114:115], v[116:117], v[26:27]
	s_add_i32 s16, s15, 0xffffffb0
	v_add_f64 v[118:119], v[118:119], -v[114:115]
	v_mov_b32_e32 v114, s16
	ds_read_b128 v[114:117], v114
	s_waitcnt lgkmcnt(1)
	v_mul_f64 v[122:123], v[92:93], v[32:33]
	v_fma_f64 v[122:123], v[90:91], v[30:31], -v[122:123]
	v_mul_f64 v[90:91], v[90:91], v[32:33]
	v_fmac_f64_e32 v[90:91], v[92:93], v[30:31]
	v_add_f64 v[118:119], v[118:119], -v[90:91]
	s_waitcnt lgkmcnt(0)
	v_mul_f64 v[90:91], v[116:117], v[36:37]
	v_add_f64 v[92:93], v[120:121], -v[122:123]
	v_fma_f64 v[90:91], v[114:115], v[34:35], -v[90:91]
	s_add_i32 s16, s15, 0xffffffa0
	v_add_f64 v[120:121], v[92:93], -v[90:91]
	v_mov_b32_e32 v90, s16
	v_mul_f64 v[114:115], v[114:115], v[36:37]
	ds_read_b128 v[90:93], v90
	v_fmac_f64_e32 v[114:115], v[116:117], v[34:35]
	s_add_i32 s16, s15, 0xffffff90
	v_add_f64 v[118:119], v[118:119], -v[114:115]
	v_mov_b32_e32 v114, s16
	ds_read_b128 v[114:117], v114
	s_waitcnt lgkmcnt(1)
	v_mul_f64 v[122:123], v[92:93], v[40:41]
	v_fma_f64 v[122:123], v[90:91], v[38:39], -v[122:123]
	v_mul_f64 v[90:91], v[90:91], v[40:41]
	v_fmac_f64_e32 v[90:91], v[92:93], v[38:39]
	v_add_f64 v[118:119], v[118:119], -v[90:91]
	s_waitcnt lgkmcnt(0)
	v_mul_f64 v[90:91], v[116:117], v[48:49]
	v_add_f64 v[92:93], v[120:121], -v[122:123]
	v_fma_f64 v[90:91], v[114:115], v[46:47], -v[90:91]
	s_add_i32 s16, s15, 0xffffff80
	;; [unrolled: 20-line block ×7, first 2 shown]
	v_add_f64 v[120:121], v[92:93], -v[90:91]
	v_mov_b32_e32 v90, s16
	v_mul_f64 v[114:115], v[114:115], v[112:113]
	ds_read_b128 v[90:93], v90
	v_fmac_f64_e32 v[114:115], v[116:117], v[110:111]
	s_addk_i32 s15, 0xfed0
	v_add_f64 v[118:119], v[118:119], -v[114:115]
	v_mov_b32_e32 v114, s15
	ds_read_b128 v[114:117], v114
	s_waitcnt lgkmcnt(1)
	v_mul_f64 v[122:123], v[92:93], v[108:109]
	v_fma_f64 v[122:123], v[90:91], v[106:107], -v[122:123]
	v_mul_f64 v[90:91], v[90:91], v[108:109]
	v_fmac_f64_e32 v[90:91], v[92:93], v[106:107]
	v_add_f64 v[90:91], v[118:119], -v[90:91]
	s_waitcnt lgkmcnt(0)
	v_mul_f64 v[118:119], v[116:117], v[100:101]
	v_fma_f64 v[118:119], v[114:115], v[98:99], -v[118:119]
	v_mul_f64 v[114:115], v[114:115], v[100:101]
	s_lshl_b32 s12, s12, 4
	v_add_f64 v[92:93], v[120:121], -v[122:123]
	v_fmac_f64_e32 v[114:115], v[116:117], v[98:99]
	s_add_i32 s12, s11, s12
	s_sub_i32 s15, s5, 21
	v_add_f64 v[122:123], v[92:93], -v[118:119]
	v_add_f64 v[92:93], v[90:91], -v[114:115]
	v_mov_b32_e32 v90, s12
	s_lshl_b32 s12, s15, 9
	ds_read_b128 v[114:117], v90
	s_add_i32 s16, s12, s10
	v_mov_b32_e32 v90, s16
	ds_read_b128 v[118:121], v90
	s_waitcnt lgkmcnt(1)
	v_mul_f64 v[90:91], v[116:117], v[92:93]
	v_mul_f64 v[92:93], v[114:115], v[92:93]
	v_fma_f64 v[90:91], v[114:115], v[122:123], -v[90:91]
	v_fmac_f64_e32 v[92:93], v[116:117], v[122:123]
	v_add_u32_e32 v114, s11, v1
	ds_write_b128 v114, v[90:93]
	s_waitcnt lgkmcnt(1)
	v_mul_f64 v[114:115], v[120:121], v[16:17]
	v_fma_f64 v[114:115], v[118:119], v[14:15], -v[114:115]
	v_mul_f64 v[118:119], v[118:119], v[16:17]
	s_add_i32 s11, s16, -16
	v_fmac_f64_e32 v[118:119], v[120:121], v[14:15]
	v_add_f64 v[120:121], v[78:79], -v[114:115]
	v_mov_b32_e32 v78, s11
	ds_read_b128 v[114:117], v78
	s_sub_i32 s11, s16, 32
	v_mov_b32_e32 v78, s11
	v_add_f64 v[118:119], v[80:81], -v[118:119]
	ds_read_b128 v[78:81], v78
	s_waitcnt lgkmcnt(1)
	v_mul_f64 v[122:123], v[116:117], v[20:21]
	v_fma_f64 v[122:123], v[114:115], v[18:19], -v[122:123]
	v_mul_f64 v[114:115], v[114:115], v[20:21]
	v_fmac_f64_e32 v[114:115], v[116:117], v[18:19]
	v_add_f64 v[114:115], v[118:119], -v[114:115]
	s_waitcnt lgkmcnt(0)
	v_mul_f64 v[118:119], v[80:81], v[24:25]
	s_sub_i32 s11, s16, 48
	v_add_f64 v[116:117], v[120:121], -v[122:123]
	v_fma_f64 v[118:119], v[78:79], v[22:23], -v[118:119]
	v_mul_f64 v[120:121], v[78:79], v[24:25]
	v_mov_b32_e32 v78, s11
	v_fmac_f64_e32 v[120:121], v[80:81], v[22:23]
	ds_read_b128 v[78:81], v78
	s_sub_i32 s11, s16, 64
	v_add_f64 v[120:121], v[114:115], -v[120:121]
	v_mov_b32_e32 v114, s11
	v_add_f64 v[118:119], v[116:117], -v[118:119]
	ds_read_b128 v[114:117], v114
	s_waitcnt lgkmcnt(1)
	v_mul_f64 v[122:123], v[80:81], v[28:29]
	v_fma_f64 v[122:123], v[78:79], v[26:27], -v[122:123]
	v_mul_f64 v[78:79], v[78:79], v[28:29]
	v_fmac_f64_e32 v[78:79], v[80:81], v[26:27]
	v_add_f64 v[80:81], v[118:119], -v[122:123]
	v_add_f64 v[118:119], v[120:121], -v[78:79]
	s_waitcnt lgkmcnt(0)
	v_mul_f64 v[78:79], v[116:117], v[32:33]
	v_fma_f64 v[78:79], v[114:115], v[30:31], -v[78:79]
	s_add_i32 s11, s16, 0xffffffb0
	v_add_f64 v[120:121], v[80:81], -v[78:79]
	v_mov_b32_e32 v78, s11
	v_mul_f64 v[114:115], v[114:115], v[32:33]
	ds_read_b128 v[78:81], v78
	v_fmac_f64_e32 v[114:115], v[116:117], v[30:31]
	s_add_i32 s11, s16, 0xffffffa0
	v_add_f64 v[118:119], v[118:119], -v[114:115]
	v_mov_b32_e32 v114, s11
	ds_read_b128 v[114:117], v114
	s_waitcnt lgkmcnt(1)
	v_mul_f64 v[122:123], v[80:81], v[36:37]
	v_fma_f64 v[122:123], v[78:79], v[34:35], -v[122:123]
	v_mul_f64 v[78:79], v[78:79], v[36:37]
	v_fmac_f64_e32 v[78:79], v[80:81], v[34:35]
	v_add_f64 v[118:119], v[118:119], -v[78:79]
	s_waitcnt lgkmcnt(0)
	v_mul_f64 v[78:79], v[116:117], v[40:41]
	v_add_f64 v[80:81], v[120:121], -v[122:123]
	v_fma_f64 v[78:79], v[114:115], v[38:39], -v[78:79]
	s_add_i32 s11, s16, 0xffffff90
	v_add_f64 v[120:121], v[80:81], -v[78:79]
	v_mov_b32_e32 v78, s11
	v_mul_f64 v[114:115], v[114:115], v[40:41]
	ds_read_b128 v[78:81], v78
	v_fmac_f64_e32 v[114:115], v[116:117], v[38:39]
	s_add_i32 s11, s16, 0xffffff80
	v_add_f64 v[118:119], v[118:119], -v[114:115]
	v_mov_b32_e32 v114, s11
	ds_read_b128 v[114:117], v114
	s_waitcnt lgkmcnt(1)
	v_mul_f64 v[122:123], v[80:81], v[48:49]
	v_fma_f64 v[122:123], v[78:79], v[46:47], -v[122:123]
	v_mul_f64 v[78:79], v[78:79], v[48:49]
	v_fmac_f64_e32 v[78:79], v[80:81], v[46:47]
	v_add_f64 v[118:119], v[118:119], -v[78:79]
	s_waitcnt lgkmcnt(0)
	v_mul_f64 v[78:79], v[116:117], v[52:53]
	v_add_f64 v[80:81], v[120:121], -v[122:123]
	;; [unrolled: 20-line block ×7, first 2 shown]
	v_fma_f64 v[78:79], v[114:115], v[106:107], -v[78:79]
	s_add_i32 s11, s16, 0xfffffed0
	v_add_f64 v[120:121], v[80:81], -v[78:79]
	v_mov_b32_e32 v78, s11
	v_mul_f64 v[114:115], v[114:115], v[108:109]
	ds_read_b128 v[78:81], v78
	v_fmac_f64_e32 v[114:115], v[116:117], v[106:107]
	s_add_i32 s11, s16, 0xfffffec0
	v_add_f64 v[118:119], v[118:119], -v[114:115]
	v_mov_b32_e32 v114, s11
	ds_read_b128 v[114:117], v114
	s_waitcnt lgkmcnt(1)
	v_mul_f64 v[122:123], v[80:81], v[100:101]
	v_fma_f64 v[122:123], v[78:79], v[98:99], -v[122:123]
	v_mul_f64 v[78:79], v[78:79], v[100:101]
	v_fmac_f64_e32 v[78:79], v[80:81], v[98:99]
	v_add_f64 v[78:79], v[118:119], -v[78:79]
	s_waitcnt lgkmcnt(0)
	v_mul_f64 v[118:119], v[116:117], v[92:93]
	v_fma_f64 v[118:119], v[114:115], v[90:91], -v[118:119]
	v_mul_f64 v[114:115], v[114:115], v[92:93]
	s_lshl_b32 s11, s15, 4
	v_add_f64 v[80:81], v[120:121], -v[122:123]
	v_fmac_f64_e32 v[114:115], v[116:117], v[90:91]
	s_add_i32 s11, s12, s11
	s_sub_i32 s15, s5, 22
	v_add_f64 v[122:123], v[80:81], -v[118:119]
	v_add_f64 v[80:81], v[78:79], -v[114:115]
	v_mov_b32_e32 v78, s11
	s_lshl_b32 s11, s15, 9
	ds_read_b128 v[114:117], v78
	s_add_i32 s16, s11, s10
	v_mov_b32_e32 v78, s16
	ds_read_b128 v[118:121], v78
	s_waitcnt lgkmcnt(1)
	v_mul_f64 v[78:79], v[116:117], v[80:81]
	v_mul_f64 v[80:81], v[114:115], v[80:81]
	v_fma_f64 v[78:79], v[114:115], v[122:123], -v[78:79]
	v_fmac_f64_e32 v[80:81], v[116:117], v[122:123]
	v_add_u32_e32 v114, s12, v1
	ds_write_b128 v114, v[78:81]
	s_waitcnt lgkmcnt(1)
	v_mul_f64 v[114:115], v[120:121], v[16:17]
	v_fma_f64 v[114:115], v[118:119], v[14:15], -v[114:115]
	v_mul_f64 v[118:119], v[118:119], v[16:17]
	s_add_i32 s12, s16, -16
	v_fmac_f64_e32 v[118:119], v[120:121], v[14:15]
	v_add_f64 v[120:121], v[70:71], -v[114:115]
	v_mov_b32_e32 v70, s12
	ds_read_b128 v[114:117], v70
	s_sub_i32 s12, s16, 32
	v_mov_b32_e32 v70, s12
	v_add_f64 v[118:119], v[72:73], -v[118:119]
	ds_read_b128 v[70:73], v70
	s_waitcnt lgkmcnt(1)
	v_mul_f64 v[122:123], v[116:117], v[20:21]
	v_fma_f64 v[122:123], v[114:115], v[18:19], -v[122:123]
	v_mul_f64 v[114:115], v[114:115], v[20:21]
	v_fmac_f64_e32 v[114:115], v[116:117], v[18:19]
	v_add_f64 v[114:115], v[118:119], -v[114:115]
	s_waitcnt lgkmcnt(0)
	v_mul_f64 v[118:119], v[72:73], v[24:25]
	s_sub_i32 s12, s16, 48
	v_add_f64 v[116:117], v[120:121], -v[122:123]
	v_fma_f64 v[118:119], v[70:71], v[22:23], -v[118:119]
	v_mul_f64 v[120:121], v[70:71], v[24:25]
	v_mov_b32_e32 v70, s12
	v_fmac_f64_e32 v[120:121], v[72:73], v[22:23]
	ds_read_b128 v[70:73], v70
	s_sub_i32 s12, s16, 64
	v_add_f64 v[120:121], v[114:115], -v[120:121]
	v_mov_b32_e32 v114, s12
	v_add_f64 v[118:119], v[116:117], -v[118:119]
	ds_read_b128 v[114:117], v114
	s_waitcnt lgkmcnt(1)
	v_mul_f64 v[122:123], v[72:73], v[28:29]
	v_fma_f64 v[122:123], v[70:71], v[26:27], -v[122:123]
	v_mul_f64 v[70:71], v[70:71], v[28:29]
	v_fmac_f64_e32 v[70:71], v[72:73], v[26:27]
	v_add_f64 v[72:73], v[118:119], -v[122:123]
	v_add_f64 v[118:119], v[120:121], -v[70:71]
	s_waitcnt lgkmcnt(0)
	v_mul_f64 v[70:71], v[116:117], v[32:33]
	v_fma_f64 v[70:71], v[114:115], v[30:31], -v[70:71]
	s_add_i32 s12, s16, 0xffffffb0
	v_add_f64 v[120:121], v[72:73], -v[70:71]
	v_mov_b32_e32 v70, s12
	v_mul_f64 v[114:115], v[114:115], v[32:33]
	ds_read_b128 v[70:73], v70
	v_fmac_f64_e32 v[114:115], v[116:117], v[30:31]
	s_add_i32 s12, s16, 0xffffffa0
	v_add_f64 v[118:119], v[118:119], -v[114:115]
	v_mov_b32_e32 v114, s12
	ds_read_b128 v[114:117], v114
	s_waitcnt lgkmcnt(1)
	v_mul_f64 v[122:123], v[72:73], v[36:37]
	v_fma_f64 v[122:123], v[70:71], v[34:35], -v[122:123]
	v_mul_f64 v[70:71], v[70:71], v[36:37]
	v_fmac_f64_e32 v[70:71], v[72:73], v[34:35]
	v_add_f64 v[118:119], v[118:119], -v[70:71]
	s_waitcnt lgkmcnt(0)
	v_mul_f64 v[70:71], v[116:117], v[40:41]
	v_add_f64 v[72:73], v[120:121], -v[122:123]
	v_fma_f64 v[70:71], v[114:115], v[38:39], -v[70:71]
	s_add_i32 s12, s16, 0xffffff90
	v_add_f64 v[120:121], v[72:73], -v[70:71]
	v_mov_b32_e32 v70, s12
	v_mul_f64 v[114:115], v[114:115], v[40:41]
	ds_read_b128 v[70:73], v70
	v_fmac_f64_e32 v[114:115], v[116:117], v[38:39]
	s_add_i32 s12, s16, 0xffffff80
	v_add_f64 v[118:119], v[118:119], -v[114:115]
	v_mov_b32_e32 v114, s12
	ds_read_b128 v[114:117], v114
	s_waitcnt lgkmcnt(1)
	v_mul_f64 v[122:123], v[72:73], v[48:49]
	v_fma_f64 v[122:123], v[70:71], v[46:47], -v[122:123]
	v_mul_f64 v[70:71], v[70:71], v[48:49]
	v_fmac_f64_e32 v[70:71], v[72:73], v[46:47]
	v_add_f64 v[118:119], v[118:119], -v[70:71]
	s_waitcnt lgkmcnt(0)
	v_mul_f64 v[70:71], v[116:117], v[52:53]
	v_add_f64 v[72:73], v[120:121], -v[122:123]
	;; [unrolled: 20-line block ×7, first 2 shown]
	v_fma_f64 v[70:71], v[114:115], v[106:107], -v[70:71]
	s_add_i32 s12, s16, 0xfffffed0
	v_add_f64 v[120:121], v[72:73], -v[70:71]
	v_mov_b32_e32 v70, s12
	v_mul_f64 v[114:115], v[114:115], v[108:109]
	ds_read_b128 v[70:73], v70
	v_fmac_f64_e32 v[114:115], v[116:117], v[106:107]
	s_add_i32 s12, s16, 0xfffffec0
	v_add_f64 v[118:119], v[118:119], -v[114:115]
	v_mov_b32_e32 v114, s12
	ds_read_b128 v[114:117], v114
	s_waitcnt lgkmcnt(1)
	v_mul_f64 v[122:123], v[72:73], v[100:101]
	v_fma_f64 v[122:123], v[70:71], v[98:99], -v[122:123]
	v_mul_f64 v[70:71], v[70:71], v[100:101]
	v_fmac_f64_e32 v[70:71], v[72:73], v[98:99]
	v_add_f64 v[70:71], v[118:119], -v[70:71]
	s_waitcnt lgkmcnt(0)
	v_mul_f64 v[118:119], v[116:117], v[92:93]
	v_fma_f64 v[118:119], v[114:115], v[90:91], -v[118:119]
	v_mul_f64 v[114:115], v[114:115], v[92:93]
	v_fmac_f64_e32 v[114:115], v[116:117], v[90:91]
	s_add_i32 s12, s16, 0xfffffeb0
	v_add_f64 v[72:73], v[120:121], -v[122:123]
	v_add_f64 v[120:121], v[70:71], -v[114:115]
	v_mov_b32_e32 v70, s12
	v_add_f64 v[118:119], v[72:73], -v[118:119]
	ds_read_b128 v[70:73], v70
	s_lshl_b32 s12, s15, 4
	s_add_i32 s12, s11, s12
	v_mov_b32_e32 v114, s12
	ds_read_b128 v[114:117], v114
	s_waitcnt lgkmcnt(1)
	v_mul_f64 v[122:123], v[72:73], v[80:81]
	v_fma_f64 v[122:123], v[70:71], v[78:79], -v[122:123]
	v_mul_f64 v[70:71], v[70:71], v[80:81]
	v_fmac_f64_e32 v[70:71], v[72:73], v[78:79]
	v_add_f64 v[72:73], v[120:121], -v[70:71]
	v_add_f64 v[118:119], v[118:119], -v[122:123]
	s_waitcnt lgkmcnt(0)
	v_mul_f64 v[70:71], v[116:117], v[72:73]
	v_mul_f64 v[72:73], v[114:115], v[72:73]
	s_sub_i32 s12, s5, 23
	v_fma_f64 v[70:71], v[114:115], v[118:119], -v[70:71]
	v_fmac_f64_e32 v[72:73], v[116:117], v[118:119]
	v_add_u32_e32 v118, s11, v1
	s_lshl_b32 s11, s12, 9
	s_add_i32 s15, s11, s10
	v_mov_b32_e32 v114, s15
	ds_read_b128 v[114:117], v114
	s_add_i32 s16, s15, -16
	ds_write_b128 v118, v[70:73]
	v_mov_b32_e32 v118, s16
	ds_read_b128 v[118:121], v118
	s_waitcnt lgkmcnt(2)
	v_mul_f64 v[122:123], v[116:117], v[16:17]
	v_fma_f64 v[122:123], v[114:115], v[14:15], -v[122:123]
	v_mul_f64 v[114:115], v[114:115], v[16:17]
	v_fmac_f64_e32 v[114:115], v[116:117], v[14:15]
	v_add_f64 v[114:115], v[56:57], -v[114:115]
	s_waitcnt lgkmcnt(0)
	v_mul_f64 v[56:57], v[120:121], v[20:21]
	v_add_f64 v[54:55], v[54:55], -v[122:123]
	v_fma_f64 v[56:57], v[118:119], v[18:19], -v[56:57]
	s_sub_i32 s16, s15, 32
	v_mul_f64 v[116:117], v[118:119], v[20:21]
	v_add_f64 v[118:119], v[54:55], -v[56:57]
	v_mov_b32_e32 v54, s16
	ds_read_b128 v[54:57], v54
	v_fmac_f64_e32 v[116:117], v[120:121], v[18:19]
	s_sub_i32 s16, s15, 48
	v_add_f64 v[120:121], v[114:115], -v[116:117]
	v_mov_b32_e32 v114, s16
	ds_read_b128 v[114:117], v114
	s_waitcnt lgkmcnt(1)
	v_mul_f64 v[122:123], v[56:57], v[24:25]
	v_fma_f64 v[122:123], v[54:55], v[22:23], -v[122:123]
	v_mul_f64 v[54:55], v[54:55], v[24:25]
	v_fmac_f64_e32 v[54:55], v[56:57], v[22:23]
	v_add_f64 v[56:57], v[118:119], -v[122:123]
	v_add_f64 v[118:119], v[120:121], -v[54:55]
	s_waitcnt lgkmcnt(0)
	v_mul_f64 v[54:55], v[116:117], v[28:29]
	v_fma_f64 v[54:55], v[114:115], v[26:27], -v[54:55]
	s_sub_i32 s16, s15, 64
	v_add_f64 v[120:121], v[56:57], -v[54:55]
	v_mov_b32_e32 v54, s16
	v_mul_f64 v[114:115], v[114:115], v[28:29]
	ds_read_b128 v[54:57], v54
	v_fmac_f64_e32 v[114:115], v[116:117], v[26:27]
	s_add_i32 s16, s15, 0xffffffb0
	v_add_f64 v[118:119], v[118:119], -v[114:115]
	v_mov_b32_e32 v114, s16
	ds_read_b128 v[114:117], v114
	s_waitcnt lgkmcnt(1)
	v_mul_f64 v[122:123], v[56:57], v[32:33]
	v_fma_f64 v[122:123], v[54:55], v[30:31], -v[122:123]
	v_mul_f64 v[54:55], v[54:55], v[32:33]
	v_fmac_f64_e32 v[54:55], v[56:57], v[30:31]
	v_add_f64 v[118:119], v[118:119], -v[54:55]
	s_waitcnt lgkmcnt(0)
	v_mul_f64 v[54:55], v[116:117], v[36:37]
	v_add_f64 v[56:57], v[120:121], -v[122:123]
	v_fma_f64 v[54:55], v[114:115], v[34:35], -v[54:55]
	s_add_i32 s16, s15, 0xffffffa0
	v_add_f64 v[120:121], v[56:57], -v[54:55]
	v_mov_b32_e32 v54, s16
	v_mul_f64 v[114:115], v[114:115], v[36:37]
	ds_read_b128 v[54:57], v54
	v_fmac_f64_e32 v[114:115], v[116:117], v[34:35]
	s_add_i32 s16, s15, 0xffffff90
	v_add_f64 v[118:119], v[118:119], -v[114:115]
	v_mov_b32_e32 v114, s16
	ds_read_b128 v[114:117], v114
	s_waitcnt lgkmcnt(1)
	v_mul_f64 v[122:123], v[56:57], v[40:41]
	v_fma_f64 v[122:123], v[54:55], v[38:39], -v[122:123]
	v_mul_f64 v[54:55], v[54:55], v[40:41]
	v_fmac_f64_e32 v[54:55], v[56:57], v[38:39]
	v_add_f64 v[118:119], v[118:119], -v[54:55]
	s_waitcnt lgkmcnt(0)
	v_mul_f64 v[54:55], v[116:117], v[48:49]
	v_add_f64 v[56:57], v[120:121], -v[122:123]
	v_fma_f64 v[54:55], v[114:115], v[46:47], -v[54:55]
	s_add_i32 s16, s15, 0xffffff80
	;; [unrolled: 20-line block ×8, first 2 shown]
	v_add_f64 v[120:121], v[56:57], -v[54:55]
	v_mov_b32_e32 v54, s16
	v_mul_f64 v[114:115], v[114:115], v[100:101]
	ds_read_b128 v[54:57], v54
	v_fmac_f64_e32 v[114:115], v[116:117], v[98:99]
	s_add_i32 s16, s15, 0xfffffeb0
	v_add_f64 v[118:119], v[118:119], -v[114:115]
	v_mov_b32_e32 v114, s16
	ds_read_b128 v[114:117], v114
	s_waitcnt lgkmcnt(1)
	v_mul_f64 v[122:123], v[56:57], v[92:93]
	v_fma_f64 v[122:123], v[54:55], v[90:91], -v[122:123]
	v_mul_f64 v[54:55], v[54:55], v[92:93]
	v_fmac_f64_e32 v[54:55], v[56:57], v[90:91]
	v_add_f64 v[54:55], v[118:119], -v[54:55]
	s_waitcnt lgkmcnt(0)
	v_mul_f64 v[118:119], v[116:117], v[80:81]
	v_fma_f64 v[118:119], v[114:115], v[78:79], -v[118:119]
	v_mul_f64 v[114:115], v[114:115], v[80:81]
	v_fmac_f64_e32 v[114:115], v[116:117], v[78:79]
	s_addk_i32 s15, 0xfea0
	v_add_f64 v[56:57], v[120:121], -v[122:123]
	v_add_f64 v[120:121], v[54:55], -v[114:115]
	v_mov_b32_e32 v54, s15
	v_add_f64 v[118:119], v[56:57], -v[118:119]
	ds_read_b128 v[54:57], v54
	s_lshl_b32 s12, s12, 4
	s_add_i32 s12, s11, s12
	v_mov_b32_e32 v114, s12
	ds_read_b128 v[114:117], v114
	s_waitcnt lgkmcnt(1)
	v_mul_f64 v[122:123], v[56:57], v[72:73]
	v_fma_f64 v[122:123], v[54:55], v[70:71], -v[122:123]
	v_mul_f64 v[54:55], v[54:55], v[72:73]
	v_fmac_f64_e32 v[54:55], v[56:57], v[70:71]
	v_add_f64 v[56:57], v[120:121], -v[54:55]
	v_add_f64 v[118:119], v[118:119], -v[122:123]
	s_waitcnt lgkmcnt(0)
	v_mul_f64 v[54:55], v[116:117], v[56:57]
	v_mul_f64 v[56:57], v[114:115], v[56:57]
	v_fma_f64 v[54:55], v[114:115], v[118:119], -v[54:55]
	v_fmac_f64_e32 v[56:57], v[116:117], v[118:119]
	v_add_u32_e32 v118, s11, v1
	s_add_i32 s11, s6, 0xffffd000
	s_add_i32 s12, s11, s10
	v_mov_b32_e32 v114, s12
	ds_read_b128 v[114:117], v114
	s_add_i32 s15, s12, -16
	ds_write_b128 v118, v[54:57]
	v_mov_b32_e32 v118, s15
	ds_read_b128 v[118:121], v118
	s_waitcnt lgkmcnt(2)
	v_mul_f64 v[122:123], v[116:117], v[16:17]
	v_fma_f64 v[122:123], v[114:115], v[14:15], -v[122:123]
	v_mul_f64 v[114:115], v[114:115], v[16:17]
	v_fmac_f64_e32 v[114:115], v[116:117], v[14:15]
	v_add_f64 v[114:115], v[44:45], -v[114:115]
	s_waitcnt lgkmcnt(0)
	v_mul_f64 v[44:45], v[120:121], v[20:21]
	v_add_f64 v[42:43], v[42:43], -v[122:123]
	v_fma_f64 v[44:45], v[118:119], v[18:19], -v[44:45]
	s_sub_i32 s15, s12, 32
	v_mul_f64 v[116:117], v[118:119], v[20:21]
	v_add_f64 v[118:119], v[42:43], -v[44:45]
	v_mov_b32_e32 v42, s15
	ds_read_b128 v[42:45], v42
	v_fmac_f64_e32 v[116:117], v[120:121], v[18:19]
	s_sub_i32 s15, s12, 48
	v_add_f64 v[120:121], v[114:115], -v[116:117]
	v_mov_b32_e32 v114, s15
	ds_read_b128 v[114:117], v114
	s_waitcnt lgkmcnt(1)
	v_mul_f64 v[122:123], v[44:45], v[24:25]
	v_fma_f64 v[122:123], v[42:43], v[22:23], -v[122:123]
	v_mul_f64 v[42:43], v[42:43], v[24:25]
	v_fmac_f64_e32 v[42:43], v[44:45], v[22:23]
	v_add_f64 v[44:45], v[118:119], -v[122:123]
	v_add_f64 v[118:119], v[120:121], -v[42:43]
	s_waitcnt lgkmcnt(0)
	v_mul_f64 v[42:43], v[116:117], v[28:29]
	v_fma_f64 v[42:43], v[114:115], v[26:27], -v[42:43]
	s_sub_i32 s15, s12, 64
	v_add_f64 v[120:121], v[44:45], -v[42:43]
	v_mov_b32_e32 v42, s15
	v_mul_f64 v[114:115], v[114:115], v[28:29]
	ds_read_b128 v[42:45], v42
	v_fmac_f64_e32 v[114:115], v[116:117], v[26:27]
	s_add_i32 s15, s12, 0xffffffb0
	v_add_f64 v[118:119], v[118:119], -v[114:115]
	v_mov_b32_e32 v114, s15
	ds_read_b128 v[114:117], v114
	s_waitcnt lgkmcnt(1)
	v_mul_f64 v[122:123], v[44:45], v[32:33]
	v_fma_f64 v[122:123], v[42:43], v[30:31], -v[122:123]
	v_mul_f64 v[42:43], v[42:43], v[32:33]
	v_fmac_f64_e32 v[42:43], v[44:45], v[30:31]
	v_add_f64 v[118:119], v[118:119], -v[42:43]
	s_waitcnt lgkmcnt(0)
	v_mul_f64 v[42:43], v[116:117], v[36:37]
	v_add_f64 v[44:45], v[120:121], -v[122:123]
	v_fma_f64 v[42:43], v[114:115], v[34:35], -v[42:43]
	s_add_i32 s15, s12, 0xffffffa0
	v_add_f64 v[120:121], v[44:45], -v[42:43]
	v_mov_b32_e32 v42, s15
	v_mul_f64 v[114:115], v[114:115], v[36:37]
	ds_read_b128 v[42:45], v42
	v_fmac_f64_e32 v[114:115], v[116:117], v[34:35]
	s_add_i32 s15, s12, 0xffffff90
	v_add_f64 v[118:119], v[118:119], -v[114:115]
	v_mov_b32_e32 v114, s15
	ds_read_b128 v[114:117], v114
	s_waitcnt lgkmcnt(1)
	v_mul_f64 v[122:123], v[44:45], v[40:41]
	v_fma_f64 v[122:123], v[42:43], v[38:39], -v[122:123]
	v_mul_f64 v[42:43], v[42:43], v[40:41]
	v_fmac_f64_e32 v[42:43], v[44:45], v[38:39]
	v_add_f64 v[118:119], v[118:119], -v[42:43]
	s_waitcnt lgkmcnt(0)
	v_mul_f64 v[42:43], v[116:117], v[48:49]
	v_add_f64 v[44:45], v[120:121], -v[122:123]
	v_fma_f64 v[42:43], v[114:115], v[46:47], -v[42:43]
	s_add_i32 s15, s12, 0xffffff80
	;; [unrolled: 20-line block ×9, first 2 shown]
	v_add_f64 v[120:121], v[44:45], -v[42:43]
	v_mov_b32_e32 v42, s15
	v_mul_f64 v[114:115], v[114:115], v[80:81]
	ds_read_b128 v[42:45], v42
	v_fmac_f64_e32 v[114:115], v[116:117], v[78:79]
	s_addk_i32 s12, 0xfe90
	v_add_f64 v[118:119], v[118:119], -v[114:115]
	v_mov_b32_e32 v114, s12
	ds_read_b128 v[114:117], v114
	s_waitcnt lgkmcnt(1)
	v_mul_f64 v[122:123], v[44:45], v[72:73]
	v_fma_f64 v[122:123], v[42:43], v[70:71], -v[122:123]
	v_mul_f64 v[42:43], v[42:43], v[72:73]
	v_fmac_f64_e32 v[42:43], v[44:45], v[70:71]
	v_add_f64 v[42:43], v[118:119], -v[42:43]
	s_waitcnt lgkmcnt(0)
	v_mul_f64 v[118:119], v[116:117], v[56:57]
	v_fma_f64 v[118:119], v[114:115], v[54:55], -v[118:119]
	v_mul_f64 v[114:115], v[114:115], v[56:57]
	v_add_f64 v[44:45], v[120:121], -v[122:123]
	v_fmac_f64_e32 v[114:115], v[116:117], v[54:55]
	s_add_i32 s12, s7, 0xffffce80
	v_add_f64 v[122:123], v[44:45], -v[118:119]
	v_add_f64 v[44:45], v[42:43], -v[114:115]
	v_mov_b32_e32 v42, s12
	s_add_i32 s12, s6, 0xffffce00
	ds_read_b128 v[114:117], v42
	s_add_i32 s15, s12, s10
	v_mov_b32_e32 v42, s15
	ds_read_b128 v[118:121], v42
	s_sub_i32 s5, s5, 28
	s_waitcnt lgkmcnt(1)
	v_mul_f64 v[42:43], v[116:117], v[44:45]
	v_mul_f64 v[44:45], v[114:115], v[44:45]
	v_fma_f64 v[42:43], v[114:115], v[122:123], -v[42:43]
	v_fmac_f64_e32 v[44:45], v[116:117], v[122:123]
	v_add_u32_e32 v114, s11, v1
	ds_write_b128 v114, v[42:45]
	s_waitcnt lgkmcnt(1)
	v_mul_f64 v[114:115], v[120:121], v[16:17]
	v_fma_f64 v[114:115], v[118:119], v[14:15], -v[114:115]
	v_mul_f64 v[118:119], v[118:119], v[16:17]
	s_add_i32 s11, s15, -16
	v_fmac_f64_e32 v[118:119], v[120:121], v[14:15]
	v_add_f64 v[120:121], v[10:11], -v[114:115]
	v_mov_b32_e32 v10, s11
	ds_read_b128 v[114:117], v10
	s_sub_i32 s11, s15, 32
	v_mov_b32_e32 v10, s11
	v_add_f64 v[118:119], v[12:13], -v[118:119]
	ds_read_b128 v[10:13], v10
	s_waitcnt lgkmcnt(1)
	v_mul_f64 v[122:123], v[116:117], v[20:21]
	v_fma_f64 v[122:123], v[114:115], v[18:19], -v[122:123]
	v_mul_f64 v[114:115], v[114:115], v[20:21]
	v_fmac_f64_e32 v[114:115], v[116:117], v[18:19]
	v_add_f64 v[114:115], v[118:119], -v[114:115]
	s_waitcnt lgkmcnt(0)
	v_mul_f64 v[118:119], v[12:13], v[24:25]
	s_sub_i32 s11, s15, 48
	v_add_f64 v[116:117], v[120:121], -v[122:123]
	v_fma_f64 v[118:119], v[10:11], v[22:23], -v[118:119]
	v_mul_f64 v[120:121], v[10:11], v[24:25]
	v_mov_b32_e32 v10, s11
	v_fmac_f64_e32 v[120:121], v[12:13], v[22:23]
	ds_read_b128 v[10:13], v10
	s_sub_i32 s11, s15, 64
	v_add_f64 v[120:121], v[114:115], -v[120:121]
	v_mov_b32_e32 v114, s11
	v_add_f64 v[118:119], v[116:117], -v[118:119]
	ds_read_b128 v[114:117], v114
	s_waitcnt lgkmcnt(1)
	v_mul_f64 v[122:123], v[12:13], v[28:29]
	v_fma_f64 v[122:123], v[10:11], v[26:27], -v[122:123]
	v_mul_f64 v[10:11], v[10:11], v[28:29]
	v_fmac_f64_e32 v[10:11], v[12:13], v[26:27]
	v_add_f64 v[12:13], v[118:119], -v[122:123]
	v_add_f64 v[118:119], v[120:121], -v[10:11]
	s_waitcnt lgkmcnt(0)
	v_mul_f64 v[10:11], v[116:117], v[32:33]
	v_fma_f64 v[10:11], v[114:115], v[30:31], -v[10:11]
	s_add_i32 s11, s15, 0xffffffb0
	v_add_f64 v[120:121], v[12:13], -v[10:11]
	v_mov_b32_e32 v10, s11
	v_mul_f64 v[114:115], v[114:115], v[32:33]
	ds_read_b128 v[10:13], v10
	v_fmac_f64_e32 v[114:115], v[116:117], v[30:31]
	s_add_i32 s11, s15, 0xffffffa0
	v_add_f64 v[118:119], v[118:119], -v[114:115]
	v_mov_b32_e32 v114, s11
	ds_read_b128 v[114:117], v114
	s_waitcnt lgkmcnt(1)
	v_mul_f64 v[122:123], v[12:13], v[36:37]
	v_fma_f64 v[122:123], v[10:11], v[34:35], -v[122:123]
	v_mul_f64 v[10:11], v[10:11], v[36:37]
	v_fmac_f64_e32 v[10:11], v[12:13], v[34:35]
	v_add_f64 v[118:119], v[118:119], -v[10:11]
	s_waitcnt lgkmcnt(0)
	v_mul_f64 v[10:11], v[116:117], v[40:41]
	v_add_f64 v[12:13], v[120:121], -v[122:123]
	v_fma_f64 v[10:11], v[114:115], v[38:39], -v[10:11]
	s_add_i32 s11, s15, 0xffffff90
	v_add_f64 v[120:121], v[12:13], -v[10:11]
	v_mov_b32_e32 v10, s11
	v_mul_f64 v[114:115], v[114:115], v[40:41]
	ds_read_b128 v[10:13], v10
	v_fmac_f64_e32 v[114:115], v[116:117], v[38:39]
	s_add_i32 s11, s15, 0xffffff80
	v_add_f64 v[118:119], v[118:119], -v[114:115]
	v_mov_b32_e32 v114, s11
	ds_read_b128 v[114:117], v114
	s_waitcnt lgkmcnt(1)
	v_mul_f64 v[122:123], v[12:13], v[48:49]
	v_fma_f64 v[122:123], v[10:11], v[46:47], -v[122:123]
	v_mul_f64 v[10:11], v[10:11], v[48:49]
	v_fmac_f64_e32 v[10:11], v[12:13], v[46:47]
	v_add_f64 v[118:119], v[118:119], -v[10:11]
	s_waitcnt lgkmcnt(0)
	v_mul_f64 v[10:11], v[116:117], v[52:53]
	v_add_f64 v[12:13], v[120:121], -v[122:123]
	v_fma_f64 v[10:11], v[114:115], v[50:51], -v[10:11]
	s_add_i32 s11, s15, 0xffffff70
	v_add_f64 v[120:121], v[12:13], -v[10:11]
	v_mov_b32_e32 v10, s11
	v_mul_f64 v[114:115], v[114:115], v[52:53]
	ds_read_b128 v[10:13], v10
	v_fmac_f64_e32 v[114:115], v[116:117], v[50:51]
	s_add_i32 s11, s15, 0xffffff60
	v_add_f64 v[118:119], v[118:119], -v[114:115]
	v_mov_b32_e32 v114, s11
	ds_read_b128 v[114:117], v114
	s_waitcnt lgkmcnt(1)
	v_mul_f64 v[122:123], v[12:13], v[60:61]
	v_fma_f64 v[122:123], v[10:11], v[58:59], -v[122:123]
	v_mul_f64 v[10:11], v[10:11], v[60:61]
	v_fmac_f64_e32 v[10:11], v[12:13], v[58:59]
	v_add_f64 v[118:119], v[118:119], -v[10:11]
	s_waitcnt lgkmcnt(0)
	v_mul_f64 v[10:11], v[116:117], v[64:65]
	v_add_f64 v[12:13], v[120:121], -v[122:123]
	v_fma_f64 v[10:11], v[114:115], v[62:63], -v[10:11]
	s_add_i32 s11, s15, 0xffffff50
	v_add_f64 v[120:121], v[12:13], -v[10:11]
	v_mov_b32_e32 v10, s11
	v_mul_f64 v[114:115], v[114:115], v[64:65]
	ds_read_b128 v[10:13], v10
	v_fmac_f64_e32 v[114:115], v[116:117], v[62:63]
	s_add_i32 s11, s15, 0xffffff40
	v_add_f64 v[118:119], v[118:119], -v[114:115]
	v_mov_b32_e32 v114, s11
	ds_read_b128 v[114:117], v114
	s_waitcnt lgkmcnt(1)
	v_mul_f64 v[122:123], v[12:13], v[68:69]
	v_fma_f64 v[122:123], v[10:11], v[66:67], -v[122:123]
	v_mul_f64 v[10:11], v[10:11], v[68:69]
	v_fmac_f64_e32 v[10:11], v[12:13], v[66:67]
	v_add_f64 v[118:119], v[118:119], -v[10:11]
	s_waitcnt lgkmcnt(0)
	v_mul_f64 v[10:11], v[116:117], v[76:77]
	v_add_f64 v[12:13], v[120:121], -v[122:123]
	v_fma_f64 v[10:11], v[114:115], v[74:75], -v[10:11]
	s_add_i32 s11, s15, 0xffffff30
	v_add_f64 v[120:121], v[12:13], -v[10:11]
	v_mov_b32_e32 v10, s11
	v_mul_f64 v[114:115], v[114:115], v[76:77]
	ds_read_b128 v[10:13], v10
	v_fmac_f64_e32 v[114:115], v[116:117], v[74:75]
	s_add_i32 s11, s15, 0xffffff20
	v_add_f64 v[118:119], v[118:119], -v[114:115]
	v_mov_b32_e32 v114, s11
	ds_read_b128 v[114:117], v114
	s_waitcnt lgkmcnt(1)
	v_mul_f64 v[122:123], v[12:13], v[84:85]
	v_fma_f64 v[122:123], v[10:11], v[82:83], -v[122:123]
	v_mul_f64 v[10:11], v[10:11], v[84:85]
	v_fmac_f64_e32 v[10:11], v[12:13], v[82:83]
	v_add_f64 v[118:119], v[118:119], -v[10:11]
	s_waitcnt lgkmcnt(0)
	v_mul_f64 v[10:11], v[116:117], v[88:89]
	v_add_f64 v[12:13], v[120:121], -v[122:123]
	v_fma_f64 v[10:11], v[114:115], v[86:87], -v[10:11]
	s_add_i32 s11, s15, 0xffffff10
	v_add_f64 v[120:121], v[12:13], -v[10:11]
	v_mov_b32_e32 v10, s11
	v_mul_f64 v[114:115], v[114:115], v[88:89]
	ds_read_b128 v[10:13], v10
	v_fmac_f64_e32 v[114:115], v[116:117], v[86:87]
	s_add_i32 s11, s15, 0xffffff00
	v_add_f64 v[118:119], v[118:119], -v[114:115]
	v_mov_b32_e32 v114, s11
	ds_read_b128 v[114:117], v114
	s_waitcnt lgkmcnt(1)
	v_mul_f64 v[122:123], v[12:13], v[96:97]
	v_fma_f64 v[122:123], v[10:11], v[94:95], -v[122:123]
	v_mul_f64 v[10:11], v[10:11], v[96:97]
	v_fmac_f64_e32 v[10:11], v[12:13], v[94:95]
	v_add_f64 v[118:119], v[118:119], -v[10:11]
	s_waitcnt lgkmcnt(0)
	v_mul_f64 v[10:11], v[116:117], v[104:105]
	v_add_f64 v[12:13], v[120:121], -v[122:123]
	v_fma_f64 v[10:11], v[114:115], v[102:103], -v[10:11]
	s_add_i32 s11, s15, 0xfffffef0
	v_add_f64 v[120:121], v[12:13], -v[10:11]
	v_mov_b32_e32 v10, s11
	v_mul_f64 v[114:115], v[114:115], v[104:105]
	ds_read_b128 v[10:13], v10
	v_fmac_f64_e32 v[114:115], v[116:117], v[102:103]
	s_add_i32 s11, s15, 0xfffffee0
	v_add_f64 v[118:119], v[118:119], -v[114:115]
	v_mov_b32_e32 v114, s11
	ds_read_b128 v[114:117], v114
	s_waitcnt lgkmcnt(1)
	v_mul_f64 v[122:123], v[12:13], v[112:113]
	v_fma_f64 v[122:123], v[10:11], v[110:111], -v[122:123]
	v_mul_f64 v[10:11], v[10:11], v[112:113]
	v_fmac_f64_e32 v[10:11], v[12:13], v[110:111]
	v_add_f64 v[118:119], v[118:119], -v[10:11]
	s_waitcnt lgkmcnt(0)
	v_mul_f64 v[10:11], v[116:117], v[108:109]
	v_add_f64 v[12:13], v[120:121], -v[122:123]
	v_fma_f64 v[10:11], v[114:115], v[106:107], -v[10:11]
	s_add_i32 s11, s15, 0xfffffed0
	v_add_f64 v[120:121], v[12:13], -v[10:11]
	v_mov_b32_e32 v10, s11
	v_mul_f64 v[114:115], v[114:115], v[108:109]
	ds_read_b128 v[10:13], v10
	v_fmac_f64_e32 v[114:115], v[116:117], v[106:107]
	s_add_i32 s11, s15, 0xfffffec0
	v_add_f64 v[118:119], v[118:119], -v[114:115]
	v_mov_b32_e32 v114, s11
	ds_read_b128 v[114:117], v114
	s_waitcnt lgkmcnt(1)
	v_mul_f64 v[122:123], v[12:13], v[100:101]
	v_fma_f64 v[122:123], v[10:11], v[98:99], -v[122:123]
	v_mul_f64 v[10:11], v[10:11], v[100:101]
	v_fmac_f64_e32 v[10:11], v[12:13], v[98:99]
	v_add_f64 v[118:119], v[118:119], -v[10:11]
	s_waitcnt lgkmcnt(0)
	v_mul_f64 v[10:11], v[116:117], v[92:93]
	v_add_f64 v[12:13], v[120:121], -v[122:123]
	v_fma_f64 v[10:11], v[114:115], v[90:91], -v[10:11]
	s_add_i32 s11, s15, 0xfffffeb0
	v_add_f64 v[120:121], v[12:13], -v[10:11]
	v_mov_b32_e32 v10, s11
	v_mul_f64 v[114:115], v[114:115], v[92:93]
	ds_read_b128 v[10:13], v10
	v_fmac_f64_e32 v[114:115], v[116:117], v[90:91]
	s_add_i32 s11, s15, 0xfffffea0
	v_add_f64 v[118:119], v[118:119], -v[114:115]
	v_mov_b32_e32 v114, s11
	ds_read_b128 v[114:117], v114
	s_waitcnt lgkmcnt(1)
	v_mul_f64 v[122:123], v[12:13], v[80:81]
	v_fma_f64 v[122:123], v[10:11], v[78:79], -v[122:123]
	v_mul_f64 v[10:11], v[10:11], v[80:81]
	v_fmac_f64_e32 v[10:11], v[12:13], v[78:79]
	v_add_f64 v[118:119], v[118:119], -v[10:11]
	s_waitcnt lgkmcnt(0)
	v_mul_f64 v[10:11], v[116:117], v[72:73]
	v_add_f64 v[12:13], v[120:121], -v[122:123]
	v_fma_f64 v[10:11], v[114:115], v[70:71], -v[10:11]
	s_add_i32 s11, s15, 0xfffffe90
	v_add_f64 v[120:121], v[12:13], -v[10:11]
	v_mov_b32_e32 v10, s11
	v_mul_f64 v[114:115], v[114:115], v[72:73]
	ds_read_b128 v[10:13], v10
	v_fmac_f64_e32 v[114:115], v[116:117], v[70:71]
	s_add_i32 s11, s15, 0xfffffe80
	v_add_f64 v[118:119], v[118:119], -v[114:115]
	v_mov_b32_e32 v114, s11
	ds_read_b128 v[114:117], v114
	s_waitcnt lgkmcnt(1)
	v_mul_f64 v[122:123], v[12:13], v[56:57]
	v_fma_f64 v[122:123], v[10:11], v[54:55], -v[122:123]
	v_mul_f64 v[10:11], v[10:11], v[56:57]
	v_fmac_f64_e32 v[10:11], v[12:13], v[54:55]
	v_add_f64 v[10:11], v[118:119], -v[10:11]
	s_waitcnt lgkmcnt(0)
	v_mul_f64 v[118:119], v[116:117], v[44:45]
	v_fma_f64 v[118:119], v[114:115], v[42:43], -v[118:119]
	v_mul_f64 v[114:115], v[114:115], v[44:45]
	v_add_f64 v[12:13], v[120:121], -v[122:123]
	v_fmac_f64_e32 v[114:115], v[116:117], v[42:43]
	s_add_i32 s11, s7, 0xffffcc70
	v_add_f64 v[122:123], v[12:13], -v[118:119]
	v_add_f64 v[12:13], v[10:11], -v[114:115]
	v_mov_b32_e32 v10, s11
	s_add_i32 s11, s6, 0xffffcc00
	ds_read_b128 v[114:117], v10
	s_add_i32 s15, s11, s10
	v_mov_b32_e32 v10, s15
	ds_read_b128 v[118:121], v10
	s_addk_i32 s6, 0xca00
	s_waitcnt lgkmcnt(1)
	v_mul_f64 v[10:11], v[116:117], v[12:13]
	v_mul_f64 v[12:13], v[114:115], v[12:13]
	v_fma_f64 v[10:11], v[114:115], v[122:123], -v[10:11]
	v_fmac_f64_e32 v[12:13], v[116:117], v[122:123]
	v_add_u32_e32 v114, s12, v1
	ds_write_b128 v114, v[10:13]
	s_waitcnt lgkmcnt(1)
	v_mul_f64 v[114:115], v[120:121], v[16:17]
	v_fma_f64 v[114:115], v[118:119], v[14:15], -v[114:115]
	v_mul_f64 v[118:119], v[118:119], v[16:17]
	s_add_i32 s12, s15, -16
	v_fmac_f64_e32 v[118:119], v[120:121], v[14:15]
	v_add_f64 v[120:121], v[6:7], -v[114:115]
	v_mov_b32_e32 v6, s12
	ds_read_b128 v[114:117], v6
	s_sub_i32 s12, s15, 32
	v_mov_b32_e32 v6, s12
	v_add_f64 v[118:119], v[8:9], -v[118:119]
	ds_read_b128 v[6:9], v6
	s_waitcnt lgkmcnt(1)
	v_mul_f64 v[122:123], v[116:117], v[20:21]
	v_fma_f64 v[122:123], v[114:115], v[18:19], -v[122:123]
	v_mul_f64 v[114:115], v[114:115], v[20:21]
	v_fmac_f64_e32 v[114:115], v[116:117], v[18:19]
	v_add_f64 v[114:115], v[118:119], -v[114:115]
	s_waitcnt lgkmcnt(0)
	v_mul_f64 v[118:119], v[8:9], v[24:25]
	s_sub_i32 s12, s15, 48
	v_add_f64 v[116:117], v[120:121], -v[122:123]
	v_fma_f64 v[118:119], v[6:7], v[22:23], -v[118:119]
	v_mul_f64 v[120:121], v[6:7], v[24:25]
	v_mov_b32_e32 v6, s12
	v_fmac_f64_e32 v[120:121], v[8:9], v[22:23]
	ds_read_b128 v[6:9], v6
	s_sub_i32 s12, s15, 64
	v_add_f64 v[120:121], v[114:115], -v[120:121]
	v_mov_b32_e32 v114, s12
	v_add_f64 v[118:119], v[116:117], -v[118:119]
	ds_read_b128 v[114:117], v114
	s_waitcnt lgkmcnt(1)
	v_mul_f64 v[122:123], v[8:9], v[28:29]
	v_fma_f64 v[122:123], v[6:7], v[26:27], -v[122:123]
	v_mul_f64 v[6:7], v[6:7], v[28:29]
	v_fmac_f64_e32 v[6:7], v[8:9], v[26:27]
	v_add_f64 v[8:9], v[118:119], -v[122:123]
	v_add_f64 v[118:119], v[120:121], -v[6:7]
	s_waitcnt lgkmcnt(0)
	v_mul_f64 v[6:7], v[116:117], v[32:33]
	v_fma_f64 v[6:7], v[114:115], v[30:31], -v[6:7]
	s_add_i32 s12, s15, 0xffffffb0
	v_add_f64 v[120:121], v[8:9], -v[6:7]
	v_mov_b32_e32 v6, s12
	v_mul_f64 v[114:115], v[114:115], v[32:33]
	ds_read_b128 v[6:9], v6
	v_fmac_f64_e32 v[114:115], v[116:117], v[30:31]
	s_add_i32 s12, s15, 0xffffffa0
	v_add_f64 v[118:119], v[118:119], -v[114:115]
	v_mov_b32_e32 v114, s12
	ds_read_b128 v[114:117], v114
	s_waitcnt lgkmcnt(1)
	v_mul_f64 v[122:123], v[8:9], v[36:37]
	v_fma_f64 v[122:123], v[6:7], v[34:35], -v[122:123]
	v_mul_f64 v[6:7], v[6:7], v[36:37]
	v_fmac_f64_e32 v[6:7], v[8:9], v[34:35]
	v_add_f64 v[118:119], v[118:119], -v[6:7]
	s_waitcnt lgkmcnt(0)
	v_mul_f64 v[6:7], v[116:117], v[40:41]
	v_add_f64 v[8:9], v[120:121], -v[122:123]
	v_fma_f64 v[6:7], v[114:115], v[38:39], -v[6:7]
	s_add_i32 s12, s15, 0xffffff90
	v_add_f64 v[120:121], v[8:9], -v[6:7]
	v_mov_b32_e32 v6, s12
	v_mul_f64 v[114:115], v[114:115], v[40:41]
	ds_read_b128 v[6:9], v6
	v_fmac_f64_e32 v[114:115], v[116:117], v[38:39]
	s_add_i32 s12, s15, 0xffffff80
	v_add_f64 v[118:119], v[118:119], -v[114:115]
	v_mov_b32_e32 v114, s12
	ds_read_b128 v[114:117], v114
	s_waitcnt lgkmcnt(1)
	v_mul_f64 v[122:123], v[8:9], v[48:49]
	v_fma_f64 v[122:123], v[6:7], v[46:47], -v[122:123]
	v_mul_f64 v[6:7], v[6:7], v[48:49]
	v_fmac_f64_e32 v[6:7], v[8:9], v[46:47]
	v_add_f64 v[118:119], v[118:119], -v[6:7]
	s_waitcnt lgkmcnt(0)
	v_mul_f64 v[6:7], v[116:117], v[52:53]
	v_add_f64 v[8:9], v[120:121], -v[122:123]
	;; [unrolled: 20-line block ×10, first 2 shown]
	v_fma_f64 v[6:7], v[114:115], v[42:43], -v[6:7]
	s_add_i32 s12, s15, 0xfffffe70
	v_add_f64 v[120:121], v[8:9], -v[6:7]
	v_mov_b32_e32 v6, s12
	ds_read_b128 v[6:9], v6
	v_mul_f64 v[114:115], v[114:115], v[44:45]
	v_fmac_f64_e32 v[114:115], v[116:117], v[42:43]
	s_add_i32 s12, s7, 0xffffca60
	v_add_f64 v[118:119], v[118:119], -v[114:115]
	v_mov_b32_e32 v114, s12
	ds_read_b128 v[114:117], v114
	s_waitcnt lgkmcnt(1)
	v_mul_f64 v[122:123], v[8:9], v[12:13]
	v_fma_f64 v[122:123], v[6:7], v[10:11], -v[122:123]
	v_mul_f64 v[6:7], v[6:7], v[12:13]
	v_fmac_f64_e32 v[6:7], v[8:9], v[10:11]
	v_add_f64 v[8:9], v[118:119], -v[6:7]
	v_add_f64 v[120:121], v[120:121], -v[122:123]
	s_waitcnt lgkmcnt(0)
	v_mul_f64 v[6:7], v[116:117], v[8:9]
	s_add_i32 s10, s6, s10
	v_fma_f64 v[6:7], v[114:115], v[120:121], -v[6:7]
	v_mul_f64 v[8:9], v[114:115], v[8:9]
	v_mov_b32_e32 v114, s10
	v_fmac_f64_e32 v[8:9], v[116:117], v[120:121]
	v_add_u32_e32 v118, s11, v1
	ds_read_b128 v[114:117], v114
	s_add_i32 s11, s10, -16
	ds_write_b128 v118, v[6:9]
	v_mov_b32_e32 v118, s11
	ds_read_b128 v[118:121], v118
	s_waitcnt lgkmcnt(2)
	v_mul_f64 v[122:123], v[116:117], v[16:17]
	v_mul_f64 v[16:17], v[114:115], v[16:17]
	v_fmac_f64_e32 v[16:17], v[116:117], v[14:15]
	v_fma_f64 v[122:123], v[114:115], v[14:15], -v[122:123]
	v_add_f64 v[14:15], v[4:5], -v[16:17]
	s_waitcnt lgkmcnt(0)
	v_mul_f64 v[4:5], v[120:121], v[20:21]
	v_add_f64 v[2:3], v[2:3], -v[122:123]
	v_fma_f64 v[4:5], v[118:119], v[18:19], -v[4:5]
	v_mul_f64 v[16:17], v[118:119], v[20:21]
	s_sub_i32 s11, s10, 32
	v_fmac_f64_e32 v[16:17], v[120:121], v[18:19]
	v_add_f64 v[18:19], v[2:3], -v[4:5]
	v_mov_b32_e32 v2, s11
	ds_read_b128 v[2:5], v2
	s_sub_i32 s11, s10, 48
	v_add_f64 v[20:21], v[14:15], -v[16:17]
	v_mov_b32_e32 v14, s11
	ds_read_b128 v[14:17], v14
	s_waitcnt lgkmcnt(1)
	v_mul_f64 v[114:115], v[4:5], v[24:25]
	v_fma_f64 v[114:115], v[2:3], v[22:23], -v[114:115]
	v_mul_f64 v[2:3], v[2:3], v[24:25]
	v_fmac_f64_e32 v[2:3], v[4:5], v[22:23]
	v_add_f64 v[4:5], v[18:19], -v[114:115]
	v_add_f64 v[18:19], v[20:21], -v[2:3]
	s_waitcnt lgkmcnt(0)
	v_mul_f64 v[2:3], v[16:17], v[28:29]
	v_fma_f64 v[2:3], v[14:15], v[26:27], -v[2:3]
	s_sub_i32 s11, s10, 64
	v_add_f64 v[20:21], v[4:5], -v[2:3]
	v_mov_b32_e32 v2, s11
	v_mul_f64 v[14:15], v[14:15], v[28:29]
	ds_read_b128 v[2:5], v2
	v_fmac_f64_e32 v[14:15], v[16:17], v[26:27]
	s_add_i32 s11, s10, 0xffffffb0
	v_add_f64 v[18:19], v[18:19], -v[14:15]
	v_mov_b32_e32 v14, s11
	ds_read_b128 v[14:17], v14
	s_waitcnt lgkmcnt(1)
	v_mul_f64 v[22:23], v[4:5], v[32:33]
	v_fma_f64 v[22:23], v[2:3], v[30:31], -v[22:23]
	v_mul_f64 v[2:3], v[2:3], v[32:33]
	v_fmac_f64_e32 v[2:3], v[4:5], v[30:31]
	v_add_f64 v[18:19], v[18:19], -v[2:3]
	s_waitcnt lgkmcnt(0)
	v_mul_f64 v[2:3], v[16:17], v[36:37]
	v_add_f64 v[4:5], v[20:21], -v[22:23]
	v_fma_f64 v[2:3], v[14:15], v[34:35], -v[2:3]
	s_add_i32 s11, s10, 0xffffffa0
	v_add_f64 v[20:21], v[4:5], -v[2:3]
	v_mov_b32_e32 v2, s11
	v_mul_f64 v[14:15], v[14:15], v[36:37]
	ds_read_b128 v[2:5], v2
	v_fmac_f64_e32 v[14:15], v[16:17], v[34:35]
	s_add_i32 s11, s10, 0xffffff90
	v_add_f64 v[18:19], v[18:19], -v[14:15]
	v_mov_b32_e32 v14, s11
	ds_read_b128 v[14:17], v14
	s_waitcnt lgkmcnt(1)
	v_mul_f64 v[22:23], v[4:5], v[40:41]
	v_fma_f64 v[22:23], v[2:3], v[38:39], -v[22:23]
	v_mul_f64 v[2:3], v[2:3], v[40:41]
	v_fmac_f64_e32 v[2:3], v[4:5], v[38:39]
	v_add_f64 v[18:19], v[18:19], -v[2:3]
	s_waitcnt lgkmcnt(0)
	v_mul_f64 v[2:3], v[16:17], v[48:49]
	v_add_f64 v[4:5], v[20:21], -v[22:23]
	v_fma_f64 v[2:3], v[14:15], v[46:47], -v[2:3]
	s_add_i32 s11, s10, 0xffffff80
	;; [unrolled: 20-line block ×10, first 2 shown]
	v_add_f64 v[20:21], v[4:5], -v[2:3]
	v_mov_b32_e32 v2, s11
	v_mul_f64 v[14:15], v[14:15], v[56:57]
	ds_read_b128 v[2:5], v2
	v_fmac_f64_e32 v[14:15], v[16:17], v[54:55]
	s_add_i32 s11, s10, 0xfffffe70
	v_add_f64 v[18:19], v[18:19], -v[14:15]
	v_mov_b32_e32 v14, s11
	ds_read_b128 v[14:17], v14
	s_waitcnt lgkmcnt(1)
	v_mul_f64 v[22:23], v[4:5], v[44:45]
	v_fma_f64 v[22:23], v[2:3], v[42:43], -v[22:23]
	v_mul_f64 v[2:3], v[2:3], v[44:45]
	v_fmac_f64_e32 v[2:3], v[4:5], v[42:43]
	v_add_f64 v[18:19], v[18:19], -v[2:3]
	s_waitcnt lgkmcnt(0)
	v_mul_f64 v[2:3], v[16:17], v[12:13]
	v_add_f64 v[4:5], v[20:21], -v[22:23]
	v_fma_f64 v[2:3], v[14:15], v[10:11], -v[2:3]
	s_addk_i32 s10, 0xfe60
	v_mul_f64 v[12:13], v[14:15], v[12:13]
	v_add_f64 v[14:15], v[4:5], -v[2:3]
	v_mov_b32_e32 v2, s10
	ds_read_b128 v[2:5], v2
	s_addk_i32 s7, 0xc850
	v_fmac_f64_e32 v[12:13], v[16:17], v[10:11]
	v_mov_b32_e32 v10, s7
	v_add_f64 v[16:17], v[18:19], -v[12:13]
	ds_read_b128 v[10:13], v10
	s_waitcnt lgkmcnt(1)
	v_mul_f64 v[18:19], v[4:5], v[8:9]
	v_fma_f64 v[18:19], v[2:3], v[6:7], -v[18:19]
	v_mul_f64 v[2:3], v[2:3], v[8:9]
	v_fmac_f64_e32 v[2:3], v[4:5], v[6:7]
	v_add_f64 v[4:5], v[16:17], -v[2:3]
	v_add_f64 v[6:7], v[14:15], -v[18:19]
	s_waitcnt lgkmcnt(0)
	v_mul_f64 v[2:3], v[12:13], v[4:5]
	v_mul_f64 v[4:5], v[10:11], v[4:5]
	v_fma_f64 v[2:3], v[10:11], v[6:7], -v[2:3]
	v_fmac_f64_e32 v[4:5], v[12:13], v[6:7]
	v_add_u32_e32 v6, s6, v1
	ds_write_b128 v6, v[2:5]
.LBB236_23:
	s_cmp_lt_i32 s5, 0
	s_cbranch_scc1 .LBB236_36
; %bb.24:
	s_bitcmp1_b32 s5, 0
	s_cselect_b64 s[6:7], -1, 0
	s_and_b64 vcc, exec, s[6:7]
	s_mov_b32 s6, s5
	s_cbranch_vccnz .LBB236_29
; %bb.25:
	s_lshl_b32 s6, s5, 9
	v_add_u32_e32 v6, s6, v1
	ds_read_b128 v[2:5], v6
	s_cmp_le_i32 s4, s5
	s_cbranch_scc1 .LBB236_28
; %bb.26:
	s_lshl_b32 s7, s24, 4
	v_lshlrev_b32_e32 v7, 4, v0
	s_add_i32 s6, s6, s7
	v_lshl_or_b32 v7, s24, 9, v7
	s_add_i32 s6, s6, -16
	v_add_u32_e32 v7, 0x3e00, v7
	s_mov_b32 s7, s4
.LBB236_27:                             ; =>This Inner Loop Header: Depth=1
	v_mov_b32_e32 v12, s6
	ds_read_b128 v[8:11], v7
	ds_read_b128 v[12:15], v12
	s_add_i32 s7, s7, -1
	s_add_i32 s6, s6, -16
	v_add_u32_e32 v7, 0xfffffe00, v7
	s_cmp_gt_i32 s7, s5
	s_waitcnt lgkmcnt(0)
	v_mul_f64 v[16:17], v[10:11], v[14:15]
	v_mul_f64 v[14:15], v[8:9], v[14:15]
	v_fma_f64 v[8:9], v[8:9], v[12:13], -v[16:17]
	v_fmac_f64_e32 v[14:15], v[10:11], v[12:13]
	v_add_f64 v[2:3], v[2:3], -v[8:9]
	v_add_f64 v[4:5], v[4:5], -v[14:15]
	s_cbranch_scc1 .LBB236_27
.LBB236_28:
	s_mul_i32 s6, s5, 0x210
	v_mov_b32_e32 v7, s6
	ds_read_b128 v[8:11], v7
	s_add_i32 s6, s5, -1
	s_waitcnt lgkmcnt(0)
	v_mul_f64 v[12:13], v[10:11], v[4:5]
	v_mul_f64 v[14:15], v[8:9], v[4:5]
	v_fma_f64 v[12:13], v[8:9], v[2:3], -v[12:13]
	v_fmac_f64_e32 v[14:15], v[10:11], v[2:3]
	ds_write_b128 v6, v[12:15]
.LBB236_29:
	s_cmp_eq_u32 s5, 0
	s_cbranch_scc1 .LBB236_36
; %bb.30:
	s_lshl_b32 s5, s6, 9
	s_lshl_b32 s7, s24, 4
	v_lshlrev_b32_e32 v2, 4, v0
	s_add_i32 s7, s5, s7
	v_lshl_or_b32 v2, s24, 9, v2
	s_add_i32 s5, s7, -16
	v_add_u32_e32 v10, 0x3e00, v2
	s_addk_i32 s7, 0xfdf0
	s_branch .LBB236_32
.LBB236_31:                             ;   in Loop: Header=BB236_32 Depth=1
	s_addk_i32 s10, 0xfdf0
	v_mov_b32_e32 v6, s10
	ds_read_b128 v[6:9], v6
	s_add_i32 s10, s6, -2
	s_addk_i32 s5, 0xfc00
	s_addk_i32 s7, 0xfc00
	s_cmp_lt_i32 s6, 2
	s_waitcnt lgkmcnt(0)
	v_mul_f64 v[12:13], v[8:9], v[4:5]
	v_mul_f64 v[14:15], v[6:7], v[4:5]
	v_fma_f64 v[12:13], v[6:7], v[2:3], -v[12:13]
	v_fmac_f64_e32 v[14:15], v[8:9], v[2:3]
	s_mov_b32 s6, s10
	ds_write_b128 v11, v[12:15]
	s_cbranch_scc1 .LBB236_36
.LBB236_32:                             ; =>This Loop Header: Depth=1
                                        ;     Child Loop BB236_33 Depth 2
                                        ;     Child Loop BB236_35 Depth 2
	s_lshl_b32 s11, s6, 9
	v_add_u32_e32 v12, s11, v1
	ds_read_b128 v[6:9], v12
	s_cmp_le_i32 s4, s6
	v_mov_b32_e32 v2, v10
	s_mov_b32 s10, s5
	s_mov_b32 s12, s4
	s_cbranch_scc1 .LBB236_34
.LBB236_33:                             ;   Parent Loop BB236_32 Depth=1
                                        ; =>  This Inner Loop Header: Depth=2
	v_mov_b32_e32 v3, s10
	ds_read_b128 v[14:17], v2
	ds_read_b128 v[18:21], v3
	s_add_i32 s12, s12, -1
	s_add_i32 s10, s10, -16
	v_add_u32_e32 v2, 0xfffffe00, v2
	s_cmp_gt_i32 s12, s6
	s_waitcnt lgkmcnt(0)
	v_mul_f64 v[4:5], v[16:17], v[20:21]
	v_mul_f64 v[20:21], v[14:15], v[20:21]
	v_fma_f64 v[4:5], v[14:15], v[18:19], -v[4:5]
	v_fmac_f64_e32 v[20:21], v[16:17], v[18:19]
	v_add_f64 v[6:7], v[6:7], -v[4:5]
	v_add_f64 v[8:9], v[8:9], -v[20:21]
	s_cbranch_scc1 .LBB236_33
.LBB236_34:                             ;   in Loop: Header=BB236_32 Depth=1
	s_mul_i32 s10, s6, 0x210
	v_mov_b32_e32 v2, s10
	ds_read_b128 v[14:17], v2
	s_addk_i32 s11, 0xfe00
	v_add_u32_e32 v11, s11, v1
	ds_read_b128 v[2:5], v11
	s_cmp_le_i32 s24, s6
	s_waitcnt lgkmcnt(1)
	v_mul_f64 v[18:19], v[16:17], v[8:9]
	v_mul_f64 v[20:21], v[14:15], v[8:9]
	v_fma_f64 v[18:19], v[14:15], v[6:7], -v[18:19]
	v_fmac_f64_e32 v[20:21], v[16:17], v[6:7]
	v_mov_b32_e32 v6, v10
	s_mov_b32 s11, s7
	s_mov_b32 s12, s24
	ds_write_b128 v12, v[18:21]
	s_cbranch_scc1 .LBB236_31
.LBB236_35:                             ;   Parent Loop BB236_32 Depth=1
                                        ; =>  This Inner Loop Header: Depth=2
	v_mov_b32_e32 v7, s11
	ds_read_b128 v[12:15], v6
	ds_read_b128 v[16:19], v7
	s_add_i32 s12, s12, -1
	s_add_i32 s11, s11, -16
	v_add_u32_e32 v6, 0xfffffe00, v6
	s_cmp_gt_i32 s12, s6
	s_waitcnt lgkmcnt(0)
	v_mul_f64 v[8:9], v[14:15], v[18:19]
	v_mul_f64 v[18:19], v[12:13], v[18:19]
	v_fma_f64 v[8:9], v[12:13], v[16:17], -v[8:9]
	v_fmac_f64_e32 v[18:19], v[14:15], v[16:17]
	v_add_f64 v[2:3], v[2:3], -v[8:9]
	v_add_f64 v[4:5], v[4:5], -v[18:19]
	s_cbranch_scc1 .LBB236_35
	s_branch .LBB236_31
.LBB236_36:
	s_mov_b64 s[4:5], 0
.LBB236_37:
	s_and_b64 vcc, exec, s[4:5]
	s_cbranch_vccz .LBB236_51
; %bb.38:
	s_cmp_gt_i32 s14, 31
	s_cselect_b64 s[4:5], -1, 0
	s_mov_b32 s7, 0
	s_and_b64 vcc, exec, s[4:5]
	s_cbranch_vccz .LBB236_40
; %bb.39:
	v_mov_b32_e32 v136, 0
	ds_read_b128 v[34:37], v1
	ds_read_b128 v[130:133], v1 offset:512
	ds_read_b128 v[46:49], v1 offset:1024
	;; [unrolled: 1-line block ×27, first 2 shown]
	ds_read_b128 v[138:141], v136
	ds_read_b128 v[114:117], v1 offset:14336
	ds_read_b128 v[122:125], v1 offset:14848
	;; [unrolled: 1-line block ×4, first 2 shown]
	s_waitcnt lgkmcnt(4)
	v_mul_f64 v[26:27], v[140:141], v[36:37]
	v_mul_f64 v[28:29], v[138:139], v[36:37]
	v_fma_f64 v[26:27], v[138:139], v[34:35], -v[26:27]
	v_fmac_f64_e32 v[28:29], v[140:141], v[34:35]
	ds_read_b128 v[34:37], v136 offset:16
	ds_write_b128 v1, v[26:29]
	ds_read_b128 v[138:141], v136 offset:32
	ds_read_b128 v[142:145], v136 offset:48
	;; [unrolled: 1-line block ×4, first 2 shown]
	s_mov_b32 s7, 32
	s_waitcnt lgkmcnt(5)
	v_mul_f64 v[134:135], v[36:37], v[28:29]
	v_fma_f64 v[134:135], v[34:35], v[26:27], -v[134:135]
	v_mul_f64 v[34:35], v[34:35], v[28:29]
	v_fmac_f64_e32 v[34:35], v[36:37], v[26:27]
	v_add_f64 v[36:37], v[132:133], -v[34:35]
	v_add_f64 v[130:131], v[130:131], -v[134:135]
	s_waitcnt lgkmcnt(0)
	v_mul_f64 v[34:35], v[152:153], v[36:37]
	v_mul_f64 v[36:37], v[150:151], v[36:37]
	v_fma_f64 v[34:35], v[150:151], v[130:131], -v[34:35]
	v_fmac_f64_e32 v[36:37], v[152:153], v[130:131]
	v_mul_f64 v[130:131], v[140:141], v[28:29]
	v_fma_f64 v[134:135], v[138:139], v[26:27], -v[130:131]
	ds_read_b128 v[130:133], v136 offset:544
	v_mul_f64 v[138:139], v[138:139], v[28:29]
	v_fmac_f64_e32 v[138:139], v[140:141], v[26:27]
	v_add_f64 v[48:49], v[48:49], -v[138:139]
	ds_read_b128 v[138:141], v136 offset:1056
	v_add_f64 v[46:47], v[46:47], -v[134:135]
	s_waitcnt lgkmcnt(1)
	v_mul_f64 v[134:135], v[132:133], v[36:37]
	v_fma_f64 v[134:135], v[130:131], v[34:35], -v[134:135]
	v_mul_f64 v[130:131], v[130:131], v[36:37]
	v_fmac_f64_e32 v[130:131], v[132:133], v[34:35]
	v_add_f64 v[48:49], v[48:49], -v[130:131]
	v_add_f64 v[132:133], v[46:47], -v[134:135]
	s_waitcnt lgkmcnt(0)
	v_mul_f64 v[46:47], v[140:141], v[48:49]
	v_mul_f64 v[48:49], v[138:139], v[48:49]
	;; [unrolled: 1-line block ×3, first 2 shown]
	v_fma_f64 v[46:47], v[138:139], v[132:133], -v[46:47]
	v_fmac_f64_e32 v[48:49], v[140:141], v[132:133]
	v_fma_f64 v[134:135], v[142:143], v[26:27], -v[130:131]
	ds_read_b128 v[130:133], v136 offset:560
	v_mul_f64 v[138:139], v[142:143], v[28:29]
	v_fmac_f64_e32 v[138:139], v[144:145], v[26:27]
	v_add_f64 v[134:135], v[54:55], -v[134:135]
	v_add_f64 v[138:139], v[56:57], -v[138:139]
	s_waitcnt lgkmcnt(0)
	v_mul_f64 v[54:55], v[132:133], v[36:37]
	v_fma_f64 v[140:141], v[130:131], v[34:35], -v[54:55]
	ds_read_b128 v[54:57], v136 offset:1072
	v_mul_f64 v[130:131], v[130:131], v[36:37]
	v_fmac_f64_e32 v[130:131], v[132:133], v[34:35]
	v_add_f64 v[138:139], v[138:139], -v[130:131]
	v_add_f64 v[134:135], v[134:135], -v[140:141]
	s_waitcnt lgkmcnt(0)
	v_mul_f64 v[130:131], v[56:57], v[48:49]
	;; [unrolled: 8-line block ×3, first 2 shown]
	v_fma_f64 v[54:55], v[130:131], v[134:135], -v[54:55]
	v_mul_f64 v[56:57], v[130:131], v[56:57]
	v_mul_f64 v[130:131], v[148:149], v[28:29]
	v_fmac_f64_e32 v[56:57], v[132:133], v[134:135]
	v_fma_f64 v[134:135], v[146:147], v[26:27], -v[130:131]
	ds_read_b128 v[130:133], v136 offset:576
	v_mul_f64 v[138:139], v[146:147], v[28:29]
	v_fmac_f64_e32 v[138:139], v[148:149], v[26:27]
	v_add_f64 v[134:135], v[14:15], -v[134:135]
	v_add_f64 v[138:139], v[16:17], -v[138:139]
	s_waitcnt lgkmcnt(0)
	v_mul_f64 v[14:15], v[132:133], v[36:37]
	v_fma_f64 v[140:141], v[130:131], v[34:35], -v[14:15]
	ds_read_b128 v[14:17], v136 offset:1088
	v_mul_f64 v[130:131], v[130:131], v[36:37]
	v_fmac_f64_e32 v[130:131], v[132:133], v[34:35]
	v_add_f64 v[138:139], v[138:139], -v[130:131]
	v_add_f64 v[134:135], v[134:135], -v[140:141]
	s_waitcnt lgkmcnt(0)
	v_mul_f64 v[130:131], v[16:17], v[48:49]
	v_fma_f64 v[140:141], v[14:15], v[46:47], -v[130:131]
	ds_read_b128 v[130:133], v136 offset:1600
	v_mul_f64 v[14:15], v[14:15], v[48:49]
	v_fmac_f64_e32 v[14:15], v[16:17], v[46:47]
	v_add_f64 v[16:17], v[134:135], -v[140:141]
	v_add_f64 v[14:15], v[138:139], -v[14:15]
	ds_read_b128 v[138:141], v136 offset:2112
	s_waitcnt lgkmcnt(1)
	v_mul_f64 v[134:135], v[132:133], v[56:57]
	v_fma_f64 v[134:135], v[130:131], v[54:55], -v[134:135]
	v_mul_f64 v[130:131], v[130:131], v[56:57]
	v_fmac_f64_e32 v[130:131], v[132:133], v[54:55]
	v_add_f64 v[134:135], v[16:17], -v[134:135]
	v_add_f64 v[16:17], v[14:15], -v[130:131]
	s_waitcnt lgkmcnt(0)
	v_mul_f64 v[14:15], v[140:141], v[16:17]
	v_mul_f64 v[16:17], v[138:139], v[16:17]
	v_fma_f64 v[14:15], v[138:139], v[134:135], -v[14:15]
	ds_read_b128 v[130:133], v136 offset:80
	v_fmac_f64_e32 v[16:17], v[140:141], v[134:135]
	ds_write_b128 v1, v[34:37] offset:512
	ds_write_b128 v1, v[46:49] offset:1024
	;; [unrolled: 1-line block ×4, first 2 shown]
	ds_read_b128 v[138:141], v136 offset:96
	ds_read_b128 v[142:145], v136 offset:112
	;; [unrolled: 1-line block ×3, first 2 shown]
	s_waitcnt lgkmcnt(7)
	v_mul_f64 v[134:135], v[132:133], v[28:29]
	v_fma_f64 v[134:135], v[130:131], v[26:27], -v[134:135]
	v_mul_f64 v[130:131], v[130:131], v[28:29]
	v_fmac_f64_e32 v[130:131], v[132:133], v[26:27]
	v_add_f64 v[132:133], v[10:11], -v[134:135]
	s_waitcnt lgkmcnt(0)
	v_mul_f64 v[10:11], v[148:149], v[36:37]
	v_add_f64 v[130:131], v[12:13], -v[130:131]
	v_fma_f64 v[134:135], v[146:147], v[34:35], -v[10:11]
	ds_read_b128 v[10:13], v136 offset:1104
	v_mul_f64 v[146:147], v[146:147], v[36:37]
	v_fmac_f64_e32 v[146:147], v[148:149], v[34:35]
	v_add_f64 v[146:147], v[130:131], -v[146:147]
	v_add_f64 v[134:135], v[132:133], -v[134:135]
	s_waitcnt lgkmcnt(0)
	v_mul_f64 v[130:131], v[12:13], v[48:49]
	v_fma_f64 v[148:149], v[10:11], v[46:47], -v[130:131]
	ds_read_b128 v[130:133], v136 offset:1616
	v_mul_f64 v[10:11], v[10:11], v[48:49]
	v_fmac_f64_e32 v[10:11], v[12:13], v[46:47]
	v_add_f64 v[146:147], v[146:147], -v[10:11]
	v_add_f64 v[134:135], v[134:135], -v[148:149]
	s_waitcnt lgkmcnt(0)
	v_mul_f64 v[10:11], v[132:133], v[56:57]
	;; [unrolled: 8-line block ×4, first 2 shown]
	v_fma_f64 v[10:11], v[130:131], v[134:135], -v[10:11]
	v_mul_f64 v[12:13], v[130:131], v[12:13]
	v_mul_f64 v[130:131], v[140:141], v[28:29]
	v_fmac_f64_e32 v[12:13], v[132:133], v[134:135]
	v_fma_f64 v[134:135], v[138:139], v[26:27], -v[130:131]
	ds_read_b128 v[130:133], v136 offset:608
	v_mul_f64 v[138:139], v[138:139], v[28:29]
	v_fmac_f64_e32 v[138:139], v[140:141], v[26:27]
	v_add_f64 v[134:135], v[38:39], -v[134:135]
	v_add_f64 v[138:139], v[40:41], -v[138:139]
	s_waitcnt lgkmcnt(0)
	v_mul_f64 v[38:39], v[132:133], v[36:37]
	v_fma_f64 v[140:141], v[130:131], v[34:35], -v[38:39]
	ds_read_b128 v[38:41], v136 offset:1120
	v_mul_f64 v[130:131], v[130:131], v[36:37]
	v_fmac_f64_e32 v[130:131], v[132:133], v[34:35]
	v_add_f64 v[138:139], v[138:139], -v[130:131]
	v_add_f64 v[134:135], v[134:135], -v[140:141]
	s_waitcnt lgkmcnt(0)
	v_mul_f64 v[130:131], v[40:41], v[48:49]
	;; [unrolled: 8-line block ×4, first 2 shown]
	v_fma_f64 v[140:141], v[38:39], v[14:15], -v[130:131]
	ds_read_b128 v[130:133], v136 offset:2656
	v_mul_f64 v[38:39], v[38:39], v[16:17]
	v_fmac_f64_e32 v[38:39], v[40:41], v[14:15]
	v_add_f64 v[40:41], v[134:135], -v[140:141]
	v_add_f64 v[38:39], v[138:139], -v[38:39]
	ds_read_b128 v[138:141], v136 offset:3168
	s_waitcnt lgkmcnt(1)
	v_mul_f64 v[134:135], v[132:133], v[12:13]
	v_fma_f64 v[134:135], v[130:131], v[10:11], -v[134:135]
	v_mul_f64 v[130:131], v[130:131], v[12:13]
	v_fmac_f64_e32 v[130:131], v[132:133], v[10:11]
	v_add_f64 v[132:133], v[40:41], -v[134:135]
	v_add_f64 v[40:41], v[38:39], -v[130:131]
	s_waitcnt lgkmcnt(0)
	v_mul_f64 v[38:39], v[140:141], v[40:41]
	v_mul_f64 v[40:41], v[138:139], v[40:41]
	;; [unrolled: 1-line block ×3, first 2 shown]
	v_fma_f64 v[38:39], v[138:139], v[132:133], -v[38:39]
	v_fmac_f64_e32 v[40:41], v[140:141], v[132:133]
	v_fma_f64 v[134:135], v[142:143], v[26:27], -v[130:131]
	ds_read_b128 v[130:133], v136 offset:624
	v_mul_f64 v[138:139], v[142:143], v[28:29]
	v_fmac_f64_e32 v[138:139], v[144:145], v[26:27]
	v_add_f64 v[134:135], v[58:59], -v[134:135]
	v_add_f64 v[138:139], v[60:61], -v[138:139]
	s_waitcnt lgkmcnt(0)
	v_mul_f64 v[58:59], v[132:133], v[36:37]
	v_fma_f64 v[140:141], v[130:131], v[34:35], -v[58:59]
	ds_read_b128 v[58:61], v136 offset:1136
	v_mul_f64 v[130:131], v[130:131], v[36:37]
	v_fmac_f64_e32 v[130:131], v[132:133], v[34:35]
	v_add_f64 v[138:139], v[138:139], -v[130:131]
	v_add_f64 v[134:135], v[134:135], -v[140:141]
	s_waitcnt lgkmcnt(0)
	v_mul_f64 v[130:131], v[60:61], v[48:49]
	;; [unrolled: 8-line block ×6, first 2 shown]
	v_fma_f64 v[140:141], v[58:59], v[38:39], -v[130:131]
	v_mul_f64 v[58:59], v[58:59], v[40:41]
	ds_read_b128 v[130:133], v136 offset:3696
	v_fmac_f64_e32 v[58:59], v[60:61], v[38:39]
	v_add_f64 v[134:135], v[134:135], -v[140:141]
	v_add_f64 v[60:61], v[138:139], -v[58:59]
	ds_read_b128 v[138:141], v136 offset:128
	ds_read_b128 v[142:145], v136 offset:640
	s_waitcnt lgkmcnt(2)
	v_mul_f64 v[58:59], v[132:133], v[60:61]
	v_mul_f64 v[60:61], v[130:131], v[60:61]
	v_fma_f64 v[58:59], v[130:131], v[134:135], -v[58:59]
	v_fmac_f64_e32 v[60:61], v[132:133], v[134:135]
	s_waitcnt lgkmcnt(1)
	v_mul_f64 v[134:135], v[140:141], v[28:29]
	v_fma_f64 v[134:135], v[138:139], v[26:27], -v[134:135]
	v_mul_f64 v[138:139], v[138:139], v[28:29]
	v_fmac_f64_e32 v[138:139], v[140:141], v[26:27]
	v_add_f64 v[134:135], v[2:3], -v[134:135]
	s_waitcnt lgkmcnt(0)
	v_mul_f64 v[2:3], v[144:145], v[36:37]
	v_add_f64 v[138:139], v[4:5], -v[138:139]
	v_fma_f64 v[140:141], v[142:143], v[34:35], -v[2:3]
	ds_read_b128 v[2:5], v136 offset:1152
	v_mul_f64 v[142:143], v[142:143], v[36:37]
	v_fmac_f64_e32 v[142:143], v[144:145], v[34:35]
	v_add_f64 v[142:143], v[138:139], -v[142:143]
	v_add_f64 v[134:135], v[134:135], -v[140:141]
	s_waitcnt lgkmcnt(0)
	v_mul_f64 v[138:139], v[4:5], v[48:49]
	v_fma_f64 v[144:145], v[2:3], v[46:47], -v[138:139]
	ds_read_b128 v[138:141], v136 offset:1664
	v_mul_f64 v[2:3], v[2:3], v[48:49]
	v_fmac_f64_e32 v[2:3], v[4:5], v[46:47]
	v_add_f64 v[142:143], v[142:143], -v[2:3]
	v_add_f64 v[134:135], v[134:135], -v[144:145]
	s_waitcnt lgkmcnt(0)
	v_mul_f64 v[2:3], v[140:141], v[56:57]
	v_fma_f64 v[144:145], v[138:139], v[54:55], -v[2:3]
	ds_read_b128 v[2:5], v136 offset:2176
	v_mul_f64 v[138:139], v[138:139], v[56:57]
	v_fmac_f64_e32 v[138:139], v[140:141], v[54:55]
	v_add_f64 v[142:143], v[142:143], -v[138:139]
	v_add_f64 v[134:135], v[134:135], -v[144:145]
	s_waitcnt lgkmcnt(0)
	v_mul_f64 v[138:139], v[4:5], v[16:17]
	v_fma_f64 v[144:145], v[2:3], v[14:15], -v[138:139]
	ds_read_b128 v[138:141], v136 offset:2688
	v_mul_f64 v[2:3], v[2:3], v[16:17]
	v_fmac_f64_e32 v[2:3], v[4:5], v[14:15]
	v_add_f64 v[142:143], v[142:143], -v[2:3]
	v_add_f64 v[134:135], v[134:135], -v[144:145]
	s_waitcnt lgkmcnt(0)
	v_mul_f64 v[2:3], v[140:141], v[12:13]
	v_fma_f64 v[144:145], v[138:139], v[10:11], -v[2:3]
	ds_read_b128 v[2:5], v136 offset:3200
	v_mul_f64 v[138:139], v[138:139], v[12:13]
	v_fmac_f64_e32 v[138:139], v[140:141], v[10:11]
	v_add_f64 v[142:143], v[142:143], -v[138:139]
	v_add_f64 v[134:135], v[134:135], -v[144:145]
	s_waitcnt lgkmcnt(0)
	v_mul_f64 v[138:139], v[4:5], v[40:41]
	v_fma_f64 v[144:145], v[2:3], v[38:39], -v[138:139]
	ds_read_b128 v[138:141], v136 offset:3712
	v_mul_f64 v[2:3], v[2:3], v[40:41]
	v_fmac_f64_e32 v[2:3], v[4:5], v[38:39]
	v_add_f64 v[4:5], v[134:135], -v[144:145]
	v_add_f64 v[2:3], v[142:143], -v[2:3]
	s_waitcnt lgkmcnt(0)
	v_mul_f64 v[134:135], v[140:141], v[60:61]
	ds_read_b128 v[142:145], v136 offset:4224
	ds_read_b128 v[130:133], v136 offset:144
	v_fma_f64 v[134:135], v[138:139], v[58:59], -v[134:135]
	v_mul_f64 v[138:139], v[138:139], v[60:61]
	v_fmac_f64_e32 v[138:139], v[140:141], v[58:59]
	v_add_f64 v[134:135], v[4:5], -v[134:135]
	v_add_f64 v[4:5], v[2:3], -v[138:139]
	ds_read_b128 v[138:141], v136 offset:656
	s_waitcnt lgkmcnt(2)
	v_mul_f64 v[2:3], v[144:145], v[4:5]
	v_mul_f64 v[4:5], v[142:143], v[4:5]
	v_fma_f64 v[2:3], v[142:143], v[134:135], -v[2:3]
	v_fmac_f64_e32 v[4:5], v[144:145], v[134:135]
	s_waitcnt lgkmcnt(1)
	v_mul_f64 v[134:135], v[132:133], v[28:29]
	v_fma_f64 v[134:135], v[130:131], v[26:27], -v[134:135]
	v_mul_f64 v[130:131], v[130:131], v[28:29]
	v_fmac_f64_e32 v[130:131], v[132:133], v[26:27]
	v_add_f64 v[132:133], v[6:7], -v[134:135]
	s_waitcnt lgkmcnt(0)
	v_mul_f64 v[6:7], v[140:141], v[36:37]
	v_add_f64 v[130:131], v[8:9], -v[130:131]
	v_fma_f64 v[134:135], v[138:139], v[34:35], -v[6:7]
	ds_read_b128 v[6:9], v136 offset:1168
	v_mul_f64 v[138:139], v[138:139], v[36:37]
	v_fmac_f64_e32 v[138:139], v[140:141], v[34:35]
	v_add_f64 v[138:139], v[130:131], -v[138:139]
	v_add_f64 v[134:135], v[132:133], -v[134:135]
	s_waitcnt lgkmcnt(0)
	v_mul_f64 v[130:131], v[8:9], v[48:49]
	v_fma_f64 v[140:141], v[6:7], v[46:47], -v[130:131]
	ds_read_b128 v[130:133], v136 offset:1680
	v_mul_f64 v[6:7], v[6:7], v[48:49]
	v_fmac_f64_e32 v[6:7], v[8:9], v[46:47]
	v_add_f64 v[138:139], v[138:139], -v[6:7]
	v_add_f64 v[134:135], v[134:135], -v[140:141]
	s_waitcnt lgkmcnt(0)
	v_mul_f64 v[6:7], v[132:133], v[56:57]
	;; [unrolled: 8-line block ×7, first 2 shown]
	v_fma_f64 v[140:141], v[6:7], v[2:3], -v[130:131]
	v_mul_f64 v[6:7], v[6:7], v[4:5]
	ds_read_b128 v[130:133], v136 offset:4752
	v_fmac_f64_e32 v[6:7], v[8:9], v[2:3]
	v_add_f64 v[134:135], v[134:135], -v[140:141]
	v_add_f64 v[8:9], v[138:139], -v[6:7]
	ds_read_b128 v[138:141], v136 offset:160
	s_waitcnt lgkmcnt(1)
	v_mul_f64 v[6:7], v[132:133], v[8:9]
	v_fma_f64 v[6:7], v[130:131], v[134:135], -v[6:7]
	v_mul_f64 v[8:9], v[130:131], v[8:9]
	v_fmac_f64_e32 v[8:9], v[132:133], v[134:135]
	s_waitcnt lgkmcnt(0)
	v_mul_f64 v[130:131], v[140:141], v[28:29]
	v_fma_f64 v[134:135], v[138:139], v[26:27], -v[130:131]
	ds_read_b128 v[130:133], v136 offset:672
	v_mul_f64 v[138:139], v[138:139], v[28:29]
	v_fmac_f64_e32 v[138:139], v[140:141], v[26:27]
	v_add_f64 v[134:135], v[42:43], -v[134:135]
	v_add_f64 v[138:139], v[44:45], -v[138:139]
	s_waitcnt lgkmcnt(0)
	v_mul_f64 v[42:43], v[132:133], v[36:37]
	v_fma_f64 v[140:141], v[130:131], v[34:35], -v[42:43]
	ds_read_b128 v[42:45], v136 offset:1184
	v_mul_f64 v[130:131], v[130:131], v[36:37]
	v_fmac_f64_e32 v[130:131], v[132:133], v[34:35]
	v_add_f64 v[138:139], v[138:139], -v[130:131]
	v_add_f64 v[134:135], v[134:135], -v[140:141]
	;; [unrolled: 8-line block ×9, first 2 shown]
	ds_read_b128 v[138:141], v136 offset:5280
	s_waitcnt lgkmcnt(1)
	v_mul_f64 v[134:135], v[132:133], v[8:9]
	v_fma_f64 v[134:135], v[130:131], v[6:7], -v[134:135]
	v_mul_f64 v[130:131], v[130:131], v[8:9]
	v_fmac_f64_e32 v[130:131], v[132:133], v[6:7]
	v_add_f64 v[134:135], v[44:45], -v[134:135]
	v_add_f64 v[44:45], v[42:43], -v[130:131]
	ds_read_b128 v[130:133], v136 offset:176
	s_waitcnt lgkmcnt(1)
	v_mul_f64 v[42:43], v[140:141], v[44:45]
	v_mul_f64 v[44:45], v[138:139], v[44:45]
	v_fma_f64 v[42:43], v[138:139], v[134:135], -v[42:43]
	v_fmac_f64_e32 v[44:45], v[140:141], v[134:135]
	ds_read_b128 v[138:141], v136 offset:688
	s_waitcnt lgkmcnt(1)
	v_mul_f64 v[134:135], v[132:133], v[28:29]
	v_fma_f64 v[134:135], v[130:131], v[26:27], -v[134:135]
	v_mul_f64 v[130:131], v[130:131], v[28:29]
	v_fmac_f64_e32 v[130:131], v[132:133], v[26:27]
	v_add_f64 v[132:133], v[70:71], -v[134:135]
	s_waitcnt lgkmcnt(0)
	v_mul_f64 v[70:71], v[140:141], v[36:37]
	v_add_f64 v[130:131], v[72:73], -v[130:131]
	v_fma_f64 v[134:135], v[138:139], v[34:35], -v[70:71]
	ds_read_b128 v[70:73], v136 offset:1200
	v_mul_f64 v[138:139], v[138:139], v[36:37]
	v_fmac_f64_e32 v[138:139], v[140:141], v[34:35]
	v_add_f64 v[138:139], v[130:131], -v[138:139]
	v_add_f64 v[134:135], v[132:133], -v[134:135]
	s_waitcnt lgkmcnt(0)
	v_mul_f64 v[130:131], v[72:73], v[48:49]
	v_fma_f64 v[140:141], v[70:71], v[46:47], -v[130:131]
	ds_read_b128 v[130:133], v136 offset:1712
	v_mul_f64 v[70:71], v[70:71], v[48:49]
	v_fmac_f64_e32 v[70:71], v[72:73], v[46:47]
	v_add_f64 v[138:139], v[138:139], -v[70:71]
	v_add_f64 v[134:135], v[134:135], -v[140:141]
	s_waitcnt lgkmcnt(0)
	v_mul_f64 v[70:71], v[132:133], v[56:57]
	v_fma_f64 v[140:141], v[130:131], v[54:55], -v[70:71]
	ds_read_b128 v[70:73], v136 offset:2224
	v_mul_f64 v[130:131], v[130:131], v[56:57]
	v_fmac_f64_e32 v[130:131], v[132:133], v[54:55]
	v_add_f64 v[138:139], v[138:139], -v[130:131]
	v_add_f64 v[134:135], v[134:135], -v[140:141]
	s_waitcnt lgkmcnt(0)
	v_mul_f64 v[130:131], v[72:73], v[16:17]
	v_fma_f64 v[140:141], v[70:71], v[14:15], -v[130:131]
	ds_read_b128 v[130:133], v136 offset:2736
	v_mul_f64 v[70:71], v[70:71], v[16:17]
	v_fmac_f64_e32 v[70:71], v[72:73], v[14:15]
	v_add_f64 v[138:139], v[138:139], -v[70:71]
	v_add_f64 v[134:135], v[134:135], -v[140:141]
	s_waitcnt lgkmcnt(0)
	v_mul_f64 v[70:71], v[132:133], v[12:13]
	v_fma_f64 v[140:141], v[130:131], v[10:11], -v[70:71]
	ds_read_b128 v[70:73], v136 offset:3248
	v_mul_f64 v[130:131], v[130:131], v[12:13]
	v_fmac_f64_e32 v[130:131], v[132:133], v[10:11]
	v_add_f64 v[138:139], v[138:139], -v[130:131]
	v_add_f64 v[134:135], v[134:135], -v[140:141]
	s_waitcnt lgkmcnt(0)
	v_mul_f64 v[130:131], v[72:73], v[40:41]
	v_fma_f64 v[140:141], v[70:71], v[38:39], -v[130:131]
	ds_read_b128 v[130:133], v136 offset:3760
	v_mul_f64 v[70:71], v[70:71], v[40:41]
	v_fmac_f64_e32 v[70:71], v[72:73], v[38:39]
	v_add_f64 v[138:139], v[138:139], -v[70:71]
	v_add_f64 v[134:135], v[134:135], -v[140:141]
	s_waitcnt lgkmcnt(0)
	v_mul_f64 v[70:71], v[132:133], v[60:61]
	v_fma_f64 v[140:141], v[130:131], v[58:59], -v[70:71]
	ds_read_b128 v[70:73], v136 offset:4272
	v_mul_f64 v[130:131], v[130:131], v[60:61]
	v_fmac_f64_e32 v[130:131], v[132:133], v[58:59]
	v_add_f64 v[138:139], v[138:139], -v[130:131]
	v_add_f64 v[134:135], v[134:135], -v[140:141]
	s_waitcnt lgkmcnt(0)
	v_mul_f64 v[130:131], v[72:73], v[4:5]
	v_fma_f64 v[140:141], v[70:71], v[2:3], -v[130:131]
	ds_read_b128 v[130:133], v136 offset:4784
	v_mul_f64 v[70:71], v[70:71], v[4:5]
	v_fmac_f64_e32 v[70:71], v[72:73], v[2:3]
	v_add_f64 v[138:139], v[138:139], -v[70:71]
	v_add_f64 v[134:135], v[134:135], -v[140:141]
	s_waitcnt lgkmcnt(0)
	v_mul_f64 v[70:71], v[132:133], v[8:9]
	v_fma_f64 v[140:141], v[130:131], v[6:7], -v[70:71]
	ds_read_b128 v[70:73], v136 offset:5296
	v_mul_f64 v[130:131], v[130:131], v[8:9]
	v_fmac_f64_e32 v[130:131], v[132:133], v[6:7]
	v_add_f64 v[138:139], v[138:139], -v[130:131]
	v_add_f64 v[134:135], v[134:135], -v[140:141]
	s_waitcnt lgkmcnt(0)
	v_mul_f64 v[130:131], v[72:73], v[44:45]
	v_fma_f64 v[140:141], v[70:71], v[42:43], -v[130:131]
	v_mul_f64 v[70:71], v[70:71], v[44:45]
	ds_read_b128 v[130:133], v136 offset:5808
	v_fmac_f64_e32 v[70:71], v[72:73], v[42:43]
	v_add_f64 v[134:135], v[134:135], -v[140:141]
	v_add_f64 v[72:73], v[138:139], -v[70:71]
	ds_read_b128 v[138:141], v136 offset:192
	s_waitcnt lgkmcnt(1)
	v_mul_f64 v[70:71], v[132:133], v[72:73]
	v_fma_f64 v[70:71], v[130:131], v[134:135], -v[70:71]
	v_mul_f64 v[72:73], v[130:131], v[72:73]
	v_fmac_f64_e32 v[72:73], v[132:133], v[134:135]
	s_waitcnt lgkmcnt(0)
	v_mul_f64 v[130:131], v[140:141], v[28:29]
	v_fma_f64 v[134:135], v[138:139], v[26:27], -v[130:131]
	ds_read_b128 v[130:133], v136 offset:704
	v_mul_f64 v[138:139], v[138:139], v[28:29]
	v_fmac_f64_e32 v[138:139], v[140:141], v[26:27]
	v_add_f64 v[134:135], v[18:19], -v[134:135]
	v_add_f64 v[138:139], v[20:21], -v[138:139]
	s_waitcnt lgkmcnt(0)
	v_mul_f64 v[18:19], v[132:133], v[36:37]
	v_fma_f64 v[140:141], v[130:131], v[34:35], -v[18:19]
	ds_read_b128 v[18:21], v136 offset:1216
	v_mul_f64 v[130:131], v[130:131], v[36:37]
	v_fmac_f64_e32 v[130:131], v[132:133], v[34:35]
	v_add_f64 v[138:139], v[138:139], -v[130:131]
	v_add_f64 v[134:135], v[134:135], -v[140:141]
	;; [unrolled: 8-line block ×11, first 2 shown]
	ds_read_b128 v[138:141], v136 offset:6336
	s_waitcnt lgkmcnt(1)
	v_mul_f64 v[134:135], v[132:133], v[72:73]
	v_fma_f64 v[134:135], v[130:131], v[70:71], -v[134:135]
	v_mul_f64 v[130:131], v[130:131], v[72:73]
	v_fmac_f64_e32 v[130:131], v[132:133], v[70:71]
	v_add_f64 v[134:135], v[20:21], -v[134:135]
	v_add_f64 v[20:21], v[18:19], -v[130:131]
	ds_read_b128 v[130:133], v136 offset:208
	s_waitcnt lgkmcnt(1)
	v_mul_f64 v[18:19], v[140:141], v[20:21]
	v_mul_f64 v[20:21], v[138:139], v[20:21]
	v_fma_f64 v[18:19], v[138:139], v[134:135], -v[18:19]
	v_fmac_f64_e32 v[20:21], v[140:141], v[134:135]
	ds_read_b128 v[138:141], v136 offset:720
	s_waitcnt lgkmcnt(1)
	v_mul_f64 v[134:135], v[132:133], v[28:29]
	v_fma_f64 v[134:135], v[130:131], v[26:27], -v[134:135]
	v_mul_f64 v[130:131], v[130:131], v[28:29]
	v_fmac_f64_e32 v[130:131], v[132:133], v[26:27]
	v_add_f64 v[132:133], v[30:31], -v[134:135]
	s_waitcnt lgkmcnt(0)
	v_mul_f64 v[30:31], v[140:141], v[36:37]
	v_add_f64 v[130:131], v[32:33], -v[130:131]
	v_fma_f64 v[134:135], v[138:139], v[34:35], -v[30:31]
	ds_read_b128 v[30:33], v136 offset:1232
	v_mul_f64 v[138:139], v[138:139], v[36:37]
	v_fmac_f64_e32 v[138:139], v[140:141], v[34:35]
	v_add_f64 v[138:139], v[130:131], -v[138:139]
	v_add_f64 v[134:135], v[132:133], -v[134:135]
	s_waitcnt lgkmcnt(0)
	v_mul_f64 v[130:131], v[32:33], v[48:49]
	v_fma_f64 v[140:141], v[30:31], v[46:47], -v[130:131]
	ds_read_b128 v[130:133], v136 offset:1744
	v_mul_f64 v[30:31], v[30:31], v[48:49]
	v_fmac_f64_e32 v[30:31], v[32:33], v[46:47]
	v_add_f64 v[138:139], v[138:139], -v[30:31]
	v_add_f64 v[134:135], v[134:135], -v[140:141]
	s_waitcnt lgkmcnt(0)
	v_mul_f64 v[30:31], v[132:133], v[56:57]
	;; [unrolled: 8-line block ×11, first 2 shown]
	v_fma_f64 v[140:141], v[30:31], v[18:19], -v[130:131]
	v_mul_f64 v[30:31], v[30:31], v[20:21]
	ds_read_b128 v[130:133], v136 offset:6864
	v_fmac_f64_e32 v[30:31], v[32:33], v[18:19]
	v_add_f64 v[134:135], v[134:135], -v[140:141]
	v_add_f64 v[32:33], v[138:139], -v[30:31]
	ds_read_b128 v[138:141], v136 offset:224
	s_waitcnt lgkmcnt(1)
	v_mul_f64 v[30:31], v[132:133], v[32:33]
	v_fma_f64 v[30:31], v[130:131], v[134:135], -v[30:31]
	v_mul_f64 v[32:33], v[130:131], v[32:33]
	v_fmac_f64_e32 v[32:33], v[132:133], v[134:135]
	s_waitcnt lgkmcnt(0)
	v_mul_f64 v[130:131], v[140:141], v[28:29]
	v_fma_f64 v[134:135], v[138:139], v[26:27], -v[130:131]
	ds_read_b128 v[130:133], v136 offset:736
	v_mul_f64 v[138:139], v[138:139], v[28:29]
	v_fmac_f64_e32 v[138:139], v[140:141], v[26:27]
	v_add_f64 v[134:135], v[66:67], -v[134:135]
	v_add_f64 v[138:139], v[68:69], -v[138:139]
	s_waitcnt lgkmcnt(0)
	v_mul_f64 v[66:67], v[132:133], v[36:37]
	v_fma_f64 v[140:141], v[130:131], v[34:35], -v[66:67]
	ds_read_b128 v[66:69], v136 offset:1248
	v_mul_f64 v[130:131], v[130:131], v[36:37]
	v_fmac_f64_e32 v[130:131], v[132:133], v[34:35]
	v_add_f64 v[138:139], v[138:139], -v[130:131]
	v_add_f64 v[134:135], v[134:135], -v[140:141]
	;; [unrolled: 8-line block ×13, first 2 shown]
	ds_read_b128 v[138:141], v136 offset:7392
	s_waitcnt lgkmcnt(1)
	v_mul_f64 v[134:135], v[132:133], v[32:33]
	v_fma_f64 v[134:135], v[130:131], v[30:31], -v[134:135]
	v_mul_f64 v[130:131], v[130:131], v[32:33]
	v_fmac_f64_e32 v[130:131], v[132:133], v[30:31]
	v_add_f64 v[134:135], v[68:69], -v[134:135]
	v_add_f64 v[68:69], v[66:67], -v[130:131]
	ds_read_b128 v[130:133], v136 offset:240
	s_waitcnt lgkmcnt(1)
	v_mul_f64 v[66:67], v[140:141], v[68:69]
	v_mul_f64 v[68:69], v[138:139], v[68:69]
	v_fma_f64 v[66:67], v[138:139], v[134:135], -v[66:67]
	v_fmac_f64_e32 v[68:69], v[140:141], v[134:135]
	ds_read_b128 v[138:141], v136 offset:752
	s_waitcnt lgkmcnt(1)
	v_mul_f64 v[134:135], v[132:133], v[28:29]
	v_fma_f64 v[134:135], v[130:131], v[26:27], -v[134:135]
	v_mul_f64 v[130:131], v[130:131], v[28:29]
	v_fmac_f64_e32 v[130:131], v[132:133], v[26:27]
	v_add_f64 v[132:133], v[90:91], -v[134:135]
	s_waitcnt lgkmcnt(0)
	v_mul_f64 v[90:91], v[140:141], v[36:37]
	v_add_f64 v[130:131], v[92:93], -v[130:131]
	v_fma_f64 v[134:135], v[138:139], v[34:35], -v[90:91]
	ds_read_b128 v[90:93], v136 offset:1264
	v_mul_f64 v[138:139], v[138:139], v[36:37]
	v_fmac_f64_e32 v[138:139], v[140:141], v[34:35]
	v_add_f64 v[138:139], v[130:131], -v[138:139]
	v_add_f64 v[134:135], v[132:133], -v[134:135]
	s_waitcnt lgkmcnt(0)
	v_mul_f64 v[130:131], v[92:93], v[48:49]
	v_fma_f64 v[140:141], v[90:91], v[46:47], -v[130:131]
	ds_read_b128 v[130:133], v136 offset:1776
	v_mul_f64 v[90:91], v[90:91], v[48:49]
	v_fmac_f64_e32 v[90:91], v[92:93], v[46:47]
	v_add_f64 v[138:139], v[138:139], -v[90:91]
	v_add_f64 v[134:135], v[134:135], -v[140:141]
	s_waitcnt lgkmcnt(0)
	v_mul_f64 v[90:91], v[132:133], v[56:57]
	;; [unrolled: 8-line block ×13, first 2 shown]
	v_fma_f64 v[140:141], v[90:91], v[66:67], -v[130:131]
	v_mul_f64 v[90:91], v[90:91], v[68:69]
	ds_read_b128 v[130:133], v136 offset:7920
	v_fmac_f64_e32 v[90:91], v[92:93], v[66:67]
	v_add_f64 v[134:135], v[134:135], -v[140:141]
	v_add_f64 v[92:93], v[138:139], -v[90:91]
	ds_read_b128 v[138:141], v136 offset:256
	s_waitcnt lgkmcnt(1)
	v_mul_f64 v[90:91], v[132:133], v[92:93]
	v_fma_f64 v[90:91], v[130:131], v[134:135], -v[90:91]
	v_mul_f64 v[92:93], v[130:131], v[92:93]
	v_fmac_f64_e32 v[92:93], v[132:133], v[134:135]
	s_waitcnt lgkmcnt(0)
	v_mul_f64 v[130:131], v[140:141], v[28:29]
	v_fma_f64 v[134:135], v[138:139], v[26:27], -v[130:131]
	ds_read_b128 v[130:133], v136 offset:768
	v_mul_f64 v[138:139], v[138:139], v[28:29]
	v_fmac_f64_e32 v[138:139], v[140:141], v[26:27]
	v_add_f64 v[134:135], v[50:51], -v[134:135]
	v_add_f64 v[138:139], v[52:53], -v[138:139]
	s_waitcnt lgkmcnt(0)
	v_mul_f64 v[50:51], v[132:133], v[36:37]
	v_fma_f64 v[140:141], v[130:131], v[34:35], -v[50:51]
	ds_read_b128 v[50:53], v136 offset:1280
	v_mul_f64 v[130:131], v[130:131], v[36:37]
	v_fmac_f64_e32 v[130:131], v[132:133], v[34:35]
	v_add_f64 v[138:139], v[138:139], -v[130:131]
	v_add_f64 v[134:135], v[134:135], -v[140:141]
	;; [unrolled: 8-line block ×15, first 2 shown]
	ds_read_b128 v[138:141], v136 offset:8448
	s_waitcnt lgkmcnt(1)
	v_mul_f64 v[134:135], v[132:133], v[92:93]
	v_fma_f64 v[134:135], v[130:131], v[90:91], -v[134:135]
	v_mul_f64 v[130:131], v[130:131], v[92:93]
	v_fmac_f64_e32 v[130:131], v[132:133], v[90:91]
	v_add_f64 v[134:135], v[52:53], -v[134:135]
	v_add_f64 v[52:53], v[50:51], -v[130:131]
	ds_read_b128 v[130:133], v136 offset:272
	s_waitcnt lgkmcnt(1)
	v_mul_f64 v[50:51], v[140:141], v[52:53]
	v_mul_f64 v[52:53], v[138:139], v[52:53]
	v_fma_f64 v[50:51], v[138:139], v[134:135], -v[50:51]
	v_fmac_f64_e32 v[52:53], v[140:141], v[134:135]
	ds_read_b128 v[138:141], v136 offset:784
	s_waitcnt lgkmcnt(1)
	v_mul_f64 v[134:135], v[132:133], v[28:29]
	v_fma_f64 v[134:135], v[130:131], v[26:27], -v[134:135]
	v_mul_f64 v[130:131], v[130:131], v[28:29]
	v_fmac_f64_e32 v[130:131], v[132:133], v[26:27]
	v_add_f64 v[132:133], v[62:63], -v[134:135]
	s_waitcnt lgkmcnt(0)
	v_mul_f64 v[62:63], v[140:141], v[36:37]
	v_add_f64 v[130:131], v[64:65], -v[130:131]
	v_fma_f64 v[134:135], v[138:139], v[34:35], -v[62:63]
	ds_read_b128 v[62:65], v136 offset:1296
	v_mul_f64 v[138:139], v[138:139], v[36:37]
	v_fmac_f64_e32 v[138:139], v[140:141], v[34:35]
	v_add_f64 v[138:139], v[130:131], -v[138:139]
	v_add_f64 v[134:135], v[132:133], -v[134:135]
	s_waitcnt lgkmcnt(0)
	v_mul_f64 v[130:131], v[64:65], v[48:49]
	v_fma_f64 v[140:141], v[62:63], v[46:47], -v[130:131]
	ds_read_b128 v[130:133], v136 offset:1808
	v_mul_f64 v[62:63], v[62:63], v[48:49]
	v_fmac_f64_e32 v[62:63], v[64:65], v[46:47]
	v_add_f64 v[138:139], v[138:139], -v[62:63]
	v_add_f64 v[134:135], v[134:135], -v[140:141]
	s_waitcnt lgkmcnt(0)
	v_mul_f64 v[62:63], v[132:133], v[56:57]
	;; [unrolled: 8-line block ×15, first 2 shown]
	v_fma_f64 v[140:141], v[62:63], v[50:51], -v[130:131]
	v_mul_f64 v[62:63], v[62:63], v[52:53]
	ds_read_b128 v[130:133], v136 offset:8976
	v_fmac_f64_e32 v[62:63], v[64:65], v[50:51]
	v_add_f64 v[134:135], v[134:135], -v[140:141]
	v_add_f64 v[64:65], v[138:139], -v[62:63]
	ds_read_b128 v[138:141], v136 offset:288
	s_waitcnt lgkmcnt(1)
	v_mul_f64 v[62:63], v[132:133], v[64:65]
	v_fma_f64 v[62:63], v[130:131], v[134:135], -v[62:63]
	v_mul_f64 v[64:65], v[130:131], v[64:65]
	v_fmac_f64_e32 v[64:65], v[132:133], v[134:135]
	s_waitcnt lgkmcnt(0)
	v_mul_f64 v[130:131], v[140:141], v[28:29]
	v_fma_f64 v[134:135], v[138:139], v[26:27], -v[130:131]
	ds_read_b128 v[130:133], v136 offset:800
	v_mul_f64 v[138:139], v[138:139], v[28:29]
	v_fmac_f64_e32 v[138:139], v[140:141], v[26:27]
	v_add_f64 v[134:135], v[86:87], -v[134:135]
	v_add_f64 v[138:139], v[88:89], -v[138:139]
	s_waitcnt lgkmcnt(0)
	v_mul_f64 v[86:87], v[132:133], v[36:37]
	v_fma_f64 v[140:141], v[130:131], v[34:35], -v[86:87]
	ds_read_b128 v[86:89], v136 offset:1312
	v_mul_f64 v[130:131], v[130:131], v[36:37]
	v_fmac_f64_e32 v[130:131], v[132:133], v[34:35]
	v_add_f64 v[138:139], v[138:139], -v[130:131]
	v_add_f64 v[134:135], v[134:135], -v[140:141]
	;; [unrolled: 8-line block ×17, first 2 shown]
	ds_read_b128 v[138:141], v136 offset:9504
	s_waitcnt lgkmcnt(1)
	v_mul_f64 v[134:135], v[132:133], v[64:65]
	v_fma_f64 v[134:135], v[130:131], v[62:63], -v[134:135]
	v_mul_f64 v[130:131], v[130:131], v[64:65]
	v_fmac_f64_e32 v[130:131], v[132:133], v[62:63]
	v_add_f64 v[134:135], v[88:89], -v[134:135]
	v_add_f64 v[88:89], v[86:87], -v[130:131]
	ds_read_b128 v[130:133], v136 offset:304
	s_waitcnt lgkmcnt(1)
	v_mul_f64 v[86:87], v[140:141], v[88:89]
	v_mul_f64 v[88:89], v[138:139], v[88:89]
	v_fma_f64 v[86:87], v[138:139], v[134:135], -v[86:87]
	v_fmac_f64_e32 v[88:89], v[140:141], v[134:135]
	ds_read_b128 v[138:141], v136 offset:816
	s_waitcnt lgkmcnt(1)
	v_mul_f64 v[134:135], v[132:133], v[28:29]
	v_fma_f64 v[134:135], v[130:131], v[26:27], -v[134:135]
	v_mul_f64 v[130:131], v[130:131], v[28:29]
	v_fmac_f64_e32 v[130:131], v[132:133], v[26:27]
	v_add_f64 v[132:133], v[98:99], -v[134:135]
	s_waitcnt lgkmcnt(0)
	v_mul_f64 v[98:99], v[140:141], v[36:37]
	v_add_f64 v[130:131], v[100:101], -v[130:131]
	v_fma_f64 v[134:135], v[138:139], v[34:35], -v[98:99]
	ds_read_b128 v[98:101], v136 offset:1328
	v_mul_f64 v[138:139], v[138:139], v[36:37]
	v_fmac_f64_e32 v[138:139], v[140:141], v[34:35]
	v_add_f64 v[138:139], v[130:131], -v[138:139]
	v_add_f64 v[134:135], v[132:133], -v[134:135]
	s_waitcnt lgkmcnt(0)
	v_mul_f64 v[130:131], v[100:101], v[48:49]
	v_fma_f64 v[140:141], v[98:99], v[46:47], -v[130:131]
	ds_read_b128 v[130:133], v136 offset:1840
	v_mul_f64 v[98:99], v[98:99], v[48:49]
	v_fmac_f64_e32 v[98:99], v[100:101], v[46:47]
	v_add_f64 v[138:139], v[138:139], -v[98:99]
	v_add_f64 v[134:135], v[134:135], -v[140:141]
	s_waitcnt lgkmcnt(0)
	v_mul_f64 v[98:99], v[132:133], v[56:57]
	;; [unrolled: 8-line block ×17, first 2 shown]
	v_fma_f64 v[140:141], v[98:99], v[86:87], -v[130:131]
	v_mul_f64 v[98:99], v[98:99], v[88:89]
	ds_read_b128 v[130:133], v136 offset:10032
	v_fmac_f64_e32 v[98:99], v[100:101], v[86:87]
	v_add_f64 v[134:135], v[134:135], -v[140:141]
	v_add_f64 v[100:101], v[138:139], -v[98:99]
	ds_read_b128 v[138:141], v136 offset:320
	s_waitcnt lgkmcnt(1)
	v_mul_f64 v[98:99], v[132:133], v[100:101]
	v_fma_f64 v[98:99], v[130:131], v[134:135], -v[98:99]
	v_mul_f64 v[100:101], v[130:131], v[100:101]
	v_fmac_f64_e32 v[100:101], v[132:133], v[134:135]
	s_waitcnt lgkmcnt(0)
	v_mul_f64 v[130:131], v[140:141], v[28:29]
	v_fma_f64 v[134:135], v[138:139], v[26:27], -v[130:131]
	ds_read_b128 v[130:133], v136 offset:832
	v_mul_f64 v[138:139], v[138:139], v[28:29]
	v_fmac_f64_e32 v[138:139], v[140:141], v[26:27]
	v_add_f64 v[134:135], v[74:75], -v[134:135]
	v_add_f64 v[138:139], v[76:77], -v[138:139]
	s_waitcnt lgkmcnt(0)
	v_mul_f64 v[74:75], v[132:133], v[36:37]
	v_fma_f64 v[140:141], v[130:131], v[34:35], -v[74:75]
	ds_read_b128 v[74:77], v136 offset:1344
	v_mul_f64 v[130:131], v[130:131], v[36:37]
	v_fmac_f64_e32 v[130:131], v[132:133], v[34:35]
	v_add_f64 v[138:139], v[138:139], -v[130:131]
	v_add_f64 v[134:135], v[134:135], -v[140:141]
	;; [unrolled: 8-line block ×19, first 2 shown]
	ds_read_b128 v[138:141], v136 offset:10560
	s_waitcnt lgkmcnt(1)
	v_mul_f64 v[134:135], v[132:133], v[100:101]
	v_fma_f64 v[134:135], v[130:131], v[98:99], -v[134:135]
	v_mul_f64 v[130:131], v[130:131], v[100:101]
	v_fmac_f64_e32 v[130:131], v[132:133], v[98:99]
	v_add_f64 v[134:135], v[76:77], -v[134:135]
	v_add_f64 v[76:77], v[74:75], -v[130:131]
	ds_read_b128 v[130:133], v136 offset:336
	s_waitcnt lgkmcnt(1)
	v_mul_f64 v[74:75], v[140:141], v[76:77]
	v_mul_f64 v[76:77], v[138:139], v[76:77]
	v_fma_f64 v[74:75], v[138:139], v[134:135], -v[74:75]
	v_fmac_f64_e32 v[76:77], v[140:141], v[134:135]
	ds_read_b128 v[138:141], v136 offset:848
	s_waitcnt lgkmcnt(1)
	v_mul_f64 v[134:135], v[132:133], v[28:29]
	v_fma_f64 v[134:135], v[130:131], v[26:27], -v[134:135]
	v_mul_f64 v[130:131], v[130:131], v[28:29]
	v_fmac_f64_e32 v[130:131], v[132:133], v[26:27]
	v_add_f64 v[132:133], v[82:83], -v[134:135]
	s_waitcnt lgkmcnt(0)
	v_mul_f64 v[82:83], v[140:141], v[36:37]
	v_add_f64 v[130:131], v[84:85], -v[130:131]
	v_fma_f64 v[134:135], v[138:139], v[34:35], -v[82:83]
	ds_read_b128 v[82:85], v136 offset:1360
	v_mul_f64 v[138:139], v[138:139], v[36:37]
	v_fmac_f64_e32 v[138:139], v[140:141], v[34:35]
	v_add_f64 v[138:139], v[130:131], -v[138:139]
	v_add_f64 v[134:135], v[132:133], -v[134:135]
	s_waitcnt lgkmcnt(0)
	v_mul_f64 v[130:131], v[84:85], v[48:49]
	v_fma_f64 v[140:141], v[82:83], v[46:47], -v[130:131]
	ds_read_b128 v[130:133], v136 offset:1872
	v_mul_f64 v[82:83], v[82:83], v[48:49]
	v_fmac_f64_e32 v[82:83], v[84:85], v[46:47]
	v_add_f64 v[138:139], v[138:139], -v[82:83]
	v_add_f64 v[134:135], v[134:135], -v[140:141]
	s_waitcnt lgkmcnt(0)
	v_mul_f64 v[82:83], v[132:133], v[56:57]
	;; [unrolled: 8-line block ×19, first 2 shown]
	v_fma_f64 v[140:141], v[82:83], v[74:75], -v[130:131]
	v_mul_f64 v[82:83], v[82:83], v[76:77]
	ds_read_b128 v[130:133], v136 offset:11088
	v_fmac_f64_e32 v[82:83], v[84:85], v[74:75]
	v_add_f64 v[134:135], v[134:135], -v[140:141]
	v_add_f64 v[84:85], v[138:139], -v[82:83]
	ds_read_b128 v[138:141], v136 offset:352
	s_waitcnt lgkmcnt(1)
	v_mul_f64 v[82:83], v[132:133], v[84:85]
	v_fma_f64 v[82:83], v[130:131], v[134:135], -v[82:83]
	v_mul_f64 v[84:85], v[130:131], v[84:85]
	v_fmac_f64_e32 v[84:85], v[132:133], v[134:135]
	s_waitcnt lgkmcnt(0)
	v_mul_f64 v[130:131], v[140:141], v[28:29]
	v_fma_f64 v[134:135], v[138:139], v[26:27], -v[130:131]
	ds_read_b128 v[130:133], v136 offset:864
	v_mul_f64 v[138:139], v[138:139], v[28:29]
	v_fmac_f64_e32 v[138:139], v[140:141], v[26:27]
	v_add_f64 v[134:135], v[102:103], -v[134:135]
	v_add_f64 v[138:139], v[104:105], -v[138:139]
	s_waitcnt lgkmcnt(0)
	v_mul_f64 v[102:103], v[132:133], v[36:37]
	v_fma_f64 v[140:141], v[130:131], v[34:35], -v[102:103]
	ds_read_b128 v[102:105], v136 offset:1376
	v_mul_f64 v[130:131], v[130:131], v[36:37]
	v_fmac_f64_e32 v[130:131], v[132:133], v[34:35]
	v_add_f64 v[138:139], v[138:139], -v[130:131]
	v_add_f64 v[134:135], v[134:135], -v[140:141]
	;; [unrolled: 8-line block ×21, first 2 shown]
	ds_read_b128 v[138:141], v136 offset:11616
	s_waitcnt lgkmcnt(1)
	v_mul_f64 v[134:135], v[132:133], v[84:85]
	v_fma_f64 v[134:135], v[130:131], v[82:83], -v[134:135]
	v_mul_f64 v[130:131], v[130:131], v[84:85]
	v_fmac_f64_e32 v[130:131], v[132:133], v[82:83]
	v_add_f64 v[134:135], v[104:105], -v[134:135]
	v_add_f64 v[104:105], v[102:103], -v[130:131]
	ds_read_b128 v[130:133], v136 offset:368
	s_waitcnt lgkmcnt(1)
	v_mul_f64 v[102:103], v[140:141], v[104:105]
	v_mul_f64 v[104:105], v[138:139], v[104:105]
	v_fma_f64 v[102:103], v[138:139], v[134:135], -v[102:103]
	v_fmac_f64_e32 v[104:105], v[140:141], v[134:135]
	ds_read_b128 v[138:141], v136 offset:880
	s_waitcnt lgkmcnt(1)
	v_mul_f64 v[134:135], v[132:133], v[28:29]
	v_fma_f64 v[134:135], v[130:131], v[26:27], -v[134:135]
	v_mul_f64 v[130:131], v[130:131], v[28:29]
	v_fmac_f64_e32 v[130:131], v[132:133], v[26:27]
	v_add_f64 v[132:133], v[118:119], -v[134:135]
	s_waitcnt lgkmcnt(0)
	v_mul_f64 v[118:119], v[140:141], v[36:37]
	v_add_f64 v[130:131], v[120:121], -v[130:131]
	v_fma_f64 v[134:135], v[138:139], v[34:35], -v[118:119]
	ds_read_b128 v[118:121], v136 offset:1392
	v_mul_f64 v[138:139], v[138:139], v[36:37]
	v_fmac_f64_e32 v[138:139], v[140:141], v[34:35]
	v_add_f64 v[138:139], v[130:131], -v[138:139]
	v_add_f64 v[134:135], v[132:133], -v[134:135]
	s_waitcnt lgkmcnt(0)
	v_mul_f64 v[130:131], v[120:121], v[48:49]
	v_fma_f64 v[140:141], v[118:119], v[46:47], -v[130:131]
	ds_read_b128 v[130:133], v136 offset:1904
	v_mul_f64 v[118:119], v[118:119], v[48:49]
	v_fmac_f64_e32 v[118:119], v[120:121], v[46:47]
	v_add_f64 v[138:139], v[138:139], -v[118:119]
	v_add_f64 v[134:135], v[134:135], -v[140:141]
	s_waitcnt lgkmcnt(0)
	v_mul_f64 v[118:119], v[132:133], v[56:57]
	;; [unrolled: 8-line block ×21, first 2 shown]
	v_fma_f64 v[140:141], v[118:119], v[102:103], -v[130:131]
	v_mul_f64 v[118:119], v[118:119], v[104:105]
	ds_read_b128 v[130:133], v136 offset:12144
	v_fmac_f64_e32 v[118:119], v[120:121], v[102:103]
	v_add_f64 v[134:135], v[134:135], -v[140:141]
	v_add_f64 v[120:121], v[138:139], -v[118:119]
	ds_read_b128 v[138:141], v136 offset:384
	s_waitcnt lgkmcnt(1)
	v_mul_f64 v[118:119], v[132:133], v[120:121]
	v_fma_f64 v[118:119], v[130:131], v[134:135], -v[118:119]
	v_mul_f64 v[120:121], v[130:131], v[120:121]
	v_fmac_f64_e32 v[120:121], v[132:133], v[134:135]
	s_waitcnt lgkmcnt(0)
	v_mul_f64 v[130:131], v[140:141], v[28:29]
	v_fma_f64 v[134:135], v[138:139], v[26:27], -v[130:131]
	ds_read_b128 v[130:133], v136 offset:896
	v_mul_f64 v[138:139], v[138:139], v[28:29]
	v_fmac_f64_e32 v[138:139], v[140:141], v[26:27]
	v_add_f64 v[134:135], v[94:95], -v[134:135]
	v_add_f64 v[138:139], v[96:97], -v[138:139]
	s_waitcnt lgkmcnt(0)
	v_mul_f64 v[94:95], v[132:133], v[36:37]
	v_fma_f64 v[140:141], v[130:131], v[34:35], -v[94:95]
	ds_read_b128 v[94:97], v136 offset:1408
	v_mul_f64 v[130:131], v[130:131], v[36:37]
	v_fmac_f64_e32 v[130:131], v[132:133], v[34:35]
	v_add_f64 v[138:139], v[138:139], -v[130:131]
	v_add_f64 v[134:135], v[134:135], -v[140:141]
	;; [unrolled: 8-line block ×23, first 2 shown]
	ds_read_b128 v[138:141], v136 offset:12672
	s_waitcnt lgkmcnt(1)
	v_mul_f64 v[134:135], v[132:133], v[120:121]
	v_fma_f64 v[134:135], v[130:131], v[118:119], -v[134:135]
	v_mul_f64 v[130:131], v[130:131], v[120:121]
	v_fmac_f64_e32 v[130:131], v[132:133], v[118:119]
	v_add_f64 v[134:135], v[96:97], -v[134:135]
	v_add_f64 v[96:97], v[94:95], -v[130:131]
	ds_read_b128 v[130:133], v136 offset:400
	s_waitcnt lgkmcnt(1)
	v_mul_f64 v[94:95], v[140:141], v[96:97]
	v_mul_f64 v[96:97], v[138:139], v[96:97]
	v_fma_f64 v[94:95], v[138:139], v[134:135], -v[94:95]
	v_fmac_f64_e32 v[96:97], v[140:141], v[134:135]
	ds_read_b128 v[138:141], v136 offset:912
	s_waitcnt lgkmcnt(1)
	v_mul_f64 v[134:135], v[132:133], v[28:29]
	v_fma_f64 v[134:135], v[130:131], v[26:27], -v[134:135]
	v_mul_f64 v[130:131], v[130:131], v[28:29]
	v_fmac_f64_e32 v[130:131], v[132:133], v[26:27]
	v_add_f64 v[132:133], v[110:111], -v[134:135]
	s_waitcnt lgkmcnt(0)
	v_mul_f64 v[110:111], v[140:141], v[36:37]
	v_add_f64 v[130:131], v[112:113], -v[130:131]
	v_fma_f64 v[134:135], v[138:139], v[34:35], -v[110:111]
	ds_read_b128 v[110:113], v136 offset:1424
	v_mul_f64 v[138:139], v[138:139], v[36:37]
	v_fmac_f64_e32 v[138:139], v[140:141], v[34:35]
	v_add_f64 v[138:139], v[130:131], -v[138:139]
	v_add_f64 v[134:135], v[132:133], -v[134:135]
	s_waitcnt lgkmcnt(0)
	v_mul_f64 v[130:131], v[112:113], v[48:49]
	v_fma_f64 v[140:141], v[110:111], v[46:47], -v[130:131]
	ds_read_b128 v[130:133], v136 offset:1936
	v_mul_f64 v[110:111], v[110:111], v[48:49]
	v_fmac_f64_e32 v[110:111], v[112:113], v[46:47]
	v_add_f64 v[138:139], v[138:139], -v[110:111]
	v_add_f64 v[134:135], v[134:135], -v[140:141]
	s_waitcnt lgkmcnt(0)
	v_mul_f64 v[110:111], v[132:133], v[56:57]
	;; [unrolled: 8-line block ×23, first 2 shown]
	v_fma_f64 v[140:141], v[110:111], v[94:95], -v[130:131]
	v_mul_f64 v[110:111], v[110:111], v[96:97]
	ds_read_b128 v[130:133], v136 offset:13200
	v_fmac_f64_e32 v[110:111], v[112:113], v[94:95]
	v_add_f64 v[134:135], v[134:135], -v[140:141]
	v_add_f64 v[112:113], v[138:139], -v[110:111]
	ds_read_b128 v[138:141], v136 offset:416
	s_waitcnt lgkmcnt(1)
	v_mul_f64 v[110:111], v[132:133], v[112:113]
	v_fma_f64 v[110:111], v[130:131], v[134:135], -v[110:111]
	v_mul_f64 v[112:113], v[130:131], v[112:113]
	v_fmac_f64_e32 v[112:113], v[132:133], v[134:135]
	s_waitcnt lgkmcnt(0)
	v_mul_f64 v[130:131], v[140:141], v[28:29]
	v_fma_f64 v[134:135], v[138:139], v[26:27], -v[130:131]
	ds_read_b128 v[130:133], v136 offset:928
	v_mul_f64 v[138:139], v[138:139], v[28:29]
	v_fmac_f64_e32 v[138:139], v[140:141], v[26:27]
	v_add_f64 v[134:135], v[78:79], -v[134:135]
	v_add_f64 v[138:139], v[80:81], -v[138:139]
	s_waitcnt lgkmcnt(0)
	v_mul_f64 v[78:79], v[132:133], v[36:37]
	v_fma_f64 v[140:141], v[130:131], v[34:35], -v[78:79]
	ds_read_b128 v[78:81], v136 offset:1440
	v_mul_f64 v[130:131], v[130:131], v[36:37]
	v_fmac_f64_e32 v[130:131], v[132:133], v[34:35]
	v_add_f64 v[138:139], v[138:139], -v[130:131]
	v_add_f64 v[134:135], v[134:135], -v[140:141]
	;; [unrolled: 8-line block ×25, first 2 shown]
	ds_read_b128 v[138:141], v136 offset:13728
	s_waitcnt lgkmcnt(1)
	v_mul_f64 v[134:135], v[132:133], v[112:113]
	v_fma_f64 v[134:135], v[130:131], v[110:111], -v[134:135]
	v_mul_f64 v[130:131], v[130:131], v[112:113]
	v_fmac_f64_e32 v[130:131], v[132:133], v[110:111]
	v_add_f64 v[134:135], v[80:81], -v[134:135]
	v_add_f64 v[80:81], v[78:79], -v[130:131]
	ds_read_b128 v[130:133], v136 offset:432
	s_waitcnt lgkmcnt(1)
	v_mul_f64 v[78:79], v[140:141], v[80:81]
	v_mul_f64 v[80:81], v[138:139], v[80:81]
	v_fma_f64 v[78:79], v[138:139], v[134:135], -v[78:79]
	v_fmac_f64_e32 v[80:81], v[140:141], v[134:135]
	ds_read_b128 v[138:141], v136 offset:944
	s_waitcnt lgkmcnt(1)
	v_mul_f64 v[134:135], v[132:133], v[28:29]
	v_fma_f64 v[134:135], v[130:131], v[26:27], -v[134:135]
	v_mul_f64 v[130:131], v[130:131], v[28:29]
	v_fmac_f64_e32 v[130:131], v[132:133], v[26:27]
	v_add_f64 v[132:133], v[106:107], -v[134:135]
	s_waitcnt lgkmcnt(0)
	v_mul_f64 v[106:107], v[140:141], v[36:37]
	v_add_f64 v[130:131], v[108:109], -v[130:131]
	v_fma_f64 v[134:135], v[138:139], v[34:35], -v[106:107]
	ds_read_b128 v[106:109], v136 offset:1456
	v_mul_f64 v[138:139], v[138:139], v[36:37]
	v_fmac_f64_e32 v[138:139], v[140:141], v[34:35]
	v_add_f64 v[138:139], v[130:131], -v[138:139]
	v_add_f64 v[134:135], v[132:133], -v[134:135]
	s_waitcnt lgkmcnt(0)
	v_mul_f64 v[130:131], v[108:109], v[48:49]
	v_fma_f64 v[140:141], v[106:107], v[46:47], -v[130:131]
	ds_read_b128 v[130:133], v136 offset:1968
	v_mul_f64 v[106:107], v[106:107], v[48:49]
	v_fmac_f64_e32 v[106:107], v[108:109], v[46:47]
	v_add_f64 v[138:139], v[138:139], -v[106:107]
	v_add_f64 v[134:135], v[134:135], -v[140:141]
	s_waitcnt lgkmcnt(0)
	v_mul_f64 v[106:107], v[132:133], v[56:57]
	v_fma_f64 v[140:141], v[130:131], v[54:55], -v[106:107]
	ds_read_b128 v[106:109], v136 offset:2480
	v_mul_f64 v[130:131], v[130:131], v[56:57]
	v_fmac_f64_e32 v[130:131], v[132:133], v[54:55]
	v_add_f64 v[138:139], v[138:139], -v[130:131]
	v_add_f64 v[134:135], v[134:135], -v[140:141]
	s_waitcnt lgkmcnt(0)
	v_mul_f64 v[130:131], v[108:109], v[16:17]
	v_fma_f64 v[140:141], v[106:107], v[14:15], -v[130:131]
	ds_read_b128 v[130:133], v136 offset:2992
	v_mul_f64 v[106:107], v[106:107], v[16:17]
	v_fmac_f64_e32 v[106:107], v[108:109], v[14:15]
	v_add_f64 v[138:139], v[138:139], -v[106:107]
	v_add_f64 v[134:135], v[134:135], -v[140:141]
	s_waitcnt lgkmcnt(0)
	v_mul_f64 v[106:107], v[132:133], v[12:13]
	v_fma_f64 v[140:141], v[130:131], v[10:11], -v[106:107]
	ds_read_b128 v[106:109], v136 offset:3504
	v_mul_f64 v[130:131], v[130:131], v[12:13]
	v_fmac_f64_e32 v[130:131], v[132:133], v[10:11]
	v_add_f64 v[138:139], v[138:139], -v[130:131]
	v_add_f64 v[134:135], v[134:135], -v[140:141]
	s_waitcnt lgkmcnt(0)
	v_mul_f64 v[130:131], v[108:109], v[40:41]
	v_fma_f64 v[140:141], v[106:107], v[38:39], -v[130:131]
	ds_read_b128 v[130:133], v136 offset:4016
	v_mul_f64 v[106:107], v[106:107], v[40:41]
	v_fmac_f64_e32 v[106:107], v[108:109], v[38:39]
	v_add_f64 v[138:139], v[138:139], -v[106:107]
	v_add_f64 v[134:135], v[134:135], -v[140:141]
	s_waitcnt lgkmcnt(0)
	v_mul_f64 v[106:107], v[132:133], v[60:61]
	v_fma_f64 v[140:141], v[130:131], v[58:59], -v[106:107]
	ds_read_b128 v[106:109], v136 offset:4528
	v_mul_f64 v[130:131], v[130:131], v[60:61]
	v_fmac_f64_e32 v[130:131], v[132:133], v[58:59]
	v_add_f64 v[138:139], v[138:139], -v[130:131]
	v_add_f64 v[134:135], v[134:135], -v[140:141]
	s_waitcnt lgkmcnt(0)
	v_mul_f64 v[130:131], v[108:109], v[4:5]
	v_fma_f64 v[140:141], v[106:107], v[2:3], -v[130:131]
	ds_read_b128 v[130:133], v136 offset:5040
	v_mul_f64 v[106:107], v[106:107], v[4:5]
	v_fmac_f64_e32 v[106:107], v[108:109], v[2:3]
	v_add_f64 v[138:139], v[138:139], -v[106:107]
	v_add_f64 v[134:135], v[134:135], -v[140:141]
	s_waitcnt lgkmcnt(0)
	v_mul_f64 v[106:107], v[132:133], v[8:9]
	v_fma_f64 v[140:141], v[130:131], v[6:7], -v[106:107]
	ds_read_b128 v[106:109], v136 offset:5552
	v_mul_f64 v[130:131], v[130:131], v[8:9]
	v_fmac_f64_e32 v[130:131], v[132:133], v[6:7]
	v_add_f64 v[138:139], v[138:139], -v[130:131]
	v_add_f64 v[134:135], v[134:135], -v[140:141]
	s_waitcnt lgkmcnt(0)
	v_mul_f64 v[130:131], v[108:109], v[44:45]
	v_fma_f64 v[140:141], v[106:107], v[42:43], -v[130:131]
	ds_read_b128 v[130:133], v136 offset:6064
	v_mul_f64 v[106:107], v[106:107], v[44:45]
	v_fmac_f64_e32 v[106:107], v[108:109], v[42:43]
	v_add_f64 v[138:139], v[138:139], -v[106:107]
	v_add_f64 v[134:135], v[134:135], -v[140:141]
	s_waitcnt lgkmcnt(0)
	v_mul_f64 v[106:107], v[132:133], v[72:73]
	v_fma_f64 v[140:141], v[130:131], v[70:71], -v[106:107]
	ds_read_b128 v[106:109], v136 offset:6576
	v_mul_f64 v[130:131], v[130:131], v[72:73]
	v_fmac_f64_e32 v[130:131], v[132:133], v[70:71]
	v_add_f64 v[138:139], v[138:139], -v[130:131]
	v_add_f64 v[134:135], v[134:135], -v[140:141]
	s_waitcnt lgkmcnt(0)
	v_mul_f64 v[130:131], v[108:109], v[20:21]
	v_fma_f64 v[140:141], v[106:107], v[18:19], -v[130:131]
	ds_read_b128 v[130:133], v136 offset:7088
	v_mul_f64 v[106:107], v[106:107], v[20:21]
	v_fmac_f64_e32 v[106:107], v[108:109], v[18:19]
	v_add_f64 v[138:139], v[138:139], -v[106:107]
	v_add_f64 v[134:135], v[134:135], -v[140:141]
	s_waitcnt lgkmcnt(0)
	v_mul_f64 v[106:107], v[132:133], v[32:33]
	v_fma_f64 v[140:141], v[130:131], v[30:31], -v[106:107]
	ds_read_b128 v[106:109], v136 offset:7600
	v_mul_f64 v[130:131], v[130:131], v[32:33]
	v_fmac_f64_e32 v[130:131], v[132:133], v[30:31]
	v_add_f64 v[138:139], v[138:139], -v[130:131]
	v_add_f64 v[134:135], v[134:135], -v[140:141]
	s_waitcnt lgkmcnt(0)
	v_mul_f64 v[130:131], v[108:109], v[68:69]
	v_fma_f64 v[140:141], v[106:107], v[66:67], -v[130:131]
	ds_read_b128 v[130:133], v136 offset:8112
	v_mul_f64 v[106:107], v[106:107], v[68:69]
	v_fmac_f64_e32 v[106:107], v[108:109], v[66:67]
	v_add_f64 v[138:139], v[138:139], -v[106:107]
	v_add_f64 v[134:135], v[134:135], -v[140:141]
	s_waitcnt lgkmcnt(0)
	v_mul_f64 v[106:107], v[132:133], v[92:93]
	v_fma_f64 v[140:141], v[130:131], v[90:91], -v[106:107]
	ds_read_b128 v[106:109], v136 offset:8624
	v_mul_f64 v[130:131], v[130:131], v[92:93]
	v_fmac_f64_e32 v[130:131], v[132:133], v[90:91]
	v_add_f64 v[138:139], v[138:139], -v[130:131]
	v_add_f64 v[134:135], v[134:135], -v[140:141]
	s_waitcnt lgkmcnt(0)
	v_mul_f64 v[130:131], v[108:109], v[52:53]
	v_fma_f64 v[140:141], v[106:107], v[50:51], -v[130:131]
	ds_read_b128 v[130:133], v136 offset:9136
	v_mul_f64 v[106:107], v[106:107], v[52:53]
	v_fmac_f64_e32 v[106:107], v[108:109], v[50:51]
	v_add_f64 v[138:139], v[138:139], -v[106:107]
	v_add_f64 v[134:135], v[134:135], -v[140:141]
	s_waitcnt lgkmcnt(0)
	v_mul_f64 v[106:107], v[132:133], v[64:65]
	v_fma_f64 v[140:141], v[130:131], v[62:63], -v[106:107]
	ds_read_b128 v[106:109], v136 offset:9648
	v_mul_f64 v[130:131], v[130:131], v[64:65]
	v_fmac_f64_e32 v[130:131], v[132:133], v[62:63]
	v_add_f64 v[138:139], v[138:139], -v[130:131]
	v_add_f64 v[134:135], v[134:135], -v[140:141]
	s_waitcnt lgkmcnt(0)
	v_mul_f64 v[130:131], v[108:109], v[88:89]
	v_fma_f64 v[140:141], v[106:107], v[86:87], -v[130:131]
	ds_read_b128 v[130:133], v136 offset:10160
	v_mul_f64 v[106:107], v[106:107], v[88:89]
	v_fmac_f64_e32 v[106:107], v[108:109], v[86:87]
	v_add_f64 v[138:139], v[138:139], -v[106:107]
	v_add_f64 v[134:135], v[134:135], -v[140:141]
	s_waitcnt lgkmcnt(0)
	v_mul_f64 v[106:107], v[132:133], v[100:101]
	v_fma_f64 v[140:141], v[130:131], v[98:99], -v[106:107]
	ds_read_b128 v[106:109], v136 offset:10672
	v_mul_f64 v[130:131], v[130:131], v[100:101]
	v_fmac_f64_e32 v[130:131], v[132:133], v[98:99]
	v_add_f64 v[138:139], v[138:139], -v[130:131]
	v_add_f64 v[134:135], v[134:135], -v[140:141]
	s_waitcnt lgkmcnt(0)
	v_mul_f64 v[130:131], v[108:109], v[76:77]
	v_fma_f64 v[140:141], v[106:107], v[74:75], -v[130:131]
	ds_read_b128 v[130:133], v136 offset:11184
	v_mul_f64 v[106:107], v[106:107], v[76:77]
	v_fmac_f64_e32 v[106:107], v[108:109], v[74:75]
	v_add_f64 v[138:139], v[138:139], -v[106:107]
	v_add_f64 v[134:135], v[134:135], -v[140:141]
	s_waitcnt lgkmcnt(0)
	v_mul_f64 v[106:107], v[132:133], v[84:85]
	v_fma_f64 v[140:141], v[130:131], v[82:83], -v[106:107]
	ds_read_b128 v[106:109], v136 offset:11696
	v_mul_f64 v[130:131], v[130:131], v[84:85]
	v_fmac_f64_e32 v[130:131], v[132:133], v[82:83]
	v_add_f64 v[138:139], v[138:139], -v[130:131]
	v_add_f64 v[134:135], v[134:135], -v[140:141]
	s_waitcnt lgkmcnt(0)
	v_mul_f64 v[130:131], v[108:109], v[104:105]
	v_fma_f64 v[140:141], v[106:107], v[102:103], -v[130:131]
	ds_read_b128 v[130:133], v136 offset:12208
	v_mul_f64 v[106:107], v[106:107], v[104:105]
	v_fmac_f64_e32 v[106:107], v[108:109], v[102:103]
	v_add_f64 v[138:139], v[138:139], -v[106:107]
	v_add_f64 v[134:135], v[134:135], -v[140:141]
	s_waitcnt lgkmcnt(0)
	v_mul_f64 v[106:107], v[132:133], v[120:121]
	v_fma_f64 v[140:141], v[130:131], v[118:119], -v[106:107]
	ds_read_b128 v[106:109], v136 offset:12720
	v_mul_f64 v[130:131], v[130:131], v[120:121]
	v_fmac_f64_e32 v[130:131], v[132:133], v[118:119]
	v_add_f64 v[138:139], v[138:139], -v[130:131]
	v_add_f64 v[134:135], v[134:135], -v[140:141]
	s_waitcnt lgkmcnt(0)
	v_mul_f64 v[130:131], v[108:109], v[96:97]
	v_fma_f64 v[140:141], v[106:107], v[94:95], -v[130:131]
	ds_read_b128 v[130:133], v136 offset:13232
	v_mul_f64 v[106:107], v[106:107], v[96:97]
	v_fmac_f64_e32 v[106:107], v[108:109], v[94:95]
	v_add_f64 v[138:139], v[138:139], -v[106:107]
	v_add_f64 v[134:135], v[134:135], -v[140:141]
	s_waitcnt lgkmcnt(0)
	v_mul_f64 v[106:107], v[132:133], v[112:113]
	v_fma_f64 v[140:141], v[130:131], v[110:111], -v[106:107]
	ds_read_b128 v[106:109], v136 offset:13744
	v_mul_f64 v[130:131], v[130:131], v[112:113]
	v_fmac_f64_e32 v[130:131], v[132:133], v[110:111]
	v_add_f64 v[138:139], v[138:139], -v[130:131]
	v_add_f64 v[134:135], v[134:135], -v[140:141]
	s_waitcnt lgkmcnt(0)
	v_mul_f64 v[130:131], v[108:109], v[80:81]
	v_fma_f64 v[140:141], v[106:107], v[78:79], -v[130:131]
	v_mul_f64 v[106:107], v[106:107], v[80:81]
	ds_read_b128 v[130:133], v136 offset:14256
	v_fmac_f64_e32 v[106:107], v[108:109], v[78:79]
	v_add_f64 v[134:135], v[134:135], -v[140:141]
	v_add_f64 v[108:109], v[138:139], -v[106:107]
	ds_read_b128 v[138:141], v136 offset:448
	s_waitcnt lgkmcnt(1)
	v_mul_f64 v[106:107], v[132:133], v[108:109]
	v_fma_f64 v[106:107], v[130:131], v[134:135], -v[106:107]
	v_mul_f64 v[108:109], v[130:131], v[108:109]
	v_fmac_f64_e32 v[108:109], v[132:133], v[134:135]
	s_waitcnt lgkmcnt(0)
	v_mul_f64 v[130:131], v[140:141], v[28:29]
	v_fma_f64 v[134:135], v[138:139], v[26:27], -v[130:131]
	ds_read_b128 v[130:133], v136 offset:960
	v_mul_f64 v[138:139], v[138:139], v[28:29]
	v_fmac_f64_e32 v[138:139], v[140:141], v[26:27]
	v_add_f64 v[134:135], v[114:115], -v[134:135]
	v_add_f64 v[138:139], v[116:117], -v[138:139]
	s_waitcnt lgkmcnt(0)
	v_mul_f64 v[114:115], v[132:133], v[36:37]
	v_fma_f64 v[140:141], v[130:131], v[34:35], -v[114:115]
	ds_read_b128 v[114:117], v136 offset:1472
	v_mul_f64 v[130:131], v[130:131], v[36:37]
	v_fmac_f64_e32 v[130:131], v[132:133], v[34:35]
	v_add_f64 v[138:139], v[138:139], -v[130:131]
	v_add_f64 v[134:135], v[134:135], -v[140:141]
	;; [unrolled: 8-line block ×27, first 2 shown]
	ds_read_b128 v[138:141], v136 offset:14784
	s_waitcnt lgkmcnt(1)
	v_mul_f64 v[134:135], v[132:133], v[108:109]
	v_fma_f64 v[134:135], v[130:131], v[106:107], -v[134:135]
	v_mul_f64 v[130:131], v[130:131], v[108:109]
	v_fmac_f64_e32 v[130:131], v[132:133], v[106:107]
	v_add_f64 v[134:135], v[116:117], -v[134:135]
	v_add_f64 v[116:117], v[114:115], -v[130:131]
	ds_read_b128 v[130:133], v136 offset:464
	s_waitcnt lgkmcnt(1)
	v_mul_f64 v[114:115], v[140:141], v[116:117]
	v_mul_f64 v[116:117], v[138:139], v[116:117]
	v_fma_f64 v[114:115], v[138:139], v[134:135], -v[114:115]
	v_fmac_f64_e32 v[116:117], v[140:141], v[134:135]
	ds_read_b128 v[138:141], v136 offset:976
	s_waitcnt lgkmcnt(1)
	v_mul_f64 v[134:135], v[132:133], v[28:29]
	v_fma_f64 v[134:135], v[130:131], v[26:27], -v[134:135]
	v_mul_f64 v[130:131], v[130:131], v[28:29]
	v_fmac_f64_e32 v[130:131], v[132:133], v[26:27]
	v_add_f64 v[132:133], v[122:123], -v[134:135]
	s_waitcnt lgkmcnt(0)
	v_mul_f64 v[122:123], v[140:141], v[36:37]
	v_add_f64 v[130:131], v[124:125], -v[130:131]
	v_fma_f64 v[134:135], v[138:139], v[34:35], -v[122:123]
	ds_read_b128 v[122:125], v136 offset:1488
	v_mul_f64 v[138:139], v[138:139], v[36:37]
	v_fmac_f64_e32 v[138:139], v[140:141], v[34:35]
	v_add_f64 v[138:139], v[130:131], -v[138:139]
	v_add_f64 v[134:135], v[132:133], -v[134:135]
	s_waitcnt lgkmcnt(0)
	v_mul_f64 v[130:131], v[124:125], v[48:49]
	v_fma_f64 v[140:141], v[122:123], v[46:47], -v[130:131]
	ds_read_b128 v[130:133], v136 offset:2000
	v_mul_f64 v[122:123], v[122:123], v[48:49]
	v_fmac_f64_e32 v[122:123], v[124:125], v[46:47]
	v_add_f64 v[138:139], v[138:139], -v[122:123]
	v_add_f64 v[134:135], v[134:135], -v[140:141]
	s_waitcnt lgkmcnt(0)
	v_mul_f64 v[122:123], v[132:133], v[56:57]
	;; [unrolled: 8-line block ×27, first 2 shown]
	v_fma_f64 v[140:141], v[122:123], v[114:115], -v[130:131]
	v_mul_f64 v[122:123], v[122:123], v[116:117]
	ds_read_b128 v[130:133], v136 offset:15312
	v_fmac_f64_e32 v[122:123], v[124:125], v[114:115]
	v_add_f64 v[134:135], v[134:135], -v[140:141]
	v_add_f64 v[124:125], v[138:139], -v[122:123]
	ds_read_b128 v[138:141], v136 offset:480
	s_waitcnt lgkmcnt(1)
	v_mul_f64 v[122:123], v[132:133], v[124:125]
	v_fma_f64 v[122:123], v[130:131], v[134:135], -v[122:123]
	v_mul_f64 v[124:125], v[130:131], v[124:125]
	v_fmac_f64_e32 v[124:125], v[132:133], v[134:135]
	s_waitcnt lgkmcnt(0)
	v_mul_f64 v[130:131], v[140:141], v[28:29]
	v_fma_f64 v[134:135], v[138:139], v[26:27], -v[130:131]
	ds_read_b128 v[130:133], v136 offset:992
	v_mul_f64 v[138:139], v[138:139], v[28:29]
	v_fmac_f64_e32 v[138:139], v[140:141], v[26:27]
	v_add_f64 v[134:135], v[126:127], -v[134:135]
	v_add_f64 v[138:139], v[128:129], -v[138:139]
	s_waitcnt lgkmcnt(0)
	v_mul_f64 v[126:127], v[132:133], v[36:37]
	v_fma_f64 v[140:141], v[130:131], v[34:35], -v[126:127]
	ds_read_b128 v[126:129], v136 offset:1504
	v_mul_f64 v[130:131], v[130:131], v[36:37]
	v_fmac_f64_e32 v[130:131], v[132:133], v[34:35]
	v_add_f64 v[138:139], v[138:139], -v[130:131]
	v_add_f64 v[134:135], v[134:135], -v[140:141]
	;; [unrolled: 8-line block ×29, first 2 shown]
	ds_read_b128 v[138:141], v136 offset:15840
	s_waitcnt lgkmcnt(1)
	v_mul_f64 v[134:135], v[132:133], v[124:125]
	v_fma_f64 v[134:135], v[130:131], v[122:123], -v[134:135]
	v_mul_f64 v[130:131], v[130:131], v[124:125]
	v_fmac_f64_e32 v[130:131], v[132:133], v[122:123]
	v_add_f64 v[134:135], v[128:129], -v[134:135]
	v_add_f64 v[128:129], v[126:127], -v[130:131]
	ds_read_b128 v[130:133], v136 offset:496
	s_waitcnt lgkmcnt(1)
	v_mul_f64 v[126:127], v[140:141], v[128:129]
	v_mul_f64 v[128:129], v[138:139], v[128:129]
	v_fma_f64 v[126:127], v[138:139], v[134:135], -v[126:127]
	v_fmac_f64_e32 v[128:129], v[140:141], v[134:135]
	ds_read_b128 v[138:141], v136 offset:1008
	s_waitcnt lgkmcnt(1)
	v_mul_f64 v[134:135], v[132:133], v[28:29]
	v_fma_f64 v[134:135], v[130:131], v[26:27], -v[134:135]
	v_mul_f64 v[28:29], v[130:131], v[28:29]
	v_fmac_f64_e32 v[28:29], v[132:133], v[26:27]
	v_add_f64 v[26:27], v[22:23], -v[134:135]
	s_waitcnt lgkmcnt(0)
	v_mul_f64 v[22:23], v[140:141], v[36:37]
	v_add_f64 v[28:29], v[24:25], -v[28:29]
	v_fma_f64 v[130:131], v[138:139], v[34:35], -v[22:23]
	ds_read_b128 v[22:25], v136 offset:1520
	v_mul_f64 v[36:37], v[138:139], v[36:37]
	v_fmac_f64_e32 v[36:37], v[140:141], v[34:35]
	v_add_f64 v[34:35], v[26:27], -v[130:131]
	v_add_f64 v[36:37], v[28:29], -v[36:37]
	s_waitcnt lgkmcnt(0)
	v_mul_f64 v[26:27], v[24:25], v[48:49]
	v_fma_f64 v[130:131], v[22:23], v[46:47], -v[26:27]
	ds_read_b128 v[26:29], v136 offset:2032
	v_mul_f64 v[22:23], v[22:23], v[48:49]
	v_fmac_f64_e32 v[22:23], v[24:25], v[46:47]
	v_add_f64 v[36:37], v[36:37], -v[22:23]
	v_add_f64 v[34:35], v[34:35], -v[130:131]
	s_waitcnt lgkmcnt(0)
	v_mul_f64 v[22:23], v[28:29], v[56:57]
	v_fma_f64 v[46:47], v[26:27], v[54:55], -v[22:23]
	ds_read_b128 v[22:25], v136 offset:2544
	v_mul_f64 v[26:27], v[26:27], v[56:57]
	v_fmac_f64_e32 v[26:27], v[28:29], v[54:55]
	v_add_f64 v[36:37], v[36:37], -v[26:27]
	v_add_f64 v[34:35], v[34:35], -v[46:47]
	s_waitcnt lgkmcnt(0)
	v_mul_f64 v[26:27], v[24:25], v[16:17]
	v_fma_f64 v[46:47], v[22:23], v[14:15], -v[26:27]
	ds_read_b128 v[26:29], v136 offset:3056
	v_mul_f64 v[16:17], v[22:23], v[16:17]
	v_fmac_f64_e32 v[16:17], v[24:25], v[14:15]
	v_add_f64 v[22:23], v[34:35], -v[46:47]
	v_add_f64 v[24:25], v[36:37], -v[16:17]
	s_waitcnt lgkmcnt(0)
	v_mul_f64 v[14:15], v[28:29], v[12:13]
	v_fma_f64 v[34:35], v[26:27], v[10:11], -v[14:15]
	ds_read_b128 v[14:17], v136 offset:3568
	ds_write_b128 v1, v[10:13] offset:2560
	v_mul_f64 v[12:13], v[26:27], v[12:13]
	v_fmac_f64_e32 v[12:13], v[28:29], v[10:11]
	v_add_f64 v[24:25], v[24:25], -v[12:13]
	s_waitcnt lgkmcnt(1)
	v_mul_f64 v[10:11], v[16:17], v[40:41]
	v_fma_f64 v[26:27], v[14:15], v[38:39], -v[10:11]
	ds_read_b128 v[10:13], v136 offset:4080
	v_mul_f64 v[14:15], v[14:15], v[40:41]
	v_fmac_f64_e32 v[14:15], v[16:17], v[38:39]
	v_add_f64 v[22:23], v[22:23], -v[34:35]
	v_add_f64 v[24:25], v[24:25], -v[14:15]
	s_waitcnt lgkmcnt(0)
	v_mul_f64 v[14:15], v[12:13], v[60:61]
	v_add_f64 v[22:23], v[22:23], -v[26:27]
	v_fma_f64 v[26:27], v[10:11], v[58:59], -v[14:15]
	ds_read_b128 v[14:17], v136 offset:4592
	v_mul_f64 v[10:11], v[10:11], v[60:61]
	v_fmac_f64_e32 v[10:11], v[12:13], v[58:59]
	v_add_f64 v[24:25], v[24:25], -v[10:11]
	v_add_f64 v[22:23], v[22:23], -v[26:27]
	s_waitcnt lgkmcnt(0)
	v_mul_f64 v[10:11], v[16:17], v[4:5]
	v_fma_f64 v[26:27], v[14:15], v[2:3], -v[10:11]
	ds_read_b128 v[10:13], v136 offset:5104
	ds_write_b128 v1, v[2:5] offset:4096
	v_mul_f64 v[4:5], v[14:15], v[4:5]
	v_fmac_f64_e32 v[4:5], v[16:17], v[2:3]
	v_add_f64 v[14:15], v[22:23], -v[26:27]
	s_waitcnt lgkmcnt(1)
	v_mul_f64 v[2:3], v[12:13], v[8:9]
	v_add_f64 v[16:17], v[24:25], -v[4:5]
	v_fma_f64 v[22:23], v[10:11], v[6:7], -v[2:3]
	ds_read_b128 v[2:5], v136 offset:5616
	ds_write_b128 v1, v[6:9] offset:4608
	v_mul_f64 v[8:9], v[10:11], v[8:9]
	v_fmac_f64_e32 v[8:9], v[12:13], v[6:7]
	v_add_f64 v[10:11], v[14:15], -v[22:23]
	s_waitcnt lgkmcnt(1)
	v_mul_f64 v[6:7], v[4:5], v[44:45]
	v_add_f64 v[12:13], v[16:17], -v[8:9]
	v_fma_f64 v[14:15], v[2:3], v[42:43], -v[6:7]
	ds_read_b128 v[6:9], v136 offset:6128
	v_mul_f64 v[2:3], v[2:3], v[44:45]
	v_fmac_f64_e32 v[2:3], v[4:5], v[42:43]
	v_add_f64 v[12:13], v[12:13], -v[2:3]
	v_add_f64 v[10:11], v[10:11], -v[14:15]
	s_waitcnt lgkmcnt(0)
	v_mul_f64 v[2:3], v[8:9], v[72:73]
	v_fma_f64 v[14:15], v[6:7], v[70:71], -v[2:3]
	ds_read_b128 v[2:5], v136 offset:6640
	v_mul_f64 v[16:17], v[6:7], v[72:73]
	v_fmac_f64_e32 v[16:17], v[8:9], v[70:71]
	v_add_f64 v[6:7], v[10:11], -v[14:15]
	v_add_f64 v[8:9], v[12:13], -v[16:17]
	ds_read_b128 v[12:15], v136 offset:7152
	s_waitcnt lgkmcnt(1)
	v_mul_f64 v[10:11], v[4:5], v[20:21]
	v_fma_f64 v[10:11], v[2:3], v[18:19], -v[10:11]
	v_mul_f64 v[2:3], v[2:3], v[20:21]
	v_fmac_f64_e32 v[2:3], v[4:5], v[18:19]
	v_add_f64 v[8:9], v[8:9], -v[2:3]
	s_waitcnt lgkmcnt(0)
	v_mul_f64 v[2:3], v[14:15], v[32:33]
	v_add_f64 v[6:7], v[6:7], -v[10:11]
	v_fma_f64 v[10:11], v[12:13], v[30:31], -v[2:3]
	ds_read_b128 v[2:5], v136 offset:7664
	v_mul_f64 v[12:13], v[12:13], v[32:33]
	v_fmac_f64_e32 v[12:13], v[14:15], v[30:31]
	v_add_f64 v[10:11], v[6:7], -v[10:11]
	v_add_f64 v[12:13], v[8:9], -v[12:13]
	s_waitcnt lgkmcnt(0)
	v_mul_f64 v[6:7], v[4:5], v[68:69]
	v_fma_f64 v[14:15], v[2:3], v[66:67], -v[6:7]
	ds_read_b128 v[6:9], v136 offset:8176
	v_mul_f64 v[2:3], v[2:3], v[68:69]
	v_fmac_f64_e32 v[2:3], v[4:5], v[66:67]
	v_add_f64 v[12:13], v[12:13], -v[2:3]
	v_add_f64 v[10:11], v[10:11], -v[14:15]
	s_waitcnt lgkmcnt(0)
	v_mul_f64 v[2:3], v[8:9], v[92:93]
	v_fma_f64 v[14:15], v[6:7], v[90:91], -v[2:3]
	ds_read_b128 v[2:5], v136 offset:8688
	v_mul_f64 v[16:17], v[6:7], v[92:93]
	v_fmac_f64_e32 v[16:17], v[8:9], v[90:91]
	v_add_f64 v[6:7], v[10:11], -v[14:15]
	v_add_f64 v[8:9], v[12:13], -v[16:17]
	ds_read_b128 v[12:15], v136 offset:9200
	s_waitcnt lgkmcnt(1)
	v_mul_f64 v[10:11], v[4:5], v[52:53]
	v_fma_f64 v[10:11], v[2:3], v[50:51], -v[10:11]
	v_mul_f64 v[2:3], v[2:3], v[52:53]
	v_fmac_f64_e32 v[2:3], v[4:5], v[50:51]
	v_add_f64 v[8:9], v[8:9], -v[2:3]
	s_waitcnt lgkmcnt(0)
	v_mul_f64 v[2:3], v[14:15], v[64:65]
	v_add_f64 v[6:7], v[6:7], -v[10:11]
	v_fma_f64 v[10:11], v[12:13], v[62:63], -v[2:3]
	ds_read_b128 v[2:5], v136 offset:9712
	v_mul_f64 v[12:13], v[12:13], v[64:65]
	v_fmac_f64_e32 v[12:13], v[14:15], v[62:63]
	v_add_f64 v[10:11], v[6:7], -v[10:11]
	v_add_f64 v[12:13], v[8:9], -v[12:13]
	s_waitcnt lgkmcnt(0)
	v_mul_f64 v[6:7], v[4:5], v[88:89]
	v_fma_f64 v[14:15], v[2:3], v[86:87], -v[6:7]
	ds_read_b128 v[6:9], v136 offset:10224
	v_mul_f64 v[2:3], v[2:3], v[88:89]
	v_fmac_f64_e32 v[2:3], v[4:5], v[86:87]
	v_add_f64 v[12:13], v[12:13], -v[2:3]
	v_add_f64 v[10:11], v[10:11], -v[14:15]
	s_waitcnt lgkmcnt(0)
	v_mul_f64 v[2:3], v[8:9], v[100:101]
	v_fma_f64 v[14:15], v[6:7], v[98:99], -v[2:3]
	ds_read_b128 v[2:5], v136 offset:10736
	v_mul_f64 v[16:17], v[6:7], v[100:101]
	v_fmac_f64_e32 v[16:17], v[8:9], v[98:99]
	v_add_f64 v[6:7], v[10:11], -v[14:15]
	v_add_f64 v[8:9], v[12:13], -v[16:17]
	ds_read_b128 v[12:15], v136 offset:11248
	s_waitcnt lgkmcnt(1)
	v_mul_f64 v[10:11], v[4:5], v[76:77]
	v_fma_f64 v[10:11], v[2:3], v[74:75], -v[10:11]
	v_mul_f64 v[2:3], v[2:3], v[76:77]
	v_fmac_f64_e32 v[2:3], v[4:5], v[74:75]
	v_add_f64 v[8:9], v[8:9], -v[2:3]
	s_waitcnt lgkmcnt(0)
	v_mul_f64 v[2:3], v[14:15], v[84:85]
	v_add_f64 v[6:7], v[6:7], -v[10:11]
	v_fma_f64 v[10:11], v[12:13], v[82:83], -v[2:3]
	ds_read_b128 v[2:5], v136 offset:11760
	v_mul_f64 v[12:13], v[12:13], v[84:85]
	v_fmac_f64_e32 v[12:13], v[14:15], v[82:83]
	v_add_f64 v[10:11], v[6:7], -v[10:11]
	v_add_f64 v[12:13], v[8:9], -v[12:13]
	s_waitcnt lgkmcnt(0)
	v_mul_f64 v[6:7], v[4:5], v[104:105]
	v_fma_f64 v[14:15], v[2:3], v[102:103], -v[6:7]
	ds_read_b128 v[6:9], v136 offset:12272
	v_mul_f64 v[2:3], v[2:3], v[104:105]
	v_fmac_f64_e32 v[2:3], v[4:5], v[102:103]
	v_add_f64 v[12:13], v[12:13], -v[2:3]
	v_add_f64 v[10:11], v[10:11], -v[14:15]
	s_waitcnt lgkmcnt(0)
	v_mul_f64 v[2:3], v[8:9], v[120:121]
	v_fma_f64 v[14:15], v[6:7], v[118:119], -v[2:3]
	ds_read_b128 v[2:5], v136 offset:12784
	v_mul_f64 v[16:17], v[6:7], v[120:121]
	v_fmac_f64_e32 v[16:17], v[8:9], v[118:119]
	v_add_f64 v[6:7], v[10:11], -v[14:15]
	v_add_f64 v[8:9], v[12:13], -v[16:17]
	ds_read_b128 v[12:15], v136 offset:13296
	s_waitcnt lgkmcnt(1)
	v_mul_f64 v[10:11], v[4:5], v[96:97]
	v_fma_f64 v[10:11], v[2:3], v[94:95], -v[10:11]
	v_mul_f64 v[2:3], v[2:3], v[96:97]
	v_fmac_f64_e32 v[2:3], v[4:5], v[94:95]
	v_add_f64 v[8:9], v[8:9], -v[2:3]
	s_waitcnt lgkmcnt(0)
	v_mul_f64 v[2:3], v[14:15], v[112:113]
	v_add_f64 v[6:7], v[6:7], -v[10:11]
	v_fma_f64 v[10:11], v[12:13], v[110:111], -v[2:3]
	ds_read_b128 v[2:5], v136 offset:13808
	v_mul_f64 v[12:13], v[12:13], v[112:113]
	v_fmac_f64_e32 v[12:13], v[14:15], v[110:111]
	v_add_f64 v[8:9], v[8:9], -v[12:13]
	ds_read_b128 v[12:15], v136 offset:14320
	v_add_f64 v[6:7], v[6:7], -v[10:11]
	s_waitcnt lgkmcnt(1)
	v_mul_f64 v[10:11], v[4:5], v[80:81]
	v_fma_f64 v[10:11], v[2:3], v[78:79], -v[10:11]
	v_mul_f64 v[2:3], v[2:3], v[80:81]
	v_fmac_f64_e32 v[2:3], v[4:5], v[78:79]
	v_add_f64 v[8:9], v[8:9], -v[2:3]
	s_waitcnt lgkmcnt(0)
	v_mul_f64 v[2:3], v[14:15], v[108:109]
	v_add_f64 v[6:7], v[6:7], -v[10:11]
	v_fma_f64 v[10:11], v[12:13], v[106:107], -v[2:3]
	ds_read_b128 v[2:5], v136 offset:14832
	v_mul_f64 v[12:13], v[12:13], v[108:109]
	v_fmac_f64_e32 v[12:13], v[14:15], v[106:107]
	v_add_f64 v[10:11], v[6:7], -v[10:11]
	v_add_f64 v[12:13], v[8:9], -v[12:13]
	s_waitcnt lgkmcnt(0)
	v_mul_f64 v[6:7], v[4:5], v[116:117]
	v_fma_f64 v[14:15], v[2:3], v[114:115], -v[6:7]
	ds_read_b128 v[6:9], v136 offset:15344
	v_mul_f64 v[2:3], v[2:3], v[116:117]
	v_fmac_f64_e32 v[2:3], v[4:5], v[114:115]
	v_add_f64 v[12:13], v[12:13], -v[2:3]
	v_add_f64 v[10:11], v[10:11], -v[14:15]
	s_waitcnt lgkmcnt(0)
	v_mul_f64 v[2:3], v[8:9], v[124:125]
	;; [unrolled: 8-line block ×4, first 2 shown]
	v_mul_f64 v[4:5], v[6:7], v[4:5]
	v_fma_f64 v[2:3], v[6:7], v[10:11], -v[2:3]
	v_fmac_f64_e32 v[4:5], v[8:9], v[10:11]
	ds_write_b128 v1, v[38:41] offset:3072
	ds_write_b128 v1, v[58:61] offset:3584
	;; [unrolled: 1-line block ×24, first 2 shown]
.LBB236_40:
	s_cmp_lt_i32 s7, s24
	s_cbranch_scc0 .LBB236_51
; %bb.41:
	s_or_b32 s6, s7, 27
	s_cmp_ge_u32 s6, s24
	s_cbranch_scc1 .LBB236_46
; %bb.42:
	s_lshl_b32 s10, s7, 9
	v_add_u32_e32 v114, s10, v1
	ds_read_b128 v[110:113], v114
	ds_read_b128 v[30:33], v114 offset:512
	ds_read_b128 v[34:37], v114 offset:1024
	;; [unrolled: 1-line block ×25, first 2 shown]
	s_lshl_b32 s11, s6, 9
	v_add_u32_e32 v162, s11, v1
	ds_read_b128 v[6:9], v114 offset:13312
	ds_read_b128 v[2:5], v162
	s_andn2_b64 vcc, exec, s[4:5]
	s_lshl_b32 s4, s7, 4
	s_cbranch_vccnz .LBB236_45
; %bb.43:
	v_mov_b32_e32 v22, 0x4000
	v_lshl_or_b32 v115, v0, 4, v22
	s_mov_b32 s5, s4
	s_mov_b32 s11, s7
.LBB236_44:                             ; =>This Inner Loop Header: Depth=1
	ds_read_b128 v[22:25], v115
	v_mov_b32_e32 v116, s5
	ds_read_b128 v[122:125], v116
	ds_read_b128 v[126:129], v116 offset:16
	ds_read_b128 v[130:133], v116 offset:32
	;; [unrolled: 1-line block ×27, first 2 shown]
	s_add_i32 s11, s11, -1
	s_addk_i32 s5, 0x200
	s_waitcnt lgkmcnt(14)
	v_mul_f64 v[116:117], v[24:25], v[124:125]
	v_mul_f64 v[124:125], v[22:23], v[124:125]
	;; [unrolled: 1-line block ×11, first 2 shown]
	v_fma_f64 v[116:117], v[22:23], v[122:123], -v[116:117]
	v_fmac_f64_e32 v[124:125], v[24:25], v[122:123]
	v_mul_f64 v[122:123], v[22:23], v[144:145]
	v_mul_f64 v[144:145], v[24:25], v[148:149]
	v_fma_f64 v[236:237], v[22:23], v[126:127], -v[236:237]
	v_fmac_f64_e32 v[128:129], v[24:25], v[126:127]
	v_mul_f64 v[126:127], v[22:23], v[148:149]
	v_mul_f64 v[148:149], v[24:25], v[152:153]
	;; [unrolled: 4-line block ×8, first 2 shown]
	v_fma_f64 v[152:153], v[22:23], v[154:155], -v[152:153]
	v_fmac_f64_e32 v[134:135], v[24:25], v[154:155]
	v_mul_f64 v[154:155], v[22:23], v[178:179]
	s_waitcnt lgkmcnt(13)
	v_mul_f64 v[178:179], v[24:25], v[182:183]
	v_fma_f64 v[156:157], v[22:23], v[158:159], -v[156:157]
	v_fmac_f64_e32 v[138:139], v[24:25], v[158:159]
	v_mul_f64 v[158:159], v[22:23], v[182:183]
	s_waitcnt lgkmcnt(12)
	v_mul_f64 v[182:183], v[24:25], v[186:187]
	;; [unrolled: 5-line block ×14, first 2 shown]
	v_fma_f64 v[210:211], v[22:23], v[212:213], -v[210:211]
	v_fmac_f64_e32 v[192:193], v[24:25], v[212:213]
	v_mul_f64 v[212:213], v[22:23], v[234:235]
	v_fma_f64 v[214:215], v[22:23], v[216:217], -v[214:215]
	v_fmac_f64_e32 v[196:197], v[24:25], v[216:217]
	v_fma_f64 v[216:217], v[22:23], v[220:221], -v[218:219]
	v_fmac_f64_e32 v[200:201], v[24:25], v[220:221]
	;; [unrolled: 2-line block ×5, first 2 shown]
	v_add_u32_e32 v115, 0x200, v115
	s_cmp_lg_u32 s11, 0
	v_add_f64 v[110:111], v[110:111], -v[116:117]
	v_add_f64 v[112:113], v[112:113], -v[124:125]
	;; [unrolled: 1-line block ×56, first 2 shown]
	s_cbranch_scc1 .LBB236_44
.LBB236_45:
	s_mul_i32 s5, s7, 0x210
	v_mov_b32_e32 v22, s5
	ds_read_b128 v[122:125], v22
	s_add_i32 s11, s4, s10
	v_mov_b32_e32 v163, s11
	ds_read_b128 v[126:129], v163 offset:16
	s_or_b32 s11, s10, 0x200
	s_waitcnt lgkmcnt(1)
	v_mul_f64 v[22:23], v[124:125], v[112:113]
	v_mul_f64 v[24:25], v[122:123], v[112:113]
	v_fma_f64 v[22:23], v[122:123], v[110:111], -v[22:23]
	v_fmac_f64_e32 v[24:25], v[124:125], v[110:111]
	ds_write_b128 v114, v[22:25]
	s_waitcnt lgkmcnt(1)
	v_mul_f64 v[130:131], v[128:129], v[24:25]
	ds_read_b128 v[110:113], v163 offset:32
	ds_read_b128 v[114:117], v163 offset:48
	;; [unrolled: 1-line block ×3, first 2 shown]
	v_fma_f64 v[134:135], v[126:127], v[22:23], -v[130:131]
	ds_read_b128 v[130:133], v163 offset:528
	v_mul_f64 v[126:127], v[126:127], v[24:25]
	v_fmac_f64_e32 v[126:127], v[128:129], v[22:23]
	v_add_f64 v[32:33], v[32:33], -v[126:127]
	v_add_f64 v[134:135], v[30:31], -v[134:135]
	s_waitcnt lgkmcnt(0)
	v_mul_f64 v[30:31], v[132:133], v[32:33]
	v_mul_f64 v[32:33], v[130:131], v[32:33]
	v_fma_f64 v[30:31], v[130:131], v[134:135], -v[30:31]
	v_fmac_f64_e32 v[32:33], v[132:133], v[134:135]
	v_add_u32_e32 v130, s11, v1
	s_add_i32 s11, s4, s11
	ds_write_b128 v130, v[30:33]
	v_mul_f64 v[130:131], v[112:113], v[24:25]
	v_mul_f64 v[132:133], v[110:111], v[24:25]
	v_mov_b32_e32 v164, s11
	v_fma_f64 v[130:131], v[110:111], v[22:23], -v[130:131]
	v_fmac_f64_e32 v[132:133], v[112:113], v[22:23]
	ds_read_b128 v[110:113], v164 offset:32
	ds_read_b128 v[126:129], v163 offset:1056
	v_add_f64 v[36:37], v[36:37], -v[132:133]
	v_add_f64 v[34:35], v[34:35], -v[130:131]
	ds_read_b128 v[130:133], v164 offset:48
	ds_read_b128 v[134:137], v164 offset:64
	s_waitcnt lgkmcnt(3)
	v_mul_f64 v[138:139], v[112:113], v[32:33]
	v_fma_f64 v[138:139], v[110:111], v[30:31], -v[138:139]
	v_mul_f64 v[110:111], v[110:111], v[32:33]
	v_fmac_f64_e32 v[110:111], v[112:113], v[30:31]
	v_add_f64 v[36:37], v[36:37], -v[110:111]
	v_add_f64 v[112:113], v[34:35], -v[138:139]
	s_waitcnt lgkmcnt(2)
	v_mul_f64 v[34:35], v[128:129], v[36:37]
	v_mul_f64 v[36:37], v[126:127], v[36:37]
	s_or_b32 s11, s10, 0x400
	v_fma_f64 v[34:35], v[126:127], v[112:113], -v[34:35]
	v_fmac_f64_e32 v[36:37], v[128:129], v[112:113]
	v_add_u32_e32 v110, s11, v1
	ds_write_b128 v110, v[34:37]
	v_mul_f64 v[110:111], v[116:117], v[24:25]
	v_fma_f64 v[110:111], v[114:115], v[22:23], -v[110:111]
	v_mul_f64 v[112:113], v[114:115], v[24:25]
	s_add_i32 s11, s4, s11
	v_fmac_f64_e32 v[112:113], v[116:117], v[22:23]
	v_add_f64 v[110:111], v[42:43], -v[110:111]
	s_waitcnt lgkmcnt(2)
	v_mul_f64 v[42:43], v[132:133], v[32:33]
	v_mov_b32_e32 v165, s11
	v_add_f64 v[112:113], v[44:45], -v[112:113]
	v_fma_f64 v[114:115], v[130:131], v[30:31], -v[42:43]
	ds_read_b128 v[42:45], v165 offset:48
	v_mul_f64 v[116:117], v[130:131], v[32:33]
	v_fmac_f64_e32 v[116:117], v[132:133], v[30:31]
	v_add_f64 v[110:111], v[110:111], -v[114:115]
	v_add_f64 v[112:113], v[112:113], -v[116:117]
	s_waitcnt lgkmcnt(0)
	v_mul_f64 v[114:115], v[44:45], v[36:37]
	v_fma_f64 v[130:131], v[42:43], v[34:35], -v[114:115]
	ds_read_b128 v[114:117], v163 offset:1584
	v_mul_f64 v[42:43], v[42:43], v[36:37]
	v_fmac_f64_e32 v[42:43], v[44:45], v[34:35]
	v_add_f64 v[44:45], v[112:113], -v[42:43]
	ds_read_b128 v[126:129], v165 offset:64
	v_add_f64 v[130:131], v[110:111], -v[130:131]
	s_waitcnt lgkmcnt(1)
	v_mul_f64 v[42:43], v[116:117], v[44:45]
	v_mul_f64 v[44:45], v[114:115], v[44:45]
	v_fma_f64 v[42:43], v[114:115], v[130:131], -v[42:43]
	v_fmac_f64_e32 v[44:45], v[116:117], v[130:131]
	v_mul_f64 v[130:131], v[124:125], v[24:25]
	v_fma_f64 v[130:131], v[122:123], v[22:23], -v[130:131]
	v_mul_f64 v[122:123], v[122:123], v[24:25]
	s_or_b32 s11, s10, 0x600
	v_fmac_f64_e32 v[122:123], v[124:125], v[22:23]
	v_mul_f64 v[132:133], v[134:135], v[32:33]
	v_add_u32_e32 v114, s11, v1
	v_add_f64 v[124:125], v[118:119], -v[130:131]
	v_add_f64 v[122:123], v[120:121], -v[122:123]
	v_mul_f64 v[130:131], v[136:137], v[32:33]
	v_fmac_f64_e32 v[132:133], v[136:137], v[30:31]
	s_add_i32 s11, s4, s11
	v_fma_f64 v[130:131], v[134:135], v[30:31], -v[130:131]
	v_add_f64 v[132:133], v[122:123], -v[132:133]
	s_waitcnt lgkmcnt(0)
	v_mul_f64 v[122:123], v[128:129], v[36:37]
	v_mov_b32_e32 v166, s11
	v_add_f64 v[130:131], v[124:125], -v[130:131]
	v_fma_f64 v[134:135], v[126:127], v[34:35], -v[122:123]
	ds_read_b128 v[122:125], v166 offset:64
	ds_read_b128 v[110:113], v163 offset:2112
	v_mul_f64 v[126:127], v[126:127], v[36:37]
	v_add_f64 v[130:131], v[130:131], -v[134:135]
	ds_write_b128 v114, v[42:45]
	s_waitcnt lgkmcnt(2)
	v_mul_f64 v[134:135], v[124:125], v[44:45]
	ds_read_b128 v[114:117], v163 offset:80
	v_fmac_f64_e32 v[126:127], v[128:129], v[34:35]
	v_fma_f64 v[134:135], v[122:123], v[42:43], -v[134:135]
	v_mul_f64 v[122:123], v[122:123], v[44:45]
	v_add_f64 v[132:133], v[132:133], -v[126:127]
	v_fmac_f64_e32 v[122:123], v[124:125], v[42:43]
	ds_read_b128 v[118:121], v164 offset:80
	v_add_f64 v[124:125], v[132:133], -v[122:123]
	v_add_f64 v[130:131], v[130:131], -v[134:135]
	s_waitcnt lgkmcnt(3)
	v_mul_f64 v[122:123], v[112:113], v[124:125]
	v_mul_f64 v[124:125], v[110:111], v[124:125]
	s_or_b32 s11, s10, 0x800
	v_fma_f64 v[122:123], v[110:111], v[130:131], -v[122:123]
	v_fmac_f64_e32 v[124:125], v[112:113], v[130:131]
	v_add_u32_e32 v110, s11, v1
	ds_write_b128 v110, v[122:125]
	s_waitcnt lgkmcnt(2)
	v_mul_f64 v[110:111], v[116:117], v[24:25]
	v_fma_f64 v[110:111], v[114:115], v[22:23], -v[110:111]
	v_mul_f64 v[112:113], v[114:115], v[24:25]
	v_fmac_f64_e32 v[112:113], v[116:117], v[22:23]
	v_add_f64 v[110:111], v[106:107], -v[110:111]
	s_waitcnt lgkmcnt(1)
	v_mul_f64 v[106:107], v[120:121], v[32:33]
	ds_read_b128 v[126:129], v165 offset:432
	ds_read_b128 v[130:133], v163 offset:96
	;; [unrolled: 1-line block ×3, first 2 shown]
	v_add_f64 v[112:113], v[108:109], -v[112:113]
	ds_read_b128 v[114:117], v164 offset:96
	ds_read_b128 v[138:141], v164 offset:112
	v_fma_f64 v[142:143], v[118:119], v[30:31], -v[106:107]
	ds_read_b128 v[106:109], v165 offset:80
	v_mul_f64 v[118:119], v[118:119], v[32:33]
	v_fmac_f64_e32 v[118:119], v[120:121], v[30:31]
	v_add_f64 v[110:111], v[110:111], -v[142:143]
	v_add_f64 v[112:113], v[112:113], -v[118:119]
	s_waitcnt lgkmcnt(0)
	v_mul_f64 v[146:147], v[108:109], v[36:37]
	v_mul_f64 v[148:149], v[106:107], v[36:37]
	ds_read_b128 v[118:121], v165 offset:96
	ds_read_b128 v[142:145], v165 offset:112
	v_fma_f64 v[146:147], v[106:107], v[34:35], -v[146:147]
	v_fmac_f64_e32 v[148:149], v[108:109], v[34:35]
	ds_read_b128 v[106:109], v166 offset:80
	s_add_i32 s11, s4, s11
	v_mov_b32_e32 v167, s11
	v_add_f64 v[110:111], v[110:111], -v[146:147]
	v_add_f64 v[112:113], v[112:113], -v[148:149]
	s_waitcnt lgkmcnt(0)
	v_mul_f64 v[154:155], v[108:109], v[44:45]
	v_mul_f64 v[156:157], v[106:107], v[44:45]
	ds_read_b128 v[146:149], v166 offset:96
	ds_read_b128 v[150:153], v166 offset:112
	v_fma_f64 v[154:155], v[106:107], v[42:43], -v[154:155]
	v_fmac_f64_e32 v[156:157], v[108:109], v[42:43]
	ds_read_b128 v[106:109], v167 offset:80
	v_add_f64 v[172:173], v[110:111], -v[154:155]
	v_add_f64 v[174:175], v[112:113], -v[156:157]
	ds_read_b128 v[154:157], v167 offset:96
	ds_read_b128 v[158:161], v167 offset:112
	;; [unrolled: 1-line block ×3, first 2 shown]
	s_or_b32 s11, s10, 0xa00
	s_waitcnt lgkmcnt(3)
	v_mul_f64 v[168:169], v[108:109], v[124:125]
	v_fma_f64 v[176:177], v[106:107], v[122:123], -v[168:169]
	ds_read_b128 v[168:171], v163 offset:2640
	v_mul_f64 v[106:107], v[106:107], v[124:125]
	v_fmac_f64_e32 v[106:107], v[108:109], v[122:123]
	v_add_f64 v[108:109], v[174:175], -v[106:107]
	v_add_f64 v[176:177], v[172:173], -v[176:177]
	s_waitcnt lgkmcnt(0)
	v_mul_f64 v[106:107], v[170:171], v[108:109]
	v_mul_f64 v[108:109], v[168:169], v[108:109]
	v_fma_f64 v[106:107], v[168:169], v[176:177], -v[106:107]
	v_fmac_f64_e32 v[108:109], v[170:171], v[176:177]
	v_add_u32_e32 v168, s11, v1
	ds_write_b128 v168, v[106:109]
	v_mul_f64 v[168:169], v[132:133], v[24:25]
	v_fma_f64 v[168:169], v[130:131], v[22:23], -v[168:169]
	v_mul_f64 v[130:131], v[130:131], v[24:25]
	v_fmac_f64_e32 v[130:131], v[132:133], v[22:23]
	v_add_f64 v[104:105], v[104:105], -v[130:131]
	v_mul_f64 v[130:131], v[116:117], v[32:33]
	v_fma_f64 v[130:131], v[114:115], v[30:31], -v[130:131]
	v_mul_f64 v[114:115], v[114:115], v[32:33]
	v_fmac_f64_e32 v[114:115], v[116:117], v[30:31]
	v_add_f64 v[102:103], v[102:103], -v[168:169]
	v_add_f64 v[104:105], v[104:105], -v[114:115]
	v_mul_f64 v[114:115], v[120:121], v[36:37]
	v_add_f64 v[102:103], v[102:103], -v[130:131]
	v_fma_f64 v[114:115], v[118:119], v[34:35], -v[114:115]
	v_mul_f64 v[116:117], v[118:119], v[36:37]
	v_fmac_f64_e32 v[116:117], v[120:121], v[34:35]
	v_add_f64 v[102:103], v[102:103], -v[114:115]
	v_mul_f64 v[114:115], v[148:149], v[44:45]
	v_add_f64 v[104:105], v[104:105], -v[116:117]
	v_fma_f64 v[114:115], v[146:147], v[42:43], -v[114:115]
	v_mul_f64 v[116:117], v[146:147], v[44:45]
	s_add_i32 s11, s4, s11
	v_fmac_f64_e32 v[116:117], v[148:149], v[42:43]
	v_add_f64 v[114:115], v[102:103], -v[114:115]
	v_mul_f64 v[102:103], v[156:157], v[124:125]
	v_mov_b32_e32 v168, s11
	v_add_f64 v[116:117], v[104:105], -v[116:117]
	v_fma_f64 v[118:119], v[154:155], v[122:123], -v[102:103]
	ds_read_b128 v[102:105], v168 offset:96
	ds_read_b128 v[172:175], v163 offset:3168
	v_mul_f64 v[120:121], v[154:155], v[124:125]
	v_fmac_f64_e32 v[120:121], v[156:157], v[122:123]
	v_add_f64 v[120:121], v[116:117], -v[120:121]
	s_waitcnt lgkmcnt(1)
	v_mul_f64 v[130:131], v[104:105], v[108:109]
	v_fma_f64 v[130:131], v[102:103], v[106:107], -v[130:131]
	v_mul_f64 v[102:103], v[102:103], v[108:109]
	v_fmac_f64_e32 v[102:103], v[104:105], v[106:107]
	v_add_f64 v[118:119], v[114:115], -v[118:119]
	v_add_f64 v[104:105], v[120:121], -v[102:103]
	;; [unrolled: 1-line block ×3, first 2 shown]
	s_waitcnt lgkmcnt(0)
	v_mul_f64 v[102:103], v[174:175], v[104:105]
	v_mul_f64 v[104:105], v[172:173], v[104:105]
	s_or_b32 s11, s10, 0xc00
	v_fma_f64 v[102:103], v[172:173], v[118:119], -v[102:103]
	v_fmac_f64_e32 v[104:105], v[174:175], v[118:119]
	v_add_u32_e32 v118, s11, v1
	ds_write_b128 v118, v[102:105]
	v_mul_f64 v[118:119], v[136:137], v[24:25]
	v_fma_f64 v[118:119], v[134:135], v[22:23], -v[118:119]
	v_mul_f64 v[120:121], v[134:135], v[24:25]
	v_fmac_f64_e32 v[120:121], v[136:137], v[22:23]
	v_add_f64 v[98:99], v[98:99], -v[118:119]
	v_mul_f64 v[118:119], v[140:141], v[32:33]
	ds_read_b128 v[114:117], v168 offset:112
	v_add_f64 v[100:101], v[100:101], -v[120:121]
	v_fma_f64 v[118:119], v[138:139], v[30:31], -v[118:119]
	v_mul_f64 v[120:121], v[138:139], v[32:33]
	v_mul_f64 v[130:131], v[144:145], v[36:37]
	v_fmac_f64_e32 v[120:121], v[140:141], v[30:31]
	v_add_f64 v[98:99], v[98:99], -v[118:119]
	v_fma_f64 v[130:131], v[142:143], v[34:35], -v[130:131]
	v_mul_f64 v[132:133], v[142:143], v[36:37]
	v_mul_f64 v[134:135], v[152:153], v[44:45]
	v_add_f64 v[100:101], v[100:101], -v[120:121]
	v_fmac_f64_e32 v[132:133], v[144:145], v[34:35]
	v_add_f64 v[98:99], v[98:99], -v[130:131]
	v_fma_f64 v[134:135], v[150:151], v[42:43], -v[134:135]
	v_mul_f64 v[136:137], v[150:151], v[44:45]
	v_add_f64 v[100:101], v[100:101], -v[132:133]
	v_fmac_f64_e32 v[136:137], v[152:153], v[42:43]
	v_add_f64 v[98:99], v[98:99], -v[134:135]
	v_mul_f64 v[134:135], v[160:161], v[124:125]
	v_add_f64 v[100:101], v[100:101], -v[136:137]
	v_fma_f64 v[134:135], v[158:159], v[122:123], -v[134:135]
	v_mul_f64 v[136:137], v[158:159], v[124:125]
	s_add_i32 s11, s4, s11
	v_fmac_f64_e32 v[136:137], v[160:161], v[122:123]
	v_add_f64 v[134:135], v[98:99], -v[134:135]
	s_waitcnt lgkmcnt(0)
	v_mul_f64 v[98:99], v[116:117], v[108:109]
	v_mov_b32_e32 v170, s11
	v_add_f64 v[136:137], v[100:101], -v[136:137]
	v_fma_f64 v[138:139], v[114:115], v[106:107], -v[98:99]
	ds_read_b128 v[98:101], v170 offset:112
	v_mul_f64 v[114:115], v[114:115], v[108:109]
	v_fmac_f64_e32 v[114:115], v[116:117], v[106:107]
	v_add_f64 v[138:139], v[134:135], -v[138:139]
	v_add_f64 v[140:141], v[136:137], -v[114:115]
	s_waitcnt lgkmcnt(0)
	v_mul_f64 v[134:135], v[100:101], v[104:105]
	v_fma_f64 v[142:143], v[98:99], v[102:103], -v[134:135]
	ds_read_b128 v[134:137], v163 offset:3696
	v_mul_f64 v[98:99], v[98:99], v[104:105]
	v_fmac_f64_e32 v[98:99], v[100:101], v[102:103]
	v_add_f64 v[100:101], v[140:141], -v[98:99]
	v_add_f64 v[142:143], v[138:139], -v[142:143]
	s_waitcnt lgkmcnt(0)
	v_mul_f64 v[98:99], v[136:137], v[100:101]
	v_mul_f64 v[100:101], v[134:135], v[100:101]
	v_fma_f64 v[98:99], v[134:135], v[142:143], -v[98:99]
	v_fmac_f64_e32 v[100:101], v[136:137], v[142:143]
	ds_read_b128 v[134:137], v163 offset:128
	ds_read_b128 v[118:121], v165 offset:128
	;; [unrolled: 1-line block ×4, first 2 shown]
	s_or_b32 s11, s10, 0xe00
	s_waitcnt lgkmcnt(3)
	v_mul_f64 v[146:147], v[136:137], v[24:25]
	v_fma_f64 v[150:151], v[134:135], v[22:23], -v[146:147]
	ds_read_b128 v[146:149], v164 offset:128
	v_add_f64 v[94:95], v[94:95], -v[150:151]
	v_mul_f64 v[134:135], v[134:135], v[24:25]
	v_fmac_f64_e32 v[134:135], v[136:137], v[22:23]
	v_add_f64 v[96:97], v[96:97], -v[134:135]
	s_waitcnt lgkmcnt(0)
	v_mul_f64 v[150:151], v[148:149], v[32:33]
	v_fma_f64 v[150:151], v[146:147], v[30:31], -v[150:151]
	v_mul_f64 v[146:147], v[146:147], v[32:33]
	v_add_f64 v[94:95], v[94:95], -v[150:151]
	v_mul_f64 v[150:151], v[120:121], v[36:37]
	v_fmac_f64_e32 v[146:147], v[148:149], v[30:31]
	v_fma_f64 v[150:151], v[118:119], v[34:35], -v[150:151]
	v_mul_f64 v[118:119], v[118:119], v[36:37]
	v_add_f64 v[96:97], v[96:97], -v[146:147]
	v_fmac_f64_e32 v[118:119], v[120:121], v[34:35]
	v_add_f64 v[150:151], v[94:95], -v[150:151]
	v_mul_f64 v[94:95], v[132:133], v[44:45]
	v_add_f64 v[152:153], v[96:97], -v[118:119]
	v_fma_f64 v[154:155], v[130:131], v[42:43], -v[94:95]
	ds_read_b128 v[94:97], v167 offset:128
	v_mul_f64 v[130:131], v[130:131], v[44:45]
	v_fmac_f64_e32 v[130:131], v[132:133], v[42:43]
	v_add_f64 v[154:155], v[150:151], -v[154:155]
	v_add_f64 v[156:157], v[152:153], -v[130:131]
	s_waitcnt lgkmcnt(0)
	v_mul_f64 v[150:151], v[96:97], v[124:125]
	v_fma_f64 v[158:159], v[94:95], v[122:123], -v[150:151]
	ds_read_b128 v[150:153], v168 offset:128
	v_mul_f64 v[94:95], v[94:95], v[124:125]
	v_fmac_f64_e32 v[94:95], v[96:97], v[122:123]
	v_add_f64 v[96:97], v[154:155], -v[158:159]
	v_add_u32_e32 v142, s11, v1
	s_waitcnt lgkmcnt(0)
	v_mul_f64 v[158:159], v[152:153], v[108:109]
	v_fma_f64 v[158:159], v[150:151], v[106:107], -v[158:159]
	v_mul_f64 v[150:151], v[150:151], v[108:109]
	v_add_f64 v[94:95], v[156:157], -v[94:95]
	v_fmac_f64_e32 v[150:151], v[152:153], v[106:107]
	s_add_i32 s11, s4, s11
	v_add_f64 v[160:161], v[94:95], -v[150:151]
	v_mul_f64 v[94:95], v[116:117], v[104:105]
	v_mov_b32_e32 v171, s11
	v_add_f64 v[158:159], v[96:97], -v[158:159]
	v_fma_f64 v[172:173], v[114:115], v[102:103], -v[94:95]
	ds_read_b128 v[94:97], v171 offset:128
	ds_read_b128 v[138:141], v163 offset:4224
	v_mul_f64 v[114:115], v[114:115], v[104:105]
	ds_write_b128 v142, v[98:101]
	ds_read_b128 v[142:145], v163 offset:144
	s_waitcnt lgkmcnt(3)
	v_mul_f64 v[176:177], v[96:97], v[100:101]
	v_fmac_f64_e32 v[114:115], v[116:117], v[102:103]
	v_fma_f64 v[176:177], v[94:95], v[98:99], -v[176:177]
	v_mul_f64 v[94:95], v[94:95], v[100:101]
	v_add_f64 v[174:175], v[160:161], -v[114:115]
	v_fmac_f64_e32 v[94:95], v[96:97], v[98:99]
	ds_read_b128 v[134:137], v164 offset:144
	v_add_f64 v[172:173], v[158:159], -v[172:173]
	v_add_f64 v[96:97], v[174:175], -v[94:95]
	;; [unrolled: 1-line block ×3, first 2 shown]
	s_waitcnt lgkmcnt(3)
	v_mul_f64 v[94:95], v[140:141], v[96:97]
	v_mul_f64 v[96:97], v[138:139], v[96:97]
	s_bitset1_b32 s10, 12
	ds_read_b128 v[146:149], v165 offset:144
	ds_read_b128 v[118:121], v166 offset:144
	v_fma_f64 v[94:95], v[138:139], v[172:173], -v[94:95]
	v_fmac_f64_e32 v[96:97], v[140:141], v[172:173]
	v_add_u32_e32 v138, s10, v1
	ds_read_b128 v[130:133], v167 offset:144
	ds_read_b128 v[154:157], v168 offset:144
	;; [unrolled: 1-line block ×5, first 2 shown]
	ds_write_b128 v138, v[94:97]
	s_waitcnt lgkmcnt(9)
	v_mul_f64 v[138:139], v[144:145], v[24:25]
	v_fma_f64 v[138:139], v[142:143], v[22:23], -v[138:139]
	v_mul_f64 v[140:141], v[142:143], v[24:25]
	v_add_f64 v[90:91], v[90:91], -v[138:139]
	s_waitcnt lgkmcnt(8)
	v_mul_f64 v[138:139], v[136:137], v[32:33]
	v_fmac_f64_e32 v[140:141], v[144:145], v[22:23]
	v_fma_f64 v[138:139], v[134:135], v[30:31], -v[138:139]
	v_mul_f64 v[134:135], v[134:135], v[32:33]
	v_add_f64 v[92:93], v[92:93], -v[140:141]
	v_fmac_f64_e32 v[134:135], v[136:137], v[30:31]
	s_waitcnt lgkmcnt(7)
	v_mul_f64 v[140:141], v[146:147], v[36:37]
	s_waitcnt lgkmcnt(6)
	v_mul_f64 v[142:143], v[120:121], v[44:45]
	v_add_f64 v[90:91], v[90:91], -v[138:139]
	v_add_f64 v[92:93], v[92:93], -v[134:135]
	v_mul_f64 v[138:139], v[148:149], v[36:37]
	v_fmac_f64_e32 v[140:141], v[148:149], v[34:35]
	v_fma_f64 v[142:143], v[118:119], v[42:43], -v[142:143]
	v_mul_f64 v[118:119], v[118:119], v[44:45]
	v_fma_f64 v[138:139], v[146:147], v[34:35], -v[138:139]
	v_add_f64 v[92:93], v[92:93], -v[140:141]
	v_fmac_f64_e32 v[118:119], v[120:121], v[42:43]
	v_add_f64 v[90:91], v[90:91], -v[138:139]
	v_add_f64 v[92:93], v[92:93], -v[118:119]
	s_waitcnt lgkmcnt(5)
	v_mul_f64 v[118:119], v[132:133], v[124:125]
	v_add_f64 v[90:91], v[90:91], -v[142:143]
	v_fma_f64 v[118:119], v[130:131], v[122:123], -v[118:119]
	v_mul_f64 v[120:121], v[130:131], v[124:125]
	v_fmac_f64_e32 v[120:121], v[132:133], v[122:123]
	v_add_f64 v[90:91], v[90:91], -v[118:119]
	s_waitcnt lgkmcnt(4)
	v_mul_f64 v[118:119], v[156:157], v[108:109]
	v_add_f64 v[92:93], v[92:93], -v[120:121]
	v_fma_f64 v[118:119], v[154:155], v[106:107], -v[118:119]
	v_mul_f64 v[120:121], v[154:155], v[108:109]
	v_fmac_f64_e32 v[120:121], v[156:157], v[106:107]
	v_add_f64 v[90:91], v[90:91], -v[118:119]
	s_waitcnt lgkmcnt(3)
	v_mul_f64 v[118:119], v[152:153], v[104:105]
	v_add_f64 v[92:93], v[92:93], -v[120:121]
	v_fma_f64 v[118:119], v[150:151], v[102:103], -v[118:119]
	v_mul_f64 v[120:121], v[150:151], v[104:105]
	s_add_i32 s10, s4, s10
	v_fmac_f64_e32 v[120:121], v[152:153], v[102:103]
	v_add_f64 v[90:91], v[90:91], -v[118:119]
	s_waitcnt lgkmcnt(2)
	v_mul_f64 v[118:119], v[160:161], v[100:101]
	v_mov_b32_e32 v169, s10
	v_add_f64 v[92:93], v[92:93], -v[120:121]
	v_fma_f64 v[146:147], v[158:159], v[98:99], -v[118:119]
	ds_read_b128 v[118:121], v169 offset:144
	v_mul_f64 v[148:149], v[158:159], v[100:101]
	v_fmac_f64_e32 v[148:149], v[160:161], v[98:99]
	s_or_b32 s10, s7, 9
	v_add_f64 v[148:149], v[92:93], -v[148:149]
	s_waitcnt lgkmcnt(0)
	v_mul_f64 v[150:151], v[120:121], v[96:97]
	v_fma_f64 v[150:151], v[118:119], v[94:95], -v[150:151]
	v_mul_f64 v[118:119], v[118:119], v[96:97]
	v_fmac_f64_e32 v[118:119], v[120:121], v[94:95]
	s_mul_i32 s11, s10, 0x210
	v_add_f64 v[146:147], v[90:91], -v[146:147]
	v_add_f64 v[120:121], v[148:149], -v[118:119]
	v_mov_b32_e32 v118, s11
	v_add_f64 v[158:159], v[146:147], -v[150:151]
	ds_read_b128 v[146:149], v118
	ds_read_b128 v[154:157], v163 offset:160
	ds_read_b128 v[134:137], v165 offset:160
	;; [unrolled: 1-line block ×4, first 2 shown]
	s_waitcnt lgkmcnt(4)
	v_mul_f64 v[118:119], v[148:149], v[120:121]
	v_mul_f64 v[120:121], v[146:147], v[120:121]
	v_fma_f64 v[118:119], v[146:147], v[158:159], -v[118:119]
	v_fmac_f64_e32 v[120:121], v[148:149], v[158:159]
	s_waitcnt lgkmcnt(3)
	v_mul_f64 v[158:159], v[156:157], v[24:25]
	v_fma_f64 v[174:175], v[154:155], v[22:23], -v[158:159]
	ds_read_b128 v[158:161], v164 offset:160
	v_add_f64 v[86:87], v[86:87], -v[174:175]
	v_mul_f64 v[154:155], v[154:155], v[24:25]
	v_fmac_f64_e32 v[154:155], v[156:157], v[22:23]
	v_add_f64 v[88:89], v[88:89], -v[154:155]
	s_waitcnt lgkmcnt(0)
	v_mul_f64 v[174:175], v[160:161], v[32:33]
	v_fma_f64 v[174:175], v[158:159], v[30:31], -v[174:175]
	v_mul_f64 v[158:159], v[158:159], v[32:33]
	v_add_f64 v[86:87], v[86:87], -v[174:175]
	v_mul_f64 v[174:175], v[136:137], v[36:37]
	v_fmac_f64_e32 v[158:159], v[160:161], v[30:31]
	v_fma_f64 v[174:175], v[134:135], v[34:35], -v[174:175]
	v_mul_f64 v[134:135], v[134:135], v[36:37]
	v_add_f64 v[88:89], v[88:89], -v[158:159]
	v_fmac_f64_e32 v[134:135], v[136:137], v[34:35]
	v_add_f64 v[174:175], v[86:87], -v[174:175]
	v_mul_f64 v[86:87], v[140:141], v[44:45]
	v_add_f64 v[176:177], v[88:89], -v[134:135]
	v_fma_f64 v[178:179], v[138:139], v[42:43], -v[86:87]
	ds_read_b128 v[86:89], v167 offset:160
	v_mul_f64 v[138:139], v[138:139], v[44:45]
	v_fmac_f64_e32 v[138:139], v[140:141], v[42:43]
	v_add_f64 v[178:179], v[174:175], -v[178:179]
	v_add_f64 v[180:181], v[176:177], -v[138:139]
	s_waitcnt lgkmcnt(0)
	v_mul_f64 v[174:175], v[88:89], v[124:125]
	v_fma_f64 v[182:183], v[86:87], v[122:123], -v[174:175]
	ds_read_b128 v[174:177], v168 offset:160
	v_mul_f64 v[86:87], v[86:87], v[124:125]
	ds_read_b128 v[142:145], v171 offset:160
	v_fmac_f64_e32 v[86:87], v[88:89], v[122:123]
	v_add_f64 v[88:89], v[178:179], -v[182:183]
	s_waitcnt lgkmcnt(1)
	v_mul_f64 v[182:183], v[176:177], v[108:109]
	v_fma_f64 v[182:183], v[174:175], v[106:107], -v[182:183]
	v_mul_f64 v[174:175], v[174:175], v[108:109]
	v_add_f64 v[88:89], v[88:89], -v[182:183]
	v_mul_f64 v[182:183], v[132:133], v[104:105]
	v_add_f64 v[86:87], v[180:181], -v[86:87]
	v_fmac_f64_e32 v[174:175], v[176:177], v[106:107]
	v_fma_f64 v[182:183], v[130:131], v[102:103], -v[182:183]
	v_mul_f64 v[130:131], v[130:131], v[104:105]
	v_add_f64 v[86:87], v[86:87], -v[174:175]
	v_fmac_f64_e32 v[130:131], v[132:133], v[102:103]
	v_add_f64 v[130:131], v[86:87], -v[130:131]
	s_waitcnt lgkmcnt(0)
	v_mul_f64 v[86:87], v[144:145], v[100:101]
	s_lshl_b32 s10, s10, 9
	v_add_f64 v[132:133], v[88:89], -v[182:183]
	v_fma_f64 v[186:187], v[142:143], v[98:99], -v[86:87]
	ds_read_b128 v[86:89], v169 offset:160
	s_add_i32 s11, s4, s10
	v_mov_b32_e32 v172, s11
	ds_read_b128 v[150:153], v172 offset:160
	v_mul_f64 v[142:143], v[142:143], v[100:101]
	v_add_f64 v[132:133], v[132:133], -v[186:187]
	s_waitcnt lgkmcnt(1)
	v_mul_f64 v[186:187], v[88:89], v[96:97]
	v_fmac_f64_e32 v[142:143], v[144:145], v[98:99]
	v_fma_f64 v[186:187], v[86:87], v[94:95], -v[186:187]
	v_mul_f64 v[86:87], v[86:87], v[96:97]
	v_add_u32_e32 v146, s10, v1
	v_add_f64 v[130:131], v[130:131], -v[142:143]
	v_fmac_f64_e32 v[86:87], v[88:89], v[94:95]
	s_or_b32 s10, s7, 10
	v_add_f64 v[86:87], v[130:131], -v[86:87]
	s_waitcnt lgkmcnt(0)
	v_mul_f64 v[130:131], v[152:153], v[120:121]
	s_mul_i32 s11, s10, 0x210
	v_add_f64 v[88:89], v[132:133], -v[186:187]
	v_fma_f64 v[130:131], v[150:151], v[118:119], -v[130:131]
	v_mul_f64 v[132:133], v[150:151], v[120:121]
	v_mov_b32_e32 v150, s11
	ds_read_b128 v[190:193], v150
	ds_read_b128 v[224:227], v163 offset:336
	ds_write_b128 v146, v[118:121]
	ds_read_b128 v[146:149], v163 offset:176
	v_fmac_f64_e32 v[132:133], v[152:153], v[118:119]
	v_add_f64 v[150:151], v[88:89], -v[130:131]
	v_add_f64 v[88:89], v[86:87], -v[132:133]
	ds_read_b128 v[154:157], v164 offset:176
	s_waitcnt lgkmcnt(4)
	v_mul_f64 v[86:87], v[192:193], v[88:89]
	v_mul_f64 v[88:89], v[190:191], v[88:89]
	s_lshl_b32 s10, s10, 9
	ds_read_b128 v[158:161], v165 offset:176
	ds_read_b128 v[134:137], v166 offset:176
	v_fma_f64 v[86:87], v[190:191], v[150:151], -v[86:87]
	v_fmac_f64_e32 v[88:89], v[192:193], v[150:151]
	v_add_u32_e32 v150, s10, v1
	ds_write_b128 v150, v[86:89]
	s_waitcnt lgkmcnt(4)
	v_mul_f64 v[150:151], v[148:149], v[24:25]
	v_fma_f64 v[150:151], v[146:147], v[22:23], -v[150:151]
	v_mul_f64 v[146:147], v[146:147], v[24:25]
	ds_read_b128 v[138:141], v167 offset:176
	v_fmac_f64_e32 v[146:147], v[148:149], v[22:23]
	v_add_f64 v[84:85], v[84:85], -v[146:147]
	s_waitcnt lgkmcnt(4)
	v_mul_f64 v[146:147], v[156:157], v[32:33]
	v_mul_f64 v[148:149], v[154:155], v[32:33]
	ds_read_b128 v[178:181], v168 offset:176
	v_fma_f64 v[146:147], v[154:155], v[30:31], -v[146:147]
	v_fmac_f64_e32 v[148:149], v[156:157], v[30:31]
	s_waitcnt lgkmcnt(4)
	v_mul_f64 v[152:153], v[158:159], v[36:37]
	s_waitcnt lgkmcnt(3)
	v_mul_f64 v[154:155], v[136:137], v[44:45]
	v_add_f64 v[82:83], v[82:83], -v[150:151]
	v_add_f64 v[84:85], v[84:85], -v[148:149]
	v_mul_f64 v[150:151], v[160:161], v[36:37]
	v_fmac_f64_e32 v[152:153], v[160:161], v[34:35]
	v_fma_f64 v[154:155], v[134:135], v[42:43], -v[154:155]
	v_mul_f64 v[134:135], v[134:135], v[44:45]
	ds_read_b128 v[174:177], v170 offset:176
	v_add_f64 v[82:83], v[82:83], -v[146:147]
	v_fma_f64 v[150:151], v[158:159], v[34:35], -v[150:151]
	v_add_f64 v[84:85], v[84:85], -v[152:153]
	v_fmac_f64_e32 v[134:135], v[136:137], v[42:43]
	v_add_f64 v[82:83], v[82:83], -v[150:151]
	v_add_f64 v[84:85], v[84:85], -v[134:135]
	s_waitcnt lgkmcnt(2)
	v_mul_f64 v[134:135], v[140:141], v[124:125]
	ds_read_b128 v[182:185], v171 offset:176
	v_add_f64 v[82:83], v[82:83], -v[154:155]
	v_fma_f64 v[134:135], v[138:139], v[122:123], -v[134:135]
	v_mul_f64 v[136:137], v[138:139], v[124:125]
	v_fmac_f64_e32 v[136:137], v[140:141], v[122:123]
	v_add_f64 v[82:83], v[82:83], -v[134:135]
	s_waitcnt lgkmcnt(2)
	v_mul_f64 v[134:135], v[180:181], v[108:109]
	ds_read_b128 v[142:145], v169 offset:176
	v_add_f64 v[84:85], v[84:85], -v[136:137]
	v_fma_f64 v[134:135], v[178:179], v[106:107], -v[134:135]
	v_mul_f64 v[136:137], v[178:179], v[108:109]
	v_fmac_f64_e32 v[136:137], v[180:181], v[106:107]
	;; [unrolled: 8-line block ×3, first 2 shown]
	v_add_f64 v[82:83], v[82:83], -v[134:135]
	s_waitcnt lgkmcnt(2)
	v_mul_f64 v[134:135], v[184:185], v[100:101]
	v_add_f64 v[84:85], v[84:85], -v[136:137]
	v_fma_f64 v[134:135], v[182:183], v[98:99], -v[134:135]
	v_mul_f64 v[136:137], v[182:183], v[100:101]
	v_fmac_f64_e32 v[136:137], v[184:185], v[98:99]
	v_add_f64 v[82:83], v[82:83], -v[134:135]
	s_waitcnt lgkmcnt(1)
	v_mul_f64 v[134:135], v[144:145], v[96:97]
	v_add_f64 v[84:85], v[84:85], -v[136:137]
	v_fma_f64 v[134:135], v[142:143], v[94:95], -v[134:135]
	v_mul_f64 v[136:137], v[142:143], v[96:97]
	s_add_i32 s10, s4, s10
	v_fmac_f64_e32 v[136:137], v[144:145], v[94:95]
	v_add_f64 v[134:135], v[82:83], -v[134:135]
	s_waitcnt lgkmcnt(0)
	v_mul_f64 v[82:83], v[188:189], v[120:121]
	v_mov_b32_e32 v175, s10
	v_add_f64 v[136:137], v[84:85], -v[136:137]
	v_fma_f64 v[158:159], v[186:187], v[118:119], -v[82:83]
	ds_read_b128 v[82:85], v175 offset:176
	s_or_b32 s10, s7, 11
	s_mul_i32 s11, s10, 0x210
	v_mov_b32_e32 v173, s11
	v_mul_f64 v[160:161], v[186:187], v[120:121]
	s_waitcnt lgkmcnt(0)
	v_mul_f64 v[176:177], v[84:85], v[88:89]
	v_fma_f64 v[180:181], v[82:83], v[86:87], -v[176:177]
	ds_read_b128 v[176:179], v173
	v_fmac_f64_e32 v[160:161], v[188:189], v[118:119]
	v_mul_f64 v[82:83], v[82:83], v[88:89]
	v_add_f64 v[136:137], v[136:137], -v[160:161]
	v_fmac_f64_e32 v[82:83], v[84:85], v[86:87]
	v_add_f64 v[134:135], v[134:135], -v[158:159]
	v_add_f64 v[84:85], v[136:137], -v[82:83]
	v_add_f64 v[180:181], v[134:135], -v[180:181]
	s_waitcnt lgkmcnt(0)
	v_mul_f64 v[82:83], v[178:179], v[84:85]
	v_mul_f64 v[84:85], v[176:177], v[84:85]
	v_fma_f64 v[82:83], v[176:177], v[180:181], -v[82:83]
	v_fmac_f64_e32 v[84:85], v[178:179], v[180:181]
	ds_read_b128 v[176:179], v163 offset:192
	ds_read_b128 v[180:183], v163 offset:208
	;; [unrolled: 1-line block ×5, first 2 shown]
	s_waitcnt lgkmcnt(4)
	v_mul_f64 v[184:185], v[178:179], v[24:25]
	v_fma_f64 v[188:189], v[176:177], v[22:23], -v[184:185]
	ds_read_b128 v[184:187], v164 offset:192
	v_add_f64 v[78:79], v[78:79], -v[188:189]
	v_mul_f64 v[176:177], v[176:177], v[24:25]
	v_fmac_f64_e32 v[176:177], v[178:179], v[22:23]
	v_add_f64 v[80:81], v[80:81], -v[176:177]
	s_waitcnt lgkmcnt(0)
	v_mul_f64 v[188:189], v[186:187], v[32:33]
	v_fma_f64 v[188:189], v[184:185], v[30:31], -v[188:189]
	v_mul_f64 v[184:185], v[184:185], v[32:33]
	v_add_f64 v[78:79], v[78:79], -v[188:189]
	v_mul_f64 v[188:189], v[148:149], v[36:37]
	v_fmac_f64_e32 v[184:185], v[186:187], v[30:31]
	v_fma_f64 v[188:189], v[146:147], v[34:35], -v[188:189]
	v_mul_f64 v[146:147], v[146:147], v[36:37]
	v_add_f64 v[80:81], v[80:81], -v[184:185]
	v_fmac_f64_e32 v[146:147], v[148:149], v[34:35]
	v_add_f64 v[188:189], v[78:79], -v[188:189]
	v_mul_f64 v[78:79], v[152:153], v[44:45]
	v_add_f64 v[190:191], v[80:81], -v[146:147]
	v_fma_f64 v[192:193], v[150:151], v[42:43], -v[78:79]
	ds_read_b128 v[78:81], v167 offset:192
	v_mul_f64 v[150:151], v[150:151], v[44:45]
	v_fmac_f64_e32 v[150:151], v[152:153], v[42:43]
	v_add_f64 v[192:193], v[188:189], -v[192:193]
	v_add_f64 v[194:195], v[190:191], -v[150:151]
	s_waitcnt lgkmcnt(0)
	v_mul_f64 v[188:189], v[80:81], v[124:125]
	v_fma_f64 v[196:197], v[78:79], v[122:123], -v[188:189]
	ds_read_b128 v[188:191], v168 offset:192
	v_mul_f64 v[78:79], v[78:79], v[124:125]
	ds_read_b128 v[154:157], v171 offset:192
	v_fmac_f64_e32 v[78:79], v[80:81], v[122:123]
	v_add_f64 v[80:81], v[192:193], -v[196:197]
	s_waitcnt lgkmcnt(1)
	v_mul_f64 v[196:197], v[190:191], v[108:109]
	v_fma_f64 v[196:197], v[188:189], v[106:107], -v[196:197]
	v_mul_f64 v[188:189], v[188:189], v[108:109]
	v_add_f64 v[80:81], v[80:81], -v[196:197]
	v_mul_f64 v[196:197], v[140:141], v[104:105]
	v_add_f64 v[78:79], v[194:195], -v[78:79]
	v_fmac_f64_e32 v[188:189], v[190:191], v[106:107]
	v_fma_f64 v[196:197], v[138:139], v[102:103], -v[196:197]
	v_mul_f64 v[138:139], v[138:139], v[104:105]
	v_add_f64 v[78:79], v[78:79], -v[188:189]
	v_fmac_f64_e32 v[138:139], v[140:141], v[102:103]
	v_add_f64 v[198:199], v[78:79], -v[138:139]
	s_waitcnt lgkmcnt(0)
	v_mul_f64 v[78:79], v[156:157], v[100:101]
	v_add_f64 v[196:197], v[80:81], -v[196:197]
	v_fma_f64 v[200:201], v[154:155], v[98:99], -v[78:79]
	ds_read_b128 v[78:81], v169 offset:192
	ds_read_b128 v[142:145], v172 offset:192
	;; [unrolled: 1-line block ×3, first 2 shown]
	v_add_f64 v[196:197], v[196:197], -v[200:201]
	v_mul_f64 v[154:155], v[154:155], v[100:101]
	s_waitcnt lgkmcnt(2)
	v_mul_f64 v[200:201], v[80:81], v[96:97]
	v_fma_f64 v[200:201], v[78:79], v[94:95], -v[200:201]
	v_mul_f64 v[78:79], v[78:79], v[96:97]
	v_fmac_f64_e32 v[154:155], v[156:157], v[98:99]
	v_fmac_f64_e32 v[78:79], v[80:81], v[94:95]
	v_add_f64 v[80:81], v[196:197], -v[200:201]
	s_waitcnt lgkmcnt(1)
	v_mul_f64 v[200:201], v[144:145], v[120:121]
	s_lshl_b32 s10, s10, 9
	v_add_f64 v[198:199], v[198:199], -v[154:155]
	v_fma_f64 v[200:201], v[142:143], v[118:119], -v[200:201]
	v_mul_f64 v[142:143], v[142:143], v[120:121]
	v_add_u32_e32 v173, s10, v1
	v_add_f64 v[78:79], v[198:199], -v[78:79]
	v_fmac_f64_e32 v[142:143], v[144:145], v[118:119]
	s_add_i32 s10, s4, s10
	ds_write_b128 v173, v[82:85]
	v_add_f64 v[202:203], v[78:79], -v[142:143]
	s_waitcnt lgkmcnt(1)
	v_mul_f64 v[78:79], v[160:161], v[88:89]
	v_mov_b32_e32 v173, s10
	v_add_f64 v[200:201], v[80:81], -v[200:201]
	v_fma_f64 v[204:205], v[158:159], v[86:87], -v[78:79]
	ds_read_b128 v[78:81], v173 offset:192
	v_mul_f64 v[158:159], v[158:159], v[88:89]
	v_add_f64 v[200:201], v[200:201], -v[204:205]
	v_fmac_f64_e32 v[158:159], v[160:161], v[86:87]
	s_or_b32 s10, s7, 12
	s_waitcnt lgkmcnt(0)
	v_mul_f64 v[204:205], v[80:81], v[84:85]
	v_fma_f64 v[204:205], v[78:79], v[82:83], -v[204:205]
	v_mul_f64 v[78:79], v[78:79], v[84:85]
	v_add_f64 v[202:203], v[202:203], -v[158:159]
	v_fmac_f64_e32 v[78:79], v[80:81], v[82:83]
	s_mul_i32 s11, s10, 0x210
	v_add_f64 v[80:81], v[202:203], -v[78:79]
	v_mov_b32_e32 v78, s11
	v_add_f64 v[208:209], v[200:201], -v[204:205]
	ds_read_b128 v[200:203], v78
	ds_read_b128 v[176:179], v164 offset:208
	s_lshl_b32 s10, s10, 9
	ds_read_b128 v[184:187], v165 offset:208
	ds_read_b128 v[146:149], v166 offset:208
	s_waitcnt lgkmcnt(3)
	v_mul_f64 v[78:79], v[202:203], v[80:81]
	v_mul_f64 v[80:81], v[200:201], v[80:81]
	v_fma_f64 v[78:79], v[200:201], v[208:209], -v[78:79]
	v_fmac_f64_e32 v[80:81], v[202:203], v[208:209]
	v_add_u32_e32 v200, s10, v1
	ds_write_b128 v200, v[78:81]
	v_mul_f64 v[200:201], v[182:183], v[24:25]
	v_fma_f64 v[200:201], v[180:181], v[22:23], -v[200:201]
	v_mul_f64 v[180:181], v[180:181], v[24:25]
	v_fmac_f64_e32 v[180:181], v[182:183], v[22:23]
	v_add_f64 v[76:77], v[76:77], -v[180:181]
	s_waitcnt lgkmcnt(3)
	v_mul_f64 v[180:181], v[178:179], v[32:33]
	v_fma_f64 v[180:181], v[176:177], v[30:31], -v[180:181]
	v_mul_f64 v[176:177], v[176:177], v[32:33]
	v_fmac_f64_e32 v[176:177], v[178:179], v[30:31]
	ds_read_b128 v[150:153], v167 offset:208
	v_add_f64 v[74:75], v[74:75], -v[200:201]
	v_add_f64 v[76:77], v[76:77], -v[176:177]
	s_waitcnt lgkmcnt(3)
	v_mul_f64 v[176:177], v[186:187], v[36:37]
	v_add_f64 v[74:75], v[74:75], -v[180:181]
	v_fma_f64 v[176:177], v[184:185], v[34:35], -v[176:177]
	ds_read_b128 v[192:195], v168 offset:208
	v_mul_f64 v[182:183], v[184:185], v[36:37]
	v_add_f64 v[74:75], v[74:75], -v[176:177]
	s_waitcnt lgkmcnt(3)
	v_mul_f64 v[176:177], v[148:149], v[44:45]
	ds_read_b128 v[188:191], v170 offset:208
	ds_read_b128 v[138:141], v171 offset:208
	v_fmac_f64_e32 v[182:183], v[186:187], v[34:35]
	v_fma_f64 v[176:177], v[146:147], v[42:43], -v[176:177]
	v_mul_f64 v[146:147], v[146:147], v[44:45]
	v_add_f64 v[76:77], v[76:77], -v[182:183]
	v_fmac_f64_e32 v[146:147], v[148:149], v[42:43]
	ds_read_b128 v[154:157], v169 offset:208
	v_add_f64 v[76:77], v[76:77], -v[146:147]
	s_waitcnt lgkmcnt(4)
	v_mul_f64 v[146:147], v[152:153], v[124:125]
	v_mul_f64 v[148:149], v[150:151], v[124:125]
	ds_read_b128 v[196:199], v172 offset:208
	ds_read_b128 v[142:145], v175 offset:208
	v_add_f64 v[74:75], v[74:75], -v[176:177]
	v_fma_f64 v[146:147], v[150:151], v[122:123], -v[146:147]
	v_fmac_f64_e32 v[148:149], v[152:153], v[122:123]
	v_add_f64 v[74:75], v[74:75], -v[146:147]
	v_add_f64 v[76:77], v[76:77], -v[148:149]
	s_waitcnt lgkmcnt(5)
	v_mul_f64 v[146:147], v[194:195], v[108:109]
	v_mul_f64 v[148:149], v[192:193], v[108:109]
	v_fma_f64 v[146:147], v[192:193], v[106:107], -v[146:147]
	v_fmac_f64_e32 v[148:149], v[194:195], v[106:107]
	s_waitcnt lgkmcnt(4)
	v_mul_f64 v[150:151], v[190:191], v[104:105]
	v_mul_f64 v[152:153], v[188:189], v[104:105]
	s_waitcnt lgkmcnt(3)
	v_mul_f64 v[176:177], v[140:141], v[100:101]
	ds_read_b128 v[158:161], v173 offset:208
	s_add_i32 s11, s4, s10
	v_add_f64 v[74:75], v[74:75], -v[146:147]
	v_add_f64 v[76:77], v[76:77], -v[148:149]
	v_fma_f64 v[150:151], v[188:189], v[102:103], -v[150:151]
	v_fmac_f64_e32 v[152:153], v[190:191], v[102:103]
	v_fma_f64 v[176:177], v[138:139], v[98:99], -v[176:177]
	v_mul_f64 v[138:139], v[138:139], v[100:101]
	v_mov_b32_e32 v174, s11
	v_add_f64 v[74:75], v[74:75], -v[150:151]
	v_add_f64 v[76:77], v[76:77], -v[152:153]
	v_fmac_f64_e32 v[138:139], v[140:141], v[98:99]
	s_waitcnt lgkmcnt(3)
	v_mul_f64 v[140:141], v[154:155], v[96:97]
	ds_read_b128 v[204:207], v174 offset:208
	v_add_f64 v[74:75], v[74:75], -v[176:177]
	v_add_f64 v[76:77], v[76:77], -v[138:139]
	v_mul_f64 v[138:139], v[156:157], v[96:97]
	v_fmac_f64_e32 v[140:141], v[156:157], v[94:95]
	s_waitcnt lgkmcnt(3)
	v_mul_f64 v[156:157], v[196:197], v[120:121]
	s_waitcnt lgkmcnt(2)
	v_mul_f64 v[176:177], v[144:145], v[88:89]
	v_fma_f64 v[138:139], v[154:155], v[94:95], -v[138:139]
	v_add_f64 v[76:77], v[76:77], -v[140:141]
	v_mul_f64 v[154:155], v[198:199], v[120:121]
	v_fmac_f64_e32 v[156:157], v[198:199], v[118:119]
	v_fma_f64 v[176:177], v[142:143], v[86:87], -v[176:177]
	v_mul_f64 v[142:143], v[142:143], v[88:89]
	v_add_f64 v[74:75], v[74:75], -v[138:139]
	v_fma_f64 v[154:155], v[196:197], v[118:119], -v[154:155]
	v_add_f64 v[76:77], v[76:77], -v[156:157]
	v_fmac_f64_e32 v[142:143], v[144:145], v[86:87]
	v_add_f64 v[74:75], v[74:75], -v[154:155]
	v_add_f64 v[76:77], v[76:77], -v[142:143]
	s_waitcnt lgkmcnt(1)
	v_mul_f64 v[142:143], v[160:161], v[84:85]
	v_add_f64 v[74:75], v[74:75], -v[176:177]
	v_fma_f64 v[142:143], v[158:159], v[82:83], -v[142:143]
	v_mul_f64 v[144:145], v[158:159], v[84:85]
	v_fmac_f64_e32 v[144:145], v[160:161], v[82:83]
	v_add_f64 v[74:75], v[74:75], -v[142:143]
	s_waitcnt lgkmcnt(0)
	v_mul_f64 v[142:143], v[206:207], v[80:81]
	s_or_b32 s10, s7, 13
	v_add_f64 v[76:77], v[76:77], -v[144:145]
	v_fma_f64 v[142:143], v[204:205], v[78:79], -v[142:143]
	v_mul_f64 v[144:145], v[204:205], v[80:81]
	s_mul_i32 s11, s10, 0x210
	v_fmac_f64_e32 v[144:145], v[206:207], v[78:79]
	v_add_f64 v[190:191], v[74:75], -v[142:143]
	v_mov_b32_e32 v74, s11
	v_add_f64 v[76:77], v[76:77], -v[144:145]
	ds_read_b128 v[142:145], v74
	ds_read_b128 v[186:189], v163 offset:224
	ds_read_b128 v[178:181], v165 offset:224
	ds_read_b128 v[182:185], v166 offset:224
	ds_read_b128 v[146:149], v170 offset:224
	s_waitcnt lgkmcnt(4)
	v_mul_f64 v[74:75], v[144:145], v[76:77]
	v_mul_f64 v[76:77], v[142:143], v[76:77]
	v_fma_f64 v[74:75], v[142:143], v[190:191], -v[74:75]
	v_fmac_f64_e32 v[76:77], v[144:145], v[190:191]
	s_waitcnt lgkmcnt(3)
	v_mul_f64 v[190:191], v[188:189], v[24:25]
	v_fma_f64 v[194:195], v[186:187], v[22:23], -v[190:191]
	ds_read_b128 v[190:193], v164 offset:224
	v_mul_f64 v[186:187], v[186:187], v[24:25]
	v_add_f64 v[70:71], v[70:71], -v[194:195]
	v_fmac_f64_e32 v[186:187], v[188:189], v[22:23]
	v_add_f64 v[72:73], v[72:73], -v[186:187]
	s_waitcnt lgkmcnt(0)
	v_mul_f64 v[194:195], v[192:193], v[32:33]
	v_fma_f64 v[194:195], v[190:191], v[30:31], -v[194:195]
	v_mul_f64 v[190:191], v[190:191], v[32:33]
	v_fmac_f64_e32 v[190:191], v[192:193], v[30:31]
	v_add_f64 v[72:73], v[72:73], -v[190:191]
	v_mul_f64 v[190:191], v[180:181], v[36:37]
	v_add_f64 v[70:71], v[70:71], -v[194:195]
	v_fma_f64 v[190:191], v[178:179], v[34:35], -v[190:191]
	v_mul_f64 v[178:179], v[178:179], v[36:37]
	v_fmac_f64_e32 v[178:179], v[180:181], v[34:35]
	v_add_f64 v[180:181], v[70:71], -v[190:191]
	v_mul_f64 v[70:71], v[184:185], v[44:45]
	v_add_f64 v[178:179], v[72:73], -v[178:179]
	v_fma_f64 v[190:191], v[182:183], v[42:43], -v[70:71]
	ds_read_b128 v[70:73], v167 offset:224
	v_mul_f64 v[182:183], v[182:183], v[44:45]
	v_fmac_f64_e32 v[182:183], v[184:185], v[42:43]
	v_add_f64 v[192:193], v[178:179], -v[182:183]
	v_add_f64 v[190:191], v[180:181], -v[190:191]
	s_waitcnt lgkmcnt(0)
	v_mul_f64 v[182:183], v[72:73], v[124:125]
	v_fma_f64 v[194:195], v[70:71], v[122:123], -v[182:183]
	ds_read_b128 v[182:185], v168 offset:224
	v_mul_f64 v[70:71], v[70:71], v[124:125]
	v_fmac_f64_e32 v[70:71], v[72:73], v[122:123]
	v_add_f64 v[72:73], v[190:191], -v[194:195]
	ds_read_b128 v[150:153], v171 offset:224
	s_waitcnt lgkmcnt(1)
	v_mul_f64 v[194:195], v[184:185], v[108:109]
	v_fma_f64 v[194:195], v[182:183], v[106:107], -v[194:195]
	v_mul_f64 v[182:183], v[182:183], v[108:109]
	v_add_f64 v[70:71], v[192:193], -v[70:71]
	v_fmac_f64_e32 v[182:183], v[184:185], v[106:107]
	v_add_f64 v[70:71], v[70:71], -v[182:183]
	v_mul_f64 v[182:183], v[148:149], v[104:105]
	v_fma_f64 v[182:183], v[146:147], v[102:103], -v[182:183]
	v_mul_f64 v[146:147], v[146:147], v[104:105]
	v_fmac_f64_e32 v[146:147], v[148:149], v[102:103]
	v_add_f64 v[72:73], v[72:73], -v[194:195]
	v_add_f64 v[146:147], v[70:71], -v[146:147]
	s_waitcnt lgkmcnt(0)
	v_mul_f64 v[70:71], v[152:153], v[100:101]
	v_add_f64 v[148:149], v[72:73], -v[182:183]
	v_fma_f64 v[182:183], v[150:151], v[98:99], -v[70:71]
	ds_read_b128 v[70:73], v169 offset:224
	ds_read_b128 v[138:141], v172 offset:224
	v_mul_f64 v[150:151], v[150:151], v[100:101]
	v_fmac_f64_e32 v[150:151], v[152:153], v[98:99]
	v_add_f64 v[152:153], v[148:149], -v[182:183]
	s_waitcnt lgkmcnt(1)
	v_mul_f64 v[182:183], v[72:73], v[96:97]
	ds_read_b128 v[154:157], v175 offset:224
	v_fma_f64 v[182:183], v[70:71], v[94:95], -v[182:183]
	v_mul_f64 v[70:71], v[70:71], v[96:97]
	v_add_f64 v[150:151], v[146:147], -v[150:151]
	v_fmac_f64_e32 v[70:71], v[72:73], v[94:95]
	v_add_f64 v[70:71], v[150:151], -v[70:71]
	s_waitcnt lgkmcnt(1)
	v_mul_f64 v[150:151], v[140:141], v[120:121]
	v_fma_f64 v[150:151], v[138:139], v[118:119], -v[150:151]
	v_mul_f64 v[138:139], v[138:139], v[120:121]
	v_fmac_f64_e32 v[138:139], v[140:141], v[118:119]
	v_add_f64 v[72:73], v[152:153], -v[182:183]
	v_add_f64 v[138:139], v[70:71], -v[138:139]
	s_waitcnt lgkmcnt(0)
	v_mul_f64 v[70:71], v[156:157], v[88:89]
	v_add_f64 v[140:141], v[72:73], -v[150:151]
	v_fma_f64 v[150:151], v[154:155], v[86:87], -v[70:71]
	ds_read_b128 v[70:73], v173 offset:224
	v_mul_f64 v[152:153], v[154:155], v[88:89]
	v_fmac_f64_e32 v[152:153], v[156:157], v[86:87]
	v_add_f64 v[156:157], v[138:139], -v[152:153]
	s_lshl_b32 s10, s10, 9
	s_waitcnt lgkmcnt(0)
	v_mul_f64 v[138:139], v[72:73], v[84:85]
	v_add_f64 v[154:155], v[140:141], -v[150:151]
	v_fma_f64 v[182:183], v[70:71], v[82:83], -v[138:139]
	ds_read_b128 v[138:141], v174 offset:224
	s_add_i32 s11, s4, s10
	v_mov_b32_e32 v176, s11
	ds_read_b128 v[158:161], v176 offset:224
	v_mul_f64 v[70:71], v[70:71], v[84:85]
	v_fmac_f64_e32 v[70:71], v[72:73], v[82:83]
	v_add_f64 v[72:73], v[154:155], -v[182:183]
	s_waitcnt lgkmcnt(1)
	v_mul_f64 v[182:183], v[140:141], v[80:81]
	v_fma_f64 v[182:183], v[138:139], v[78:79], -v[182:183]
	v_mul_f64 v[138:139], v[138:139], v[80:81]
	v_add_u32_e32 v142, s10, v1
	v_add_f64 v[70:71], v[156:157], -v[70:71]
	v_fmac_f64_e32 v[138:139], v[140:141], v[78:79]
	s_or_b32 s10, s7, 14
	v_add_f64 v[70:71], v[70:71], -v[138:139]
	s_waitcnt lgkmcnt(0)
	v_mul_f64 v[138:139], v[160:161], v[76:77]
	s_mul_i32 s11, s10, 0x210
	v_fma_f64 v[138:139], v[158:159], v[74:75], -v[138:139]
	v_mul_f64 v[140:141], v[158:159], v[76:77]
	v_mov_b32_e32 v158, s11
	v_add_f64 v[72:73], v[72:73], -v[182:183]
	ds_read_b128 v[182:185], v158
	ds_write_b128 v142, v[74:77]
	ds_read_b128 v[142:145], v163 offset:240
	v_fmac_f64_e32 v[140:141], v[160:161], v[74:75]
	ds_read_b128 v[186:189], v164 offset:240
	v_add_f64 v[158:159], v[72:73], -v[138:139]
	v_add_f64 v[72:73], v[70:71], -v[140:141]
	s_waitcnt lgkmcnt(3)
	v_mul_f64 v[70:71], v[184:185], v[72:73]
	v_mul_f64 v[72:73], v[182:183], v[72:73]
	s_lshl_b32 s10, s10, 9
	v_fma_f64 v[70:71], v[182:183], v[158:159], -v[70:71]
	v_fmac_f64_e32 v[72:73], v[184:185], v[158:159]
	v_add_u32_e32 v158, s10, v1
	ds_write_b128 v158, v[70:73]
	s_waitcnt lgkmcnt(2)
	v_mul_f64 v[158:159], v[144:145], v[24:25]
	v_fma_f64 v[158:159], v[142:143], v[22:23], -v[158:159]
	v_mul_f64 v[142:143], v[142:143], v[24:25]
	v_fmac_f64_e32 v[142:143], v[144:145], v[22:23]
	v_add_f64 v[144:145], v[66:67], -v[158:159]
	s_waitcnt lgkmcnt(1)
	v_mul_f64 v[66:67], v[188:189], v[32:33]
	v_add_f64 v[142:143], v[68:69], -v[142:143]
	v_fma_f64 v[158:159], v[186:187], v[30:31], -v[66:67]
	ds_read_b128 v[66:69], v165 offset:240
	v_mul_f64 v[160:161], v[186:187], v[32:33]
	v_fmac_f64_e32 v[160:161], v[188:189], v[30:31]
	v_add_f64 v[184:185], v[142:143], -v[160:161]
	v_add_f64 v[182:183], v[144:145], -v[158:159]
	s_waitcnt lgkmcnt(0)
	v_mul_f64 v[142:143], v[68:69], v[36:37]
	v_fma_f64 v[186:187], v[66:67], v[34:35], -v[142:143]
	ds_read_b128 v[142:145], v166 offset:240
	ds_read_b128 v[178:181], v167 offset:240
	;; [unrolled: 1-line block ×3, first 2 shown]
	v_mul_f64 v[66:67], v[66:67], v[36:37]
	v_fmac_f64_e32 v[66:67], v[68:69], v[34:35]
	v_add_f64 v[68:69], v[182:183], -v[186:187]
	s_waitcnt lgkmcnt(2)
	v_mul_f64 v[186:187], v[144:145], v[44:45]
	v_fma_f64 v[186:187], v[142:143], v[42:43], -v[186:187]
	v_mul_f64 v[142:143], v[142:143], v[44:45]
	v_add_f64 v[66:67], v[184:185], -v[66:67]
	v_fmac_f64_e32 v[142:143], v[144:145], v[42:43]
	s_waitcnt lgkmcnt(1)
	v_mul_f64 v[144:145], v[178:179], v[124:125]
	v_add_f64 v[66:67], v[66:67], -v[142:143]
	v_mul_f64 v[142:143], v[180:181], v[124:125]
	v_fmac_f64_e32 v[144:145], v[180:181], v[122:123]
	v_add_f64 v[68:69], v[68:69], -v[186:187]
	v_fma_f64 v[142:143], v[178:179], v[122:123], -v[142:143]
	v_add_f64 v[144:145], v[66:67], -v[144:145]
	s_waitcnt lgkmcnt(0)
	v_mul_f64 v[66:67], v[192:193], v[108:109]
	v_add_f64 v[142:143], v[68:69], -v[142:143]
	v_fma_f64 v[178:179], v[190:191], v[106:107], -v[66:67]
	ds_read_b128 v[66:69], v170 offset:240
	v_mul_f64 v[180:181], v[190:191], v[108:109]
	v_fmac_f64_e32 v[180:181], v[192:193], v[106:107]
	v_add_f64 v[178:179], v[142:143], -v[178:179]
	v_add_f64 v[180:181], v[144:145], -v[180:181]
	s_waitcnt lgkmcnt(0)
	v_mul_f64 v[142:143], v[68:69], v[104:105]
	v_fma_f64 v[190:191], v[66:67], v[102:103], -v[142:143]
	ds_read_b128 v[142:145], v171 offset:240
	ds_read_b128 v[146:149], v169 offset:240
	v_mul_f64 v[66:67], v[66:67], v[104:105]
	v_fmac_f64_e32 v[66:67], v[68:69], v[102:103]
	v_add_f64 v[68:69], v[178:179], -v[190:191]
	s_waitcnt lgkmcnt(1)
	v_mul_f64 v[178:179], v[144:145], v[100:101]
	v_fma_f64 v[178:179], v[142:143], v[98:99], -v[178:179]
	v_mul_f64 v[142:143], v[142:143], v[100:101]
	v_add_f64 v[66:67], v[180:181], -v[66:67]
	v_fmac_f64_e32 v[142:143], v[144:145], v[98:99]
	v_add_f64 v[142:143], v[66:67], -v[142:143]
	s_waitcnt lgkmcnt(0)
	v_mul_f64 v[66:67], v[148:149], v[96:97]
	v_add_f64 v[144:145], v[68:69], -v[178:179]
	v_fma_f64 v[178:179], v[146:147], v[94:95], -v[66:67]
	ds_read_b128 v[66:69], v172 offset:240
	v_mul_f64 v[146:147], v[146:147], v[96:97]
	v_fmac_f64_e32 v[146:147], v[148:149], v[94:95]
	v_add_f64 v[180:181], v[142:143], -v[146:147]
	v_add_f64 v[178:179], v[144:145], -v[178:179]
	s_waitcnt lgkmcnt(0)
	v_mul_f64 v[142:143], v[68:69], v[120:121]
	v_fma_f64 v[194:195], v[66:67], v[118:119], -v[142:143]
	ds_read_b128 v[142:145], v175 offset:240
	ds_read_b128 v[150:153], v173 offset:240
	;; [unrolled: 1-line block ×3, first 2 shown]
	v_mul_f64 v[66:67], v[66:67], v[120:121]
	v_fmac_f64_e32 v[66:67], v[68:69], v[118:119]
	v_add_f64 v[68:69], v[178:179], -v[194:195]
	s_waitcnt lgkmcnt(2)
	v_mul_f64 v[178:179], v[144:145], v[88:89]
	v_fma_f64 v[178:179], v[142:143], v[86:87], -v[178:179]
	v_mul_f64 v[142:143], v[142:143], v[88:89]
	v_add_f64 v[66:67], v[180:181], -v[66:67]
	v_fmac_f64_e32 v[142:143], v[144:145], v[86:87]
	s_waitcnt lgkmcnt(1)
	v_mul_f64 v[144:145], v[150:151], v[84:85]
	v_add_f64 v[66:67], v[66:67], -v[142:143]
	v_mul_f64 v[142:143], v[152:153], v[84:85]
	v_fmac_f64_e32 v[144:145], v[152:153], v[82:83]
	v_add_f64 v[68:69], v[68:69], -v[178:179]
	v_fma_f64 v[142:143], v[150:151], v[82:83], -v[142:143]
	v_add_f64 v[144:145], v[66:67], -v[144:145]
	s_waitcnt lgkmcnt(0)
	v_mul_f64 v[66:67], v[156:157], v[80:81]
	v_add_f64 v[142:143], v[68:69], -v[142:143]
	v_fma_f64 v[150:151], v[154:155], v[78:79], -v[66:67]
	ds_read_b128 v[66:69], v176 offset:240
	v_mul_f64 v[152:153], v[154:155], v[80:81]
	s_add_i32 s10, s4, s10
	v_fmac_f64_e32 v[152:153], v[156:157], v[78:79]
	v_add_f64 v[154:155], v[142:143], -v[150:151]
	s_waitcnt lgkmcnt(0)
	v_mul_f64 v[142:143], v[68:69], v[76:77]
	v_mov_b32_e32 v179, s10
	v_add_f64 v[156:157], v[144:145], -v[152:153]
	v_fma_f64 v[180:181], v[66:67], v[74:75], -v[142:143]
	ds_read_b128 v[142:145], v179 offset:240
	s_or_b32 s10, s7, 15
	s_mul_i32 s11, s10, 0x210
	v_mov_b32_e32 v177, s11
	v_mul_f64 v[66:67], v[66:67], v[76:77]
	ds_read_b128 v[198:201], v177
	v_fmac_f64_e32 v[66:67], v[68:69], v[74:75]
	v_add_f64 v[68:69], v[154:155], -v[180:181]
	s_waitcnt lgkmcnt(1)
	v_mul_f64 v[180:181], v[144:145], v[72:73]
	v_fma_f64 v[180:181], v[142:143], v[70:71], -v[180:181]
	v_mul_f64 v[142:143], v[142:143], v[72:73]
	v_add_f64 v[66:67], v[156:157], -v[66:67]
	v_fmac_f64_e32 v[142:143], v[144:145], v[70:71]
	v_add_f64 v[180:181], v[68:69], -v[180:181]
	v_add_f64 v[68:69], v[66:67], -v[142:143]
	s_waitcnt lgkmcnt(0)
	v_mul_f64 v[66:67], v[200:201], v[68:69]
	v_mul_f64 v[68:69], v[198:199], v[68:69]
	v_fma_f64 v[66:67], v[198:199], v[180:181], -v[66:67]
	v_fmac_f64_e32 v[68:69], v[200:201], v[180:181]
	ds_read_b128 v[198:201], v163 offset:256
	ds_read_b128 v[206:209], v164 offset:256
	;; [unrolled: 1-line block ×5, first 2 shown]
	s_waitcnt lgkmcnt(4)
	v_mul_f64 v[180:181], v[200:201], v[24:25]
	v_fma_f64 v[180:181], v[198:199], v[22:23], -v[180:181]
	v_add_f64 v[62:63], v[62:63], -v[180:181]
	s_waitcnt lgkmcnt(3)
	v_mul_f64 v[180:181], v[208:209], v[32:33]
	v_mul_f64 v[198:199], v[198:199], v[24:25]
	v_fma_f64 v[180:181], v[206:207], v[30:31], -v[180:181]
	v_fmac_f64_e32 v[198:199], v[200:201], v[22:23]
	v_mul_f64 v[206:207], v[206:207], v[32:33]
	v_add_f64 v[62:63], v[62:63], -v[180:181]
	s_waitcnt lgkmcnt(2)
	v_mul_f64 v[180:181], v[160:161], v[36:37]
	v_add_f64 v[64:65], v[64:65], -v[198:199]
	v_fmac_f64_e32 v[206:207], v[208:209], v[30:31]
	v_fma_f64 v[180:181], v[158:159], v[34:35], -v[180:181]
	v_mul_f64 v[158:159], v[158:159], v[36:37]
	v_add_f64 v[64:65], v[64:65], -v[206:207]
	v_fmac_f64_e32 v[158:159], v[160:161], v[34:35]
	v_add_f64 v[160:161], v[62:63], -v[180:181]
	s_waitcnt lgkmcnt(1)
	v_mul_f64 v[62:63], v[184:185], v[44:45]
	v_add_f64 v[158:159], v[64:65], -v[158:159]
	v_fma_f64 v[180:181], v[182:183], v[42:43], -v[62:63]
	ds_read_b128 v[62:65], v167 offset:256
	v_mul_f64 v[182:183], v[182:183], v[44:45]
	v_fmac_f64_e32 v[182:183], v[184:185], v[42:43]
	v_add_f64 v[184:185], v[160:161], -v[180:181]
	v_add_f64 v[206:207], v[158:159], -v[182:183]
	s_waitcnt lgkmcnt(0)
	v_mul_f64 v[180:181], v[64:65], v[124:125]
	v_fma_f64 v[208:209], v[62:63], v[122:123], -v[180:181]
	ds_read_b128 v[180:183], v168 offset:256
	ds_read_b128 v[190:193], v171 offset:256
	v_mul_f64 v[62:63], v[62:63], v[124:125]
	v_fmac_f64_e32 v[62:63], v[64:65], v[122:123]
	v_add_f64 v[64:65], v[184:185], -v[208:209]
	s_waitcnt lgkmcnt(1)
	v_mul_f64 v[184:185], v[182:183], v[108:109]
	v_fma_f64 v[184:185], v[180:181], v[106:107], -v[184:185]
	v_mul_f64 v[180:181], v[180:181], v[108:109]
	v_add_f64 v[62:63], v[206:207], -v[62:63]
	v_fmac_f64_e32 v[180:181], v[182:183], v[106:107]
	v_mul_f64 v[182:183], v[186:187], v[104:105]
	v_add_f64 v[62:63], v[62:63], -v[180:181]
	v_mul_f64 v[180:181], v[188:189], v[104:105]
	v_fmac_f64_e32 v[182:183], v[188:189], v[102:103]
	v_add_f64 v[64:65], v[64:65], -v[184:185]
	v_fma_f64 v[180:181], v[186:187], v[102:103], -v[180:181]
	v_add_f64 v[182:183], v[62:63], -v[182:183]
	s_waitcnt lgkmcnt(0)
	v_mul_f64 v[62:63], v[192:193], v[100:101]
	v_add_f64 v[180:181], v[64:65], -v[180:181]
	v_fma_f64 v[184:185], v[190:191], v[98:99], -v[62:63]
	ds_read_b128 v[62:65], v169 offset:256
	ds_read_b128 v[146:149], v172 offset:256
	;; [unrolled: 1-line block ×3, first 2 shown]
	v_mul_f64 v[186:187], v[190:191], v[100:101]
	v_add_f64 v[184:185], v[180:181], -v[184:185]
	s_waitcnt lgkmcnt(2)
	v_mul_f64 v[188:189], v[64:65], v[96:97]
	v_fma_f64 v[188:189], v[62:63], v[94:95], -v[188:189]
	v_mul_f64 v[62:63], v[62:63], v[96:97]
	v_fmac_f64_e32 v[186:187], v[192:193], v[98:99]
	v_fmac_f64_e32 v[62:63], v[64:65], v[94:95]
	v_add_f64 v[64:65], v[184:185], -v[188:189]
	s_waitcnt lgkmcnt(1)
	v_mul_f64 v[184:185], v[148:149], v[120:121]
	v_add_f64 v[186:187], v[182:183], -v[186:187]
	v_fma_f64 v[184:185], v[146:147], v[118:119], -v[184:185]
	v_mul_f64 v[146:147], v[146:147], v[120:121]
	v_add_f64 v[62:63], v[186:187], -v[62:63]
	v_fmac_f64_e32 v[146:147], v[148:149], v[118:119]
	v_add_f64 v[146:147], v[62:63], -v[146:147]
	s_waitcnt lgkmcnt(0)
	v_mul_f64 v[62:63], v[196:197], v[88:89]
	v_add_f64 v[148:149], v[64:65], -v[184:185]
	v_fma_f64 v[184:185], v[194:195], v[86:87], -v[62:63]
	ds_read_b128 v[62:65], v173 offset:256
	v_mul_f64 v[186:187], v[194:195], v[88:89]
	v_fmac_f64_e32 v[186:187], v[196:197], v[86:87]
	v_add_f64 v[188:189], v[148:149], -v[184:185]
	v_add_f64 v[190:191], v[146:147], -v[186:187]
	s_waitcnt lgkmcnt(0)
	v_mul_f64 v[184:185], v[64:65], v[84:85]
	v_fma_f64 v[192:193], v[62:63], v[82:83], -v[184:185]
	ds_read_b128 v[184:187], v174 offset:256
	ds_read_b128 v[150:153], v176 offset:256
	v_mul_f64 v[62:63], v[62:63], v[84:85]
	v_fmac_f64_e32 v[62:63], v[64:65], v[82:83]
	v_add_f64 v[64:65], v[188:189], -v[192:193]
	s_waitcnt lgkmcnt(1)
	v_mul_f64 v[192:193], v[186:187], v[80:81]
	ds_read_b128 v[154:157], v179 offset:256
	v_fma_f64 v[192:193], v[184:185], v[78:79], -v[192:193]
	v_mul_f64 v[184:185], v[184:185], v[80:81]
	v_add_f64 v[62:63], v[190:191], -v[62:63]
	v_fmac_f64_e32 v[184:185], v[186:187], v[78:79]
	v_add_f64 v[62:63], v[62:63], -v[184:185]
	s_waitcnt lgkmcnt(1)
	v_mul_f64 v[184:185], v[152:153], v[76:77]
	s_lshl_b32 s10, s10, 9
	v_fma_f64 v[184:185], v[150:151], v[74:75], -v[184:185]
	v_mul_f64 v[150:151], v[150:151], v[76:77]
	v_add_u32_e32 v177, s10, v1
	v_fmac_f64_e32 v[150:151], v[152:153], v[74:75]
	s_add_i32 s10, s4, s10
	ds_write_b128 v177, v[66:69]
	v_add_f64 v[64:65], v[64:65], -v[192:193]
	v_add_f64 v[150:151], v[62:63], -v[150:151]
	s_waitcnt lgkmcnt(1)
	v_mul_f64 v[62:63], v[156:157], v[72:73]
	v_mov_b32_e32 v177, s10
	v_add_f64 v[152:153], v[64:65], -v[184:185]
	v_fma_f64 v[184:185], v[154:155], v[70:71], -v[62:63]
	ds_read_b128 v[62:65], v177 offset:256
	v_mul_f64 v[154:155], v[154:155], v[72:73]
	v_fmac_f64_e32 v[154:155], v[156:157], v[70:71]
	v_add_f64 v[156:157], v[152:153], -v[184:185]
	s_or_b32 s10, s7, 16
	s_waitcnt lgkmcnt(0)
	v_mul_f64 v[184:185], v[64:65], v[68:69]
	v_fma_f64 v[184:185], v[62:63], v[66:67], -v[184:185]
	v_mul_f64 v[62:63], v[62:63], v[68:69]
	v_add_f64 v[154:155], v[150:151], -v[154:155]
	v_fmac_f64_e32 v[62:63], v[64:65], v[66:67]
	s_mul_i32 s11, s10, 0x210
	v_add_f64 v[64:65], v[154:155], -v[62:63]
	v_mov_b32_e32 v62, s11
	v_add_f64 v[192:193], v[156:157], -v[184:185]
	ds_read_b128 v[154:157], v62
	ds_read_b128 v[202:205], v163 offset:272
	ds_read_b128 v[198:201], v164 offset:272
	s_lshl_b32 s10, s10, 9
	ds_read_b128 v[158:161], v167 offset:272
	s_waitcnt lgkmcnt(3)
	v_mul_f64 v[62:63], v[156:157], v[64:65]
	v_mul_f64 v[64:65], v[154:155], v[64:65]
	v_fma_f64 v[62:63], v[154:155], v[192:193], -v[62:63]
	v_fmac_f64_e32 v[64:65], v[156:157], v[192:193]
	v_add_u32_e32 v154, s10, v1
	ds_write_b128 v154, v[62:65]
	s_waitcnt lgkmcnt(3)
	v_mul_f64 v[154:155], v[204:205], v[24:25]
	v_fma_f64 v[154:155], v[202:203], v[22:23], -v[154:155]
	v_mul_f64 v[156:157], v[202:203], v[24:25]
	v_fmac_f64_e32 v[156:157], v[204:205], v[22:23]
	v_add_f64 v[154:155], v[58:59], -v[154:155]
	s_waitcnt lgkmcnt(2)
	v_mul_f64 v[58:59], v[200:201], v[32:33]
	v_add_f64 v[156:157], v[60:61], -v[156:157]
	v_fma_f64 v[192:193], v[198:199], v[30:31], -v[58:59]
	ds_read_b128 v[58:61], v165 offset:272
	v_mul_f64 v[194:195], v[198:199], v[32:33]
	v_fmac_f64_e32 v[194:195], v[200:201], v[30:31]
	v_add_f64 v[196:197], v[154:155], -v[192:193]
	v_add_f64 v[198:199], v[156:157], -v[194:195]
	s_waitcnt lgkmcnt(0)
	v_mul_f64 v[192:193], v[60:61], v[36:37]
	v_fma_f64 v[200:201], v[58:59], v[34:35], -v[192:193]
	ds_read_b128 v[192:195], v166 offset:272
	v_mul_f64 v[58:59], v[58:59], v[36:37]
	v_fmac_f64_e32 v[58:59], v[60:61], v[34:35]
	v_add_f64 v[60:61], v[196:197], -v[200:201]
	ds_read_b128 v[206:209], v168 offset:272
	s_waitcnt lgkmcnt(1)
	v_mul_f64 v[200:201], v[194:195], v[44:45]
	v_fma_f64 v[200:201], v[192:193], v[42:43], -v[200:201]
	v_mul_f64 v[192:193], v[192:193], v[44:45]
	v_add_f64 v[58:59], v[198:199], -v[58:59]
	v_fmac_f64_e32 v[192:193], v[194:195], v[42:43]
	v_add_f64 v[58:59], v[58:59], -v[192:193]
	v_mul_f64 v[192:193], v[160:161], v[124:125]
	v_fma_f64 v[192:193], v[158:159], v[122:123], -v[192:193]
	v_mul_f64 v[158:159], v[158:159], v[124:125]
	v_fmac_f64_e32 v[158:159], v[160:161], v[122:123]
	v_add_f64 v[60:61], v[60:61], -v[200:201]
	v_add_f64 v[158:159], v[58:59], -v[158:159]
	s_waitcnt lgkmcnt(0)
	v_mul_f64 v[58:59], v[208:209], v[108:109]
	v_add_f64 v[160:161], v[60:61], -v[192:193]
	v_fma_f64 v[192:193], v[206:207], v[106:107], -v[58:59]
	ds_read_b128 v[58:61], v170 offset:272
	v_mul_f64 v[194:195], v[206:207], v[108:109]
	v_fmac_f64_e32 v[194:195], v[208:209], v[106:107]
	v_add_f64 v[200:201], v[160:161], -v[192:193]
	v_add_f64 v[202:203], v[158:159], -v[194:195]
	s_waitcnt lgkmcnt(0)
	v_mul_f64 v[192:193], v[60:61], v[104:105]
	v_fma_f64 v[204:205], v[58:59], v[102:103], -v[192:193]
	ds_read_b128 v[192:195], v171 offset:272
	ds_read_b128 v[180:183], v169 offset:272
	v_mul_f64 v[58:59], v[58:59], v[104:105]
	v_fmac_f64_e32 v[58:59], v[60:61], v[102:103]
	v_add_f64 v[60:61], v[200:201], -v[204:205]
	s_waitcnt lgkmcnt(1)
	v_mul_f64 v[204:205], v[194:195], v[100:101]
	v_fma_f64 v[204:205], v[192:193], v[98:99], -v[204:205]
	v_mul_f64 v[192:193], v[192:193], v[100:101]
	v_add_f64 v[58:59], v[202:203], -v[58:59]
	v_fmac_f64_e32 v[192:193], v[194:195], v[98:99]
	v_add_f64 v[192:193], v[58:59], -v[192:193]
	s_waitcnt lgkmcnt(0)
	v_mul_f64 v[58:59], v[182:183], v[96:97]
	v_add_f64 v[194:195], v[60:61], -v[204:205]
	v_fma_f64 v[204:205], v[180:181], v[94:95], -v[58:59]
	ds_read_b128 v[58:61], v172 offset:272
	v_mul_f64 v[180:181], v[180:181], v[96:97]
	v_fmac_f64_e32 v[180:181], v[182:183], v[94:95]
	v_add_f64 v[206:207], v[192:193], -v[180:181]
	ds_read_b128 v[146:149], v173 offset:272
	s_waitcnt lgkmcnt(1)
	v_mul_f64 v[180:181], v[60:61], v[120:121]
	v_fma_f64 v[208:209], v[58:59], v[118:119], -v[180:181]
	ds_read_b128 v[180:183], v175 offset:272
	v_add_f64 v[204:205], v[194:195], -v[204:205]
	v_mul_f64 v[58:59], v[58:59], v[120:121]
	v_fmac_f64_e32 v[58:59], v[60:61], v[118:119]
	v_add_f64 v[60:61], v[204:205], -v[208:209]
	s_waitcnt lgkmcnt(0)
	v_mul_f64 v[208:209], v[182:183], v[88:89]
	ds_read_b128 v[188:191], v174 offset:272
	v_fma_f64 v[208:209], v[180:181], v[86:87], -v[208:209]
	v_mul_f64 v[180:181], v[180:181], v[88:89]
	v_add_f64 v[58:59], v[206:207], -v[58:59]
	v_fmac_f64_e32 v[180:181], v[182:183], v[86:87]
	v_add_f64 v[58:59], v[58:59], -v[180:181]
	v_mul_f64 v[180:181], v[148:149], v[84:85]
	v_fma_f64 v[180:181], v[146:147], v[82:83], -v[180:181]
	v_mul_f64 v[146:147], v[146:147], v[84:85]
	v_fmac_f64_e32 v[146:147], v[148:149], v[82:83]
	v_add_f64 v[60:61], v[60:61], -v[208:209]
	v_add_f64 v[146:147], v[58:59], -v[146:147]
	s_waitcnt lgkmcnt(0)
	v_mul_f64 v[58:59], v[190:191], v[80:81]
	v_add_f64 v[148:149], v[60:61], -v[180:181]
	v_fma_f64 v[180:181], v[188:189], v[78:79], -v[58:59]
	ds_read_b128 v[58:61], v176 offset:272
	v_mul_f64 v[182:183], v[188:189], v[80:81]
	v_fmac_f64_e32 v[182:183], v[190:191], v[78:79]
	v_add_f64 v[188:189], v[148:149], -v[180:181]
	v_add_f64 v[190:191], v[146:147], -v[182:183]
	s_waitcnt lgkmcnt(0)
	v_mul_f64 v[180:181], v[60:61], v[76:77]
	v_fma_f64 v[208:209], v[58:59], v[74:75], -v[180:181]
	ds_read_b128 v[180:183], v179 offset:272
	ds_read_b128 v[150:153], v177 offset:272
	s_add_i32 s11, s4, s10
	v_mul_f64 v[58:59], v[58:59], v[76:77]
	v_mov_b32_e32 v178, s11
	v_fmac_f64_e32 v[58:59], v[60:61], v[74:75]
	v_add_f64 v[60:61], v[188:189], -v[208:209]
	s_waitcnt lgkmcnt(1)
	v_mul_f64 v[208:209], v[182:183], v[72:73]
	ds_read_b128 v[184:187], v178 offset:272
	v_fma_f64 v[208:209], v[180:181], v[70:71], -v[208:209]
	v_mul_f64 v[180:181], v[180:181], v[72:73]
	v_add_f64 v[58:59], v[190:191], -v[58:59]
	v_fmac_f64_e32 v[180:181], v[182:183], v[70:71]
	v_add_f64 v[58:59], v[58:59], -v[180:181]
	s_waitcnt lgkmcnt(1)
	v_mul_f64 v[180:181], v[152:153], v[68:69]
	v_fma_f64 v[180:181], v[150:151], v[66:67], -v[180:181]
	v_mul_f64 v[150:151], v[150:151], v[68:69]
	v_fmac_f64_e32 v[150:151], v[152:153], v[66:67]
	v_add_f64 v[60:61], v[60:61], -v[208:209]
	v_add_f64 v[58:59], v[58:59], -v[150:151]
	s_waitcnt lgkmcnt(0)
	v_mul_f64 v[150:151], v[186:187], v[64:65]
	v_mul_f64 v[152:153], v[184:185], v[64:65]
	s_or_b32 s10, s7, 17
	v_add_f64 v[60:61], v[60:61], -v[180:181]
	v_fma_f64 v[150:151], v[184:185], v[62:63], -v[150:151]
	v_fmac_f64_e32 v[152:153], v[186:187], v[62:63]
	s_mul_i32 s11, s10, 0x210
	v_add_f64 v[186:187], v[60:61], -v[150:151]
	v_add_f64 v[60:61], v[58:59], -v[152:153]
	v_mov_b32_e32 v58, s11
	ds_read_b128 v[150:153], v58
	ds_read_b128 v[208:211], v163 offset:288
	ds_read_b128 v[212:215], v164 offset:288
	;; [unrolled: 1-line block ×4, first 2 shown]
	s_waitcnt lgkmcnt(4)
	v_mul_f64 v[58:59], v[152:153], v[60:61]
	v_mul_f64 v[60:61], v[150:151], v[60:61]
	v_fma_f64 v[58:59], v[150:151], v[186:187], -v[58:59]
	v_fmac_f64_e32 v[60:61], v[152:153], v[186:187]
	s_waitcnt lgkmcnt(3)
	v_mul_f64 v[186:187], v[210:211], v[24:25]
	ds_read_b128 v[196:199], v166 offset:288
	v_fma_f64 v[186:187], v[208:209], v[22:23], -v[186:187]
	v_add_f64 v[54:55], v[54:55], -v[186:187]
	s_waitcnt lgkmcnt(3)
	v_mul_f64 v[186:187], v[214:215], v[32:33]
	v_mul_f64 v[208:209], v[208:209], v[24:25]
	v_fma_f64 v[186:187], v[212:213], v[30:31], -v[186:187]
	v_fmac_f64_e32 v[208:209], v[210:211], v[22:23]
	v_mul_f64 v[212:213], v[212:213], v[32:33]
	v_add_f64 v[54:55], v[54:55], -v[186:187]
	s_waitcnt lgkmcnt(1)
	v_mul_f64 v[186:187], v[156:157], v[36:37]
	v_add_f64 v[56:57], v[56:57], -v[208:209]
	v_fmac_f64_e32 v[212:213], v[214:215], v[30:31]
	v_fma_f64 v[186:187], v[154:155], v[34:35], -v[186:187]
	v_mul_f64 v[154:155], v[154:155], v[36:37]
	v_add_f64 v[56:57], v[56:57], -v[212:213]
	v_fmac_f64_e32 v[154:155], v[156:157], v[34:35]
	v_add_f64 v[156:157], v[54:55], -v[186:187]
	s_waitcnt lgkmcnt(0)
	v_mul_f64 v[54:55], v[198:199], v[44:45]
	v_add_f64 v[154:155], v[56:57], -v[154:155]
	v_fma_f64 v[186:187], v[196:197], v[42:43], -v[54:55]
	ds_read_b128 v[54:57], v167 offset:288
	v_mul_f64 v[196:197], v[196:197], v[44:45]
	v_fmac_f64_e32 v[196:197], v[198:199], v[42:43]
	v_add_f64 v[212:213], v[154:155], -v[196:197]
	ds_read_b128 v[158:161], v170 offset:288
	s_waitcnt lgkmcnt(1)
	v_mul_f64 v[196:197], v[56:57], v[124:125]
	v_fma_f64 v[214:215], v[54:55], v[122:123], -v[196:197]
	ds_read_b128 v[196:199], v168 offset:288
	v_add_f64 v[186:187], v[156:157], -v[186:187]
	v_mul_f64 v[54:55], v[54:55], v[124:125]
	ds_read_b128 v[200:203], v171 offset:288
	v_fmac_f64_e32 v[54:55], v[56:57], v[122:123]
	v_add_f64 v[56:57], v[186:187], -v[214:215]
	s_waitcnt lgkmcnt(1)
	v_mul_f64 v[186:187], v[198:199], v[108:109]
	v_fma_f64 v[186:187], v[196:197], v[106:107], -v[186:187]
	v_mul_f64 v[196:197], v[196:197], v[108:109]
	v_add_f64 v[56:57], v[56:57], -v[186:187]
	v_mul_f64 v[186:187], v[160:161], v[104:105]
	v_add_f64 v[54:55], v[212:213], -v[54:55]
	v_fmac_f64_e32 v[196:197], v[198:199], v[106:107]
	v_fma_f64 v[186:187], v[158:159], v[102:103], -v[186:187]
	v_mul_f64 v[158:159], v[158:159], v[104:105]
	v_add_f64 v[54:55], v[54:55], -v[196:197]
	v_fmac_f64_e32 v[158:159], v[160:161], v[102:103]
	v_add_f64 v[158:159], v[54:55], -v[158:159]
	s_waitcnt lgkmcnt(0)
	v_mul_f64 v[54:55], v[202:203], v[100:101]
	v_add_f64 v[160:161], v[56:57], -v[186:187]
	v_fma_f64 v[186:187], v[200:201], v[98:99], -v[54:55]
	ds_read_b128 v[54:57], v169 offset:288
	ds_read_b128 v[192:195], v172 offset:288
	;; [unrolled: 1-line block ×3, first 2 shown]
	v_mul_f64 v[196:197], v[200:201], v[100:101]
	v_add_f64 v[186:187], v[160:161], -v[186:187]
	s_waitcnt lgkmcnt(2)
	v_mul_f64 v[198:199], v[56:57], v[96:97]
	v_fma_f64 v[198:199], v[54:55], v[94:95], -v[198:199]
	v_mul_f64 v[54:55], v[54:55], v[96:97]
	v_fmac_f64_e32 v[196:197], v[202:203], v[98:99]
	v_fmac_f64_e32 v[54:55], v[56:57], v[94:95]
	v_add_f64 v[56:57], v[186:187], -v[198:199]
	s_waitcnt lgkmcnt(1)
	v_mul_f64 v[186:187], v[194:195], v[120:121]
	v_add_f64 v[196:197], v[158:159], -v[196:197]
	v_fma_f64 v[186:187], v[192:193], v[118:119], -v[186:187]
	v_mul_f64 v[192:193], v[192:193], v[120:121]
	v_add_f64 v[54:55], v[196:197], -v[54:55]
	v_fmac_f64_e32 v[192:193], v[194:195], v[118:119]
	v_add_f64 v[192:193], v[54:55], -v[192:193]
	s_waitcnt lgkmcnt(0)
	v_mul_f64 v[54:55], v[206:207], v[88:89]
	v_add_f64 v[186:187], v[56:57], -v[186:187]
	v_fma_f64 v[194:195], v[204:205], v[86:87], -v[54:55]
	ds_read_b128 v[54:57], v173 offset:288
	v_mul_f64 v[196:197], v[204:205], v[88:89]
	v_fmac_f64_e32 v[196:197], v[206:207], v[86:87]
	v_add_f64 v[200:201], v[192:193], -v[196:197]
	ds_read_b128 v[146:149], v176 offset:288
	s_waitcnt lgkmcnt(1)
	v_mul_f64 v[196:197], v[56:57], v[84:85]
	v_fma_f64 v[202:203], v[54:55], v[82:83], -v[196:197]
	ds_read_b128 v[196:199], v174 offset:288
	v_add_f64 v[186:187], v[186:187], -v[194:195]
	v_mul_f64 v[54:55], v[54:55], v[84:85]
	ds_read_b128 v[188:191], v179 offset:288
	v_fmac_f64_e32 v[54:55], v[56:57], v[82:83]
	v_add_f64 v[56:57], v[186:187], -v[202:203]
	s_waitcnt lgkmcnt(1)
	v_mul_f64 v[186:187], v[198:199], v[80:81]
	v_fma_f64 v[186:187], v[196:197], v[78:79], -v[186:187]
	v_mul_f64 v[196:197], v[196:197], v[80:81]
	v_add_f64 v[56:57], v[56:57], -v[186:187]
	v_mul_f64 v[186:187], v[148:149], v[76:77]
	v_add_f64 v[54:55], v[200:201], -v[54:55]
	v_fmac_f64_e32 v[196:197], v[198:199], v[78:79]
	v_fma_f64 v[186:187], v[146:147], v[74:75], -v[186:187]
	v_mul_f64 v[146:147], v[146:147], v[76:77]
	v_add_f64 v[54:55], v[54:55], -v[196:197]
	v_fmac_f64_e32 v[146:147], v[148:149], v[74:75]
	v_add_f64 v[146:147], v[54:55], -v[146:147]
	s_waitcnt lgkmcnt(0)
	v_mul_f64 v[54:55], v[190:191], v[72:73]
	v_add_f64 v[148:149], v[56:57], -v[186:187]
	v_fma_f64 v[186:187], v[188:189], v[70:71], -v[54:55]
	ds_read_b128 v[54:57], v177 offset:288
	v_mul_f64 v[188:189], v[188:189], v[72:73]
	v_fmac_f64_e32 v[188:189], v[190:191], v[70:71]
	v_add_f64 v[196:197], v[146:147], -v[188:189]
	s_lshl_b32 s10, s10, 9
	s_waitcnt lgkmcnt(0)
	v_mul_f64 v[146:147], v[56:57], v[68:69]
	v_add_f64 v[190:191], v[148:149], -v[186:187]
	v_fma_f64 v[198:199], v[54:55], v[66:67], -v[146:147]
	ds_read_b128 v[146:149], v178 offset:288
	s_add_i32 s11, s4, s10
	v_mov_b32_e32 v180, s11
	ds_read_b128 v[182:185], v180 offset:288
	v_add_u32_e32 v150, s10, v1
	s_or_b32 s10, s7, 18
	v_mul_f64 v[54:55], v[54:55], v[68:69]
	s_mul_i32 s11, s10, 0x210
	v_fmac_f64_e32 v[54:55], v[56:57], v[66:67]
	v_add_f64 v[56:57], v[190:191], -v[198:199]
	s_waitcnt lgkmcnt(1)
	v_mul_f64 v[190:191], v[148:149], v[64:65]
	v_mov_b32_e32 v181, s11
	v_fma_f64 v[190:191], v[146:147], v[62:63], -v[190:191]
	v_mul_f64 v[146:147], v[146:147], v[64:65]
	ds_read_b128 v[204:207], v181
	ds_write_b128 v150, v[58:61]
	ds_read_b128 v[150:153], v163 offset:304
	v_add_f64 v[54:55], v[196:197], -v[54:55]
	v_fmac_f64_e32 v[146:147], v[148:149], v[62:63]
	v_add_f64 v[54:55], v[54:55], -v[146:147]
	s_waitcnt lgkmcnt(3)
	v_mul_f64 v[146:147], v[184:185], v[60:61]
	v_mul_f64 v[148:149], v[182:183], v[60:61]
	ds_read_b128 v[208:211], v164 offset:304
	v_add_f64 v[56:57], v[56:57], -v[190:191]
	v_fma_f64 v[146:147], v[182:183], v[58:59], -v[146:147]
	v_fmac_f64_e32 v[148:149], v[184:185], v[58:59]
	v_add_f64 v[182:183], v[56:57], -v[146:147]
	v_add_f64 v[56:57], v[54:55], -v[148:149]
	s_waitcnt lgkmcnt(3)
	v_mul_f64 v[54:55], v[206:207], v[56:57]
	v_mul_f64 v[56:57], v[204:205], v[56:57]
	v_fma_f64 v[54:55], v[204:205], v[182:183], -v[54:55]
	v_fmac_f64_e32 v[56:57], v[206:207], v[182:183]
	s_waitcnt lgkmcnt(1)
	v_mul_f64 v[182:183], v[152:153], v[24:25]
	v_fma_f64 v[182:183], v[150:151], v[22:23], -v[182:183]
	v_mul_f64 v[150:151], v[150:151], v[24:25]
	v_fmac_f64_e32 v[150:151], v[152:153], v[22:23]
	v_add_f64 v[152:153], v[50:51], -v[182:183]
	s_waitcnt lgkmcnt(0)
	v_mul_f64 v[50:51], v[210:211], v[32:33]
	v_add_f64 v[150:151], v[52:53], -v[150:151]
	v_fma_f64 v[182:183], v[208:209], v[30:31], -v[50:51]
	ds_read_b128 v[50:53], v165 offset:304
	v_mul_f64 v[184:185], v[208:209], v[32:33]
	v_fmac_f64_e32 v[184:185], v[210:211], v[30:31]
	v_add_f64 v[184:185], v[150:151], -v[184:185]
	v_add_f64 v[182:183], v[152:153], -v[182:183]
	s_waitcnt lgkmcnt(0)
	v_mul_f64 v[150:151], v[52:53], v[36:37]
	v_fma_f64 v[190:191], v[50:51], v[34:35], -v[150:151]
	ds_read_b128 v[150:153], v166 offset:304
	ds_read_b128 v[154:157], v167 offset:304
	;; [unrolled: 1-line block ×3, first 2 shown]
	v_mul_f64 v[50:51], v[50:51], v[36:37]
	v_fmac_f64_e32 v[50:51], v[52:53], v[34:35]
	v_add_f64 v[52:53], v[182:183], -v[190:191]
	s_waitcnt lgkmcnt(2)
	v_mul_f64 v[182:183], v[152:153], v[44:45]
	v_fma_f64 v[182:183], v[150:151], v[42:43], -v[182:183]
	v_mul_f64 v[150:151], v[150:151], v[44:45]
	v_add_f64 v[50:51], v[184:185], -v[50:51]
	v_fmac_f64_e32 v[150:151], v[152:153], v[42:43]
	s_waitcnt lgkmcnt(1)
	v_mul_f64 v[152:153], v[154:155], v[124:125]
	v_add_f64 v[50:51], v[50:51], -v[150:151]
	v_mul_f64 v[150:151], v[156:157], v[124:125]
	v_fmac_f64_e32 v[152:153], v[156:157], v[122:123]
	v_add_f64 v[52:53], v[52:53], -v[182:183]
	v_fma_f64 v[150:151], v[154:155], v[122:123], -v[150:151]
	v_add_f64 v[152:153], v[50:51], -v[152:153]
	s_waitcnt lgkmcnt(0)
	v_mul_f64 v[50:51], v[214:215], v[108:109]
	v_add_f64 v[150:151], v[52:53], -v[150:151]
	v_fma_f64 v[154:155], v[212:213], v[106:107], -v[50:51]
	ds_read_b128 v[50:53], v170 offset:304
	v_mul_f64 v[156:157], v[212:213], v[108:109]
	v_fmac_f64_e32 v[156:157], v[214:215], v[106:107]
	v_add_f64 v[182:183], v[150:151], -v[154:155]
	v_add_f64 v[184:185], v[152:153], -v[156:157]
	s_waitcnt lgkmcnt(0)
	v_mul_f64 v[150:151], v[52:53], v[104:105]
	v_fma_f64 v[190:191], v[50:51], v[102:103], -v[150:151]
	ds_read_b128 v[150:153], v171 offset:304
	ds_read_b128 v[158:161], v169 offset:304
	v_mul_f64 v[50:51], v[50:51], v[104:105]
	v_fmac_f64_e32 v[50:51], v[52:53], v[102:103]
	v_add_f64 v[52:53], v[182:183], -v[190:191]
	s_waitcnt lgkmcnt(1)
	v_mul_f64 v[182:183], v[152:153], v[100:101]
	v_fma_f64 v[182:183], v[150:151], v[98:99], -v[182:183]
	v_mul_f64 v[150:151], v[150:151], v[100:101]
	v_add_f64 v[50:51], v[184:185], -v[50:51]
	v_fmac_f64_e32 v[150:151], v[152:153], v[98:99]
	v_add_f64 v[150:151], v[50:51], -v[150:151]
	s_waitcnt lgkmcnt(0)
	v_mul_f64 v[50:51], v[160:161], v[96:97]
	v_add_f64 v[152:153], v[52:53], -v[182:183]
	v_fma_f64 v[182:183], v[158:159], v[94:95], -v[50:51]
	ds_read_b128 v[50:53], v172 offset:304
	v_mul_f64 v[158:159], v[158:159], v[96:97]
	v_fmac_f64_e32 v[158:159], v[160:161], v[94:95]
	v_add_f64 v[184:185], v[150:151], -v[158:159]
	v_add_f64 v[182:183], v[152:153], -v[182:183]
	s_waitcnt lgkmcnt(0)
	v_mul_f64 v[150:151], v[52:53], v[120:121]
	v_fma_f64 v[190:191], v[50:51], v[118:119], -v[150:151]
	ds_read_b128 v[150:153], v175 offset:304
	ds_read_b128 v[192:195], v173 offset:304
	;; [unrolled: 1-line block ×3, first 2 shown]
	v_mul_f64 v[50:51], v[50:51], v[120:121]
	v_fmac_f64_e32 v[50:51], v[52:53], v[118:119]
	v_add_f64 v[52:53], v[182:183], -v[190:191]
	s_waitcnt lgkmcnt(2)
	v_mul_f64 v[182:183], v[152:153], v[88:89]
	v_fma_f64 v[182:183], v[150:151], v[86:87], -v[182:183]
	v_mul_f64 v[150:151], v[150:151], v[88:89]
	v_add_f64 v[50:51], v[184:185], -v[50:51]
	v_fmac_f64_e32 v[150:151], v[152:153], v[86:87]
	s_waitcnt lgkmcnt(1)
	v_mul_f64 v[152:153], v[192:193], v[84:85]
	v_add_f64 v[50:51], v[50:51], -v[150:151]
	v_mul_f64 v[150:151], v[194:195], v[84:85]
	v_fmac_f64_e32 v[152:153], v[194:195], v[82:83]
	v_add_f64 v[52:53], v[52:53], -v[182:183]
	v_fma_f64 v[150:151], v[192:193], v[82:83], -v[150:151]
	v_add_f64 v[152:153], v[50:51], -v[152:153]
	s_waitcnt lgkmcnt(0)
	v_mul_f64 v[50:51], v[202:203], v[80:81]
	v_add_f64 v[150:151], v[52:53], -v[150:151]
	v_fma_f64 v[182:183], v[200:201], v[78:79], -v[50:51]
	ds_read_b128 v[50:53], v176 offset:304
	v_mul_f64 v[184:185], v[200:201], v[80:81]
	v_fmac_f64_e32 v[184:185], v[202:203], v[78:79]
	v_add_f64 v[182:183], v[150:151], -v[182:183]
	v_add_f64 v[184:185], v[152:153], -v[184:185]
	s_waitcnt lgkmcnt(0)
	v_mul_f64 v[150:151], v[52:53], v[76:77]
	v_fma_f64 v[194:195], v[50:51], v[74:75], -v[150:151]
	ds_read_b128 v[150:153], v179 offset:304
	ds_read_b128 v[186:189], v177 offset:304
	;; [unrolled: 1-line block ×3, first 2 shown]
	v_mul_f64 v[50:51], v[50:51], v[76:77]
	v_fmac_f64_e32 v[50:51], v[52:53], v[74:75]
	v_add_f64 v[52:53], v[182:183], -v[194:195]
	s_waitcnt lgkmcnt(2)
	v_mul_f64 v[182:183], v[152:153], v[72:73]
	v_fma_f64 v[182:183], v[150:151], v[70:71], -v[182:183]
	v_mul_f64 v[150:151], v[150:151], v[72:73]
	v_add_f64 v[50:51], v[184:185], -v[50:51]
	v_fmac_f64_e32 v[150:151], v[152:153], v[70:71]
	s_waitcnt lgkmcnt(1)
	v_mul_f64 v[152:153], v[186:187], v[68:69]
	v_add_f64 v[50:51], v[50:51], -v[150:151]
	v_mul_f64 v[150:151], v[188:189], v[68:69]
	v_fmac_f64_e32 v[152:153], v[188:189], v[66:67]
	v_add_f64 v[52:53], v[52:53], -v[182:183]
	v_fma_f64 v[150:151], v[186:187], v[66:67], -v[150:151]
	v_add_f64 v[152:153], v[50:51], -v[152:153]
	s_waitcnt lgkmcnt(0)
	v_mul_f64 v[50:51], v[198:199], v[64:65]
	v_add_f64 v[150:151], v[52:53], -v[150:151]
	v_fma_f64 v[182:183], v[196:197], v[62:63], -v[50:51]
	ds_read_b128 v[50:53], v180 offset:304
	s_lshl_b32 s10, s10, 9
	v_add_u32_e32 v181, s10, v1
	v_mul_f64 v[184:185], v[196:197], v[64:65]
	s_add_i32 s10, s4, s10
	v_fmac_f64_e32 v[184:185], v[198:199], v[62:63]
	v_add_f64 v[188:189], v[150:151], -v[182:183]
	s_waitcnt lgkmcnt(0)
	v_mul_f64 v[150:151], v[52:53], v[60:61]
	v_mov_b32_e32 v183, s10
	v_add_f64 v[194:195], v[152:153], -v[184:185]
	v_fma_f64 v[196:197], v[50:51], v[58:59], -v[150:151]
	ds_read_b128 v[150:153], v183 offset:304
	s_or_b32 s10, s7, 19
	s_mul_i32 s11, s10, 0x210
	ds_write_b128 v181, v[54:57]
	v_mov_b32_e32 v181, s11
	ds_read_b128 v[216:219], v175 offset:320
	ds_read_b128 v[220:223], v181
	v_mul_f64 v[50:51], v[50:51], v[60:61]
	v_fmac_f64_e32 v[50:51], v[52:53], v[58:59]
	v_add_f64 v[52:53], v[188:189], -v[196:197]
	s_waitcnt lgkmcnt(3)
	v_mul_f64 v[188:189], v[152:153], v[56:57]
	v_fma_f64 v[188:189], v[150:151], v[54:55], -v[188:189]
	v_mul_f64 v[150:151], v[150:151], v[56:57]
	v_add_f64 v[50:51], v[194:195], -v[50:51]
	v_fmac_f64_e32 v[150:151], v[152:153], v[54:55]
	v_add_f64 v[188:189], v[52:53], -v[188:189]
	v_add_f64 v[52:53], v[50:51], -v[150:151]
	s_waitcnt lgkmcnt(0)
	v_mul_f64 v[50:51], v[222:223], v[52:53]
	v_mul_f64 v[52:53], v[220:221], v[52:53]
	v_fma_f64 v[50:51], v[220:221], v[188:189], -v[50:51]
	v_fmac_f64_e32 v[52:53], v[222:223], v[188:189]
	ds_read_b128 v[220:223], v163 offset:320
	ds_read_b128 v[228:231], v164 offset:320
	;; [unrolled: 1-line block ×5, first 2 shown]
	s_waitcnt lgkmcnt(4)
	v_mul_f64 v[188:189], v[222:223], v[24:25]
	v_fma_f64 v[188:189], v[220:221], v[22:23], -v[188:189]
	v_mul_f64 v[198:199], v[220:221], v[24:25]
	v_fmac_f64_e32 v[198:199], v[222:223], v[22:23]
	v_add_f64 v[46:47], v[46:47], -v[188:189]
	s_waitcnt lgkmcnt(3)
	v_mul_f64 v[188:189], v[230:231], v[32:33]
	v_add_f64 v[48:49], v[48:49], -v[198:199]
	v_fma_f64 v[188:189], v[228:229], v[30:31], -v[188:189]
	v_mul_f64 v[198:199], v[228:229], v[32:33]
	v_fmac_f64_e32 v[198:199], v[230:231], v[30:31]
	v_add_f64 v[46:47], v[46:47], -v[188:189]
	s_waitcnt lgkmcnt(1)
	v_mul_f64 v[188:189], v[206:207], v[36:37]
	v_add_f64 v[48:49], v[48:49], -v[198:199]
	;; [unrolled: 7-line block ×3, first 2 shown]
	v_fma_f64 v[204:205], v[208:209], v[42:43], -v[46:47]
	ds_read_b128 v[46:49], v167 offset:320
	v_mul_f64 v[206:207], v[208:209], v[44:45]
	v_fmac_f64_e32 v[206:207], v[210:211], v[42:43]
	ds_read_b128 v[154:157], v170 offset:320
	v_add_f64 v[188:189], v[188:189], -v[204:205]
	s_waitcnt lgkmcnt(1)
	v_mul_f64 v[208:209], v[48:49], v[124:125]
	v_fma_f64 v[228:229], v[46:47], v[122:123], -v[208:209]
	ds_read_b128 v[208:211], v168 offset:320
	v_mul_f64 v[46:47], v[46:47], v[124:125]
	ds_read_b128 v[212:215], v171 offset:320
	v_fmac_f64_e32 v[46:47], v[48:49], v[122:123]
	v_add_f64 v[48:49], v[188:189], -v[228:229]
	s_waitcnt lgkmcnt(1)
	v_mul_f64 v[188:189], v[210:211], v[108:109]
	v_add_f64 v[198:199], v[198:199], -v[206:207]
	v_fma_f64 v[188:189], v[208:209], v[106:107], -v[188:189]
	v_add_f64 v[46:47], v[198:199], -v[46:47]
	v_mul_f64 v[198:199], v[208:209], v[108:109]
	v_add_f64 v[48:49], v[48:49], -v[188:189]
	v_mul_f64 v[188:189], v[156:157], v[104:105]
	v_fmac_f64_e32 v[198:199], v[210:211], v[106:107]
	v_fma_f64 v[188:189], v[154:155], v[102:103], -v[188:189]
	v_mul_f64 v[154:155], v[154:155], v[104:105]
	v_add_f64 v[46:47], v[46:47], -v[198:199]
	v_fmac_f64_e32 v[154:155], v[156:157], v[102:103]
	v_add_f64 v[154:155], v[46:47], -v[154:155]
	s_waitcnt lgkmcnt(0)
	v_mul_f64 v[46:47], v[214:215], v[100:101]
	v_add_f64 v[156:157], v[48:49], -v[188:189]
	v_fma_f64 v[188:189], v[212:213], v[98:99], -v[46:47]
	ds_read_b128 v[46:49], v169 offset:320
	ds_read_b128 v[158:161], v172 offset:320
	v_mul_f64 v[198:199], v[212:213], v[100:101]
	v_add_f64 v[188:189], v[156:157], -v[188:189]
	v_fmac_f64_e32 v[198:199], v[214:215], v[98:99]
	s_waitcnt lgkmcnt(1)
	v_mul_f64 v[208:209], v[48:49], v[96:97]
	v_fma_f64 v[208:209], v[46:47], v[94:95], -v[208:209]
	v_mul_f64 v[46:47], v[46:47], v[96:97]
	v_fmac_f64_e32 v[46:47], v[48:49], v[94:95]
	v_add_f64 v[48:49], v[188:189], -v[208:209]
	s_waitcnt lgkmcnt(0)
	v_mul_f64 v[188:189], v[160:161], v[120:121]
	v_add_f64 v[198:199], v[154:155], -v[198:199]
	v_fma_f64 v[188:189], v[158:159], v[118:119], -v[188:189]
	v_mul_f64 v[158:159], v[158:159], v[120:121]
	v_add_f64 v[46:47], v[198:199], -v[46:47]
	v_fmac_f64_e32 v[158:159], v[160:161], v[118:119]
	v_add_f64 v[158:159], v[46:47], -v[158:159]
	v_mul_f64 v[46:47], v[218:219], v[88:89]
	v_add_f64 v[160:161], v[48:49], -v[188:189]
	v_fma_f64 v[188:189], v[216:217], v[86:87], -v[46:47]
	ds_read_b128 v[46:49], v173 offset:320
	ds_read_b128 v[190:193], v176 offset:320
	v_mul_f64 v[198:199], v[216:217], v[88:89]
	v_add_f64 v[188:189], v[160:161], -v[188:189]
	ds_read_b128 v[200:203], v179 offset:320
	s_waitcnt lgkmcnt(2)
	v_mul_f64 v[208:209], v[48:49], v[84:85]
	v_fma_f64 v[212:213], v[46:47], v[82:83], -v[208:209]
	ds_read_b128 v[208:211], v174 offset:320
	v_mul_f64 v[46:47], v[46:47], v[84:85]
	v_fmac_f64_e32 v[198:199], v[218:219], v[86:87]
	v_fmac_f64_e32 v[46:47], v[48:49], v[82:83]
	v_add_f64 v[48:49], v[188:189], -v[212:213]
	s_waitcnt lgkmcnt(0)
	v_mul_f64 v[188:189], v[210:211], v[80:81]
	v_add_f64 v[198:199], v[158:159], -v[198:199]
	v_fma_f64 v[188:189], v[208:209], v[78:79], -v[188:189]
	v_add_f64 v[46:47], v[198:199], -v[46:47]
	v_mul_f64 v[198:199], v[208:209], v[80:81]
	v_add_f64 v[48:49], v[48:49], -v[188:189]
	v_mul_f64 v[188:189], v[192:193], v[76:77]
	v_fmac_f64_e32 v[198:199], v[210:211], v[78:79]
	v_fma_f64 v[188:189], v[190:191], v[74:75], -v[188:189]
	v_mul_f64 v[190:191], v[190:191], v[76:77]
	v_add_f64 v[46:47], v[46:47], -v[198:199]
	v_fmac_f64_e32 v[190:191], v[192:193], v[74:75]
	v_add_f64 v[190:191], v[46:47], -v[190:191]
	v_mul_f64 v[46:47], v[202:203], v[72:73]
	v_add_f64 v[188:189], v[48:49], -v[188:189]
	v_fma_f64 v[192:193], v[200:201], v[70:71], -v[46:47]
	ds_read_b128 v[46:49], v177 offset:320
	v_mul_f64 v[198:199], v[200:201], v[72:73]
	v_fmac_f64_e32 v[198:199], v[202:203], v[70:71]
	v_add_f64 v[202:203], v[190:191], -v[198:199]
	ds_read_b128 v[184:187], v180 offset:320
	s_waitcnt lgkmcnt(1)
	v_mul_f64 v[198:199], v[48:49], v[68:69]
	v_fma_f64 v[208:209], v[46:47], v[66:67], -v[198:199]
	ds_read_b128 v[198:201], v178 offset:320
	v_add_f64 v[192:193], v[188:189], -v[192:193]
	v_mul_f64 v[46:47], v[46:47], v[68:69]
	ds_read_b128 v[194:197], v183 offset:320
	v_fmac_f64_e32 v[46:47], v[48:49], v[66:67]
	v_add_f64 v[48:49], v[192:193], -v[208:209]
	s_waitcnt lgkmcnt(1)
	v_mul_f64 v[192:193], v[200:201], v[64:65]
	v_fma_f64 v[192:193], v[198:199], v[62:63], -v[192:193]
	v_mul_f64 v[198:199], v[198:199], v[64:65]
	v_add_f64 v[48:49], v[48:49], -v[192:193]
	v_mul_f64 v[192:193], v[186:187], v[60:61]
	s_lshl_b32 s10, s10, 9
	v_add_f64 v[46:47], v[202:203], -v[46:47]
	v_fmac_f64_e32 v[198:199], v[200:201], v[62:63]
	v_fma_f64 v[192:193], v[184:185], v[58:59], -v[192:193]
	v_mul_f64 v[184:185], v[184:185], v[60:61]
	v_add_u32_e32 v181, s10, v1
	v_add_f64 v[46:47], v[46:47], -v[198:199]
	v_fmac_f64_e32 v[184:185], v[186:187], v[58:59]
	s_add_i32 s10, s4, s10
	ds_write_b128 v181, v[50:53]
	v_add_f64 v[184:185], v[46:47], -v[184:185]
	s_waitcnt lgkmcnt(1)
	v_mul_f64 v[46:47], v[196:197], v[56:57]
	v_mov_b32_e32 v181, s10
	v_add_f64 v[186:187], v[48:49], -v[192:193]
	v_fma_f64 v[192:193], v[194:195], v[54:55], -v[46:47]
	ds_read_b128 v[46:49], v181 offset:320
	v_mul_f64 v[194:195], v[194:195], v[56:57]
	v_fmac_f64_e32 v[194:195], v[196:197], v[54:55]
	s_or_b32 s10, s7, 20
	v_add_f64 v[194:195], v[184:185], -v[194:195]
	s_waitcnt lgkmcnt(0)
	v_mul_f64 v[196:197], v[48:49], v[52:53]
	v_fma_f64 v[196:197], v[46:47], v[50:51], -v[196:197]
	v_mul_f64 v[46:47], v[46:47], v[52:53]
	v_fmac_f64_e32 v[46:47], v[48:49], v[50:51]
	s_mul_i32 s11, s10, 0x210
	v_add_f64 v[192:193], v[186:187], -v[192:193]
	v_add_f64 v[48:49], v[194:195], -v[46:47]
	v_mov_b32_e32 v46, s11
	v_add_f64 v[200:201], v[192:193], -v[196:197]
	ds_read_b128 v[192:195], v46
	ds_read_b128 v[220:223], v164 offset:336
	s_lshl_b32 s10, s10, 9
	ds_read_b128 v[204:207], v167 offset:336
	ds_read_b128 v[228:231], v168 offset:336
	s_waitcnt lgkmcnt(3)
	v_mul_f64 v[46:47], v[194:195], v[48:49]
	v_mul_f64 v[48:49], v[192:193], v[48:49]
	v_fma_f64 v[46:47], v[192:193], v[200:201], -v[46:47]
	v_fmac_f64_e32 v[48:49], v[194:195], v[200:201]
	v_add_u32_e32 v192, s10, v1
	ds_write_b128 v192, v[46:49]
	v_mul_f64 v[192:193], v[226:227], v[24:25]
	v_fma_f64 v[192:193], v[224:225], v[22:23], -v[192:193]
	v_mul_f64 v[194:195], v[224:225], v[24:25]
	v_fmac_f64_e32 v[194:195], v[226:227], v[22:23]
	v_add_f64 v[192:193], v[38:39], -v[192:193]
	s_waitcnt lgkmcnt(3)
	v_mul_f64 v[38:39], v[222:223], v[32:33]
	v_add_f64 v[194:195], v[40:41], -v[194:195]
	v_fma_f64 v[200:201], v[220:221], v[30:31], -v[38:39]
	ds_read_b128 v[38:41], v165 offset:336
	v_mul_f64 v[202:203], v[220:221], v[32:33]
	v_fmac_f64_e32 v[202:203], v[222:223], v[30:31]
	v_add_f64 v[216:217], v[192:193], -v[200:201]
	v_add_f64 v[218:219], v[194:195], -v[202:203]
	s_waitcnt lgkmcnt(0)
	v_mul_f64 v[200:201], v[40:41], v[36:37]
	v_fma_f64 v[220:221], v[38:39], v[34:35], -v[200:201]
	ds_read_b128 v[200:203], v166 offset:336
	v_mul_f64 v[38:39], v[38:39], v[36:37]
	v_fmac_f64_e32 v[38:39], v[40:41], v[34:35]
	v_add_f64 v[40:41], v[216:217], -v[220:221]
	v_add_f64 v[38:39], v[218:219], -v[38:39]
	s_waitcnt lgkmcnt(0)
	v_mul_f64 v[220:221], v[202:203], v[44:45]
	v_fma_f64 v[220:221], v[200:201], v[42:43], -v[220:221]
	v_mul_f64 v[200:201], v[200:201], v[44:45]
	v_fmac_f64_e32 v[200:201], v[202:203], v[42:43]
	v_mul_f64 v[202:203], v[204:205], v[124:125]
	v_add_f64 v[38:39], v[38:39], -v[200:201]
	v_mul_f64 v[200:201], v[206:207], v[124:125]
	v_fmac_f64_e32 v[202:203], v[206:207], v[122:123]
	v_add_f64 v[40:41], v[40:41], -v[220:221]
	v_fma_f64 v[200:201], v[204:205], v[122:123], -v[200:201]
	v_add_f64 v[202:203], v[38:39], -v[202:203]
	v_mul_f64 v[38:39], v[230:231], v[108:109]
	v_add_f64 v[200:201], v[40:41], -v[200:201]
	v_fma_f64 v[204:205], v[228:229], v[106:107], -v[38:39]
	ds_read_b128 v[38:41], v170 offset:336
	v_mul_f64 v[206:207], v[228:229], v[108:109]
	v_fmac_f64_e32 v[206:207], v[230:231], v[106:107]
	v_add_f64 v[220:221], v[200:201], -v[204:205]
	v_add_f64 v[222:223], v[202:203], -v[206:207]
	s_waitcnt lgkmcnt(0)
	v_mul_f64 v[204:205], v[40:41], v[104:105]
	v_fma_f64 v[224:225], v[38:39], v[102:103], -v[204:205]
	ds_read_b128 v[204:207], v171 offset:336
	ds_read_b128 v[154:157], v169 offset:336
	v_mul_f64 v[38:39], v[38:39], v[104:105]
	v_fmac_f64_e32 v[38:39], v[40:41], v[102:103]
	v_add_f64 v[40:41], v[220:221], -v[224:225]
	s_waitcnt lgkmcnt(1)
	v_mul_f64 v[224:225], v[206:207], v[100:101]
	v_fma_f64 v[224:225], v[204:205], v[98:99], -v[224:225]
	v_mul_f64 v[204:205], v[204:205], v[100:101]
	v_add_f64 v[38:39], v[222:223], -v[38:39]
	v_fmac_f64_e32 v[204:205], v[206:207], v[98:99]
	v_add_f64 v[204:205], v[38:39], -v[204:205]
	s_waitcnt lgkmcnt(0)
	v_mul_f64 v[38:39], v[156:157], v[96:97]
	v_add_f64 v[206:207], v[40:41], -v[224:225]
	v_fma_f64 v[224:225], v[154:155], v[94:95], -v[38:39]
	ds_read_b128 v[38:41], v172 offset:336
	v_mul_f64 v[154:155], v[154:155], v[96:97]
	v_fmac_f64_e32 v[154:155], v[156:157], v[94:95]
	v_add_f64 v[226:227], v[204:205], -v[154:155]
	v_add_f64 v[224:225], v[206:207], -v[224:225]
	s_waitcnt lgkmcnt(0)
	v_mul_f64 v[204:205], v[40:41], v[120:121]
	v_fma_f64 v[228:229], v[38:39], v[118:119], -v[204:205]
	ds_read_b128 v[204:207], v175 offset:336
	ds_read_b128 v[158:161], v173 offset:336
	v_mul_f64 v[38:39], v[38:39], v[120:121]
	v_fmac_f64_e32 v[38:39], v[40:41], v[118:119]
	v_add_f64 v[40:41], v[224:225], -v[228:229]
	s_waitcnt lgkmcnt(1)
	v_mul_f64 v[228:229], v[206:207], v[88:89]
	ds_read_b128 v[212:215], v174 offset:336
	v_fma_f64 v[228:229], v[204:205], v[86:87], -v[228:229]
	v_mul_f64 v[204:205], v[204:205], v[88:89]
	v_add_f64 v[38:39], v[226:227], -v[38:39]
	v_fmac_f64_e32 v[204:205], v[206:207], v[86:87]
	v_add_f64 v[38:39], v[38:39], -v[204:205]
	s_waitcnt lgkmcnt(1)
	v_mul_f64 v[204:205], v[160:161], v[84:85]
	v_fma_f64 v[204:205], v[158:159], v[82:83], -v[204:205]
	v_mul_f64 v[158:159], v[158:159], v[84:85]
	v_fmac_f64_e32 v[158:159], v[160:161], v[82:83]
	v_add_f64 v[40:41], v[40:41], -v[228:229]
	v_add_f64 v[158:159], v[38:39], -v[158:159]
	s_waitcnt lgkmcnt(0)
	v_mul_f64 v[38:39], v[214:215], v[80:81]
	v_add_f64 v[160:161], v[40:41], -v[204:205]
	v_fma_f64 v[204:205], v[212:213], v[78:79], -v[38:39]
	ds_read_b128 v[38:41], v176 offset:336
	v_mul_f64 v[206:207], v[212:213], v[80:81]
	v_fmac_f64_e32 v[206:207], v[214:215], v[78:79]
	v_add_f64 v[212:213], v[160:161], -v[204:205]
	v_add_f64 v[214:215], v[158:159], -v[206:207]
	s_waitcnt lgkmcnt(0)
	v_mul_f64 v[204:205], v[40:41], v[76:77]
	v_fma_f64 v[228:229], v[38:39], v[74:75], -v[204:205]
	ds_read_b128 v[204:207], v179 offset:336
	ds_read_b128 v[188:191], v177 offset:336
	v_mul_f64 v[38:39], v[38:39], v[76:77]
	v_fmac_f64_e32 v[38:39], v[40:41], v[74:75]
	v_add_f64 v[40:41], v[212:213], -v[228:229]
	s_waitcnt lgkmcnt(1)
	v_mul_f64 v[228:229], v[206:207], v[72:73]
	ds_read_b128 v[208:211], v178 offset:336
	v_fma_f64 v[228:229], v[204:205], v[70:71], -v[228:229]
	v_mul_f64 v[204:205], v[204:205], v[72:73]
	v_add_f64 v[38:39], v[214:215], -v[38:39]
	v_fmac_f64_e32 v[204:205], v[206:207], v[70:71]
	v_add_f64 v[38:39], v[38:39], -v[204:205]
	s_waitcnt lgkmcnt(1)
	v_mul_f64 v[204:205], v[190:191], v[68:69]
	v_fma_f64 v[204:205], v[188:189], v[66:67], -v[204:205]
	v_mul_f64 v[188:189], v[188:189], v[68:69]
	v_fmac_f64_e32 v[188:189], v[190:191], v[66:67]
	v_add_f64 v[40:41], v[40:41], -v[228:229]
	v_add_f64 v[188:189], v[38:39], -v[188:189]
	s_waitcnt lgkmcnt(0)
	v_mul_f64 v[38:39], v[210:211], v[64:65]
	v_add_f64 v[190:191], v[40:41], -v[204:205]
	v_fma_f64 v[204:205], v[208:209], v[62:63], -v[38:39]
	ds_read_b128 v[38:41], v180 offset:336
	v_mul_f64 v[206:207], v[208:209], v[64:65]
	v_fmac_f64_e32 v[206:207], v[210:211], v[62:63]
	v_add_f64 v[208:209], v[190:191], -v[204:205]
	v_add_f64 v[210:211], v[188:189], -v[206:207]
	s_waitcnt lgkmcnt(0)
	v_mul_f64 v[204:205], v[40:41], v[60:61]
	v_fma_f64 v[228:229], v[38:39], v[58:59], -v[204:205]
	ds_read_b128 v[204:207], v183 offset:336
	ds_read_b128 v[184:187], v181 offset:336
	s_add_i32 s11, s4, s10
	v_mul_f64 v[38:39], v[38:39], v[60:61]
	v_mov_b32_e32 v182, s11
	v_fmac_f64_e32 v[38:39], v[40:41], v[58:59]
	v_add_f64 v[40:41], v[208:209], -v[228:229]
	s_waitcnt lgkmcnt(1)
	v_mul_f64 v[228:229], v[206:207], v[56:57]
	ds_read_b128 v[196:199], v182 offset:336
	v_fma_f64 v[228:229], v[204:205], v[54:55], -v[228:229]
	v_mul_f64 v[204:205], v[204:205], v[56:57]
	v_add_f64 v[38:39], v[210:211], -v[38:39]
	v_fmac_f64_e32 v[204:205], v[206:207], v[54:55]
	v_add_f64 v[38:39], v[38:39], -v[204:205]
	s_waitcnt lgkmcnt(1)
	v_mul_f64 v[204:205], v[186:187], v[52:53]
	v_fma_f64 v[204:205], v[184:185], v[50:51], -v[204:205]
	v_mul_f64 v[184:185], v[184:185], v[52:53]
	v_fmac_f64_e32 v[184:185], v[186:187], v[50:51]
	v_add_f64 v[40:41], v[40:41], -v[228:229]
	v_add_f64 v[38:39], v[38:39], -v[184:185]
	s_waitcnt lgkmcnt(0)
	v_mul_f64 v[184:185], v[198:199], v[48:49]
	v_mul_f64 v[186:187], v[196:197], v[48:49]
	s_or_b32 s10, s7, 21
	v_add_f64 v[40:41], v[40:41], -v[204:205]
	v_fma_f64 v[184:185], v[196:197], v[46:47], -v[184:185]
	v_fmac_f64_e32 v[186:187], v[198:199], v[46:47]
	s_mul_i32 s11, s10, 0x210
	v_add_f64 v[232:233], v[40:41], -v[184:185]
	v_add_f64 v[40:41], v[38:39], -v[186:187]
	v_mov_b32_e32 v38, s11
	ds_read_b128 v[196:199], v38
	ds_read_b128 v[228:231], v163 offset:352
	ds_read_b128 v[192:195], v165 offset:352
	;; [unrolled: 1-line block ×4, first 2 shown]
	s_waitcnt lgkmcnt(4)
	v_mul_f64 v[38:39], v[198:199], v[40:41]
	v_mul_f64 v[40:41], v[196:197], v[40:41]
	v_fma_f64 v[38:39], v[196:197], v[232:233], -v[38:39]
	v_fmac_f64_e32 v[40:41], v[198:199], v[232:233]
	ds_read_b128 v[196:199], v163 offset:368
	ds_read_b128 v[232:235], v164 offset:352
	s_waitcnt lgkmcnt(5)
	v_mul_f64 v[186:187], v[230:231], v[24:25]
	v_fma_f64 v[186:187], v[228:229], v[22:23], -v[186:187]
	v_add_f64 v[26:27], v[26:27], -v[186:187]
	v_mul_f64 v[228:229], v[228:229], v[24:25]
	s_waitcnt lgkmcnt(0)
	v_mul_f64 v[186:187], v[234:235], v[32:33]
	v_fma_f64 v[186:187], v[232:233], v[30:31], -v[186:187]
	v_fmac_f64_e32 v[228:229], v[230:231], v[22:23]
	v_mul_f64 v[232:233], v[232:233], v[32:33]
	v_add_f64 v[26:27], v[26:27], -v[186:187]
	v_mul_f64 v[186:187], v[194:195], v[36:37]
	v_add_f64 v[28:29], v[28:29], -v[228:229]
	v_fmac_f64_e32 v[232:233], v[234:235], v[30:31]
	v_fma_f64 v[186:187], v[192:193], v[34:35], -v[186:187]
	v_mul_f64 v[192:193], v[192:193], v[36:37]
	v_add_f64 v[28:29], v[28:29], -v[232:233]
	v_fmac_f64_e32 v[192:193], v[194:195], v[34:35]
	v_add_f64 v[186:187], v[26:27], -v[186:187]
	v_mul_f64 v[26:27], v[218:219], v[44:45]
	v_add_f64 v[192:193], v[28:29], -v[192:193]
	v_fma_f64 v[194:195], v[216:217], v[42:43], -v[26:27]
	ds_read_b128 v[26:29], v167 offset:352
	v_mul_f64 v[216:217], v[216:217], v[44:45]
	v_fmac_f64_e32 v[216:217], v[218:219], v[42:43]
	v_add_f64 v[232:233], v[192:193], -v[216:217]
	v_add_f64 v[186:187], v[186:187], -v[194:195]
	s_waitcnt lgkmcnt(0)
	v_mul_f64 v[216:217], v[28:29], v[124:125]
	v_fma_f64 v[234:235], v[26:27], v[122:123], -v[216:217]
	ds_read_b128 v[216:219], v168 offset:352
	v_mul_f64 v[26:27], v[26:27], v[124:125]
	ds_read_b128 v[220:223], v171 offset:352
	v_fmac_f64_e32 v[26:27], v[28:29], v[122:123]
	v_add_f64 v[28:29], v[186:187], -v[234:235]
	s_waitcnt lgkmcnt(1)
	v_mul_f64 v[186:187], v[218:219], v[108:109]
	v_fma_f64 v[186:187], v[216:217], v[106:107], -v[186:187]
	v_mul_f64 v[216:217], v[216:217], v[108:109]
	v_add_f64 v[28:29], v[28:29], -v[186:187]
	v_mul_f64 v[186:187], v[202:203], v[104:105]
	v_add_f64 v[26:27], v[232:233], -v[26:27]
	v_fmac_f64_e32 v[216:217], v[218:219], v[106:107]
	v_fma_f64 v[186:187], v[200:201], v[102:103], -v[186:187]
	v_mul_f64 v[200:201], v[200:201], v[104:105]
	v_add_f64 v[26:27], v[26:27], -v[216:217]
	v_fmac_f64_e32 v[200:201], v[202:203], v[102:103]
	v_add_f64 v[200:201], v[26:27], -v[200:201]
	s_waitcnt lgkmcnt(0)
	v_mul_f64 v[26:27], v[222:223], v[100:101]
	v_add_f64 v[186:187], v[28:29], -v[186:187]
	v_fma_f64 v[202:203], v[220:221], v[98:99], -v[26:27]
	ds_read_b128 v[26:29], v169 offset:352
	ds_read_b128 v[154:157], v172 offset:352
	;; [unrolled: 1-line block ×3, first 2 shown]
	v_mul_f64 v[216:217], v[220:221], v[100:101]
	v_add_f64 v[186:187], v[186:187], -v[202:203]
	s_waitcnt lgkmcnt(2)
	v_mul_f64 v[218:219], v[28:29], v[96:97]
	v_fma_f64 v[218:219], v[26:27], v[94:95], -v[218:219]
	v_mul_f64 v[26:27], v[26:27], v[96:97]
	v_fmac_f64_e32 v[216:217], v[222:223], v[98:99]
	v_fmac_f64_e32 v[26:27], v[28:29], v[94:95]
	v_add_f64 v[28:29], v[186:187], -v[218:219]
	s_waitcnt lgkmcnt(1)
	v_mul_f64 v[186:187], v[156:157], v[120:121]
	v_add_f64 v[216:217], v[200:201], -v[216:217]
	v_fma_f64 v[186:187], v[154:155], v[118:119], -v[186:187]
	v_mul_f64 v[154:155], v[154:155], v[120:121]
	v_add_f64 v[26:27], v[216:217], -v[26:27]
	v_fmac_f64_e32 v[154:155], v[156:157], v[118:119]
	v_add_f64 v[154:155], v[26:27], -v[154:155]
	s_waitcnt lgkmcnt(0)
	v_mul_f64 v[26:27], v[226:227], v[88:89]
	v_add_f64 v[156:157], v[28:29], -v[186:187]
	v_fma_f64 v[186:187], v[224:225], v[86:87], -v[26:27]
	ds_read_b128 v[26:29], v173 offset:352
	v_mul_f64 v[216:217], v[224:225], v[88:89]
	v_fmac_f64_e32 v[216:217], v[226:227], v[86:87]
	v_add_f64 v[220:221], v[154:155], -v[216:217]
	v_add_f64 v[186:187], v[156:157], -v[186:187]
	s_waitcnt lgkmcnt(0)
	v_mul_f64 v[154:155], v[28:29], v[84:85]
	v_fma_f64 v[222:223], v[26:27], v[82:83], -v[154:155]
	ds_read_b128 v[154:157], v174 offset:352
	ds_read_b128 v[158:161], v176 offset:352
	;; [unrolled: 1-line block ×3, first 2 shown]
	v_mul_f64 v[26:27], v[26:27], v[84:85]
	v_fmac_f64_e32 v[26:27], v[28:29], v[82:83]
	v_add_f64 v[28:29], v[186:187], -v[222:223]
	s_waitcnt lgkmcnt(2)
	v_mul_f64 v[186:187], v[156:157], v[80:81]
	v_fma_f64 v[186:187], v[154:155], v[78:79], -v[186:187]
	v_mul_f64 v[154:155], v[154:155], v[80:81]
	v_add_f64 v[26:27], v[220:221], -v[26:27]
	v_fmac_f64_e32 v[154:155], v[156:157], v[78:79]
	s_waitcnt lgkmcnt(1)
	v_mul_f64 v[156:157], v[158:159], v[76:77]
	v_add_f64 v[26:27], v[26:27], -v[154:155]
	v_mul_f64 v[154:155], v[160:161], v[76:77]
	v_fmac_f64_e32 v[156:157], v[160:161], v[74:75]
	v_add_f64 v[28:29], v[28:29], -v[186:187]
	v_fma_f64 v[154:155], v[158:159], v[74:75], -v[154:155]
	v_add_f64 v[156:157], v[26:27], -v[156:157]
	s_waitcnt lgkmcnt(0)
	v_mul_f64 v[26:27], v[214:215], v[72:73]
	v_add_f64 v[154:155], v[28:29], -v[154:155]
	v_fma_f64 v[158:159], v[212:213], v[70:71], -v[26:27]
	ds_read_b128 v[26:29], v177 offset:352
	v_mul_f64 v[160:161], v[212:213], v[72:73]
	v_fmac_f64_e32 v[160:161], v[214:215], v[70:71]
	v_add_f64 v[186:187], v[154:155], -v[158:159]
	v_add_f64 v[212:213], v[156:157], -v[160:161]
	s_waitcnt lgkmcnt(0)
	v_mul_f64 v[154:155], v[28:29], v[68:69]
	v_fma_f64 v[214:215], v[26:27], v[66:67], -v[154:155]
	ds_read_b128 v[154:157], v178 offset:352
	ds_read_b128 v[188:191], v180 offset:352
	;; [unrolled: 1-line block ×3, first 2 shown]
	v_mul_f64 v[26:27], v[26:27], v[68:69]
	v_fmac_f64_e32 v[26:27], v[28:29], v[66:67]
	v_add_f64 v[28:29], v[186:187], -v[214:215]
	s_waitcnt lgkmcnt(2)
	v_mul_f64 v[186:187], v[156:157], v[64:65]
	v_fma_f64 v[186:187], v[154:155], v[62:63], -v[186:187]
	v_mul_f64 v[154:155], v[154:155], v[64:65]
	v_add_f64 v[26:27], v[212:213], -v[26:27]
	v_fmac_f64_e32 v[154:155], v[156:157], v[62:63]
	s_waitcnt lgkmcnt(1)
	v_mul_f64 v[156:157], v[188:189], v[60:61]
	v_add_f64 v[26:27], v[26:27], -v[154:155]
	v_mul_f64 v[154:155], v[190:191], v[60:61]
	v_fmac_f64_e32 v[156:157], v[190:191], v[58:59]
	v_add_f64 v[28:29], v[28:29], -v[186:187]
	v_fma_f64 v[154:155], v[188:189], v[58:59], -v[154:155]
	v_add_f64 v[156:157], v[26:27], -v[156:157]
	s_waitcnt lgkmcnt(0)
	v_mul_f64 v[26:27], v[210:211], v[56:57]
	v_add_f64 v[154:155], v[28:29], -v[154:155]
	v_fma_f64 v[186:187], v[208:209], v[54:55], -v[26:27]
	ds_read_b128 v[26:29], v181 offset:352
	v_mul_f64 v[188:189], v[208:209], v[56:57]
	v_fmac_f64_e32 v[188:189], v[210:211], v[54:55]
	v_add_f64 v[190:191], v[154:155], -v[186:187]
	s_lshl_b32 s10, s10, 9
	s_waitcnt lgkmcnt(0)
	v_mul_f64 v[154:155], v[28:29], v[52:53]
	v_add_f64 v[208:209], v[156:157], -v[188:189]
	v_fma_f64 v[210:211], v[26:27], v[50:51], -v[154:155]
	ds_read_b128 v[154:157], v182 offset:352
	s_add_i32 s11, s4, s10
	v_mov_b32_e32 v184, s11
	ds_read_b128 v[204:207], v184 offset:352
	v_add_u32_e32 v185, s10, v1
	s_or_b32 s10, s7, 22
	v_mul_f64 v[26:27], v[26:27], v[52:53]
	s_mul_i32 s11, s10, 0x210
	ds_write_b128 v185, v[38:41]
	v_fmac_f64_e32 v[26:27], v[28:29], v[50:51]
	v_add_f64 v[28:29], v[190:191], -v[210:211]
	s_waitcnt lgkmcnt(2)
	v_mul_f64 v[190:191], v[156:157], v[48:49]
	v_mov_b32_e32 v185, s11
	v_fma_f64 v[190:191], v[154:155], v[46:47], -v[190:191]
	v_mul_f64 v[154:155], v[154:155], v[48:49]
	ds_read_b128 v[224:227], v185
	v_add_f64 v[26:27], v[208:209], -v[26:27]
	v_fmac_f64_e32 v[154:155], v[156:157], v[46:47]
	v_add_f64 v[26:27], v[26:27], -v[154:155]
	s_waitcnt lgkmcnt(2)
	v_mul_f64 v[154:155], v[206:207], v[40:41]
	v_mul_f64 v[156:157], v[204:205], v[40:41]
	ds_read_b128 v[228:231], v164 offset:368
	v_add_f64 v[28:29], v[28:29], -v[190:191]
	v_fma_f64 v[154:155], v[204:205], v[38:39], -v[154:155]
	v_fmac_f64_e32 v[156:157], v[206:207], v[38:39]
	v_add_f64 v[190:191], v[28:29], -v[154:155]
	v_add_f64 v[28:29], v[26:27], -v[156:157]
	s_waitcnt lgkmcnt(1)
	v_mul_f64 v[26:27], v[226:227], v[28:29]
	v_mul_f64 v[28:29], v[224:225], v[28:29]
	v_fma_f64 v[26:27], v[224:225], v[190:191], -v[26:27]
	v_fmac_f64_e32 v[28:29], v[226:227], v[190:191]
	v_mul_f64 v[190:191], v[198:199], v[24:25]
	v_fma_f64 v[190:191], v[196:197], v[22:23], -v[190:191]
	v_mul_f64 v[196:197], v[196:197], v[24:25]
	v_fmac_f64_e32 v[196:197], v[198:199], v[22:23]
	v_add_f64 v[190:191], v[18:19], -v[190:191]
	s_waitcnt lgkmcnt(0)
	v_mul_f64 v[18:19], v[230:231], v[32:33]
	v_add_f64 v[196:197], v[20:21], -v[196:197]
	v_fma_f64 v[198:199], v[228:229], v[30:31], -v[18:19]
	ds_read_b128 v[18:21], v165 offset:368
	v_mul_f64 v[204:205], v[228:229], v[32:33]
	v_fmac_f64_e32 v[204:205], v[230:231], v[30:31]
	v_add_f64 v[224:225], v[196:197], -v[204:205]
	ds_read_b128 v[192:195], v167 offset:368
	s_waitcnt lgkmcnt(1)
	v_mul_f64 v[204:205], v[20:21], v[36:37]
	v_fma_f64 v[226:227], v[18:19], v[34:35], -v[204:205]
	ds_read_b128 v[204:207], v166 offset:368
	v_add_f64 v[190:191], v[190:191], -v[198:199]
	v_mul_f64 v[18:19], v[18:19], v[36:37]
	ds_read_b128 v[232:235], v168 offset:368
	v_fmac_f64_e32 v[18:19], v[20:21], v[34:35]
	v_add_f64 v[20:21], v[190:191], -v[226:227]
	s_waitcnt lgkmcnt(1)
	v_mul_f64 v[190:191], v[206:207], v[44:45]
	v_fma_f64 v[190:191], v[204:205], v[42:43], -v[190:191]
	v_mul_f64 v[204:205], v[204:205], v[44:45]
	v_add_f64 v[20:21], v[20:21], -v[190:191]
	v_mul_f64 v[190:191], v[194:195], v[124:125]
	v_add_f64 v[18:19], v[224:225], -v[18:19]
	v_fmac_f64_e32 v[204:205], v[206:207], v[42:43]
	v_fma_f64 v[190:191], v[192:193], v[122:123], -v[190:191]
	v_mul_f64 v[192:193], v[192:193], v[124:125]
	v_add_f64 v[18:19], v[18:19], -v[204:205]
	v_fmac_f64_e32 v[192:193], v[194:195], v[122:123]
	v_add_f64 v[192:193], v[18:19], -v[192:193]
	s_waitcnt lgkmcnt(0)
	v_mul_f64 v[18:19], v[234:235], v[108:109]
	v_add_f64 v[190:191], v[20:21], -v[190:191]
	v_fma_f64 v[194:195], v[232:233], v[106:107], -v[18:19]
	ds_read_b128 v[18:21], v170 offset:368
	v_mul_f64 v[204:205], v[232:233], v[108:109]
	v_fmac_f64_e32 v[204:205], v[234:235], v[106:107]
	v_add_f64 v[228:229], v[192:193], -v[204:205]
	ds_read_b128 v[200:203], v169 offset:368
	s_waitcnt lgkmcnt(1)
	v_mul_f64 v[204:205], v[20:21], v[104:105]
	v_fma_f64 v[230:231], v[18:19], v[102:103], -v[204:205]
	ds_read_b128 v[204:207], v171 offset:368
	v_add_f64 v[194:195], v[190:191], -v[194:195]
	v_mul_f64 v[18:19], v[18:19], v[104:105]
	v_fmac_f64_e32 v[18:19], v[20:21], v[102:103]
	v_add_f64 v[20:21], v[194:195], -v[230:231]
	s_waitcnt lgkmcnt(0)
	v_mul_f64 v[194:195], v[206:207], v[100:101]
	v_fma_f64 v[194:195], v[204:205], v[98:99], -v[194:195]
	v_mul_f64 v[204:205], v[204:205], v[100:101]
	v_add_f64 v[18:19], v[228:229], -v[18:19]
	v_fmac_f64_e32 v[204:205], v[206:207], v[98:99]
	v_add_f64 v[204:205], v[18:19], -v[204:205]
	v_mul_f64 v[18:19], v[202:203], v[96:97]
	v_add_f64 v[194:195], v[20:21], -v[194:195]
	v_fma_f64 v[206:207], v[200:201], v[94:95], -v[18:19]
	ds_read_b128 v[18:21], v172 offset:368
	v_mul_f64 v[200:201], v[200:201], v[96:97]
	v_fmac_f64_e32 v[200:201], v[202:203], v[94:95]
	v_add_f64 v[232:233], v[204:205], -v[200:201]
	v_add_f64 v[194:195], v[194:195], -v[206:207]
	s_waitcnt lgkmcnt(0)
	v_mul_f64 v[204:205], v[20:21], v[120:121]
	v_fma_f64 v[234:235], v[18:19], v[118:119], -v[204:205]
	ds_read_b128 v[204:207], v175 offset:368
	ds_read_b128 v[216:219], v173 offset:368
	v_mul_f64 v[18:19], v[18:19], v[120:121]
	ds_read_b128 v[220:223], v174 offset:368
	v_fmac_f64_e32 v[18:19], v[20:21], v[118:119]
	v_add_f64 v[20:21], v[194:195], -v[234:235]
	s_waitcnt lgkmcnt(2)
	v_mul_f64 v[194:195], v[206:207], v[88:89]
	v_fma_f64 v[194:195], v[204:205], v[86:87], -v[194:195]
	v_mul_f64 v[204:205], v[204:205], v[88:89]
	v_add_f64 v[18:19], v[232:233], -v[18:19]
	v_fmac_f64_e32 v[204:205], v[206:207], v[86:87]
	v_add_f64 v[18:19], v[18:19], -v[204:205]
	s_waitcnt lgkmcnt(1)
	v_mul_f64 v[204:205], v[216:217], v[84:85]
	v_add_f64 v[20:21], v[20:21], -v[194:195]
	v_mul_f64 v[194:195], v[218:219], v[84:85]
	v_fmac_f64_e32 v[204:205], v[218:219], v[82:83]
	v_fma_f64 v[194:195], v[216:217], v[82:83], -v[194:195]
	v_add_f64 v[204:205], v[18:19], -v[204:205]
	s_waitcnt lgkmcnt(0)
	v_mul_f64 v[18:19], v[222:223], v[80:81]
	v_add_f64 v[194:195], v[20:21], -v[194:195]
	v_fma_f64 v[206:207], v[220:221], v[78:79], -v[18:19]
	ds_read_b128 v[18:21], v176 offset:368
	v_mul_f64 v[216:217], v[220:221], v[80:81]
	v_fmac_f64_e32 v[216:217], v[222:223], v[78:79]
	v_add_f64 v[220:221], v[204:205], -v[216:217]
	ds_read_b128 v[158:161], v177 offset:368
	s_waitcnt lgkmcnt(1)
	v_mul_f64 v[216:217], v[20:21], v[76:77]
	v_fma_f64 v[222:223], v[18:19], v[74:75], -v[216:217]
	ds_read_b128 v[216:219], v179 offset:368
	v_add_f64 v[194:195], v[194:195], -v[206:207]
	v_mul_f64 v[18:19], v[18:19], v[76:77]
	ds_read_b128 v[212:215], v178 offset:368
	v_fmac_f64_e32 v[18:19], v[20:21], v[74:75]
	v_add_f64 v[20:21], v[194:195], -v[222:223]
	s_waitcnt lgkmcnt(1)
	v_mul_f64 v[194:195], v[218:219], v[72:73]
	v_fma_f64 v[194:195], v[216:217], v[70:71], -v[194:195]
	v_mul_f64 v[216:217], v[216:217], v[72:73]
	v_add_f64 v[20:21], v[20:21], -v[194:195]
	v_mul_f64 v[194:195], v[160:161], v[68:69]
	v_add_f64 v[18:19], v[220:221], -v[18:19]
	v_fmac_f64_e32 v[216:217], v[218:219], v[70:71]
	v_fma_f64 v[194:195], v[158:159], v[66:67], -v[194:195]
	v_mul_f64 v[158:159], v[158:159], v[68:69]
	v_add_f64 v[18:19], v[18:19], -v[216:217]
	v_fmac_f64_e32 v[158:159], v[160:161], v[66:67]
	v_add_f64 v[158:159], v[18:19], -v[158:159]
	s_waitcnt lgkmcnt(0)
	v_mul_f64 v[18:19], v[214:215], v[64:65]
	v_add_f64 v[160:161], v[20:21], -v[194:195]
	v_fma_f64 v[194:195], v[212:213], v[62:63], -v[18:19]
	ds_read_b128 v[18:21], v180 offset:368
	v_mul_f64 v[212:213], v[212:213], v[64:65]
	v_fmac_f64_e32 v[212:213], v[214:215], v[62:63]
	v_add_f64 v[216:217], v[158:159], -v[212:213]
	v_add_f64 v[194:195], v[160:161], -v[194:195]
	s_waitcnt lgkmcnt(0)
	v_mul_f64 v[158:159], v[20:21], v[60:61]
	v_fma_f64 v[218:219], v[18:19], v[58:59], -v[158:159]
	ds_read_b128 v[158:161], v183 offset:368
	ds_read_b128 v[186:189], v181 offset:368
	;; [unrolled: 1-line block ×3, first 2 shown]
	v_mul_f64 v[18:19], v[18:19], v[60:61]
	v_fmac_f64_e32 v[18:19], v[20:21], v[58:59]
	v_add_f64 v[20:21], v[194:195], -v[218:219]
	s_waitcnt lgkmcnt(2)
	v_mul_f64 v[194:195], v[160:161], v[56:57]
	v_fma_f64 v[194:195], v[158:159], v[54:55], -v[194:195]
	v_mul_f64 v[158:159], v[158:159], v[56:57]
	v_add_f64 v[18:19], v[216:217], -v[18:19]
	v_fmac_f64_e32 v[158:159], v[160:161], v[54:55]
	s_waitcnt lgkmcnt(1)
	v_mul_f64 v[160:161], v[186:187], v[52:53]
	v_add_f64 v[18:19], v[18:19], -v[158:159]
	v_mul_f64 v[158:159], v[188:189], v[52:53]
	v_fmac_f64_e32 v[160:161], v[188:189], v[50:51]
	v_add_f64 v[20:21], v[20:21], -v[194:195]
	v_fma_f64 v[158:159], v[186:187], v[50:51], -v[158:159]
	v_add_f64 v[160:161], v[18:19], -v[160:161]
	s_waitcnt lgkmcnt(0)
	v_mul_f64 v[18:19], v[210:211], v[48:49]
	v_add_f64 v[158:159], v[20:21], -v[158:159]
	v_fma_f64 v[186:187], v[208:209], v[46:47], -v[18:19]
	ds_read_b128 v[18:21], v184 offset:368
	s_lshl_b32 s10, s10, 9
	v_add_u32_e32 v185, s10, v1
	v_mul_f64 v[188:189], v[208:209], v[48:49]
	s_add_i32 s10, s4, s10
	v_fmac_f64_e32 v[188:189], v[210:211], v[46:47]
	v_add_f64 v[194:195], v[158:159], -v[186:187]
	s_waitcnt lgkmcnt(0)
	v_mul_f64 v[158:159], v[20:21], v[40:41]
	v_mov_b32_e32 v248, s10
	v_add_f64 v[208:209], v[160:161], -v[188:189]
	v_fma_f64 v[210:211], v[18:19], v[38:39], -v[158:159]
	ds_read_b128 v[158:161], v248 offset:368
	s_or_b32 s10, s7, 23
	s_mul_i32 s11, s10, 0x210
	ds_write_b128 v185, v[26:29]
	v_mov_b32_e32 v185, s11
	v_mul_f64 v[18:19], v[18:19], v[40:41]
	ds_read_b128 v[236:239], v185
	v_fmac_f64_e32 v[18:19], v[20:21], v[38:39]
	v_add_f64 v[20:21], v[194:195], -v[210:211]
	s_waitcnt lgkmcnt(2)
	v_mul_f64 v[194:195], v[160:161], v[28:29]
	v_fma_f64 v[194:195], v[158:159], v[26:27], -v[194:195]
	v_mul_f64 v[158:159], v[158:159], v[28:29]
	v_add_f64 v[18:19], v[208:209], -v[18:19]
	v_fmac_f64_e32 v[158:159], v[160:161], v[26:27]
	v_add_f64 v[194:195], v[20:21], -v[194:195]
	v_add_f64 v[20:21], v[18:19], -v[158:159]
	s_waitcnt lgkmcnt(0)
	v_mul_f64 v[18:19], v[238:239], v[20:21]
	v_mul_f64 v[20:21], v[236:237], v[20:21]
	v_fma_f64 v[18:19], v[236:237], v[194:195], -v[18:19]
	v_fmac_f64_e32 v[20:21], v[238:239], v[194:195]
	ds_read_b128 v[236:239], v163 offset:384
	ds_read_b128 v[196:199], v165 offset:384
	;; [unrolled: 1-line block ×5, first 2 shown]
	s_waitcnt lgkmcnt(4)
	v_mul_f64 v[194:195], v[238:239], v[24:25]
	v_fma_f64 v[194:195], v[236:237], v[22:23], -v[194:195]
	v_add_f64 v[14:15], v[14:15], -v[194:195]
	v_mul_f64 v[194:195], v[246:247], v[32:33]
	v_mul_f64 v[236:237], v[236:237], v[24:25]
	v_fma_f64 v[194:195], v[244:245], v[30:31], -v[194:195]
	v_fmac_f64_e32 v[236:237], v[238:239], v[22:23]
	v_mul_f64 v[244:245], v[244:245], v[32:33]
	v_add_f64 v[14:15], v[14:15], -v[194:195]
	s_waitcnt lgkmcnt(3)
	v_mul_f64 v[194:195], v[198:199], v[36:37]
	v_add_f64 v[16:17], v[16:17], -v[236:237]
	v_fmac_f64_e32 v[244:245], v[246:247], v[30:31]
	v_fma_f64 v[194:195], v[196:197], v[34:35], -v[194:195]
	v_mul_f64 v[196:197], v[196:197], v[36:37]
	v_add_f64 v[16:17], v[16:17], -v[244:245]
	v_fmac_f64_e32 v[196:197], v[198:199], v[34:35]
	v_add_f64 v[194:195], v[14:15], -v[194:195]
	s_waitcnt lgkmcnt(2)
	v_mul_f64 v[14:15], v[226:227], v[44:45]
	v_add_f64 v[196:197], v[16:17], -v[196:197]
	v_fma_f64 v[198:199], v[224:225], v[42:43], -v[14:15]
	ds_read_b128 v[14:17], v167 offset:384
	v_mul_f64 v[224:225], v[224:225], v[44:45]
	v_fmac_f64_e32 v[224:225], v[226:227], v[42:43]
	v_add_f64 v[244:245], v[196:197], -v[224:225]
	v_add_f64 v[198:199], v[194:195], -v[198:199]
	s_waitcnt lgkmcnt(0)
	v_mul_f64 v[224:225], v[16:17], v[124:125]
	v_fma_f64 v[246:247], v[14:15], v[122:123], -v[224:225]
	ds_read_b128 v[224:227], v168 offset:384
	v_mul_f64 v[14:15], v[14:15], v[124:125]
	v_fmac_f64_e32 v[14:15], v[16:17], v[122:123]
	v_add_f64 v[16:17], v[198:199], -v[246:247]
	v_add_f64 v[14:15], v[244:245], -v[14:15]
	s_waitcnt lgkmcnt(0)
	v_mul_f64 v[198:199], v[226:227], v[108:109]
	v_fma_f64 v[198:199], v[224:225], v[106:107], -v[198:199]
	v_mul_f64 v[224:225], v[224:225], v[108:109]
	v_add_f64 v[16:17], v[16:17], -v[198:199]
	v_mul_f64 v[198:199], v[192:193], v[104:105]
	v_fmac_f64_e32 v[224:225], v[226:227], v[106:107]
	v_fma_f64 v[198:199], v[190:191], v[102:103], -v[198:199]
	v_mul_f64 v[190:191], v[190:191], v[104:105]
	v_add_f64 v[14:15], v[14:15], -v[224:225]
	v_fmac_f64_e32 v[190:191], v[192:193], v[102:103]
	v_add_f64 v[190:191], v[14:15], -v[190:191]
	v_mul_f64 v[14:15], v[230:231], v[100:101]
	v_add_f64 v[192:193], v[16:17], -v[198:199]
	v_fma_f64 v[198:199], v[228:229], v[98:99], -v[14:15]
	ds_read_b128 v[14:17], v169 offset:384
	ds_read_b128 v[200:203], v172 offset:384
	;; [unrolled: 1-line block ×3, first 2 shown]
	v_mul_f64 v[224:225], v[228:229], v[100:101]
	v_add_f64 v[198:199], v[192:193], -v[198:199]
	s_waitcnt lgkmcnt(2)
	v_mul_f64 v[226:227], v[16:17], v[96:97]
	v_fma_f64 v[226:227], v[14:15], v[94:95], -v[226:227]
	v_mul_f64 v[14:15], v[14:15], v[96:97]
	v_fmac_f64_e32 v[224:225], v[230:231], v[98:99]
	v_fmac_f64_e32 v[14:15], v[16:17], v[94:95]
	v_add_f64 v[16:17], v[198:199], -v[226:227]
	s_waitcnt lgkmcnt(1)
	v_mul_f64 v[198:199], v[202:203], v[120:121]
	v_add_f64 v[224:225], v[190:191], -v[224:225]
	v_fma_f64 v[198:199], v[200:201], v[118:119], -v[198:199]
	v_mul_f64 v[200:201], v[200:201], v[120:121]
	v_add_f64 v[14:15], v[224:225], -v[14:15]
	v_fmac_f64_e32 v[200:201], v[202:203], v[118:119]
	v_add_f64 v[200:201], v[14:15], -v[200:201]
	s_waitcnt lgkmcnt(0)
	v_mul_f64 v[14:15], v[234:235], v[88:89]
	v_add_f64 v[198:199], v[16:17], -v[198:199]
	v_fma_f64 v[202:203], v[232:233], v[86:87], -v[14:15]
	ds_read_b128 v[14:17], v173 offset:384
	v_mul_f64 v[224:225], v[232:233], v[88:89]
	v_fmac_f64_e32 v[224:225], v[234:235], v[86:87]
	v_add_f64 v[228:229], v[200:201], -v[224:225]
	ds_read_b128 v[204:207], v176 offset:384
	s_waitcnt lgkmcnt(1)
	v_mul_f64 v[224:225], v[16:17], v[84:85]
	v_fma_f64 v[230:231], v[14:15], v[82:83], -v[224:225]
	ds_read_b128 v[224:227], v174 offset:384
	v_add_f64 v[202:203], v[198:199], -v[202:203]
	v_mul_f64 v[14:15], v[14:15], v[84:85]
	ds_read_b128 v[220:223], v179 offset:384
	v_fmac_f64_e32 v[14:15], v[16:17], v[82:83]
	v_add_f64 v[16:17], v[202:203], -v[230:231]
	s_waitcnt lgkmcnt(1)
	v_mul_f64 v[202:203], v[226:227], v[80:81]
	v_fma_f64 v[202:203], v[224:225], v[78:79], -v[202:203]
	v_mul_f64 v[224:225], v[224:225], v[80:81]
	v_add_f64 v[16:17], v[16:17], -v[202:203]
	v_mul_f64 v[202:203], v[206:207], v[76:77]
	v_add_f64 v[14:15], v[228:229], -v[14:15]
	v_fmac_f64_e32 v[224:225], v[226:227], v[78:79]
	v_fma_f64 v[202:203], v[204:205], v[74:75], -v[202:203]
	v_mul_f64 v[204:205], v[204:205], v[76:77]
	v_add_f64 v[14:15], v[14:15], -v[224:225]
	v_fmac_f64_e32 v[204:205], v[206:207], v[74:75]
	v_add_f64 v[204:205], v[14:15], -v[204:205]
	s_waitcnt lgkmcnt(0)
	v_mul_f64 v[14:15], v[222:223], v[72:73]
	v_add_f64 v[202:203], v[16:17], -v[202:203]
	v_fma_f64 v[206:207], v[220:221], v[70:71], -v[14:15]
	ds_read_b128 v[14:17], v177 offset:384
	v_mul_f64 v[220:221], v[220:221], v[72:73]
	v_fmac_f64_e32 v[220:221], v[222:223], v[70:71]
	v_add_f64 v[224:225], v[204:205], -v[220:221]
	ds_read_b128 v[212:215], v180 offset:384
	s_waitcnt lgkmcnt(1)
	v_mul_f64 v[220:221], v[16:17], v[68:69]
	v_fma_f64 v[226:227], v[14:15], v[66:67], -v[220:221]
	ds_read_b128 v[220:223], v178 offset:384
	v_add_f64 v[206:207], v[202:203], -v[206:207]
	v_mul_f64 v[14:15], v[14:15], v[68:69]
	ds_read_b128 v[216:219], v183 offset:384
	v_fmac_f64_e32 v[14:15], v[16:17], v[66:67]
	v_add_f64 v[16:17], v[206:207], -v[226:227]
	s_waitcnt lgkmcnt(1)
	v_mul_f64 v[206:207], v[222:223], v[64:65]
	v_fma_f64 v[206:207], v[220:221], v[62:63], -v[206:207]
	v_mul_f64 v[220:221], v[220:221], v[64:65]
	v_add_f64 v[16:17], v[16:17], -v[206:207]
	v_mul_f64 v[206:207], v[214:215], v[60:61]
	v_add_f64 v[14:15], v[224:225], -v[14:15]
	v_fmac_f64_e32 v[220:221], v[222:223], v[62:63]
	v_fma_f64 v[206:207], v[212:213], v[58:59], -v[206:207]
	v_mul_f64 v[212:213], v[212:213], v[60:61]
	v_add_f64 v[14:15], v[14:15], -v[220:221]
	v_fmac_f64_e32 v[212:213], v[214:215], v[58:59]
	v_add_f64 v[212:213], v[14:15], -v[212:213]
	s_waitcnt lgkmcnt(0)
	v_mul_f64 v[14:15], v[218:219], v[56:57]
	v_add_f64 v[206:207], v[16:17], -v[206:207]
	v_fma_f64 v[214:215], v[216:217], v[54:55], -v[14:15]
	ds_read_b128 v[14:17], v181 offset:384
	v_mul_f64 v[216:217], v[216:217], v[56:57]
	v_fmac_f64_e32 v[216:217], v[218:219], v[54:55]
	v_add_f64 v[220:221], v[212:213], -v[216:217]
	ds_read_b128 v[186:189], v184 offset:384
	s_waitcnt lgkmcnt(1)
	v_mul_f64 v[216:217], v[16:17], v[52:53]
	v_fma_f64 v[222:223], v[14:15], v[50:51], -v[216:217]
	ds_read_b128 v[216:219], v182 offset:384
	v_add_f64 v[206:207], v[206:207], -v[214:215]
	v_mul_f64 v[14:15], v[14:15], v[52:53]
	ds_read_b128 v[208:211], v248 offset:384
	v_fmac_f64_e32 v[14:15], v[16:17], v[50:51]
	v_add_f64 v[16:17], v[206:207], -v[222:223]
	s_waitcnt lgkmcnt(1)
	v_mul_f64 v[206:207], v[218:219], v[48:49]
	v_fma_f64 v[206:207], v[216:217], v[46:47], -v[206:207]
	v_mul_f64 v[216:217], v[216:217], v[48:49]
	v_add_f64 v[16:17], v[16:17], -v[206:207]
	v_mul_f64 v[206:207], v[188:189], v[40:41]
	s_lshl_b32 s10, s10, 9
	v_add_f64 v[14:15], v[220:221], -v[14:15]
	v_fmac_f64_e32 v[216:217], v[218:219], v[46:47]
	v_fma_f64 v[206:207], v[186:187], v[38:39], -v[206:207]
	v_mul_f64 v[186:187], v[186:187], v[40:41]
	v_add_u32_e32 v185, s10, v1
	v_add_f64 v[14:15], v[14:15], -v[216:217]
	v_fmac_f64_e32 v[186:187], v[188:189], v[38:39]
	s_add_i32 s10, s4, s10
	v_add_f64 v[186:187], v[14:15], -v[186:187]
	s_waitcnt lgkmcnt(0)
	v_mul_f64 v[14:15], v[210:211], v[28:29]
	v_mov_b32_e32 v252, s10
	v_add_f64 v[188:189], v[16:17], -v[206:207]
	v_fma_f64 v[206:207], v[208:209], v[26:27], -v[14:15]
	ds_read_b128 v[14:17], v252 offset:384
	v_mul_f64 v[208:209], v[208:209], v[28:29]
	v_fmac_f64_e32 v[208:209], v[210:211], v[26:27]
	s_or_b32 s10, s7, 24
	v_add_f64 v[208:209], v[186:187], -v[208:209]
	s_waitcnt lgkmcnt(0)
	v_mul_f64 v[210:211], v[16:17], v[20:21]
	v_fma_f64 v[210:211], v[14:15], v[18:19], -v[210:211]
	v_mul_f64 v[14:15], v[14:15], v[20:21]
	v_fmac_f64_e32 v[14:15], v[16:17], v[18:19]
	s_mul_i32 s11, s10, 0x210
	v_add_f64 v[206:207], v[188:189], -v[206:207]
	v_add_f64 v[16:17], v[208:209], -v[14:15]
	v_mov_b32_e32 v14, s11
	v_add_f64 v[210:211], v[206:207], -v[210:211]
	ds_read_b128 v[206:209], v14
	ds_read_b128 v[236:239], v164 offset:400
	ds_read_b128 v[194:197], v167 offset:400
	;; [unrolled: 1-line block ×4, first 2 shown]
	s_waitcnt lgkmcnt(4)
	v_mul_f64 v[14:15], v[208:209], v[16:17]
	v_fma_f64 v[14:15], v[206:207], v[210:211], -v[14:15]
	v_mul_f64 v[16:17], v[206:207], v[16:17]
	v_mul_f64 v[206:207], v[242:243], v[24:25]
	v_fmac_f64_e32 v[16:17], v[208:209], v[210:211]
	v_fma_f64 v[206:207], v[240:241], v[22:23], -v[206:207]
	v_mul_f64 v[208:209], v[240:241], v[24:25]
	v_fmac_f64_e32 v[208:209], v[242:243], v[22:23]
	v_add_f64 v[206:207], v[10:11], -v[206:207]
	s_waitcnt lgkmcnt(3)
	v_mul_f64 v[10:11], v[238:239], v[32:33]
	v_add_f64 v[208:209], v[12:13], -v[208:209]
	v_fma_f64 v[210:211], v[236:237], v[30:31], -v[10:11]
	ds_read_b128 v[10:13], v165 offset:400
	v_mul_f64 v[232:233], v[236:237], v[32:33]
	v_fmac_f64_e32 v[232:233], v[238:239], v[30:31]
	v_add_f64 v[236:237], v[208:209], -v[232:233]
	v_add_f64 v[210:211], v[206:207], -v[210:211]
	s_waitcnt lgkmcnt(0)
	v_mul_f64 v[232:233], v[12:13], v[36:37]
	v_fma_f64 v[238:239], v[10:11], v[34:35], -v[232:233]
	ds_read_b128 v[232:235], v166 offset:400
	v_mul_f64 v[10:11], v[10:11], v[36:37]
	v_fmac_f64_e32 v[10:11], v[12:13], v[34:35]
	v_add_f64 v[12:13], v[210:211], -v[238:239]
	v_add_f64 v[10:11], v[236:237], -v[10:11]
	s_waitcnt lgkmcnt(0)
	v_mul_f64 v[210:211], v[234:235], v[44:45]
	v_fma_f64 v[210:211], v[232:233], v[42:43], -v[210:211]
	v_mul_f64 v[232:233], v[232:233], v[44:45]
	v_add_f64 v[12:13], v[12:13], -v[210:211]
	v_mul_f64 v[210:211], v[196:197], v[124:125]
	v_fmac_f64_e32 v[232:233], v[234:235], v[42:43]
	v_fma_f64 v[210:211], v[194:195], v[122:123], -v[210:211]
	v_mul_f64 v[194:195], v[194:195], v[124:125]
	v_add_f64 v[10:11], v[10:11], -v[232:233]
	v_fmac_f64_e32 v[194:195], v[196:197], v[122:123]
	v_add_f64 v[194:195], v[10:11], -v[194:195]
	v_mul_f64 v[10:11], v[246:247], v[108:109]
	v_add_f64 v[196:197], v[12:13], -v[210:211]
	v_fma_f64 v[210:211], v[244:245], v[106:107], -v[10:11]
	ds_read_b128 v[10:13], v170 offset:400
	v_mul_f64 v[232:233], v[244:245], v[108:109]
	v_fmac_f64_e32 v[232:233], v[246:247], v[106:107]
	v_add_f64 v[240:241], v[194:195], -v[232:233]
	v_add_f64 v[210:211], v[196:197], -v[210:211]
	s_waitcnt lgkmcnt(0)
	v_mul_f64 v[232:233], v[12:13], v[104:105]
	v_fma_f64 v[242:243], v[10:11], v[102:103], -v[232:233]
	ds_read_b128 v[232:235], v171 offset:400
	v_mul_f64 v[10:11], v[10:11], v[104:105]
	v_fmac_f64_e32 v[10:11], v[12:13], v[102:103]
	v_add_f64 v[12:13], v[210:211], -v[242:243]
	ds_read_b128 v[90:93], v171 offset:432
	s_waitcnt lgkmcnt(1)
	v_mul_f64 v[210:211], v[232:233], v[100:101]
	ds_read_b128 v[194:197], v170 offset:416
	v_add_f64 v[10:11], v[240:241], -v[10:11]
	ds_read_b128 v[240:243], v171 offset:416
	v_mul_f64 v[170:171], v[234:235], v[100:101]
	v_fmac_f64_e32 v[210:211], v[234:235], v[98:99]
	v_fma_f64 v[170:171], v[232:233], v[98:99], -v[170:171]
	v_add_f64 v[210:211], v[10:11], -v[210:211]
	v_mul_f64 v[10:11], v[192:193], v[96:97]
	v_add_f64 v[170:171], v[12:13], -v[170:171]
	v_fma_f64 v[232:233], v[190:191], v[94:95], -v[10:11]
	ds_read_b128 v[10:13], v172 offset:400
	v_add_f64 v[170:171], v[170:171], -v[232:233]
	ds_read_b128 v[198:201], v173 offset:400
	v_mul_f64 v[190:191], v[190:191], v[96:97]
	ds_read_b128 v[228:231], v174 offset:400
	s_waitcnt lgkmcnt(2)
	v_mul_f64 v[232:233], v[12:13], v[120:121]
	v_fma_f64 v[244:245], v[10:11], v[118:119], -v[232:233]
	ds_read_b128 v[232:235], v175 offset:400
	v_mul_f64 v[10:11], v[10:11], v[120:121]
	v_fmac_f64_e32 v[190:191], v[192:193], v[94:95]
	v_fmac_f64_e32 v[10:11], v[12:13], v[118:119]
	v_add_f64 v[12:13], v[170:171], -v[244:245]
	s_waitcnt lgkmcnt(0)
	v_mul_f64 v[170:171], v[234:235], v[88:89]
	v_add_f64 v[210:211], v[210:211], -v[190:191]
	v_fma_f64 v[170:171], v[232:233], v[86:87], -v[170:171]
	v_add_f64 v[10:11], v[210:211], -v[10:11]
	v_mul_f64 v[210:211], v[232:233], v[88:89]
	v_add_f64 v[12:13], v[12:13], -v[170:171]
	v_mul_f64 v[170:171], v[200:201], v[84:85]
	v_fmac_f64_e32 v[210:211], v[234:235], v[86:87]
	v_fma_f64 v[170:171], v[198:199], v[82:83], -v[170:171]
	v_mul_f64 v[198:199], v[198:199], v[84:85]
	v_add_f64 v[10:11], v[10:11], -v[210:211]
	v_fmac_f64_e32 v[198:199], v[200:201], v[82:83]
	v_add_f64 v[198:199], v[10:11], -v[198:199]
	v_mul_f64 v[10:11], v[230:231], v[80:81]
	v_add_f64 v[170:171], v[12:13], -v[170:171]
	v_fma_f64 v[200:201], v[228:229], v[78:79], -v[10:11]
	ds_read_b128 v[10:13], v176 offset:400
	v_mul_f64 v[210:211], v[228:229], v[80:81]
	v_fmac_f64_e32 v[210:211], v[230:231], v[78:79]
	ds_read_b128 v[202:205], v177 offset:400
	v_add_f64 v[170:171], v[170:171], -v[200:201]
	s_waitcnt lgkmcnt(1)
	v_mul_f64 v[228:229], v[12:13], v[76:77]
	v_fma_f64 v[232:233], v[10:11], v[74:75], -v[228:229]
	ds_read_b128 v[228:231], v179 offset:400
	v_mul_f64 v[10:11], v[10:11], v[76:77]
	ds_read_b128 v[224:227], v178 offset:400
	v_fmac_f64_e32 v[10:11], v[12:13], v[74:75]
	v_add_f64 v[12:13], v[170:171], -v[232:233]
	s_waitcnt lgkmcnt(1)
	v_mul_f64 v[170:171], v[230:231], v[72:73]
	v_add_f64 v[210:211], v[198:199], -v[210:211]
	v_fma_f64 v[170:171], v[228:229], v[70:71], -v[170:171]
	v_add_f64 v[10:11], v[210:211], -v[10:11]
	v_mul_f64 v[210:211], v[228:229], v[72:73]
	v_add_f64 v[12:13], v[12:13], -v[170:171]
	v_mul_f64 v[170:171], v[204:205], v[68:69]
	v_fmac_f64_e32 v[210:211], v[230:231], v[70:71]
	v_fma_f64 v[170:171], v[202:203], v[66:67], -v[170:171]
	v_mul_f64 v[202:203], v[202:203], v[68:69]
	v_add_f64 v[10:11], v[10:11], -v[210:211]
	v_fmac_f64_e32 v[202:203], v[204:205], v[66:67]
	v_add_f64 v[202:203], v[10:11], -v[202:203]
	s_waitcnt lgkmcnt(0)
	v_mul_f64 v[10:11], v[226:227], v[64:65]
	v_add_f64 v[170:171], v[12:13], -v[170:171]
	v_fma_f64 v[204:205], v[224:225], v[62:63], -v[10:11]
	ds_read_b128 v[10:13], v180 offset:400
	v_mul_f64 v[210:211], v[224:225], v[64:65]
	v_fmac_f64_e32 v[210:211], v[226:227], v[62:63]
	ds_read_b128 v[212:215], v181 offset:400
	ds_read_b128 v[220:223], v182 offset:400
	s_waitcnt lgkmcnt(2)
	v_mul_f64 v[224:225], v[12:13], v[60:61]
	v_fma_f64 v[228:229], v[10:11], v[58:59], -v[224:225]
	ds_read_b128 v[224:227], v183 offset:400
	v_mul_f64 v[10:11], v[10:11], v[60:61]
	v_add_f64 v[210:211], v[202:203], -v[210:211]
	v_fmac_f64_e32 v[10:11], v[12:13], v[58:59]
	v_add_f64 v[170:171], v[170:171], -v[204:205]
	v_add_f64 v[10:11], v[210:211], -v[10:11]
	s_waitcnt lgkmcnt(0)
	v_mul_f64 v[210:211], v[224:225], v[56:57]
	v_add_f64 v[12:13], v[170:171], -v[228:229]
	v_mul_f64 v[170:171], v[226:227], v[56:57]
	v_fmac_f64_e32 v[210:211], v[226:227], v[54:55]
	v_fma_f64 v[170:171], v[224:225], v[54:55], -v[170:171]
	v_add_f64 v[10:11], v[10:11], -v[210:211]
	v_mul_f64 v[210:211], v[212:213], v[52:53]
	v_add_f64 v[12:13], v[12:13], -v[170:171]
	v_mul_f64 v[170:171], v[214:215], v[52:53]
	v_fmac_f64_e32 v[210:211], v[214:215], v[50:51]
	v_fma_f64 v[170:171], v[212:213], v[50:51], -v[170:171]
	v_add_f64 v[210:211], v[10:11], -v[210:211]
	v_mul_f64 v[10:11], v[222:223], v[48:49]
	v_add_f64 v[170:171], v[12:13], -v[170:171]
	v_fma_f64 v[212:213], v[220:221], v[46:47], -v[10:11]
	ds_read_b128 v[10:13], v184 offset:400
	v_mul_f64 v[214:215], v[220:221], v[48:49]
	v_fmac_f64_e32 v[214:215], v[222:223], v[46:47]
	ds_read_b128 v[220:223], v248 offset:400
	s_lshl_b32 s10, s10, 9
	ds_write_b128 v185, v[18:21]
	ds_read_b128 v[186:189], v252 offset:400
	s_add_i32 s11, s4, s10
	v_add_u32_e32 v185, s10, v1
	ds_read_b128 v[154:157], v184 offset:432
	v_mov_b32_e32 v253, s11
	ds_write_b128 v185, v[14:17]
	v_add_f64 v[170:171], v[170:171], -v[212:213]
	v_add_f64 v[214:215], v[210:211], -v[214:215]
	ds_read_b128 v[210:213], v184 offset:416
	s_waitcnt lgkmcnt(6)
	v_mul_f64 v[184:185], v[12:13], v[40:41]
	ds_read_b128 v[216:219], v253 offset:400
	v_fma_f64 v[184:185], v[10:11], v[38:39], -v[184:185]
	v_mul_f64 v[10:11], v[10:11], v[40:41]
	v_fmac_f64_e32 v[10:11], v[12:13], v[38:39]
	v_add_f64 v[12:13], v[170:171], -v[184:185]
	s_waitcnt lgkmcnt(6)
	v_mul_f64 v[170:171], v[222:223], v[28:29]
	v_mul_f64 v[184:185], v[220:221], v[28:29]
	v_add_f64 v[10:11], v[214:215], -v[10:11]
	v_fma_f64 v[170:171], v[220:221], v[26:27], -v[170:171]
	v_fmac_f64_e32 v[184:185], v[222:223], v[26:27]
	v_add_f64 v[12:13], v[12:13], -v[170:171]
	v_add_f64 v[10:11], v[10:11], -v[184:185]
	s_waitcnt lgkmcnt(4)
	v_mul_f64 v[170:171], v[188:189], v[20:21]
	v_mul_f64 v[184:185], v[186:187], v[20:21]
	v_fma_f64 v[170:171], v[186:187], v[18:19], -v[170:171]
	v_fmac_f64_e32 v[184:185], v[188:189], v[18:19]
	v_add_f64 v[12:13], v[12:13], -v[170:171]
	v_add_f64 v[10:11], v[10:11], -v[184:185]
	s_waitcnt lgkmcnt(0)
	v_mul_f64 v[170:171], v[218:219], v[16:17]
	v_mul_f64 v[184:185], v[216:217], v[16:17]
	s_or_b32 s10, s7, 25
	v_fma_f64 v[170:171], v[216:217], v[14:15], -v[170:171]
	v_fmac_f64_e32 v[184:185], v[218:219], v[14:15]
	s_mul_i32 s11, s10, 0x210
	v_add_f64 v[170:171], v[12:13], -v[170:171]
	v_add_f64 v[12:13], v[10:11], -v[184:185]
	v_mov_b32_e32 v10, s11
	ds_read_b128 v[184:187], v10
	ds_read_b128 v[218:221], v163 offset:416
	ds_read_b128 v[158:161], v248 offset:432
	;; [unrolled: 1-line block ×5, first 2 shown]
	s_waitcnt lgkmcnt(5)
	v_mul_f64 v[10:11], v[186:187], v[12:13]
	v_mul_f64 v[12:13], v[184:185], v[12:13]
	s_lshl_b32 s10, s10, 9
	v_fma_f64 v[10:11], v[184:185], v[170:171], -v[10:11]
	v_fmac_f64_e32 v[12:13], v[186:187], v[170:171]
	s_waitcnt lgkmcnt(4)
	v_mul_f64 v[170:171], v[220:221], v[24:25]
	v_mul_f64 v[188:189], v[218:219], v[24:25]
	v_add_u32_e32 v165, s10, v1
	v_fma_f64 v[170:171], v[218:219], v[22:23], -v[170:171]
	v_fmac_f64_e32 v[188:189], v[220:221], v[22:23]
	ds_write_b128 v165, v[10:13]
	v_add_f64 v[170:171], v[6:7], -v[170:171]
	v_add_f64 v[188:189], v[8:9], -v[188:189]
	ds_read_b128 v[6:9], v164 offset:432
	s_waitcnt lgkmcnt(3)
	v_mul_f64 v[164:165], v[250:251], v[32:33]
	v_mul_f64 v[218:219], v[248:249], v[32:33]
	v_fma_f64 v[164:165], v[248:249], v[30:31], -v[164:165]
	v_fmac_f64_e32 v[218:219], v[250:251], v[30:31]
	v_add_f64 v[164:165], v[170:171], -v[164:165]
	v_add_f64 v[170:171], v[188:189], -v[218:219]
	s_waitcnt lgkmcnt(2)
	v_mul_f64 v[188:189], v[208:209], v[36:37]
	ds_read_b128 v[236:239], v166 offset:416
	v_fma_f64 v[188:189], v[206:207], v[34:35], -v[188:189]
	v_mul_f64 v[206:207], v[206:207], v[36:37]
	v_fmac_f64_e32 v[206:207], v[208:209], v[34:35]
	v_add_f64 v[170:171], v[170:171], -v[206:207]
	ds_read_b128 v[206:209], v167 offset:416
	s_waitcnt lgkmcnt(1)
	v_mul_f64 v[218:219], v[236:237], v[44:45]
	v_fmac_f64_e32 v[218:219], v[238:239], v[42:43]
	v_add_f64 v[170:171], v[170:171], -v[218:219]
	v_add_f64 v[164:165], v[164:165], -v[188:189]
	s_waitcnt lgkmcnt(0)
	v_mul_f64 v[218:219], v[208:209], v[124:125]
	v_fma_f64 v[222:223], v[206:207], v[122:123], -v[218:219]
	ds_read_b128 v[218:221], v168 offset:416
	v_mul_f64 v[188:189], v[238:239], v[44:45]
	v_fma_f64 v[188:189], v[236:237], v[42:43], -v[188:189]
	v_add_f64 v[188:189], v[164:165], -v[188:189]
	v_mul_f64 v[206:207], v[206:207], v[124:125]
	v_add_f64 v[188:189], v[188:189], -v[222:223]
	s_waitcnt lgkmcnt(0)
	v_mul_f64 v[222:223], v[220:221], v[108:109]
	v_fmac_f64_e32 v[206:207], v[208:209], v[122:123]
	v_fma_f64 v[222:223], v[218:219], v[106:107], -v[222:223]
	v_mul_f64 v[218:219], v[218:219], v[108:109]
	v_add_f64 v[170:171], v[170:171], -v[206:207]
	v_fmac_f64_e32 v[218:219], v[220:221], v[106:107]
	v_add_f64 v[170:171], v[170:171], -v[218:219]
	v_mul_f64 v[218:219], v[196:197], v[104:105]
	v_fma_f64 v[218:219], v[194:195], v[102:103], -v[218:219]
	v_mul_f64 v[194:195], v[194:195], v[104:105]
	v_fmac_f64_e32 v[194:195], v[196:197], v[102:103]
	v_add_f64 v[188:189], v[188:189], -v[222:223]
	v_add_f64 v[170:171], v[170:171], -v[194:195]
	v_mul_f64 v[194:195], v[242:243], v[100:101]
	v_add_f64 v[188:189], v[188:189], -v[218:219]
	v_fma_f64 v[218:219], v[240:241], v[98:99], -v[194:195]
	ds_read_b128 v[194:197], v169 offset:416
	ds_read_b128 v[190:193], v172 offset:416
	v_mul_f64 v[220:221], v[240:241], v[100:101]
	ds_read_b128 v[244:247], v175 offset:416
	v_fmac_f64_e32 v[220:221], v[242:243], v[98:99]
	v_add_f64 v[188:189], v[188:189], -v[218:219]
	v_add_f64 v[218:219], v[170:171], -v[220:221]
	s_waitcnt lgkmcnt(2)
	v_mul_f64 v[220:221], v[196:197], v[96:97]
	v_fma_f64 v[220:221], v[194:195], v[94:95], -v[220:221]
	v_mul_f64 v[194:195], v[194:195], v[96:97]
	v_fmac_f64_e32 v[194:195], v[196:197], v[94:95]
	s_waitcnt lgkmcnt(1)
	v_mul_f64 v[196:197], v[192:193], v[120:121]
	v_add_f64 v[188:189], v[188:189], -v[220:221]
	v_fma_f64 v[196:197], v[190:191], v[118:119], -v[196:197]
	v_mul_f64 v[190:191], v[190:191], v[120:121]
	v_add_f64 v[194:195], v[218:219], -v[194:195]
	v_fmac_f64_e32 v[190:191], v[192:193], v[118:119]
	v_add_f64 v[192:193], v[188:189], -v[196:197]
	s_waitcnt lgkmcnt(0)
	v_mul_f64 v[188:189], v[246:247], v[88:89]
	v_add_f64 v[194:195], v[194:195], -v[190:191]
	v_fma_f64 v[196:197], v[244:245], v[86:87], -v[188:189]
	v_mul_f64 v[218:219], v[244:245], v[88:89]
	ds_read_b128 v[188:191], v173 offset:416
	v_fmac_f64_e32 v[218:219], v[246:247], v[86:87]
	v_add_f64 v[196:197], v[192:193], -v[196:197]
	v_add_f64 v[222:223], v[194:195], -v[218:219]
	ds_read_b128 v[192:195], v173 offset:432
	ds_read_b128 v[218:221], v174 offset:416
	ds_read_b128 v[198:201], v176 offset:416
	ds_read_b128 v[130:133], v172 offset:432
	s_waitcnt lgkmcnt(4)
	v_mul_f64 v[172:173], v[190:191], v[84:85]
	v_fma_f64 v[172:173], v[188:189], v[82:83], -v[172:173]
	v_mul_f64 v[188:189], v[188:189], v[84:85]
	ds_read_b128 v[232:235], v179 offset:416
	v_fmac_f64_e32 v[188:189], v[190:191], v[82:83]
	v_add_f64 v[190:191], v[196:197], -v[172:173]
	s_waitcnt lgkmcnt(3)
	v_mul_f64 v[196:197], v[220:221], v[80:81]
	v_fma_f64 v[196:197], v[218:219], v[78:79], -v[196:197]
	v_mul_f64 v[218:219], v[218:219], v[80:81]
	v_add_f64 v[190:191], v[190:191], -v[196:197]
	s_waitcnt lgkmcnt(2)
	v_mul_f64 v[196:197], v[200:201], v[76:77]
	v_add_f64 v[188:189], v[222:223], -v[188:189]
	v_fmac_f64_e32 v[218:219], v[220:221], v[78:79]
	v_fma_f64 v[196:197], v[198:199], v[74:75], -v[196:197]
	v_mul_f64 v[198:199], v[198:199], v[76:77]
	v_add_f64 v[188:189], v[188:189], -v[218:219]
	v_fmac_f64_e32 v[198:199], v[200:201], v[74:75]
	v_add_f64 v[198:199], v[188:189], -v[198:199]
	s_waitcnt lgkmcnt(0)
	v_mul_f64 v[188:189], v[234:235], v[72:73]
	v_add_f64 v[196:197], v[190:191], -v[196:197]
	v_fma_f64 v[200:201], v[232:233], v[70:71], -v[188:189]
	v_mul_f64 v[218:219], v[232:233], v[72:73]
	ds_read_b128 v[188:191], v177 offset:416
	v_fmac_f64_e32 v[218:219], v[234:235], v[70:71]
	v_add_f64 v[200:201], v[196:197], -v[200:201]
	v_add_f64 v[222:223], v[198:199], -v[218:219]
	ds_read_b128 v[196:199], v177 offset:432
	ds_read_b128 v[218:221], v178 offset:416
	;; [unrolled: 1-line block ×4, first 2 shown]
	s_waitcnt lgkmcnt(4)
	v_mul_f64 v[176:177], v[190:191], v[68:69]
	v_fma_f64 v[176:177], v[188:189], v[66:67], -v[176:177]
	v_mul_f64 v[188:189], v[188:189], v[68:69]
	ds_read_b128 v[228:231], v183 offset:416
	v_fmac_f64_e32 v[188:189], v[190:191], v[66:67]
	v_add_f64 v[190:191], v[200:201], -v[176:177]
	s_waitcnt lgkmcnt(3)
	v_mul_f64 v[200:201], v[220:221], v[64:65]
	v_fma_f64 v[200:201], v[218:219], v[62:63], -v[200:201]
	v_mul_f64 v[218:219], v[218:219], v[64:65]
	v_add_f64 v[190:191], v[190:191], -v[200:201]
	s_waitcnt lgkmcnt(2)
	v_mul_f64 v[200:201], v[204:205], v[60:61]
	v_add_f64 v[188:189], v[222:223], -v[188:189]
	v_fmac_f64_e32 v[218:219], v[220:221], v[62:63]
	v_fma_f64 v[200:201], v[202:203], v[58:59], -v[200:201]
	v_mul_f64 v[202:203], v[202:203], v[60:61]
	v_add_f64 v[188:189], v[188:189], -v[218:219]
	v_fmac_f64_e32 v[202:203], v[204:205], v[58:59]
	v_add_f64 v[202:203], v[188:189], -v[202:203]
	s_waitcnt lgkmcnt(0)
	v_mul_f64 v[188:189], v[230:231], v[56:57]
	v_add_f64 v[200:201], v[190:191], -v[200:201]
	v_fma_f64 v[204:205], v[228:229], v[54:55], -v[188:189]
	v_mul_f64 v[218:219], v[228:229], v[56:57]
	ds_read_b128 v[188:191], v181 offset:416
	v_fmac_f64_e32 v[218:219], v[230:231], v[54:55]
	v_add_f64 v[204:205], v[200:201], -v[204:205]
	v_add_f64 v[222:223], v[202:203], -v[218:219]
	ds_read_b128 v[200:203], v181 offset:432
	ds_read_b128 v[218:221], v182 offset:416
	;; [unrolled: 1-line block ×3, first 2 shown]
	s_waitcnt lgkmcnt(3)
	v_mul_f64 v[180:181], v[190:191], v[52:53]
	v_fma_f64 v[180:181], v[188:189], v[50:51], -v[180:181]
	v_mul_f64 v[188:189], v[188:189], v[52:53]
	v_fmac_f64_e32 v[188:189], v[190:191], v[50:51]
	v_add_f64 v[190:191], v[204:205], -v[180:181]
	s_waitcnt lgkmcnt(1)
	v_mul_f64 v[204:205], v[220:221], v[48:49]
	v_fma_f64 v[204:205], v[218:219], v[46:47], -v[204:205]
	v_mul_f64 v[218:219], v[218:219], v[48:49]
	v_add_f64 v[190:191], v[190:191], -v[204:205]
	v_mul_f64 v[204:205], v[212:213], v[40:41]
	v_add_f64 v[188:189], v[222:223], -v[188:189]
	v_fmac_f64_e32 v[218:219], v[220:221], v[46:47]
	v_fma_f64 v[204:205], v[210:211], v[38:39], -v[204:205]
	v_mul_f64 v[210:211], v[210:211], v[40:41]
	v_add_f64 v[188:189], v[188:189], -v[218:219]
	v_fmac_f64_e32 v[210:211], v[212:213], v[38:39]
	v_add_f64 v[210:211], v[188:189], -v[210:211]
	v_mul_f64 v[188:189], v[226:227], v[28:29]
	v_add_f64 v[204:205], v[190:191], -v[204:205]
	v_fma_f64 v[212:213], v[224:225], v[26:27], -v[188:189]
	ds_read_b128 v[188:191], v252 offset:416
	v_mul_f64 v[218:219], v[224:225], v[28:29]
	v_fmac_f64_e32 v[218:219], v[226:227], v[26:27]
	v_add_f64 v[222:223], v[210:211], -v[218:219]
	s_add_i32 s11, s4, s10
	s_waitcnt lgkmcnt(0)
	v_mul_f64 v[218:219], v[190:191], v[20:21]
	v_fma_f64 v[224:225], v[188:189], v[18:19], -v[218:219]
	ds_read_b128 v[218:221], v253 offset:416
	v_mov_b32_e32 v254, s11
	ds_read_b128 v[214:217], v254 offset:416
	v_add_f64 v[204:205], v[204:205], -v[212:213]
	v_mul_f64 v[188:189], v[188:189], v[20:21]
	v_add_f64 v[204:205], v[204:205], -v[224:225]
	s_waitcnt lgkmcnt(1)
	v_mul_f64 v[224:225], v[220:221], v[16:17]
	s_or_b32 s5, s7, 28
	v_fmac_f64_e32 v[188:189], v[190:191], v[18:19]
	v_fma_f64 v[224:225], v[218:219], v[14:15], -v[224:225]
	v_mul_f64 v[218:219], v[218:219], v[16:17]
	s_or_b32 s7, s7, 26
	v_add_f64 v[222:223], v[222:223], -v[188:189]
	v_fmac_f64_e32 v[218:219], v[220:221], v[14:15]
	s_mul_i32 s10, s7, 0x210
	ds_read_b128 v[184:187], v163 offset:432
	v_add_f64 v[222:223], v[222:223], -v[218:219]
	s_waitcnt lgkmcnt(1)
	v_mul_f64 v[218:219], v[216:217], v[12:13]
	v_mov_b32_e32 v163, s10
	v_add_f64 v[204:205], v[204:205], -v[224:225]
	v_fma_f64 v[224:225], v[214:215], v[10:11], -v[218:219]
	ds_read_b128 v[218:221], v163
	v_mul_f64 v[214:215], v[214:215], v[12:13]
	v_fmac_f64_e32 v[214:215], v[216:217], v[10:11]
	v_add_f64 v[204:205], v[204:205], -v[224:225]
	v_add_f64 v[224:225], v[222:223], -v[214:215]
	s_waitcnt lgkmcnt(0)
	v_mul_f64 v[222:223], v[220:221], v[224:225]
	v_mul_f64 v[224:225], v[218:219], v[224:225]
	v_fma_f64 v[222:223], v[218:219], v[204:205], -v[222:223]
	v_fmac_f64_e32 v[224:225], v[220:221], v[204:205]
	v_mul_f64 v[204:205], v[186:187], v[24:25]
	v_mul_f64 v[24:25], v[184:185], v[24:25]
	v_fma_f64 v[204:205], v[184:185], v[22:23], -v[204:205]
	v_fmac_f64_e32 v[24:25], v[186:187], v[22:23]
	v_mul_f64 v[22:23], v[8:9], v[32:33]
	v_fma_f64 v[22:23], v[6:7], v[30:31], -v[22:23]
	v_mul_f64 v[6:7], v[6:7], v[32:33]
	ds_read_b128 v[164:167], v167 offset:432
	v_add_f64 v[4:5], v[4:5], -v[24:25]
	v_fmac_f64_e32 v[6:7], v[8:9], v[30:31]
	v_add_f64 v[2:3], v[2:3], -v[204:205]
	v_add_f64 v[4:5], v[4:5], -v[6:7]
	v_mul_f64 v[6:7], v[128:129], v[36:37]
	v_mul_f64 v[8:9], v[126:127], v[36:37]
	ds_read_b128 v[206:209], v168 offset:432
	v_add_f64 v[2:3], v[2:3], -v[22:23]
	v_fma_f64 v[6:7], v[126:127], v[34:35], -v[6:7]
	v_fmac_f64_e32 v[8:9], v[128:129], v[34:35]
	v_add_f64 v[2:3], v[2:3], -v[6:7]
	v_add_f64 v[4:5], v[4:5], -v[8:9]
	v_mul_f64 v[6:7], v[112:113], v[44:45]
	v_mul_f64 v[8:9], v[110:111], v[44:45]
	v_fma_f64 v[6:7], v[110:111], v[42:43], -v[6:7]
	v_fmac_f64_e32 v[8:9], v[112:113], v[42:43]
	v_add_f64 v[2:3], v[2:3], -v[6:7]
	v_add_f64 v[4:5], v[4:5], -v[8:9]
	s_waitcnt lgkmcnt(1)
	v_mul_f64 v[6:7], v[166:167], v[124:125]
	v_mul_f64 v[8:9], v[164:165], v[124:125]
	v_fma_f64 v[6:7], v[164:165], v[122:123], -v[6:7]
	v_fmac_f64_e32 v[8:9], v[166:167], v[122:123]
	v_add_f64 v[2:3], v[2:3], -v[6:7]
	v_add_f64 v[4:5], v[4:5], -v[8:9]
	s_waitcnt lgkmcnt(0)
	v_mul_f64 v[6:7], v[208:209], v[108:109]
	v_mul_f64 v[8:9], v[206:207], v[108:109]
	ds_read_b128 v[168:171], v169 offset:432
	v_fma_f64 v[6:7], v[206:207], v[106:107], -v[6:7]
	v_fmac_f64_e32 v[8:9], v[208:209], v[106:107]
	v_add_f64 v[2:3], v[2:3], -v[6:7]
	v_add_f64 v[4:5], v[4:5], -v[8:9]
	v_mul_f64 v[6:7], v[116:117], v[104:105]
	v_mul_f64 v[8:9], v[114:115], v[104:105]
	v_fma_f64 v[6:7], v[114:115], v[102:103], -v[6:7]
	v_fmac_f64_e32 v[8:9], v[116:117], v[102:103]
	v_add_f64 v[2:3], v[2:3], -v[6:7]
	v_add_f64 v[4:5], v[4:5], -v[8:9]
	v_mul_f64 v[6:7], v[92:93], v[100:101]
	v_mul_f64 v[8:9], v[90:91], v[100:101]
	ds_read_b128 v[134:137], v175 offset:432
	v_fma_f64 v[6:7], v[90:91], v[98:99], -v[6:7]
	v_fmac_f64_e32 v[8:9], v[92:93], v[98:99]
	v_add_f64 v[2:3], v[2:3], -v[6:7]
	v_add_f64 v[4:5], v[4:5], -v[8:9]
	s_waitcnt lgkmcnt(1)
	v_mul_f64 v[6:7], v[170:171], v[96:97]
	v_mul_f64 v[8:9], v[168:169], v[96:97]
	v_fma_f64 v[6:7], v[168:169], v[94:95], -v[6:7]
	v_fmac_f64_e32 v[8:9], v[170:171], v[94:95]
	v_add_f64 v[2:3], v[2:3], -v[6:7]
	v_add_f64 v[4:5], v[4:5], -v[8:9]
	v_mul_f64 v[6:7], v[132:133], v[120:121]
	v_mul_f64 v[8:9], v[130:131], v[120:121]
	ds_read_b128 v[172:175], v174 offset:432
	v_fma_f64 v[6:7], v[130:131], v[118:119], -v[6:7]
	v_fmac_f64_e32 v[8:9], v[132:133], v[118:119]
	v_add_f64 v[2:3], v[2:3], -v[6:7]
	v_add_f64 v[4:5], v[4:5], -v[8:9]
	s_waitcnt lgkmcnt(1)
	;; [unrolled: 14-line block ×6, first 2 shown]
	v_mul_f64 v[6:7], v[152:153], v[56:57]
	v_mul_f64 v[8:9], v[150:151], v[56:57]
	v_fma_f64 v[6:7], v[150:151], v[54:55], -v[6:7]
	v_fmac_f64_e32 v[8:9], v[152:153], v[54:55]
	v_add_f64 v[2:3], v[2:3], -v[6:7]
	v_add_f64 v[4:5], v[4:5], -v[8:9]
	v_mul_f64 v[6:7], v[202:203], v[52:53]
	v_mul_f64 v[8:9], v[200:201], v[52:53]
	v_fma_f64 v[6:7], v[200:201], v[50:51], -v[6:7]
	v_fmac_f64_e32 v[8:9], v[202:203], v[50:51]
	v_add_f64 v[2:3], v[2:3], -v[6:7]
	v_add_f64 v[4:5], v[4:5], -v[8:9]
	s_waitcnt lgkmcnt(0)
	v_mul_f64 v[6:7], v[182:183], v[48:49]
	v_mul_f64 v[8:9], v[180:181], v[48:49]
	ds_read_b128 v[210:213], v252 offset:432
	v_fma_f64 v[6:7], v[180:181], v[46:47], -v[6:7]
	v_fmac_f64_e32 v[8:9], v[182:183], v[46:47]
	v_add_f64 v[2:3], v[2:3], -v[6:7]
	v_add_f64 v[4:5], v[4:5], -v[8:9]
	v_mul_f64 v[6:7], v[156:157], v[40:41]
	v_mul_f64 v[8:9], v[154:155], v[40:41]
	ds_read_b128 v[188:191], v253 offset:432
	v_fma_f64 v[6:7], v[154:155], v[38:39], -v[6:7]
	v_fmac_f64_e32 v[8:9], v[156:157], v[38:39]
	v_add_f64 v[2:3], v[2:3], -v[6:7]
	v_add_f64 v[4:5], v[4:5], -v[8:9]
	;; [unrolled: 7-line block ×3, first 2 shown]
	s_waitcnt lgkmcnt(2)
	v_mul_f64 v[6:7], v[212:213], v[20:21]
	v_mul_f64 v[8:9], v[210:211], v[20:21]
	v_fma_f64 v[6:7], v[210:211], v[18:19], -v[6:7]
	v_fmac_f64_e32 v[8:9], v[212:213], v[18:19]
	v_add_f64 v[2:3], v[2:3], -v[6:7]
	v_add_f64 v[4:5], v[4:5], -v[8:9]
	s_waitcnt lgkmcnt(1)
	v_mul_f64 v[6:7], v[190:191], v[16:17]
	v_mul_f64 v[8:9], v[188:189], v[16:17]
	v_fma_f64 v[6:7], v[188:189], v[14:15], -v[6:7]
	v_fmac_f64_e32 v[8:9], v[190:191], v[14:15]
	s_lshl_b32 s7, s7, 9
	v_add_f64 v[2:3], v[2:3], -v[6:7]
	v_add_f64 v[6:7], v[4:5], -v[8:9]
	s_waitcnt lgkmcnt(0)
	v_mul_f64 v[4:5], v[216:217], v[12:13]
	v_fma_f64 v[4:5], v[214:215], v[10:11], -v[4:5]
	v_mul_f64 v[8:9], v[214:215], v[12:13]
	s_add_i32 s4, s4, s7
	v_fmac_f64_e32 v[8:9], v[216:217], v[10:11]
	v_add_f64 v[10:11], v[2:3], -v[4:5]
	v_mov_b32_e32 v2, s4
	ds_read_b128 v[2:5], v2 offset:432
	s_mul_i32 s4, s6, 0x210
	v_add_f64 v[12:13], v[6:7], -v[8:9]
	v_mov_b32_e32 v6, s4
	ds_read_b128 v[6:9], v6
	s_waitcnt lgkmcnt(1)
	v_mul_f64 v[14:15], v[4:5], v[224:225]
	v_fma_f64 v[14:15], v[2:3], v[222:223], -v[14:15]
	v_mul_f64 v[2:3], v[2:3], v[224:225]
	v_fmac_f64_e32 v[2:3], v[4:5], v[222:223]
	v_add_f64 v[4:5], v[12:13], -v[2:3]
	v_add_f64 v[10:11], v[10:11], -v[14:15]
	s_waitcnt lgkmcnt(0)
	v_mul_f64 v[2:3], v[8:9], v[4:5]
	v_mul_f64 v[4:5], v[6:7], v[4:5]
	v_add_u32_e32 v163, s7, v1
	v_fma_f64 v[2:3], v[6:7], v[10:11], -v[2:3]
	v_fmac_f64_e32 v[4:5], v[8:9], v[10:11]
	s_mov_b32 s7, s5
	ds_write_b128 v163, v[222:225]
	ds_write_b128 v162, v[2:5]
.LBB236_46:
	s_cmp_ge_i32 s7, s24
	s_cbranch_scc1 .LBB236_51
; %bb.47:
	v_mov_b32_e32 v2, 0x4000
	s_lshl_b32 s4, s7, 4
	v_lshl_or_b32 v6, v0, 4, v2
	s_branch .LBB236_49
.LBB236_48:                             ;   in Loop: Header=BB236_49 Depth=1
	s_lshl_b32 s6, s7, 4
	s_add_i32 s5, s6, s5
	v_mov_b32_e32 v8, s5
	ds_read_b128 v[8:11], v8
	s_add_i32 s7, s7, 1
	s_add_i32 s4, s4, 16
	s_cmp_ge_i32 s7, s24
	s_waitcnt lgkmcnt(0)
	v_mul_f64 v[12:13], v[10:11], v[4:5]
	v_mul_f64 v[14:15], v[8:9], v[4:5]
	v_fma_f64 v[12:13], v[8:9], v[2:3], -v[12:13]
	v_fmac_f64_e32 v[14:15], v[10:11], v[2:3]
	ds_write_b128 v7, v[12:15]
	s_cbranch_scc1 .LBB236_51
.LBB236_49:                             ; =>This Loop Header: Depth=1
                                        ;     Child Loop BB236_50 Depth 2
	s_lshl_b32 s5, s7, 9
	v_add_u32_e32 v7, s5, v1
	ds_read_b128 v[2:5], v7
	s_cmp_eq_u32 s7, 0
	v_mov_b32_e32 v8, v6
	s_mov_b32 s6, s4
	s_mov_b32 s10, s7
	s_cbranch_scc1 .LBB236_48
.LBB236_50:                             ;   Parent Loop BB236_49 Depth=1
                                        ; =>  This Inner Loop Header: Depth=2
	v_mov_b32_e32 v9, s6
	ds_read_b128 v[10:13], v8
	ds_read_b128 v[14:17], v9
	s_add_i32 s10, s10, -1
	s_addk_i32 s6, 0x200
	v_add_u32_e32 v8, 0x200, v8
	s_cmp_lg_u32 s10, 0
	s_waitcnt lgkmcnt(0)
	v_mul_f64 v[18:19], v[12:13], v[16:17]
	v_mul_f64 v[16:17], v[10:11], v[16:17]
	v_fma_f64 v[10:11], v[10:11], v[14:15], -v[18:19]
	v_fmac_f64_e32 v[16:17], v[12:13], v[14:15]
	v_add_f64 v[2:3], v[2:3], -v[10:11]
	v_add_f64 v[4:5], v[4:5], -v[16:17]
	s_cbranch_scc1 .LBB236_50
	s_branch .LBB236_48
.LBB236_51:
	s_waitcnt lgkmcnt(0)
	; wave barrier
	s_and_saveexec_b64 s[4:5], s[0:1]
	s_cbranch_execz .LBB236_55
; %bb.52:
	s_andn2_b64 vcc, exec, s[8:9]
	s_cbranch_vccnz .LBB236_55
; %bb.53:
	v_mad_i64_i32 v[2:3], s[0:1], s13, v0, 0
	v_mov_b32_e32 v1, 0x4000
	v_lshl_add_u64 v[2:3], v[2:3], 4, s[2:3]
	v_lshl_or_b32 v0, v0, 4, v1
.LBB236_54:                             ; =>This Inner Loop Header: Depth=1
	ds_read2_b64 v[4:7], v0 offset1:1
	s_add_i32 s24, s24, -1
	v_add_u32_e32 v0, 0x200, v0
	s_cmp_lg_u32 s24, 0
	s_waitcnt lgkmcnt(0)
	flat_store_dwordx4 v[2:3], v[4:7]
	v_lshl_add_u64 v[2:3], v[2:3], 0, 16
	s_cbranch_scc1 .LBB236_54
.LBB236_55:
	s_endpgm
	.section	.rodata,"a",@progbits
	.p2align	6, 0x0
	.amdhsa_kernel _ZL38rocblas_trsm_small_left_device_sharedBILi32ELi32ELb1E19rocblas_complex_numIdES1_PKPKS1_PKPS1_Ev13rocblas_fill_18rocblas_operation_17rocblas_diagonal_iiT3_T4_lilT5_lili
		.amdhsa_group_segment_fixed_size 32768
		.amdhsa_private_segment_fixed_size 0
		.amdhsa_kernarg_size 368
		.amdhsa_user_sgpr_count 2
		.amdhsa_user_sgpr_dispatch_ptr 0
		.amdhsa_user_sgpr_queue_ptr 0
		.amdhsa_user_sgpr_kernarg_segment_ptr 1
		.amdhsa_user_sgpr_dispatch_id 0
		.amdhsa_user_sgpr_kernarg_preload_length 0
		.amdhsa_user_sgpr_kernarg_preload_offset 0
		.amdhsa_user_sgpr_private_segment_size 0
		.amdhsa_uses_dynamic_stack 0
		.amdhsa_enable_private_segment 0
		.amdhsa_system_sgpr_workgroup_id_x 1
		.amdhsa_system_sgpr_workgroup_id_y 0
		.amdhsa_system_sgpr_workgroup_id_z 1
		.amdhsa_system_sgpr_workgroup_info 0
		.amdhsa_system_vgpr_workitem_id 0
		.amdhsa_next_free_vgpr 255
		.amdhsa_next_free_sgpr 96
		.amdhsa_accum_offset 256
		.amdhsa_reserve_vcc 1
		.amdhsa_float_round_mode_32 0
		.amdhsa_float_round_mode_16_64 0
		.amdhsa_float_denorm_mode_32 3
		.amdhsa_float_denorm_mode_16_64 3
		.amdhsa_dx10_clamp 1
		.amdhsa_ieee_mode 1
		.amdhsa_fp16_overflow 0
		.amdhsa_tg_split 0
		.amdhsa_exception_fp_ieee_invalid_op 0
		.amdhsa_exception_fp_denorm_src 0
		.amdhsa_exception_fp_ieee_div_zero 0
		.amdhsa_exception_fp_ieee_overflow 0
		.amdhsa_exception_fp_ieee_underflow 0
		.amdhsa_exception_fp_ieee_inexact 0
		.amdhsa_exception_int_div_zero 0
	.end_amdhsa_kernel
	.section	.text._ZL38rocblas_trsm_small_left_device_sharedBILi32ELi32ELb1E19rocblas_complex_numIdES1_PKPKS1_PKPS1_Ev13rocblas_fill_18rocblas_operation_17rocblas_diagonal_iiT3_T4_lilT5_lili,"axG",@progbits,_ZL38rocblas_trsm_small_left_device_sharedBILi32ELi32ELb1E19rocblas_complex_numIdES1_PKPKS1_PKPS1_Ev13rocblas_fill_18rocblas_operation_17rocblas_diagonal_iiT3_T4_lilT5_lili,comdat
.Lfunc_end236:
	.size	_ZL38rocblas_trsm_small_left_device_sharedBILi32ELi32ELb1E19rocblas_complex_numIdES1_PKPKS1_PKPS1_Ev13rocblas_fill_18rocblas_operation_17rocblas_diagonal_iiT3_T4_lilT5_lili, .Lfunc_end236-_ZL38rocblas_trsm_small_left_device_sharedBILi32ELi32ELb1E19rocblas_complex_numIdES1_PKPKS1_PKPS1_Ev13rocblas_fill_18rocblas_operation_17rocblas_diagonal_iiT3_T4_lilT5_lili
                                        ; -- End function
	.set _ZL38rocblas_trsm_small_left_device_sharedBILi32ELi32ELb1E19rocblas_complex_numIdES1_PKPKS1_PKPS1_Ev13rocblas_fill_18rocblas_operation_17rocblas_diagonal_iiT3_T4_lilT5_lili.num_vgpr, 255
	.set _ZL38rocblas_trsm_small_left_device_sharedBILi32ELi32ELb1E19rocblas_complex_numIdES1_PKPKS1_PKPS1_Ev13rocblas_fill_18rocblas_operation_17rocblas_diagonal_iiT3_T4_lilT5_lili.num_agpr, 0
	.set _ZL38rocblas_trsm_small_left_device_sharedBILi32ELi32ELb1E19rocblas_complex_numIdES1_PKPKS1_PKPS1_Ev13rocblas_fill_18rocblas_operation_17rocblas_diagonal_iiT3_T4_lilT5_lili.numbered_sgpr, 28
	.set _ZL38rocblas_trsm_small_left_device_sharedBILi32ELi32ELb1E19rocblas_complex_numIdES1_PKPKS1_PKPS1_Ev13rocblas_fill_18rocblas_operation_17rocblas_diagonal_iiT3_T4_lilT5_lili.num_named_barrier, 0
	.set _ZL38rocblas_trsm_small_left_device_sharedBILi32ELi32ELb1E19rocblas_complex_numIdES1_PKPKS1_PKPS1_Ev13rocblas_fill_18rocblas_operation_17rocblas_diagonal_iiT3_T4_lilT5_lili.private_seg_size, 0
	.set _ZL38rocblas_trsm_small_left_device_sharedBILi32ELi32ELb1E19rocblas_complex_numIdES1_PKPKS1_PKPS1_Ev13rocblas_fill_18rocblas_operation_17rocblas_diagonal_iiT3_T4_lilT5_lili.uses_vcc, 1
	.set _ZL38rocblas_trsm_small_left_device_sharedBILi32ELi32ELb1E19rocblas_complex_numIdES1_PKPKS1_PKPS1_Ev13rocblas_fill_18rocblas_operation_17rocblas_diagonal_iiT3_T4_lilT5_lili.uses_flat_scratch, 0
	.set _ZL38rocblas_trsm_small_left_device_sharedBILi32ELi32ELb1E19rocblas_complex_numIdES1_PKPKS1_PKPS1_Ev13rocblas_fill_18rocblas_operation_17rocblas_diagonal_iiT3_T4_lilT5_lili.has_dyn_sized_stack, 0
	.set _ZL38rocblas_trsm_small_left_device_sharedBILi32ELi32ELb1E19rocblas_complex_numIdES1_PKPKS1_PKPS1_Ev13rocblas_fill_18rocblas_operation_17rocblas_diagonal_iiT3_T4_lilT5_lili.has_recursion, 0
	.set _ZL38rocblas_trsm_small_left_device_sharedBILi32ELi32ELb1E19rocblas_complex_numIdES1_PKPKS1_PKPS1_Ev13rocblas_fill_18rocblas_operation_17rocblas_diagonal_iiT3_T4_lilT5_lili.has_indirect_call, 0
	.section	.AMDGPU.csdata,"",@progbits
; Kernel info:
; codeLenInByte = 114996
; TotalNumSgprs: 34
; NumVgprs: 255
; NumAgprs: 0
; TotalNumVgprs: 255
; ScratchSize: 0
; MemoryBound: 0
; FloatMode: 240
; IeeeMode: 1
; LDSByteSize: 32768 bytes/workgroup (compile time only)
; SGPRBlocks: 12
; VGPRBlocks: 31
; NumSGPRsForWavesPerEU: 102
; NumVGPRsForWavesPerEU: 255
; AccumOffset: 256
; Occupancy: 2
; WaveLimiterHint : 0
; COMPUTE_PGM_RSRC2:SCRATCH_EN: 0
; COMPUTE_PGM_RSRC2:USER_SGPR: 2
; COMPUTE_PGM_RSRC2:TRAP_HANDLER: 0
; COMPUTE_PGM_RSRC2:TGID_X_EN: 1
; COMPUTE_PGM_RSRC2:TGID_Y_EN: 0
; COMPUTE_PGM_RSRC2:TGID_Z_EN: 1
; COMPUTE_PGM_RSRC2:TIDIG_COMP_CNT: 0
; COMPUTE_PGM_RSRC3_GFX90A:ACCUM_OFFSET: 63
; COMPUTE_PGM_RSRC3_GFX90A:TG_SPLIT: 0
	.section	.text._ZL30rocblas_trsm_small_left_deviceILi32ELi32ELb1E19rocblas_complex_numIdES1_PKPKS1_PKPS1_Ev13rocblas_fill_18rocblas_operation_17rocblas_diagonal_iiT3_T4_lilT5_lili,"axG",@progbits,_ZL30rocblas_trsm_small_left_deviceILi32ELi32ELb1E19rocblas_complex_numIdES1_PKPKS1_PKPS1_Ev13rocblas_fill_18rocblas_operation_17rocblas_diagonal_iiT3_T4_lilT5_lili,comdat
	.globl	_ZL30rocblas_trsm_small_left_deviceILi32ELi32ELb1E19rocblas_complex_numIdES1_PKPKS1_PKPS1_Ev13rocblas_fill_18rocblas_operation_17rocblas_diagonal_iiT3_T4_lilT5_lili ; -- Begin function _ZL30rocblas_trsm_small_left_deviceILi32ELi32ELb1E19rocblas_complex_numIdES1_PKPKS1_PKPS1_Ev13rocblas_fill_18rocblas_operation_17rocblas_diagonal_iiT3_T4_lilT5_lili
	.p2align	8
	.type	_ZL30rocblas_trsm_small_left_deviceILi32ELi32ELb1E19rocblas_complex_numIdES1_PKPKS1_PKPS1_Ev13rocblas_fill_18rocblas_operation_17rocblas_diagonal_iiT3_T4_lilT5_lili,@function
_ZL30rocblas_trsm_small_left_deviceILi32ELi32ELb1E19rocblas_complex_numIdES1_PKPKS1_PKPS1_Ev13rocblas_fill_18rocblas_operation_17rocblas_diagonal_iiT3_T4_lilT5_lili: ; @_ZL30rocblas_trsm_small_left_deviceILi32ELi32ELb1E19rocblas_complex_numIdES1_PKPKS1_PKPS1_Ev13rocblas_fill_18rocblas_operation_17rocblas_diagonal_iiT3_T4_lilT5_lili
; %bb.0:
	s_load_dwordx4 s[12:15], s[0:1], 0x4
	s_load_dwordx4 s[16:19], s[0:1], 0x48
	s_load_dwordx8 s[4:11], s[0:1], 0x18
	s_mov_b32 s20, s3
	s_mov_b32 s21, 0
	s_lshl_b64 s[22:23], s[20:21], 3
	s_waitcnt lgkmcnt(0)
	s_add_u32 s16, s16, s22
	s_addc_u32 s17, s17, s23
	s_load_dword s3, s[0:1], 0x70
	s_min_i32 s24, s14, 32
	s_load_dwordx2 s[16:17], s[16:17], 0x0
	v_cmp_gt_i32_e32 vcc, s24, v0
	s_and_saveexec_b64 s[20:21], vcc
	s_cbranch_execz .LBB237_11
; %bb.1:
	s_load_dword s26, s[0:1], 0x38
	v_lshlrev_b32_e32 v2, 4, v0
	v_mov_b32_e32 v3, 0
	v_mov_b32_e32 v1, v2
	s_waitcnt lgkmcnt(0)
	s_ashr_i32 s27, s26, 31
	s_cmpk_eq_i32 s12, 0x71
	s_cselect_b64 vcc, -1, 0
	s_add_u32 s8, s8, s22
	s_addc_u32 s9, s9, s23
	s_load_dwordx2 s[8:9], s[8:9], 0x0
	s_lshl_b64 s[10:11], s[10:11], 4
	s_waitcnt lgkmcnt(0)
	s_add_u32 s10, s8, s10
	s_addc_u32 s11, s9, s11
	s_lshl_b64 s[8:9], s[26:27], 4
	v_lshl_add_u64 v[4:5], s[10:11], 0, v[2:3]
	s_mov_b32 s10, s24
.LBB237_2:                              ; =>This Inner Loop Header: Depth=1
	flat_load_dwordx4 v[6:9], v[4:5]
	s_add_i32 s10, s10, -1
	v_lshl_add_u64 v[4:5], v[4:5], 0, s[8:9]
	s_cmp_eq_u32 s10, 0
	s_waitcnt vmcnt(0) lgkmcnt(0)
	v_xor_b32_e32 v3, 0x80000000, v9
	v_cndmask_b32_e32 v9, v9, v3, vcc
	ds_write_b128 v1, v[6:9]
	v_add_u32_e32 v1, 0x200, v1
	s_cbranch_scc0 .LBB237_2
; %bb.3:
	v_lshlrev_b32_e32 v1, 9, v0
	s_cmpk_lg_i32 s13, 0x84
	v_add_u32_e32 v1, v2, v1
	s_cbranch_scc0 .LBB237_9
; %bb.4:
	ds_read_b128 v[2:5], v1
                                        ; implicit-def: $vgpr8_vgpr9
	s_waitcnt lgkmcnt(0)
	v_cmp_ngt_f64_e64 s[8:9], |v[2:3]|, |v[4:5]|
	s_and_saveexec_b64 s[10:11], s[8:9]
	s_xor_b64 s[8:9], exec, s[10:11]
	s_cbranch_execz .LBB237_6
; %bb.5:
	v_div_scale_f64 v[6:7], s[10:11], v[4:5], v[4:5], v[2:3]
	v_rcp_f64_e32 v[8:9], v[6:7]
	v_div_scale_f64 v[10:11], vcc, v[2:3], v[4:5], v[2:3]
	v_fma_f64 v[12:13], -v[6:7], v[8:9], 1.0
	v_fmac_f64_e32 v[8:9], v[8:9], v[12:13]
	v_fma_f64 v[12:13], -v[6:7], v[8:9], 1.0
	v_fmac_f64_e32 v[8:9], v[8:9], v[12:13]
	v_mul_f64 v[12:13], v[10:11], v[8:9]
	v_fma_f64 v[6:7], -v[6:7], v[12:13], v[10:11]
	v_div_fmas_f64 v[6:7], v[6:7], v[8:9], v[12:13]
	v_div_fixup_f64 v[8:9], v[6:7], v[4:5], v[2:3]
	v_fmac_f64_e32 v[4:5], v[2:3], v[8:9]
	v_div_scale_f64 v[2:3], s[10:11], v[4:5], v[4:5], 1.0
	v_rcp_f64_e32 v[6:7], v[2:3]
	s_nop 0
	v_fma_f64 v[10:11], -v[2:3], v[6:7], 1.0
	v_fmac_f64_e32 v[6:7], v[6:7], v[10:11]
	v_fma_f64 v[10:11], -v[2:3], v[6:7], 1.0
	v_fmac_f64_e32 v[6:7], v[6:7], v[10:11]
	v_div_scale_f64 v[10:11], vcc, 1.0, v[4:5], 1.0
	v_mul_f64 v[12:13], v[10:11], v[6:7]
	v_fma_f64 v[2:3], -v[2:3], v[12:13], v[10:11]
	s_nop 1
	v_div_fmas_f64 v[2:3], v[2:3], v[6:7], v[12:13]
	v_div_fixup_f64 v[2:3], v[2:3], v[4:5], 1.0
	v_add_f64 v[4:5], v[8:9], 0
	v_mul_f64 v[6:7], v[4:5], v[2:3]
	v_fma_f64 v[4:5], v[8:9], 0, -1.0
	v_mul_f64 v[8:9], v[4:5], v[2:3]
                                        ; implicit-def: $vgpr2_vgpr3
.LBB237_6:
	s_andn2_saveexec_b64 s[8:9], s[8:9]
	s_cbranch_execz .LBB237_8
; %bb.7:
	v_div_scale_f64 v[6:7], s[10:11], v[2:3], v[2:3], v[4:5]
	v_rcp_f64_e32 v[8:9], v[6:7]
	v_div_scale_f64 v[10:11], vcc, v[4:5], v[2:3], v[4:5]
	v_fma_f64 v[12:13], -v[6:7], v[8:9], 1.0
	v_fmac_f64_e32 v[8:9], v[8:9], v[12:13]
	v_fma_f64 v[12:13], -v[6:7], v[8:9], 1.0
	v_fmac_f64_e32 v[8:9], v[8:9], v[12:13]
	v_mul_f64 v[12:13], v[10:11], v[8:9]
	v_fma_f64 v[6:7], -v[6:7], v[12:13], v[10:11]
	v_div_fmas_f64 v[6:7], v[6:7], v[8:9], v[12:13]
	v_div_fixup_f64 v[8:9], v[6:7], v[2:3], v[4:5]
	v_fmac_f64_e32 v[2:3], v[4:5], v[8:9]
	v_div_scale_f64 v[4:5], s[10:11], v[2:3], v[2:3], 1.0
	v_rcp_f64_e32 v[6:7], v[4:5]
	s_nop 0
	v_fma_f64 v[10:11], -v[4:5], v[6:7], 1.0
	v_fmac_f64_e32 v[6:7], v[6:7], v[10:11]
	v_fma_f64 v[10:11], -v[4:5], v[6:7], 1.0
	v_fmac_f64_e32 v[6:7], v[6:7], v[10:11]
	v_div_scale_f64 v[10:11], vcc, 1.0, v[2:3], 1.0
	v_mul_f64 v[12:13], v[10:11], v[6:7]
	v_fma_f64 v[4:5], -v[4:5], v[12:13], v[10:11]
	s_nop 1
	v_div_fmas_f64 v[4:5], v[4:5], v[6:7], v[12:13]
	v_div_fixup_f64 v[2:3], v[4:5], v[2:3], 1.0
	v_fma_f64 v[4:5], v[8:9], 0, 1.0
	v_mul_f64 v[6:7], v[4:5], v[2:3]
	v_add_f64 v[4:5], -v[8:9], 0
	v_mul_f64 v[8:9], v[4:5], v[2:3]
.LBB237_8:
	s_or_b64 exec, exec, s[8:9]
	s_branch .LBB237_10
.LBB237_9:
	v_mov_b64_e32 v[8:9], 0
	v_mov_b64_e32 v[6:7], 1.0
.LBB237_10:
	ds_write_b128 v1, v[6:9]
.LBB237_11:
	s_or_b64 exec, exec, s[20:21]
	s_waitcnt lgkmcnt(0)
	s_add_i32 s8, s3, -1
	s_lshl_b32 s3, s2, 5
	s_sub_i32 s9, s15, s3
	s_cmp_ge_u32 s2, s8
	s_cselect_b32 s2, s9, 32
	v_cmp_gt_i32_e32 vcc, s2, v0
	; wave barrier
	s_and_saveexec_b64 s[8:9], vcc
	s_cbranch_execz .LBB237_54
; %bb.12:
	s_load_dword s2, s[0:1], 0x58
	s_lshl_b64 s[0:1], s[18:19], 4
	s_add_u32 s8, s16, s0
	v_add_u32_e32 v0, s3, v0
	s_addc_u32 s9, s17, s1
	s_waitcnt lgkmcnt(0)
	v_mad_i64_i32 v[6:7], s[2:3], s2, v0, 0
	v_lshl_add_u64 v[4:5], v[6:7], 4, s[8:9]
	s_cmpk_eq_i32 s12, 0x6f
	s_mov_b64 s[2:3], -1
	s_cbranch_scc1 .LBB237_33
; %bb.13:
	s_add_i32 s18, s24, -1
	s_add_u32 s2, s16, s0
	s_addc_u32 s3, s17, s1
	v_lshl_add_u64 v[8:9], v[6:7], 4, s[2:3]
	s_lshl_b32 s19, s24, 4
	s_mov_b32 s3, 0
	s_add_i32 s19, s19, -16
	s_mov_b32 s2, s3
	s_mov_b32 s8, s18
	s_branch .LBB237_15
.LBB237_14:                             ;   in Loop: Header=BB237_15 Depth=1
	s_cmp_lt_i32 s8, 0
	s_cselect_b64 s[10:11], -1, 0
	s_add_i32 s2, s2, 1
	s_cmp_eq_u32 s2, 3
	s_cselect_b64 s[12:13], -1, 0
	s_or_b64 s[10:11], s[10:11], s[12:13]
	s_andn2_b64 vcc, exec, s[10:11]
	s_cbranch_vccz .LBB237_32
.LBB237_15:                             ; =>This Loop Header: Depth=1
                                        ;     Child Loop BB237_18 Depth 2
                                        ;       Child Loop BB237_19 Depth 3
                                        ;       Child Loop BB237_21 Depth 3
                                        ;         Child Loop BB237_22 Depth 4
                                        ;       Child Loop BB237_26 Depth 3
                                        ;         Child Loop BB237_28 Depth 4
	s_lshl_b64 s[10:11], s[2:3], 2
	s_getpc_b64 s[12:13]
	s_add_u32 s12, s12, __const._ZL30rocblas_trsm_small_left_deviceILi32ELi32ELb1E19rocblas_complex_numIdES1_PKPKS1_PKPS1_Ev13rocblas_fill_18rocblas_operation_17rocblas_diagonal_iiT3_T4_lilT5_lili.step_sizes@rel32@lo+4
	s_addc_u32 s13, s13, __const._ZL30rocblas_trsm_small_left_deviceILi32ELi32ELb1E19rocblas_complex_numIdES1_PKPKS1_PKPS1_Ev13rocblas_fill_18rocblas_operation_17rocblas_diagonal_iiT3_T4_lilT5_lili.step_sizes@rel32@hi+12
	s_add_u32 s10, s12, s10
	s_addc_u32 s11, s13, s11
	s_load_dword s20, s[10:11], 0x0
	s_waitcnt lgkmcnt(0)
	s_add_i32 s21, s20, -1
	s_cmp_lt_i32 s8, s21
	s_cbranch_scc1 .LBB237_14
; %bb.16:                               ;   in Loop: Header=BB237_15 Depth=1
	s_lshl_b32 s9, s8, 9
	s_add_i32 s23, s19, s9
	s_lshl_b32 s9, s20, 9
	s_max_i32 s22, s20, 1
	s_sub_i32 s25, 0, s9
	s_mul_i32 s26, s8, 0x210
	s_mul_i32 s27, s20, 0xfffffdf0
	s_branch .LBB237_18
.LBB237_17:                             ;   in Loop: Header=BB237_18 Depth=2
	s_sub_i32 s8, s8, s20
	s_add_i32 s23, s23, s25
	s_add_i32 s26, s26, s27
	s_cmp_lt_i32 s8, s21
	s_cbranch_scc1 .LBB237_14
.LBB237_18:                             ;   Parent Loop BB237_15 Depth=1
                                        ; =>  This Loop Header: Depth=2
                                        ;       Child Loop BB237_19 Depth 3
                                        ;       Child Loop BB237_21 Depth 3
                                        ;         Child Loop BB237_22 Depth 4
                                        ;       Child Loop BB237_26 Depth 3
                                        ;         Child Loop BB237_28 Depth 4
	s_ashr_i32 s9, s8, 31
	v_lshl_add_u64 v[0:1], s[8:9], 4, v[8:9]
	s_mov_b32 s10, 0
	s_mov_b32 s11, s22
.LBB237_19:                             ;   Parent Loop BB237_15 Depth=1
                                        ;     Parent Loop BB237_18 Depth=2
                                        ; =>    This Inner Loop Header: Depth=3
	flat_load_dwordx4 v[10:13], v[0:1]
	s_add_i32 s11, s11, -1
	v_lshl_add_u64 v[0:1], v[0:1], 0, -16
	s_waitcnt vmcnt(0) lgkmcnt(0)
	v_mul_f64 v[2:3], s[6:7], v[12:13]
	v_mul_f64 v[14:15], s[4:5], v[12:13]
	v_fma_f64 v[12:13], s[4:5], v[10:11], -v[2:3]
	v_fmac_f64_e32 v[14:15], s[6:7], v[10:11]
	scratch_store_dwordx4 off, v[12:15], s10
	s_add_i32 s10, s10, 16
	s_cmp_eq_u32 s11, 0
	s_cbranch_scc0 .LBB237_19
; %bb.20:                               ;   in Loop: Header=BB237_18 Depth=2
	s_cmp_le_i32 s18, s8
	s_mov_b32 s12, s23
	s_mov_b32 s10, s18
	s_cbranch_scc1 .LBB237_24
.LBB237_21:                             ;   Parent Loop BB237_15 Depth=1
                                        ;     Parent Loop BB237_18 Depth=2
                                        ; =>    This Loop Header: Depth=3
                                        ;         Child Loop BB237_22 Depth 4
	s_ashr_i32 s11, s10, 31
	v_lshl_add_u64 v[0:1], s[10:11], 4, v[4:5]
	flat_load_dwordx4 v[0:3], v[0:1]
	s_mov_b32 s11, 0
	s_mov_b32 s13, s12
	;; [unrolled: 1-line block ×3, first 2 shown]
.LBB237_22:                             ;   Parent Loop BB237_15 Depth=1
                                        ;     Parent Loop BB237_18 Depth=2
                                        ;       Parent Loop BB237_21 Depth=3
                                        ; =>      This Inner Loop Header: Depth=4
	scratch_load_dwordx4 v[10:13], off, s11
	v_mov_b32_e32 v14, s13
	ds_read_b128 v[14:17], v14
	s_add_i32 s14, s14, -1
	s_addk_i32 s13, 0xfe00
	s_waitcnt vmcnt(0) lgkmcnt(0)
	v_mul_f64 v[18:19], v[2:3], v[16:17]
	v_mul_f64 v[16:17], v[0:1], v[16:17]
	v_fma_f64 v[18:19], v[0:1], v[14:15], -v[18:19]
	v_fmac_f64_e32 v[16:17], v[2:3], v[14:15]
	v_add_f64 v[10:11], v[10:11], -v[18:19]
	v_add_f64 v[12:13], v[12:13], -v[16:17]
	scratch_store_dwordx4 off, v[10:13], s11
	s_add_i32 s11, s11, 16
	s_cmp_eq_u32 s14, 0
	s_cbranch_scc0 .LBB237_22
; %bb.23:                               ;   in Loop: Header=BB237_21 Depth=3
	s_add_i32 s10, s10, -1
	s_add_i32 s12, s12, -16
	s_cmp_le_i32 s10, s8
	s_cbranch_scc0 .LBB237_21
.LBB237_24:                             ;   in Loop: Header=BB237_18 Depth=2
	s_mov_b32 s28, 0
	s_mov_b32 s29, s26
	s_branch .LBB237_26
.LBB237_25:                             ;   in Loop: Header=BB237_26 Depth=3
	s_mulk_i32 s12, 0x210
	v_mov_b32_e32 v10, s12
	ds_read_b128 v[10:13], v10
	s_lshl_b32 s12, s28, 4
	s_add_i32 s28, s28, 1
	s_addk_i32 s29, 0xfe00
	s_cmp_eq_u32 s28, s22
	s_waitcnt vmcnt(0) lgkmcnt(0)
	v_mul_f64 v[14:15], v[12:13], v[2:3]
	v_mul_f64 v[16:17], v[10:11], v[2:3]
	v_fma_f64 v[14:15], v[10:11], v[0:1], -v[14:15]
	v_fmac_f64_e32 v[16:17], v[12:13], v[0:1]
	v_lshl_add_u64 v[0:1], s[10:11], 4, v[4:5]
	scratch_store_dwordx4 off, v[14:17], s12
	flat_store_dwordx4 v[0:1], v[14:17]
	s_cbranch_scc1 .LBB237_17
.LBB237_26:                             ;   Parent Loop BB237_15 Depth=1
                                        ;     Parent Loop BB237_18 Depth=2
                                        ; =>    This Loop Header: Depth=3
                                        ;         Child Loop BB237_28 Depth 4
	s_cmp_lg_u32 s28, 0
	s_cbranch_scc0 .LBB237_30
; %bb.27:                               ;   in Loop: Header=BB237_26 Depth=3
	s_lshl_b32 s10, s28, 4
	scratch_load_dwordx4 v[0:3], off, s10
	s_mov_b32 s11, 0
	s_mov_b32 s12, s29
	;; [unrolled: 1-line block ×3, first 2 shown]
.LBB237_28:                             ;   Parent Loop BB237_15 Depth=1
                                        ;     Parent Loop BB237_18 Depth=2
                                        ;       Parent Loop BB237_26 Depth=3
                                        ; =>      This Inner Loop Header: Depth=4
	scratch_load_dwordx4 v[10:13], off, s11
	v_mov_b32_e32 v14, s12
	ds_read_b128 v[14:17], v14
	s_add_i32 s13, s13, -1
	s_add_i32 s12, s12, -16
	s_add_i32 s11, s11, 16
	s_cmp_eq_u32 s13, 0
	s_waitcnt vmcnt(0) lgkmcnt(0)
	v_mul_f64 v[18:19], v[16:17], v[12:13]
	v_mul_f64 v[12:13], v[14:15], v[12:13]
	v_fma_f64 v[14:15], v[14:15], v[10:11], -v[18:19]
	v_fmac_f64_e32 v[12:13], v[16:17], v[10:11]
	v_add_f64 v[0:1], v[0:1], -v[14:15]
	v_add_f64 v[2:3], v[2:3], -v[12:13]
	scratch_store_dwordx4 off, v[0:3], s10
	s_cbranch_scc0 .LBB237_28
; %bb.29:                               ;   in Loop: Header=BB237_26 Depth=3
	s_sub_i32 s12, s8, s28
	s_ashr_i32 s13, s12, 31
	s_mov_b64 s[10:11], s[12:13]
	s_branch .LBB237_25
.LBB237_30:                             ;   in Loop: Header=BB237_26 Depth=3
                                        ; implicit-def: $vgpr0_vgpr1
                                        ; implicit-def: $sgpr12
                                        ; implicit-def: $sgpr10_sgpr11
	s_cbranch_execz .LBB237_25
; %bb.31:                               ;   in Loop: Header=BB237_26 Depth=3
	scratch_load_dwordx4 v[0:3], off, off
	s_mov_b64 s[10:11], s[8:9]
	s_mov_b32 s12, s8
	s_branch .LBB237_25
.LBB237_32:
	s_mov_b64 s[2:3], 0
.LBB237_33:
	s_and_b64 vcc, exec, s[2:3]
	s_cbranch_vccz .LBB237_54
; %bb.34:
	s_add_u32 s0, s16, s0
	s_addc_u32 s1, s17, s1
	v_lshl_add_u64 v[6:7], v[6:7], 4, s[0:1]
	s_mov_b32 s1, 0
	s_mov_b32 s2, s1
	;; [unrolled: 1-line block ×3, first 2 shown]
	s_branch .LBB237_36
.LBB237_35:                             ;   in Loop: Header=BB237_36 Depth=1
	s_cmp_ge_i32 s2, s24
	s_cselect_b64 s[10:11], -1, 0
	s_add_i32 s8, s8, 1
	s_cmp_eq_u32 s8, 3
	s_cselect_b64 s[12:13], -1, 0
	s_or_b64 s[10:11], s[10:11], s[12:13]
	s_and_b64 vcc, exec, s[10:11]
	s_cbranch_vccnz .LBB237_54
.LBB237_36:                             ; =>This Loop Header: Depth=1
                                        ;     Child Loop BB237_39 Depth 2
                                        ;       Child Loop BB237_40 Depth 3
                                        ;       Child Loop BB237_43 Depth 3
                                        ;         Child Loop BB237_44 Depth 4
                                        ;       Child Loop BB237_48 Depth 3
                                        ;         Child Loop BB237_50 Depth 4
	s_mov_b32 s9, s1
	s_lshl_b64 s[10:11], s[8:9], 2
	s_getpc_b64 s[12:13]
	s_add_u32 s12, s12, __const._ZL30rocblas_trsm_small_left_deviceILi32ELi32ELb1E19rocblas_complex_numIdES1_PKPKS1_PKPS1_Ev13rocblas_fill_18rocblas_operation_17rocblas_diagonal_iiT3_T4_lilT5_lili.step_sizes@rel32@lo+4
	s_addc_u32 s13, s13, __const._ZL30rocblas_trsm_small_left_deviceILi32ELi32ELb1E19rocblas_complex_numIdES1_PKPKS1_PKPS1_Ev13rocblas_fill_18rocblas_operation_17rocblas_diagonal_iiT3_T4_lilT5_lili.step_sizes@rel32@hi+12
	s_add_u32 s10, s12, s10
	s_addc_u32 s11, s13, s11
	s_load_dword s10, s[10:11], 0x0
	s_waitcnt lgkmcnt(0)
	s_add_i32 s9, s10, -1
	s_add_i32 s0, s9, s2
	s_cmp_ge_i32 s0, s24
	s_cbranch_scc1 .LBB237_35
; %bb.37:                               ;   in Loop: Header=BB237_36 Depth=1
	s_ashr_i32 s3, s2, 31
	s_ashr_i32 s11, s10, 31
	s_max_i32 s16, s10, 1
	v_lshl_add_u64 v[8:9], s[2:3], 4, v[6:7]
	s_lshl_b64 s[12:13], s[10:11], 4
	s_lshl_b32 s3, s2, 4
	s_lshl_b32 s11, s10, 4
	s_mul_i32 s17, s2, 0x210
	s_mul_i32 s18, s10, 0x210
	s_branch .LBB237_39
.LBB237_38:                             ;   in Loop: Header=BB237_39 Depth=2
	s_add_i32 s2, s2, s10
	s_add_i32 s0, s9, s2
	;; [unrolled: 1-line block ×4, first 2 shown]
	s_cmp_ge_i32 s0, s24
	v_lshl_add_u64 v[8:9], v[8:9], 0, s[12:13]
	s_cbranch_scc1 .LBB237_35
.LBB237_39:                             ;   Parent Loop BB237_36 Depth=1
                                        ; =>  This Loop Header: Depth=2
                                        ;       Child Loop BB237_40 Depth 3
                                        ;       Child Loop BB237_43 Depth 3
                                        ;         Child Loop BB237_44 Depth 4
                                        ;       Child Loop BB237_48 Depth 3
                                        ;         Child Loop BB237_50 Depth 4
	s_mov_b32 s0, 0
	v_mov_b64_e32 v[0:1], v[8:9]
	s_mov_b32 s14, s16
.LBB237_40:                             ;   Parent Loop BB237_36 Depth=1
                                        ;     Parent Loop BB237_39 Depth=2
                                        ; =>    This Inner Loop Header: Depth=3
	flat_load_dwordx4 v[10:13], v[0:1]
	s_add_i32 s14, s14, -1
	v_lshl_add_u64 v[0:1], v[0:1], 0, 16
	s_waitcnt vmcnt(0) lgkmcnt(0)
	v_mul_f64 v[2:3], s[6:7], v[12:13]
	v_mul_f64 v[14:15], s[4:5], v[12:13]
	v_fma_f64 v[12:13], s[4:5], v[10:11], -v[2:3]
	v_fmac_f64_e32 v[14:15], s[6:7], v[10:11]
	scratch_store_dwordx4 off, v[12:15], s0
	s_add_i32 s0, s0, 16
	s_cmp_eq_u32 s14, 0
	s_cbranch_scc0 .LBB237_40
; %bb.41:                               ;   in Loop: Header=BB237_39 Depth=2
	s_cmp_lt_i32 s2, 1
	s_cbranch_scc1 .LBB237_46
; %bb.42:                               ;   in Loop: Header=BB237_39 Depth=2
	s_mov_b32 s0, 0
	s_mov_b32 s14, s3
.LBB237_43:                             ;   Parent Loop BB237_36 Depth=1
                                        ;     Parent Loop BB237_39 Depth=2
                                        ; =>    This Loop Header: Depth=3
                                        ;         Child Loop BB237_44 Depth 4
	v_lshl_add_u64 v[0:1], s[0:1], 4, v[4:5]
	flat_load_dwordx4 v[0:3], v[0:1]
	s_mov_b32 s15, 0
	s_mov_b32 s19, s14
	;; [unrolled: 1-line block ×3, first 2 shown]
.LBB237_44:                             ;   Parent Loop BB237_36 Depth=1
                                        ;     Parent Loop BB237_39 Depth=2
                                        ;       Parent Loop BB237_43 Depth=3
                                        ; =>      This Inner Loop Header: Depth=4
	scratch_load_dwordx4 v[10:13], off, s15
	v_mov_b32_e32 v14, s19
	ds_read_b128 v[14:17], v14
	s_add_i32 s20, s20, -1
	s_add_i32 s19, s19, 16
	s_waitcnt vmcnt(0) lgkmcnt(0)
	v_mul_f64 v[18:19], v[2:3], v[16:17]
	v_mul_f64 v[16:17], v[0:1], v[16:17]
	v_fma_f64 v[18:19], v[0:1], v[14:15], -v[18:19]
	v_fmac_f64_e32 v[16:17], v[2:3], v[14:15]
	v_add_f64 v[10:11], v[10:11], -v[18:19]
	v_add_f64 v[12:13], v[12:13], -v[16:17]
	scratch_store_dwordx4 off, v[10:13], s15
	s_add_i32 s15, s15, 16
	s_cmp_eq_u32 s20, 0
	s_cbranch_scc0 .LBB237_44
; %bb.45:                               ;   in Loop: Header=BB237_43 Depth=3
	s_add_i32 s0, s0, 1
	s_addk_i32 s14, 0x200
	s_cmp_eq_u32 s0, s2
	s_cbranch_scc0 .LBB237_43
.LBB237_46:                             ;   in Loop: Header=BB237_39 Depth=2
	s_mov_b32 s0, 0
	s_mov_b32 s19, s17
	s_branch .LBB237_48
.LBB237_47:                             ;   in Loop: Header=BB237_48 Depth=3
	s_add_i32 s14, s0, s2
	s_mul_i32 s15, s14, 0x210
	v_mov_b32_e32 v10, s15
	ds_read_b128 v[10:13], v10
	s_lshl_b32 s15, s0, 4
	s_add_i32 s0, s0, 1
	s_add_i32 s19, s19, 16
	s_waitcnt vmcnt(0) lgkmcnt(0)
	v_mul_f64 v[14:15], v[12:13], v[2:3]
	v_mul_f64 v[16:17], v[10:11], v[2:3]
	v_fma_f64 v[14:15], v[10:11], v[0:1], -v[14:15]
	v_fmac_f64_e32 v[16:17], v[12:13], v[0:1]
	scratch_store_dwordx4 off, v[14:17], s15
	s_ashr_i32 s15, s14, 31
	v_lshl_add_u64 v[0:1], s[14:15], 4, v[4:5]
	s_cmp_eq_u32 s0, s16
	flat_store_dwordx4 v[0:1], v[14:17]
	s_cbranch_scc1 .LBB237_38
.LBB237_48:                             ;   Parent Loop BB237_36 Depth=1
                                        ;     Parent Loop BB237_39 Depth=2
                                        ; =>    This Loop Header: Depth=3
                                        ;         Child Loop BB237_50 Depth 4
	s_cmp_lg_u32 s0, 0
	s_cbranch_scc0 .LBB237_52
; %bb.49:                               ;   in Loop: Header=BB237_48 Depth=3
	s_lshl_b32 s14, s0, 4
	scratch_load_dwordx4 v[0:3], off, s14
	s_mov_b32 s15, 0
	s_mov_b32 s20, s19
	;; [unrolled: 1-line block ×3, first 2 shown]
.LBB237_50:                             ;   Parent Loop BB237_36 Depth=1
                                        ;     Parent Loop BB237_39 Depth=2
                                        ;       Parent Loop BB237_48 Depth=3
                                        ; =>      This Inner Loop Header: Depth=4
	scratch_load_dwordx4 v[10:13], off, s15
	v_mov_b32_e32 v14, s20
	ds_read_b128 v[14:17], v14
	s_add_i32 s21, s21, -1
	s_addk_i32 s20, 0x200
	s_add_i32 s15, s15, 16
	s_cmp_eq_u32 s21, 0
	s_waitcnt vmcnt(0) lgkmcnt(0)
	v_mul_f64 v[18:19], v[16:17], v[12:13]
	v_mul_f64 v[12:13], v[14:15], v[12:13]
	v_fma_f64 v[14:15], v[14:15], v[10:11], -v[18:19]
	v_fmac_f64_e32 v[12:13], v[16:17], v[10:11]
	v_add_f64 v[0:1], v[0:1], -v[14:15]
	v_add_f64 v[2:3], v[2:3], -v[12:13]
	scratch_store_dwordx4 off, v[0:3], s14
	s_cbranch_scc0 .LBB237_50
; %bb.51:                               ;   in Loop: Header=BB237_48 Depth=3
	s_branch .LBB237_47
.LBB237_52:                             ;   in Loop: Header=BB237_48 Depth=3
                                        ; implicit-def: $vgpr0_vgpr1
	s_cbranch_execz .LBB237_47
; %bb.53:                               ;   in Loop: Header=BB237_48 Depth=3
	scratch_load_dwordx4 v[0:3], off, off
	s_branch .LBB237_47
.LBB237_54:
	s_endpgm
	.section	.rodata,"a",@progbits
	.p2align	6, 0x0
	.amdhsa_kernel _ZL30rocblas_trsm_small_left_deviceILi32ELi32ELb1E19rocblas_complex_numIdES1_PKPKS1_PKPS1_Ev13rocblas_fill_18rocblas_operation_17rocblas_diagonal_iiT3_T4_lilT5_lili
		.amdhsa_group_segment_fixed_size 16384
		.amdhsa_private_segment_fixed_size 528
		.amdhsa_kernarg_size 368
		.amdhsa_user_sgpr_count 2
		.amdhsa_user_sgpr_dispatch_ptr 0
		.amdhsa_user_sgpr_queue_ptr 0
		.amdhsa_user_sgpr_kernarg_segment_ptr 1
		.amdhsa_user_sgpr_dispatch_id 0
		.amdhsa_user_sgpr_kernarg_preload_length 0
		.amdhsa_user_sgpr_kernarg_preload_offset 0
		.amdhsa_user_sgpr_private_segment_size 0
		.amdhsa_uses_dynamic_stack 0
		.amdhsa_enable_private_segment 1
		.amdhsa_system_sgpr_workgroup_id_x 1
		.amdhsa_system_sgpr_workgroup_id_y 0
		.amdhsa_system_sgpr_workgroup_id_z 1
		.amdhsa_system_sgpr_workgroup_info 0
		.amdhsa_system_vgpr_workitem_id 0
		.amdhsa_next_free_vgpr 129
		.amdhsa_next_free_sgpr 96
		.amdhsa_accum_offset 20
		.amdhsa_reserve_vcc 1
		.amdhsa_float_round_mode_32 0
		.amdhsa_float_round_mode_16_64 0
		.amdhsa_float_denorm_mode_32 3
		.amdhsa_float_denorm_mode_16_64 3
		.amdhsa_dx10_clamp 1
		.amdhsa_ieee_mode 1
		.amdhsa_fp16_overflow 0
		.amdhsa_tg_split 0
		.amdhsa_exception_fp_ieee_invalid_op 0
		.amdhsa_exception_fp_denorm_src 0
		.amdhsa_exception_fp_ieee_div_zero 0
		.amdhsa_exception_fp_ieee_overflow 0
		.amdhsa_exception_fp_ieee_underflow 0
		.amdhsa_exception_fp_ieee_inexact 0
		.amdhsa_exception_int_div_zero 0
	.end_amdhsa_kernel
	.section	.text._ZL30rocblas_trsm_small_left_deviceILi32ELi32ELb1E19rocblas_complex_numIdES1_PKPKS1_PKPS1_Ev13rocblas_fill_18rocblas_operation_17rocblas_diagonal_iiT3_T4_lilT5_lili,"axG",@progbits,_ZL30rocblas_trsm_small_left_deviceILi32ELi32ELb1E19rocblas_complex_numIdES1_PKPKS1_PKPS1_Ev13rocblas_fill_18rocblas_operation_17rocblas_diagonal_iiT3_T4_lilT5_lili,comdat
.Lfunc_end237:
	.size	_ZL30rocblas_trsm_small_left_deviceILi32ELi32ELb1E19rocblas_complex_numIdES1_PKPKS1_PKPS1_Ev13rocblas_fill_18rocblas_operation_17rocblas_diagonal_iiT3_T4_lilT5_lili, .Lfunc_end237-_ZL30rocblas_trsm_small_left_deviceILi32ELi32ELb1E19rocblas_complex_numIdES1_PKPKS1_PKPS1_Ev13rocblas_fill_18rocblas_operation_17rocblas_diagonal_iiT3_T4_lilT5_lili
                                        ; -- End function
	.set _ZL30rocblas_trsm_small_left_deviceILi32ELi32ELb1E19rocblas_complex_numIdES1_PKPKS1_PKPS1_Ev13rocblas_fill_18rocblas_operation_17rocblas_diagonal_iiT3_T4_lilT5_lili.num_vgpr, 20
	.set _ZL30rocblas_trsm_small_left_deviceILi32ELi32ELb1E19rocblas_complex_numIdES1_PKPKS1_PKPS1_Ev13rocblas_fill_18rocblas_operation_17rocblas_diagonal_iiT3_T4_lilT5_lili.num_agpr, 0
	.set _ZL30rocblas_trsm_small_left_deviceILi32ELi32ELb1E19rocblas_complex_numIdES1_PKPKS1_PKPS1_Ev13rocblas_fill_18rocblas_operation_17rocblas_diagonal_iiT3_T4_lilT5_lili.numbered_sgpr, 30
	.set _ZL30rocblas_trsm_small_left_deviceILi32ELi32ELb1E19rocblas_complex_numIdES1_PKPKS1_PKPS1_Ev13rocblas_fill_18rocblas_operation_17rocblas_diagonal_iiT3_T4_lilT5_lili.num_named_barrier, 0
	.set _ZL30rocblas_trsm_small_left_deviceILi32ELi32ELb1E19rocblas_complex_numIdES1_PKPKS1_PKPS1_Ev13rocblas_fill_18rocblas_operation_17rocblas_diagonal_iiT3_T4_lilT5_lili.private_seg_size, 528
	.set _ZL30rocblas_trsm_small_left_deviceILi32ELi32ELb1E19rocblas_complex_numIdES1_PKPKS1_PKPS1_Ev13rocblas_fill_18rocblas_operation_17rocblas_diagonal_iiT3_T4_lilT5_lili.uses_vcc, 1
	.set _ZL30rocblas_trsm_small_left_deviceILi32ELi32ELb1E19rocblas_complex_numIdES1_PKPKS1_PKPS1_Ev13rocblas_fill_18rocblas_operation_17rocblas_diagonal_iiT3_T4_lilT5_lili.uses_flat_scratch, 0
	.set _ZL30rocblas_trsm_small_left_deviceILi32ELi32ELb1E19rocblas_complex_numIdES1_PKPKS1_PKPS1_Ev13rocblas_fill_18rocblas_operation_17rocblas_diagonal_iiT3_T4_lilT5_lili.has_dyn_sized_stack, 0
	.set _ZL30rocblas_trsm_small_left_deviceILi32ELi32ELb1E19rocblas_complex_numIdES1_PKPKS1_PKPS1_Ev13rocblas_fill_18rocblas_operation_17rocblas_diagonal_iiT3_T4_lilT5_lili.has_recursion, 0
	.set _ZL30rocblas_trsm_small_left_deviceILi32ELi32ELb1E19rocblas_complex_numIdES1_PKPKS1_PKPS1_Ev13rocblas_fill_18rocblas_operation_17rocblas_diagonal_iiT3_T4_lilT5_lili.has_indirect_call, 0
	.section	.AMDGPU.csdata,"",@progbits
; Kernel info:
; codeLenInByte = 2240
; TotalNumSgprs: 36
; NumVgprs: 20
; NumAgprs: 0
; TotalNumVgprs: 20
; ScratchSize: 528
; MemoryBound: 0
; FloatMode: 240
; IeeeMode: 1
; LDSByteSize: 16384 bytes/workgroup (compile time only)
; SGPRBlocks: 12
; VGPRBlocks: 16
; NumSGPRsForWavesPerEU: 102
; NumVGPRsForWavesPerEU: 129
; AccumOffset: 20
; Occupancy: 3
; WaveLimiterHint : 1
; COMPUTE_PGM_RSRC2:SCRATCH_EN: 1
; COMPUTE_PGM_RSRC2:USER_SGPR: 2
; COMPUTE_PGM_RSRC2:TRAP_HANDLER: 0
; COMPUTE_PGM_RSRC2:TGID_X_EN: 1
; COMPUTE_PGM_RSRC2:TGID_Y_EN: 0
; COMPUTE_PGM_RSRC2:TGID_Z_EN: 1
; COMPUTE_PGM_RSRC2:TIDIG_COMP_CNT: 0
; COMPUTE_PGM_RSRC3_GFX90A:ACCUM_OFFSET: 4
; COMPUTE_PGM_RSRC3_GFX90A:TG_SPLIT: 0
	.section	.text._ZL31rocblas_trsm_small_right_deviceI19rocblas_complex_numIdES1_PKPKS1_PKPS1_Li32EEv13rocblas_fill_18rocblas_operation_17rocblas_diagonal_iiT0_T1_lilT2_lili,"axG",@progbits,_ZL31rocblas_trsm_small_right_deviceI19rocblas_complex_numIdES1_PKPKS1_PKPS1_Li32EEv13rocblas_fill_18rocblas_operation_17rocblas_diagonal_iiT0_T1_lilT2_lili,comdat
	.globl	_ZL31rocblas_trsm_small_right_deviceI19rocblas_complex_numIdES1_PKPKS1_PKPS1_Li32EEv13rocblas_fill_18rocblas_operation_17rocblas_diagonal_iiT0_T1_lilT2_lili ; -- Begin function _ZL31rocblas_trsm_small_right_deviceI19rocblas_complex_numIdES1_PKPKS1_PKPS1_Li32EEv13rocblas_fill_18rocblas_operation_17rocblas_diagonal_iiT0_T1_lilT2_lili
	.p2align	8
	.type	_ZL31rocblas_trsm_small_right_deviceI19rocblas_complex_numIdES1_PKPKS1_PKPS1_Li32EEv13rocblas_fill_18rocblas_operation_17rocblas_diagonal_iiT0_T1_lilT2_lili,@function
_ZL31rocblas_trsm_small_right_deviceI19rocblas_complex_numIdES1_PKPKS1_PKPS1_Li32EEv13rocblas_fill_18rocblas_operation_17rocblas_diagonal_iiT0_T1_lilT2_lili: ; @_ZL31rocblas_trsm_small_right_deviceI19rocblas_complex_numIdES1_PKPKS1_PKPS1_Li32EEv13rocblas_fill_18rocblas_operation_17rocblas_diagonal_iiT0_T1_lilT2_lili
; %bb.0:
	s_mov_b32 s20, s3
	s_load_dwordx4 s[16:19], s[0:1], 0x48
	s_load_dwordx4 s[12:15], s[0:1], 0x0
	s_load_dword s24, s[0:1], 0x10
	s_load_dwordx8 s[4:11], s[0:1], 0x18
	s_mov_b32 s21, 0
	s_lshl_b64 s[22:23], s[20:21], 3
	s_waitcnt lgkmcnt(0)
	s_add_u32 s16, s16, s22
	s_addc_u32 s17, s17, s23
	s_load_dwordx2 s[16:17], s[16:17], 0x0
	s_min_i32 s25, s24, 32
	v_cmp_gt_i32_e32 vcc, s25, v0
	s_and_saveexec_b64 s[20:21], vcc
	s_cbranch_execz .LBB238_5
; %bb.1:
	s_load_dword s26, s[0:1], 0x38
	v_lshlrev_b32_e32 v2, 4, v0
	v_mov_b32_e32 v3, 0
	v_mov_b32_e32 v1, v2
	s_mov_b32 s3, s25
	s_waitcnt lgkmcnt(0)
	s_ashr_i32 s27, s26, 31
	s_cmpk_eq_i32 s13, 0x71
	s_cselect_b64 vcc, -1, 0
	s_add_u32 s8, s8, s22
	s_addc_u32 s9, s9, s23
	s_load_dwordx2 s[8:9], s[8:9], 0x0
	s_lshl_b64 s[10:11], s[10:11], 4
	s_waitcnt lgkmcnt(0)
	s_add_u32 s10, s8, s10
	s_addc_u32 s11, s9, s11
	s_lshl_b64 s[8:9], s[26:27], 4
	v_lshl_add_u64 v[4:5], s[10:11], 0, v[2:3]
.LBB238_2:                              ; =>This Inner Loop Header: Depth=1
	flat_load_dwordx4 v[6:9], v[4:5]
	s_add_i32 s3, s3, -1
	v_lshl_add_u64 v[4:5], v[4:5], 0, s[8:9]
	s_cmp_eq_u32 s3, 0
	s_waitcnt vmcnt(0) lgkmcnt(0)
	v_xor_b32_e32 v3, 0x80000000, v9
	v_cndmask_b32_e32 v9, v9, v3, vcc
	ds_write_b128 v1, v[6:9]
	v_add_u32_e32 v1, 0x200, v1
	s_cbranch_scc0 .LBB238_2
; %bb.3:
	s_cmpk_eq_i32 s14, 0x84
	s_cbranch_scc0 .LBB238_5
; %bb.4:
	v_lshl_or_b32 v1, v0, 9, v2
	v_mov_b32_e32 v2, 0
	v_mov_b32_e32 v3, 0x3ff00000
	;; [unrolled: 1-line block ×4, first 2 shown]
	ds_write_b128 v1, v[2:5]
.LBB238_5:
	s_or_b64 exec, exec, s[20:21]
	s_load_dword s3, s[0:1], 0x70
	s_load_dword s8, s[0:1], 0x58
	s_lshl_b64 s[0:1], s[18:19], 4
	s_waitcnt lgkmcnt(0)
	s_add_u32 s9, s16, s0
	s_addc_u32 s10, s17, s1
	s_lshl_b32 s0, s2, 5
	s_add_i32 s3, s3, -1
	s_sub_i32 s0, s15, s0
	s_cmp_ge_u32 s2, s3
	s_cselect_b32 s11, s0, 32
	s_ashr_i32 s3, s2, 31
	s_lshl_b64 s[0:1], s[2:3], 9
	s_add_u32 s2, s9, s0
	s_addc_u32 s3, s10, s1
	v_cmp_gt_i32_e64 s[0:1], s11, v0
	s_and_saveexec_b64 s[10:11], s[0:1]
	s_cbranch_execz .LBB238_9
; %bb.6:
	s_cmp_lt_i32 s24, 1
	s_cbranch_scc1 .LBB238_9
; %bb.7:
	s_ashr_i32 s9, s8, 31
	v_lshlrev_b32_e32 v4, 4, v0
	v_mov_b32_e32 v5, 0
	v_lshl_add_u64 v[2:3], s[2:3], 0, v[4:5]
	s_lshl_b64 s[14:15], s[8:9], 4
	v_or_b32_e32 v1, 0x4000, v4
	s_mov_b32 s9, s24
.LBB238_8:                              ; =>This Inner Loop Header: Depth=1
	flat_load_dwordx4 v[4:7], v[2:3]
	s_add_i32 s9, s9, -1
	v_lshl_add_u64 v[2:3], v[2:3], 0, s[14:15]
	s_cmp_lg_u32 s9, 0
	s_waitcnt vmcnt(0) lgkmcnt(0)
	v_mul_f64 v[10:11], s[6:7], v[6:7]
	v_mul_f64 v[8:9], s[4:5], v[6:7]
	v_fma_f64 v[6:7], s[4:5], v[4:5], -v[10:11]
	v_fmac_f64_e32 v[8:9], s[6:7], v[4:5]
	ds_write_b128 v1, v[6:9]
	v_add_u32_e32 v1, 0x200, v1
	s_cbranch_scc1 .LBB238_8
.LBB238_9:
	s_or_b64 exec, exec, s[10:11]
	s_cmpk_eq_i32 s13, 0x6f
	s_cselect_b64 s[4:5], -1, 0
	s_cmpk_lg_i32 s12, 0x79
	s_cselect_b64 s[6:7], -1, 0
	s_cmpk_eq_i32 s12, 0x79
	s_cselect_b64 s[10:11], -1, 0
	s_and_b64 s[10:11], s[10:11], s[4:5]
	s_andn2_b64 vcc, exec, s[10:11]
	s_mov_b64 s[10:11], -1
	s_waitcnt lgkmcnt(0)
	; wave barrier
	s_cbranch_vccz .LBB238_110
; %bb.10:
	s_cmpk_lg_i32 s12, 0x7a
	s_cselect_b64 s[12:13], -1, 0
	s_xor_b64 s[4:5], s[4:5], -1
	s_add_i32 s9, s25, -1
	s_or_b64 s[12:13], s[12:13], s[4:5]
	v_mov_b32_e32 v1, 0x4000
	s_cmp_gt_i32 s24, 3
	v_lshl_or_b32 v1, v0, 4, v1
	s_cselect_b64 s[4:5], -1, 0
	s_and_b64 vcc, exec, s[12:13]
	s_cbranch_vccz .LBB238_77
; %bb.11:
	s_andn2_b64 vcc, exec, s[6:7]
	s_mov_b64 s[6:7], -1
	s_cbranch_vccnz .LBB238_44
; %bb.12:
	s_andn2_b64 vcc, exec, s[4:5]
	s_mov_b32 s12, 0
	s_cbranch_vccnz .LBB238_34
; %bb.13:
	v_mov_b32_e32 v2, 0x4000
	v_lshl_or_b32 v26, v0, 4, v2
	s_mov_b32 s10, 0
	s_mov_b32 s11, 0
.LBB238_14:                             ; =>This Loop Header: Depth=1
                                        ;     Child Loop BB238_15 Depth 2
	s_lshl_b32 s6, s11, 9
	s_or_b32 s12, s11, 2
	v_add_u32_e32 v30, s6, v1
	s_or_b32 s14, s11, 1
	v_lshl_add_u32 v28, s12, 9, v1
	s_or_b32 s7, s6, 0x600
	v_lshl_add_u32 v29, s14, 9, v1
	ds_read_b128 v[18:21], v30
	ds_read_b128 v[14:17], v29
	v_add_u32_e32 v27, s7, v1
	ds_read_b128 v[6:9], v28
	ds_read_b128 v[2:5], v27
	s_cmp_eq_u32 s11, 0
	v_mov_b32_e32 v10, v26
	s_mov_b32 s7, s10
	s_mov_b32 s13, s11
	s_cbranch_scc1 .LBB238_16
.LBB238_15:                             ;   Parent Loop BB238_14 Depth=1
                                        ; =>  This Inner Loop Header: Depth=2
	v_mov_b32_e32 v11, s7
	ds_read_b128 v[22:25], v10
	ds_read_b128 v[32:35], v11
	ds_read_b128 v[36:39], v11 offset:16
	ds_read_b128 v[40:43], v11 offset:32
	;; [unrolled: 1-line block ×3, first 2 shown]
	s_add_i32 s13, s13, -1
	s_addk_i32 s7, 0x200
	v_add_u32_e32 v10, 0x200, v10
	s_waitcnt lgkmcnt(3)
	v_mul_f64 v[12:13], v[24:25], v[34:35]
	v_mul_f64 v[34:35], v[22:23], v[34:35]
	s_waitcnt lgkmcnt(2)
	v_mul_f64 v[48:49], v[24:25], v[38:39]
	v_mul_f64 v[38:39], v[22:23], v[38:39]
	;; [unrolled: 3-line block ×4, first 2 shown]
	v_fma_f64 v[12:13], v[22:23], v[32:33], -v[12:13]
	v_fmac_f64_e32 v[34:35], v[24:25], v[32:33]
	v_fma_f64 v[32:33], v[22:23], v[36:37], -v[48:49]
	v_fmac_f64_e32 v[38:39], v[24:25], v[36:37]
	;; [unrolled: 2-line block ×4, first 2 shown]
	s_cmp_eq_u32 s13, 0
	v_add_f64 v[18:19], v[18:19], -v[12:13]
	v_add_f64 v[20:21], v[20:21], -v[34:35]
	;; [unrolled: 1-line block ×8, first 2 shown]
	s_cbranch_scc0 .LBB238_15
.LBB238_16:                             ;   in Loop: Header=BB238_14 Depth=1
	s_lshl_b32 s13, s11, 4
	s_add_i32 s15, s13, s6
	v_mov_b32_e32 v10, s15
	ds_read_b128 v[22:25], v10
	s_mov_b64 s[6:7], -1
                                        ; implicit-def: $vgpr12_vgpr13
	s_waitcnt lgkmcnt(0)
	v_cmp_ngt_f64_e64 s[16:17], |v[22:23]|, |v[24:25]|
	s_and_b64 vcc, exec, s[16:17]
	s_cbranch_vccz .LBB238_18
; %bb.17:                               ;   in Loop: Header=BB238_14 Depth=1
	v_div_scale_f64 v[10:11], s[6:7], v[24:25], v[24:25], v[22:23]
	v_rcp_f64_e32 v[12:13], v[10:11]
	v_div_scale_f64 v[32:33], vcc, v[22:23], v[24:25], v[22:23]
	v_fma_f64 v[34:35], -v[10:11], v[12:13], 1.0
	v_fmac_f64_e32 v[12:13], v[12:13], v[34:35]
	v_fma_f64 v[34:35], -v[10:11], v[12:13], 1.0
	v_fmac_f64_e32 v[12:13], v[12:13], v[34:35]
	v_mul_f64 v[34:35], v[32:33], v[12:13]
	v_fma_f64 v[10:11], -v[10:11], v[34:35], v[32:33]
	v_div_fmas_f64 v[10:11], v[10:11], v[12:13], v[34:35]
	v_div_fixup_f64 v[12:13], v[10:11], v[24:25], v[22:23]
	v_fma_f64 v[10:11], v[22:23], v[12:13], v[24:25]
	v_div_scale_f64 v[32:33], s[6:7], v[10:11], v[10:11], 1.0
	v_rcp_f64_e32 v[34:35], v[32:33]
	s_mov_b64 s[6:7], 0
	v_fma_f64 v[36:37], -v[32:33], v[34:35], 1.0
	v_fmac_f64_e32 v[34:35], v[34:35], v[36:37]
	v_fma_f64 v[36:37], -v[32:33], v[34:35], 1.0
	v_fmac_f64_e32 v[34:35], v[34:35], v[36:37]
	v_div_scale_f64 v[36:37], vcc, 1.0, v[10:11], 1.0
	v_mul_f64 v[38:39], v[36:37], v[34:35]
	v_fma_f64 v[32:33], -v[32:33], v[38:39], v[36:37]
	s_nop 1
	v_div_fmas_f64 v[32:33], v[32:33], v[34:35], v[38:39]
	v_div_fixup_f64 v[32:33], v[32:33], v[10:11], 1.0
	v_fma_f64 v[10:11], v[18:19], v[12:13], v[20:21]
	v_fma_f64 v[12:13], v[20:21], v[12:13], -v[18:19]
	v_mul_f64 v[10:11], v[10:11], v[32:33]
	v_mul_f64 v[12:13], v[12:13], v[32:33]
.LBB238_18:                             ;   in Loop: Header=BB238_14 Depth=1
	s_andn2_b64 vcc, exec, s[6:7]
	s_cbranch_vccnz .LBB238_20
; %bb.19:                               ;   in Loop: Header=BB238_14 Depth=1
	v_div_scale_f64 v[10:11], s[6:7], v[22:23], v[22:23], v[24:25]
	v_rcp_f64_e32 v[12:13], v[10:11]
	v_div_scale_f64 v[32:33], vcc, v[24:25], v[22:23], v[24:25]
	v_fma_f64 v[34:35], -v[10:11], v[12:13], 1.0
	v_fmac_f64_e32 v[12:13], v[12:13], v[34:35]
	v_fma_f64 v[34:35], -v[10:11], v[12:13], 1.0
	v_fmac_f64_e32 v[12:13], v[12:13], v[34:35]
	v_mul_f64 v[34:35], v[32:33], v[12:13]
	v_fma_f64 v[10:11], -v[10:11], v[34:35], v[32:33]
	v_div_fmas_f64 v[10:11], v[10:11], v[12:13], v[34:35]
	v_div_fixup_f64 v[12:13], v[10:11], v[22:23], v[24:25]
	v_fmac_f64_e32 v[22:23], v[24:25], v[12:13]
	v_div_scale_f64 v[10:11], s[6:7], v[22:23], v[22:23], 1.0
	v_rcp_f64_e32 v[24:25], v[10:11]
	s_nop 0
	v_fma_f64 v[32:33], -v[10:11], v[24:25], 1.0
	v_fmac_f64_e32 v[24:25], v[24:25], v[32:33]
	v_fma_f64 v[32:33], -v[10:11], v[24:25], 1.0
	v_fmac_f64_e32 v[24:25], v[24:25], v[32:33]
	v_div_scale_f64 v[32:33], vcc, 1.0, v[22:23], 1.0
	v_mul_f64 v[34:35], v[32:33], v[24:25]
	v_fma_f64 v[10:11], -v[10:11], v[34:35], v[32:33]
	s_nop 1
	v_div_fmas_f64 v[10:11], v[10:11], v[24:25], v[34:35]
	v_div_fixup_f64 v[22:23], v[10:11], v[22:23], 1.0
	v_fma_f64 v[10:11], v[20:21], v[12:13], v[18:19]
	v_fma_f64 v[12:13], -v[18:19], v[12:13], v[20:21]
	v_mul_f64 v[10:11], v[10:11], v[22:23]
	v_mul_f64 v[12:13], v[12:13], v[22:23]
.LBB238_20:                             ;   in Loop: Header=BB238_14 Depth=1
	v_mov_b32_e32 v18, s15
	ds_read_b128 v[22:25], v18 offset:16
	ds_read_b128 v[18:21], v18 offset:528
	ds_write_b128 v30, v[10:13]
	s_mov_b64 s[6:7], -1
	s_waitcnt lgkmcnt(2)
	v_mul_f64 v[30:31], v[12:13], v[24:25]
	v_mul_f64 v[24:25], v[10:11], v[24:25]
	v_fma_f64 v[30:31], v[10:11], v[22:23], -v[30:31]
	v_fmac_f64_e32 v[24:25], v[12:13], v[22:23]
	s_waitcnt lgkmcnt(1)
	v_cmp_ngt_f64_e64 s[16:17], |v[18:19]|, |v[20:21]|
	v_add_f64 v[22:23], v[14:15], -v[30:31]
	v_add_f64 v[24:25], v[16:17], -v[24:25]
	s_and_b64 vcc, exec, s[16:17]
                                        ; implicit-def: $vgpr16_vgpr17
	s_cbranch_vccz .LBB238_22
; %bb.21:                               ;   in Loop: Header=BB238_14 Depth=1
	v_div_scale_f64 v[14:15], s[6:7], v[20:21], v[20:21], v[18:19]
	v_rcp_f64_e32 v[16:17], v[14:15]
	v_div_scale_f64 v[30:31], vcc, v[18:19], v[20:21], v[18:19]
	v_fma_f64 v[32:33], -v[14:15], v[16:17], 1.0
	v_fmac_f64_e32 v[16:17], v[16:17], v[32:33]
	v_fma_f64 v[32:33], -v[14:15], v[16:17], 1.0
	v_fmac_f64_e32 v[16:17], v[16:17], v[32:33]
	v_mul_f64 v[32:33], v[30:31], v[16:17]
	v_fma_f64 v[14:15], -v[14:15], v[32:33], v[30:31]
	v_div_fmas_f64 v[14:15], v[14:15], v[16:17], v[32:33]
	v_div_fixup_f64 v[16:17], v[14:15], v[20:21], v[18:19]
	v_fma_f64 v[14:15], v[18:19], v[16:17], v[20:21]
	v_div_scale_f64 v[30:31], s[6:7], v[14:15], v[14:15], 1.0
	v_rcp_f64_e32 v[32:33], v[30:31]
	s_mov_b64 s[6:7], 0
	v_fma_f64 v[34:35], -v[30:31], v[32:33], 1.0
	v_fmac_f64_e32 v[32:33], v[32:33], v[34:35]
	v_fma_f64 v[34:35], -v[30:31], v[32:33], 1.0
	v_fmac_f64_e32 v[32:33], v[32:33], v[34:35]
	v_div_scale_f64 v[34:35], vcc, 1.0, v[14:15], 1.0
	v_mul_f64 v[36:37], v[34:35], v[32:33]
	v_fma_f64 v[30:31], -v[30:31], v[36:37], v[34:35]
	s_nop 1
	v_div_fmas_f64 v[30:31], v[30:31], v[32:33], v[36:37]
	v_div_fixup_f64 v[30:31], v[30:31], v[14:15], 1.0
	v_fma_f64 v[14:15], v[16:17], v[22:23], v[24:25]
	v_fma_f64 v[16:17], v[16:17], v[24:25], -v[22:23]
	v_mul_f64 v[14:15], v[14:15], v[30:31]
	v_mul_f64 v[16:17], v[16:17], v[30:31]
.LBB238_22:                             ;   in Loop: Header=BB238_14 Depth=1
	s_andn2_b64 vcc, exec, s[6:7]
	s_cbranch_vccnz .LBB238_24
; %bb.23:                               ;   in Loop: Header=BB238_14 Depth=1
	v_div_scale_f64 v[14:15], s[6:7], v[18:19], v[18:19], v[20:21]
	v_rcp_f64_e32 v[16:17], v[14:15]
	v_div_scale_f64 v[30:31], vcc, v[20:21], v[18:19], v[20:21]
	v_fma_f64 v[32:33], -v[14:15], v[16:17], 1.0
	v_fmac_f64_e32 v[16:17], v[16:17], v[32:33]
	v_fma_f64 v[32:33], -v[14:15], v[16:17], 1.0
	v_fmac_f64_e32 v[16:17], v[16:17], v[32:33]
	v_mul_f64 v[32:33], v[30:31], v[16:17]
	v_fma_f64 v[14:15], -v[14:15], v[32:33], v[30:31]
	v_div_fmas_f64 v[14:15], v[14:15], v[16:17], v[32:33]
	v_div_fixup_f64 v[16:17], v[14:15], v[18:19], v[20:21]
	v_fmac_f64_e32 v[18:19], v[20:21], v[16:17]
	v_div_scale_f64 v[14:15], s[6:7], v[18:19], v[18:19], 1.0
	v_rcp_f64_e32 v[20:21], v[14:15]
	s_nop 0
	v_fma_f64 v[30:31], -v[14:15], v[20:21], 1.0
	v_fmac_f64_e32 v[20:21], v[20:21], v[30:31]
	v_fma_f64 v[30:31], -v[14:15], v[20:21], 1.0
	v_fmac_f64_e32 v[20:21], v[20:21], v[30:31]
	v_div_scale_f64 v[30:31], vcc, 1.0, v[18:19], 1.0
	v_mul_f64 v[32:33], v[30:31], v[20:21]
	v_fma_f64 v[14:15], -v[14:15], v[32:33], v[30:31]
	s_nop 1
	v_div_fmas_f64 v[14:15], v[14:15], v[20:21], v[32:33]
	v_div_fixup_f64 v[18:19], v[14:15], v[18:19], 1.0
	v_fma_f64 v[14:15], v[16:17], v[24:25], v[22:23]
	v_fma_f64 v[16:17], -v[16:17], v[22:23], v[24:25]
	v_mul_f64 v[14:15], v[14:15], v[18:19]
	v_mul_f64 v[16:17], v[16:17], v[18:19]
.LBB238_24:                             ;   in Loop: Header=BB238_14 Depth=1
	v_mov_b32_e32 v18, s15
	ds_read_b128 v[22:25], v18 offset:32
	s_add_i32 s16, s15, 0x210
	s_lshl_b32 s6, s14, 4
	s_sub_i32 s14, s16, s6
	s_add_i32 s14, s14, s13
	ds_write_b128 v29, v[14:17]
	s_waitcnt lgkmcnt(1)
	v_mul_f64 v[30:31], v[12:13], v[24:25]
	v_mov_b32_e32 v29, s14
	ds_read_b128 v[18:21], v18 offset:1056
	v_fma_f64 v[34:35], v[10:11], v[22:23], -v[30:31]
	ds_read_b128 v[30:33], v29 offset:32
	v_mul_f64 v[24:25], v[10:11], v[24:25]
	v_fmac_f64_e32 v[24:25], v[12:13], v[22:23]
	v_add_f64 v[8:9], v[8:9], -v[24:25]
	v_add_f64 v[6:7], v[6:7], -v[34:35]
	s_waitcnt lgkmcnt(0)
	v_mul_f64 v[22:23], v[16:17], v[32:33]
	v_mul_f64 v[24:25], v[14:15], v[32:33]
	v_fma_f64 v[22:23], v[14:15], v[30:31], -v[22:23]
	v_fmac_f64_e32 v[24:25], v[16:17], v[30:31]
	v_cmp_ngt_f64_e64 s[18:19], |v[18:19]|, |v[20:21]|
	v_add_f64 v[6:7], v[6:7], -v[22:23]
	v_add_f64 v[8:9], v[8:9], -v[24:25]
	s_mov_b64 s[6:7], -1
	s_and_b64 vcc, exec, s[18:19]
                                        ; implicit-def: $vgpr24_vgpr25
	s_cbranch_vccz .LBB238_26
; %bb.25:                               ;   in Loop: Header=BB238_14 Depth=1
	v_div_scale_f64 v[22:23], s[6:7], v[20:21], v[20:21], v[18:19]
	v_rcp_f64_e32 v[24:25], v[22:23]
	v_div_scale_f64 v[30:31], vcc, v[18:19], v[20:21], v[18:19]
	v_fma_f64 v[32:33], -v[22:23], v[24:25], 1.0
	v_fmac_f64_e32 v[24:25], v[24:25], v[32:33]
	v_fma_f64 v[32:33], -v[22:23], v[24:25], 1.0
	v_fmac_f64_e32 v[24:25], v[24:25], v[32:33]
	v_mul_f64 v[32:33], v[30:31], v[24:25]
	v_fma_f64 v[22:23], -v[22:23], v[32:33], v[30:31]
	v_div_fmas_f64 v[22:23], v[22:23], v[24:25], v[32:33]
	v_div_fixup_f64 v[24:25], v[22:23], v[20:21], v[18:19]
	v_fma_f64 v[22:23], v[18:19], v[24:25], v[20:21]
	v_div_scale_f64 v[30:31], s[6:7], v[22:23], v[22:23], 1.0
	v_rcp_f64_e32 v[32:33], v[30:31]
	s_mov_b64 s[6:7], 0
	v_fma_f64 v[34:35], -v[30:31], v[32:33], 1.0
	v_fmac_f64_e32 v[32:33], v[32:33], v[34:35]
	v_fma_f64 v[34:35], -v[30:31], v[32:33], 1.0
	v_fmac_f64_e32 v[32:33], v[32:33], v[34:35]
	v_div_scale_f64 v[34:35], vcc, 1.0, v[22:23], 1.0
	v_mul_f64 v[36:37], v[34:35], v[32:33]
	v_fma_f64 v[30:31], -v[30:31], v[36:37], v[34:35]
	s_nop 1
	v_div_fmas_f64 v[30:31], v[30:31], v[32:33], v[36:37]
	v_div_fixup_f64 v[30:31], v[30:31], v[22:23], 1.0
	v_fma_f64 v[22:23], v[24:25], v[6:7], v[8:9]
	v_fma_f64 v[24:25], v[24:25], v[8:9], -v[6:7]
	v_mul_f64 v[22:23], v[22:23], v[30:31]
	v_mul_f64 v[24:25], v[24:25], v[30:31]
.LBB238_26:                             ;   in Loop: Header=BB238_14 Depth=1
	s_andn2_b64 vcc, exec, s[6:7]
	s_cbranch_vccnz .LBB238_28
; %bb.27:                               ;   in Loop: Header=BB238_14 Depth=1
	v_div_scale_f64 v[22:23], s[6:7], v[18:19], v[18:19], v[20:21]
	v_rcp_f64_e32 v[24:25], v[22:23]
	v_div_scale_f64 v[30:31], vcc, v[20:21], v[18:19], v[20:21]
	v_fma_f64 v[32:33], -v[22:23], v[24:25], 1.0
	v_fmac_f64_e32 v[24:25], v[24:25], v[32:33]
	v_fma_f64 v[32:33], -v[22:23], v[24:25], 1.0
	v_fmac_f64_e32 v[24:25], v[24:25], v[32:33]
	v_mul_f64 v[32:33], v[30:31], v[24:25]
	v_fma_f64 v[22:23], -v[22:23], v[32:33], v[30:31]
	v_div_fmas_f64 v[22:23], v[22:23], v[24:25], v[32:33]
	v_div_fixup_f64 v[24:25], v[22:23], v[18:19], v[20:21]
	v_fmac_f64_e32 v[18:19], v[20:21], v[24:25]
	v_div_scale_f64 v[20:21], s[6:7], v[18:19], v[18:19], 1.0
	v_rcp_f64_e32 v[22:23], v[20:21]
	s_nop 0
	v_fma_f64 v[30:31], -v[20:21], v[22:23], 1.0
	v_fmac_f64_e32 v[22:23], v[22:23], v[30:31]
	v_fma_f64 v[30:31], -v[20:21], v[22:23], 1.0
	v_fmac_f64_e32 v[22:23], v[22:23], v[30:31]
	v_div_scale_f64 v[30:31], vcc, 1.0, v[18:19], 1.0
	v_mul_f64 v[32:33], v[30:31], v[22:23]
	v_fma_f64 v[20:21], -v[20:21], v[32:33], v[30:31]
	s_nop 1
	v_div_fmas_f64 v[20:21], v[20:21], v[22:23], v[32:33]
	v_div_fixup_f64 v[18:19], v[20:21], v[18:19], 1.0
	v_fma_f64 v[20:21], v[24:25], v[8:9], v[6:7]
	v_fma_f64 v[6:7], -v[24:25], v[6:7], v[8:9]
	v_mul_f64 v[22:23], v[20:21], v[18:19]
	v_mul_f64 v[24:25], v[6:7], v[18:19]
.LBB238_28:                             ;   in Loop: Header=BB238_14 Depth=1
	v_mov_b32_e32 v6, s15
	ds_read_b128 v[18:21], v6 offset:48
	s_lshl_b32 s6, s12, 4
	ds_write_b128 v28, v[22:25]
	s_sub_i32 s6, s16, s6
	s_add_i32 s6, s6, s13
	s_waitcnt lgkmcnt(1)
	v_mul_f64 v[28:29], v[12:13], v[20:21]
	v_fma_f64 v[28:29], v[10:11], v[18:19], -v[28:29]
	v_mul_f64 v[20:21], v[10:11], v[20:21]
	v_fmac_f64_e32 v[20:21], v[12:13], v[18:19]
	v_add_f64 v[18:19], v[2:3], -v[28:29]
	v_mov_b32_e32 v2, s14
	ds_read_b128 v[6:9], v6 offset:1584
	ds_read_b128 v[10:13], v2 offset:48
	v_mov_b32_e32 v2, s6
	v_add_f64 v[20:21], v[4:5], -v[20:21]
	ds_read_b128 v[2:5], v2 offset:576
	s_waitcnt lgkmcnt(2)
	v_cmp_ngt_f64_e64 s[12:13], |v[6:7]|, |v[8:9]|
	s_waitcnt lgkmcnt(1)
	v_mul_f64 v[28:29], v[16:17], v[12:13]
	v_mul_f64 v[12:13], v[14:15], v[12:13]
	v_fma_f64 v[28:29], v[14:15], v[10:11], -v[28:29]
	v_fmac_f64_e32 v[12:13], v[16:17], v[10:11]
	s_waitcnt lgkmcnt(0)
	v_mul_f64 v[14:15], v[24:25], v[4:5]
	v_mul_f64 v[4:5], v[22:23], v[4:5]
	v_add_f64 v[10:11], v[18:19], -v[28:29]
	v_add_f64 v[12:13], v[20:21], -v[12:13]
	v_fma_f64 v[14:15], v[22:23], v[2:3], -v[14:15]
	v_fmac_f64_e32 v[4:5], v[24:25], v[2:3]
	v_add_f64 v[10:11], v[10:11], -v[14:15]
	v_add_f64 v[12:13], v[12:13], -v[4:5]
	s_mov_b64 s[6:7], -1
	s_and_b64 vcc, exec, s[12:13]
                                        ; implicit-def: $vgpr4_vgpr5
	s_cbranch_vccz .LBB238_30
; %bb.29:                               ;   in Loop: Header=BB238_14 Depth=1
	v_div_scale_f64 v[2:3], s[6:7], v[8:9], v[8:9], v[6:7]
	v_rcp_f64_e32 v[4:5], v[2:3]
	v_div_scale_f64 v[14:15], vcc, v[6:7], v[8:9], v[6:7]
	v_fma_f64 v[16:17], -v[2:3], v[4:5], 1.0
	v_fmac_f64_e32 v[4:5], v[4:5], v[16:17]
	v_fma_f64 v[16:17], -v[2:3], v[4:5], 1.0
	v_fmac_f64_e32 v[4:5], v[4:5], v[16:17]
	v_mul_f64 v[16:17], v[14:15], v[4:5]
	v_fma_f64 v[2:3], -v[2:3], v[16:17], v[14:15]
	v_div_fmas_f64 v[2:3], v[2:3], v[4:5], v[16:17]
	v_div_fixup_f64 v[4:5], v[2:3], v[8:9], v[6:7]
	v_fma_f64 v[2:3], v[6:7], v[4:5], v[8:9]
	v_div_scale_f64 v[14:15], s[6:7], v[2:3], v[2:3], 1.0
	v_rcp_f64_e32 v[16:17], v[14:15]
	s_mov_b64 s[6:7], 0
	v_fma_f64 v[18:19], -v[14:15], v[16:17], 1.0
	v_fmac_f64_e32 v[16:17], v[16:17], v[18:19]
	v_fma_f64 v[18:19], -v[14:15], v[16:17], 1.0
	v_fmac_f64_e32 v[16:17], v[16:17], v[18:19]
	v_div_scale_f64 v[18:19], vcc, 1.0, v[2:3], 1.0
	v_mul_f64 v[20:21], v[18:19], v[16:17]
	v_fma_f64 v[14:15], -v[14:15], v[20:21], v[18:19]
	s_nop 1
	v_div_fmas_f64 v[14:15], v[14:15], v[16:17], v[20:21]
	v_div_fixup_f64 v[14:15], v[14:15], v[2:3], 1.0
	v_fma_f64 v[2:3], v[4:5], v[10:11], v[12:13]
	v_fma_f64 v[4:5], v[4:5], v[12:13], -v[10:11]
	v_mul_f64 v[2:3], v[2:3], v[14:15]
	v_mul_f64 v[4:5], v[4:5], v[14:15]
.LBB238_30:                             ;   in Loop: Header=BB238_14 Depth=1
	s_andn2_b64 vcc, exec, s[6:7]
	s_cbranch_vccnz .LBB238_32
; %bb.31:                               ;   in Loop: Header=BB238_14 Depth=1
	v_div_scale_f64 v[2:3], s[6:7], v[6:7], v[6:7], v[8:9]
	v_rcp_f64_e32 v[4:5], v[2:3]
	v_div_scale_f64 v[14:15], vcc, v[8:9], v[6:7], v[8:9]
	v_fma_f64 v[16:17], -v[2:3], v[4:5], 1.0
	v_fmac_f64_e32 v[4:5], v[4:5], v[16:17]
	v_fma_f64 v[16:17], -v[2:3], v[4:5], 1.0
	v_fmac_f64_e32 v[4:5], v[4:5], v[16:17]
	v_mul_f64 v[16:17], v[14:15], v[4:5]
	v_fma_f64 v[2:3], -v[2:3], v[16:17], v[14:15]
	v_div_fmas_f64 v[2:3], v[2:3], v[4:5], v[16:17]
	v_div_fixup_f64 v[4:5], v[2:3], v[6:7], v[8:9]
	v_fmac_f64_e32 v[6:7], v[8:9], v[4:5]
	v_div_scale_f64 v[2:3], s[6:7], v[6:7], v[6:7], 1.0
	v_rcp_f64_e32 v[8:9], v[2:3]
	s_nop 0
	v_fma_f64 v[14:15], -v[2:3], v[8:9], 1.0
	v_fmac_f64_e32 v[8:9], v[8:9], v[14:15]
	v_fma_f64 v[14:15], -v[2:3], v[8:9], 1.0
	v_fmac_f64_e32 v[8:9], v[8:9], v[14:15]
	v_div_scale_f64 v[14:15], vcc, 1.0, v[6:7], 1.0
	v_mul_f64 v[16:17], v[14:15], v[8:9]
	v_fma_f64 v[2:3], -v[2:3], v[16:17], v[14:15]
	s_nop 1
	v_div_fmas_f64 v[2:3], v[2:3], v[8:9], v[16:17]
	v_div_fixup_f64 v[6:7], v[2:3], v[6:7], 1.0
	v_fma_f64 v[2:3], v[4:5], v[12:13], v[10:11]
	v_fma_f64 v[4:5], -v[4:5], v[10:11], v[12:13]
	v_mul_f64 v[2:3], v[2:3], v[6:7]
	v_mul_f64 v[4:5], v[4:5], v[6:7]
.LBB238_32:                             ;   in Loop: Header=BB238_14 Depth=1
	s_add_i32 s12, s11, 4
	s_add_i32 s6, s11, 7
	;; [unrolled: 1-line block ×3, first 2 shown]
	s_cmp_ge_i32 s6, s25
	ds_write_b128 v27, v[2:5]
	s_cbranch_scc1 .LBB238_34
; %bb.33:                               ;   in Loop: Header=BB238_14 Depth=1
	s_mov_b32 s11, s12
	s_branch .LBB238_14
.LBB238_34:
	s_cmp_ge_i32 s12, s25
	s_cbranch_scc1 .LBB238_43
; %bb.35:
	v_mov_b32_e32 v2, 0x4000
	s_lshl_b32 s10, s12, 4
	v_lshl_or_b32 v14, v0, 4, v2
	s_branch .LBB238_37
.LBB238_36:                             ;   in Loop: Header=BB238_37 Depth=1
	s_add_i32 s12, s12, 1
	s_add_i32 s10, s10, 16
	s_cmp_ge_i32 s12, s25
	ds_write_b128 v15, v[10:13]
	s_cbranch_scc1 .LBB238_43
.LBB238_37:                             ; =>This Loop Header: Depth=1
                                        ;     Child Loop BB238_38 Depth 2
	s_lshl_b32 s6, s12, 9
	v_add_u32_e32 v15, s6, v1
	ds_read_b128 v[2:5], v15
	s_cmp_eq_u32 s12, 0
	v_mov_b32_e32 v6, v14
	s_mov_b32 s7, s10
	s_mov_b32 s11, s12
	s_cbranch_scc1 .LBB238_39
.LBB238_38:                             ;   Parent Loop BB238_37 Depth=1
                                        ; =>  This Inner Loop Header: Depth=2
	v_mov_b32_e32 v7, s7
	ds_read_b128 v[8:11], v6
	ds_read_b128 v[16:19], v7
	s_add_i32 s11, s11, -1
	s_addk_i32 s7, 0x200
	v_add_u32_e32 v6, 0x200, v6
	s_cmp_eq_u32 s11, 0
	s_waitcnt lgkmcnt(0)
	v_mul_f64 v[12:13], v[18:19], v[10:11]
	v_mul_f64 v[10:11], v[16:17], v[10:11]
	v_fma_f64 v[12:13], v[16:17], v[8:9], -v[12:13]
	v_fmac_f64_e32 v[10:11], v[18:19], v[8:9]
	v_add_f64 v[2:3], v[2:3], -v[12:13]
	v_add_f64 v[4:5], v[4:5], -v[10:11]
	s_cbranch_scc0 .LBB238_38
.LBB238_39:                             ;   in Loop: Header=BB238_37 Depth=1
	s_lshl_b32 s7, s12, 4
	s_add_i32 s6, s7, s6
	v_mov_b32_e32 v6, s6
	ds_read_b128 v[6:9], v6
	s_mov_b64 s[6:7], -1
                                        ; implicit-def: $vgpr10_vgpr11
	s_waitcnt lgkmcnt(0)
	v_cmp_ngt_f64_e64 s[14:15], |v[6:7]|, |v[8:9]|
	s_and_b64 vcc, exec, s[14:15]
	s_cbranch_vccz .LBB238_41
; %bb.40:                               ;   in Loop: Header=BB238_37 Depth=1
	v_div_scale_f64 v[10:11], s[6:7], v[8:9], v[8:9], v[6:7]
	v_rcp_f64_e32 v[12:13], v[10:11]
	v_div_scale_f64 v[16:17], vcc, v[6:7], v[8:9], v[6:7]
	v_fma_f64 v[18:19], -v[10:11], v[12:13], 1.0
	v_fmac_f64_e32 v[12:13], v[12:13], v[18:19]
	v_fma_f64 v[18:19], -v[10:11], v[12:13], 1.0
	v_fmac_f64_e32 v[12:13], v[12:13], v[18:19]
	v_mul_f64 v[18:19], v[16:17], v[12:13]
	v_fma_f64 v[10:11], -v[10:11], v[18:19], v[16:17]
	v_div_fmas_f64 v[10:11], v[10:11], v[12:13], v[18:19]
	v_div_fixup_f64 v[12:13], v[10:11], v[8:9], v[6:7]
	v_fma_f64 v[10:11], v[6:7], v[12:13], v[8:9]
	v_div_scale_f64 v[16:17], s[6:7], v[10:11], v[10:11], 1.0
	v_rcp_f64_e32 v[18:19], v[16:17]
	s_mov_b64 s[6:7], 0
	v_fma_f64 v[20:21], -v[16:17], v[18:19], 1.0
	v_fmac_f64_e32 v[18:19], v[18:19], v[20:21]
	v_fma_f64 v[20:21], -v[16:17], v[18:19], 1.0
	v_fmac_f64_e32 v[18:19], v[18:19], v[20:21]
	v_div_scale_f64 v[20:21], vcc, 1.0, v[10:11], 1.0
	v_mul_f64 v[22:23], v[20:21], v[18:19]
	v_fma_f64 v[16:17], -v[16:17], v[22:23], v[20:21]
	s_nop 1
	v_div_fmas_f64 v[16:17], v[16:17], v[18:19], v[22:23]
	v_div_fixup_f64 v[16:17], v[16:17], v[10:11], 1.0
	v_fma_f64 v[10:11], v[2:3], v[12:13], v[4:5]
	v_fma_f64 v[12:13], v[4:5], v[12:13], -v[2:3]
	v_mul_f64 v[10:11], v[10:11], v[16:17]
	v_mul_f64 v[12:13], v[12:13], v[16:17]
.LBB238_41:                             ;   in Loop: Header=BB238_37 Depth=1
	s_andn2_b64 vcc, exec, s[6:7]
	s_cbranch_vccnz .LBB238_36
; %bb.42:                               ;   in Loop: Header=BB238_37 Depth=1
	v_div_scale_f64 v[10:11], s[6:7], v[6:7], v[6:7], v[8:9]
	v_rcp_f64_e32 v[12:13], v[10:11]
	v_div_scale_f64 v[16:17], vcc, v[8:9], v[6:7], v[8:9]
	v_fma_f64 v[18:19], -v[10:11], v[12:13], 1.0
	v_fmac_f64_e32 v[12:13], v[12:13], v[18:19]
	v_fma_f64 v[18:19], -v[10:11], v[12:13], 1.0
	v_fmac_f64_e32 v[12:13], v[12:13], v[18:19]
	v_mul_f64 v[18:19], v[16:17], v[12:13]
	v_fma_f64 v[10:11], -v[10:11], v[18:19], v[16:17]
	v_div_fmas_f64 v[10:11], v[10:11], v[12:13], v[18:19]
	v_div_fixup_f64 v[12:13], v[10:11], v[6:7], v[8:9]
	v_fmac_f64_e32 v[6:7], v[8:9], v[12:13]
	v_div_scale_f64 v[8:9], s[6:7], v[6:7], v[6:7], 1.0
	v_rcp_f64_e32 v[10:11], v[8:9]
	s_nop 0
	v_fma_f64 v[16:17], -v[8:9], v[10:11], 1.0
	v_fmac_f64_e32 v[10:11], v[10:11], v[16:17]
	v_fma_f64 v[16:17], -v[8:9], v[10:11], 1.0
	v_fmac_f64_e32 v[10:11], v[10:11], v[16:17]
	v_div_scale_f64 v[16:17], vcc, 1.0, v[6:7], 1.0
	v_mul_f64 v[18:19], v[16:17], v[10:11]
	v_fma_f64 v[8:9], -v[8:9], v[18:19], v[16:17]
	s_nop 1
	v_div_fmas_f64 v[8:9], v[8:9], v[10:11], v[18:19]
	v_div_fixup_f64 v[6:7], v[8:9], v[6:7], 1.0
	v_fma_f64 v[8:9], v[4:5], v[12:13], v[2:3]
	v_fma_f64 v[2:3], -v[2:3], v[12:13], v[4:5]
	v_mul_f64 v[10:11], v[8:9], v[6:7]
	v_mul_f64 v[12:13], v[2:3], v[6:7]
	s_branch .LBB238_36
.LBB238_43:
	s_mov_b64 s[6:7], 0
.LBB238_44:
	s_and_b64 vcc, exec, s[6:7]
	s_cbranch_vccz .LBB238_76
; %bb.45:
	s_andn2_b64 vcc, exec, s[4:5]
	s_mov_b32 s12, s9
	s_cbranch_vccnz .LBB238_67
; %bb.46:
	v_lshlrev_b32_e32 v2, 4, v0
	s_mul_i32 s6, s25, 0x210
	v_lshl_or_b32 v2, s25, 9, v2
	s_add_i32 s10, s6, 0xfffffdc0
	v_add_u32_e32 v26, 0x3e00, v2
	s_mov_b32 s11, s9
.LBB238_47:                             ; =>This Loop Header: Depth=1
                                        ;     Child Loop BB238_48 Depth 2
	s_add_i32 s14, s11, -2
	s_add_i32 s12, s11, -3
	v_lshl_add_u32 v30, s11, 9, v1
	s_add_i32 s13, s11, -1
	v_lshl_add_u32 v28, s14, 9, v1
	s_lshl_b32 s6, s12, 9
	v_lshl_add_u32 v29, s13, 9, v1
	ds_read_b128 v[18:21], v30
	ds_read_b128 v[14:17], v29
	v_add_u32_e32 v27, s6, v1
	ds_read_b128 v[6:9], v28
	ds_read_b128 v[2:5], v27
	s_cmp_le_i32 s9, s11
	v_mov_b32_e32 v10, v26
	s_mov_b32 s6, s10
	s_mov_b32 s7, s9
	s_cbranch_scc1 .LBB238_49
.LBB238_48:                             ;   Parent Loop BB238_47 Depth=1
                                        ; =>  This Inner Loop Header: Depth=2
	v_mov_b32_e32 v11, s6
	ds_read_b128 v[22:25], v10
	ds_read_b128 v[32:35], v11 offset:48
	ds_read_b128 v[36:39], v11 offset:32
	ds_read_b128 v[40:43], v11
	ds_read_b128 v[44:47], v11 offset:16
	s_add_i32 s7, s7, -1
	s_addk_i32 s6, 0xfe00
	v_add_u32_e32 v10, 0xfffffe00, v10
	s_waitcnt lgkmcnt(3)
	v_mul_f64 v[12:13], v[24:25], v[34:35]
	v_mul_f64 v[34:35], v[22:23], v[34:35]
	s_waitcnt lgkmcnt(2)
	v_mul_f64 v[48:49], v[24:25], v[38:39]
	v_mul_f64 v[38:39], v[22:23], v[38:39]
	;; [unrolled: 3-line block ×3, first 2 shown]
	v_mul_f64 v[52:53], v[24:25], v[42:43]
	v_mul_f64 v[42:43], v[22:23], v[42:43]
	v_fma_f64 v[12:13], v[22:23], v[32:33], -v[12:13]
	v_fmac_f64_e32 v[34:35], v[24:25], v[32:33]
	v_fma_f64 v[32:33], v[22:23], v[36:37], -v[48:49]
	v_fmac_f64_e32 v[38:39], v[24:25], v[36:37]
	;; [unrolled: 2-line block ×4, first 2 shown]
	s_cmp_le_i32 s7, s11
	v_add_f64 v[18:19], v[18:19], -v[12:13]
	v_add_f64 v[20:21], v[20:21], -v[34:35]
	;; [unrolled: 1-line block ×8, first 2 shown]
	s_cbranch_scc0 .LBB238_48
.LBB238_49:                             ;   in Loop: Header=BB238_47 Depth=1
	s_lshl_b32 s16, s11, 4
	s_lshl_b32 s6, s11, 9
	s_add_i32 s15, s16, s6
	v_mov_b32_e32 v10, s15
	ds_read_b128 v[22:25], v10
	s_mov_b64 s[6:7], -1
                                        ; implicit-def: $vgpr12_vgpr13
	s_waitcnt lgkmcnt(0)
	v_cmp_ngt_f64_e64 s[18:19], |v[22:23]|, |v[24:25]|
	s_and_b64 vcc, exec, s[18:19]
	s_cbranch_vccz .LBB238_51
; %bb.50:                               ;   in Loop: Header=BB238_47 Depth=1
	v_div_scale_f64 v[10:11], s[6:7], v[24:25], v[24:25], v[22:23]
	v_rcp_f64_e32 v[12:13], v[10:11]
	v_div_scale_f64 v[32:33], vcc, v[22:23], v[24:25], v[22:23]
	v_fma_f64 v[34:35], -v[10:11], v[12:13], 1.0
	v_fmac_f64_e32 v[12:13], v[12:13], v[34:35]
	v_fma_f64 v[34:35], -v[10:11], v[12:13], 1.0
	v_fmac_f64_e32 v[12:13], v[12:13], v[34:35]
	v_mul_f64 v[34:35], v[32:33], v[12:13]
	v_fma_f64 v[10:11], -v[10:11], v[34:35], v[32:33]
	v_div_fmas_f64 v[10:11], v[10:11], v[12:13], v[34:35]
	v_div_fixup_f64 v[12:13], v[10:11], v[24:25], v[22:23]
	v_fma_f64 v[10:11], v[22:23], v[12:13], v[24:25]
	v_div_scale_f64 v[32:33], s[6:7], v[10:11], v[10:11], 1.0
	v_rcp_f64_e32 v[34:35], v[32:33]
	s_mov_b64 s[6:7], 0
	v_fma_f64 v[36:37], -v[32:33], v[34:35], 1.0
	v_fmac_f64_e32 v[34:35], v[34:35], v[36:37]
	v_fma_f64 v[36:37], -v[32:33], v[34:35], 1.0
	v_fmac_f64_e32 v[34:35], v[34:35], v[36:37]
	v_div_scale_f64 v[36:37], vcc, 1.0, v[10:11], 1.0
	v_mul_f64 v[38:39], v[36:37], v[34:35]
	v_fma_f64 v[32:33], -v[32:33], v[38:39], v[36:37]
	s_nop 1
	v_div_fmas_f64 v[32:33], v[32:33], v[34:35], v[38:39]
	v_div_fixup_f64 v[32:33], v[32:33], v[10:11], 1.0
	v_fma_f64 v[10:11], v[18:19], v[12:13], v[20:21]
	v_fma_f64 v[12:13], v[20:21], v[12:13], -v[18:19]
	v_mul_f64 v[10:11], v[10:11], v[32:33]
	v_mul_f64 v[12:13], v[12:13], v[32:33]
.LBB238_51:                             ;   in Loop: Header=BB238_47 Depth=1
	s_andn2_b64 vcc, exec, s[6:7]
	s_cbranch_vccnz .LBB238_53
; %bb.52:                               ;   in Loop: Header=BB238_47 Depth=1
	v_div_scale_f64 v[10:11], s[6:7], v[22:23], v[22:23], v[24:25]
	v_rcp_f64_e32 v[12:13], v[10:11]
	v_div_scale_f64 v[32:33], vcc, v[24:25], v[22:23], v[24:25]
	v_fma_f64 v[34:35], -v[10:11], v[12:13], 1.0
	v_fmac_f64_e32 v[12:13], v[12:13], v[34:35]
	v_fma_f64 v[34:35], -v[10:11], v[12:13], 1.0
	v_fmac_f64_e32 v[12:13], v[12:13], v[34:35]
	v_mul_f64 v[34:35], v[32:33], v[12:13]
	v_fma_f64 v[10:11], -v[10:11], v[34:35], v[32:33]
	v_div_fmas_f64 v[10:11], v[10:11], v[12:13], v[34:35]
	v_div_fixup_f64 v[12:13], v[10:11], v[22:23], v[24:25]
	v_fmac_f64_e32 v[22:23], v[24:25], v[12:13]
	v_div_scale_f64 v[10:11], s[6:7], v[22:23], v[22:23], 1.0
	v_rcp_f64_e32 v[24:25], v[10:11]
	s_nop 0
	v_fma_f64 v[32:33], -v[10:11], v[24:25], 1.0
	v_fmac_f64_e32 v[24:25], v[24:25], v[32:33]
	v_fma_f64 v[32:33], -v[10:11], v[24:25], 1.0
	v_fmac_f64_e32 v[24:25], v[24:25], v[32:33]
	v_div_scale_f64 v[32:33], vcc, 1.0, v[22:23], 1.0
	v_mul_f64 v[34:35], v[32:33], v[24:25]
	v_fma_f64 v[10:11], -v[10:11], v[34:35], v[32:33]
	s_nop 1
	v_div_fmas_f64 v[10:11], v[10:11], v[24:25], v[34:35]
	v_div_fixup_f64 v[22:23], v[10:11], v[22:23], 1.0
	v_fma_f64 v[10:11], v[20:21], v[12:13], v[18:19]
	v_fma_f64 v[12:13], -v[18:19], v[12:13], v[20:21]
	v_mul_f64 v[10:11], v[10:11], v[22:23]
	v_mul_f64 v[12:13], v[12:13], v[22:23]
.LBB238_53:                             ;   in Loop: Header=BB238_47 Depth=1
	s_lshl_b32 s6, s13, 9
	s_add_i32 s17, s16, s6
	s_add_i32 s6, s15, -16
	v_mov_b32_e32 v18, s6
	s_add_i32 s17, s17, -16
	ds_read_b128 v[22:25], v18
	v_mov_b32_e32 v18, s17
	ds_read_b128 v[18:21], v18
	ds_write_b128 v30, v[10:13]
	s_mov_b64 s[6:7], -1
	s_waitcnt lgkmcnt(2)
	v_mul_f64 v[30:31], v[12:13], v[24:25]
	v_mul_f64 v[24:25], v[10:11], v[24:25]
	v_fma_f64 v[30:31], v[10:11], v[22:23], -v[30:31]
	v_fmac_f64_e32 v[24:25], v[12:13], v[22:23]
	s_waitcnt lgkmcnt(1)
	v_cmp_ngt_f64_e64 s[18:19], |v[18:19]|, |v[20:21]|
	v_add_f64 v[22:23], v[14:15], -v[30:31]
	v_add_f64 v[24:25], v[16:17], -v[24:25]
	s_and_b64 vcc, exec, s[18:19]
                                        ; implicit-def: $vgpr16_vgpr17
	s_cbranch_vccz .LBB238_55
; %bb.54:                               ;   in Loop: Header=BB238_47 Depth=1
	v_div_scale_f64 v[14:15], s[6:7], v[20:21], v[20:21], v[18:19]
	v_rcp_f64_e32 v[16:17], v[14:15]
	v_div_scale_f64 v[30:31], vcc, v[18:19], v[20:21], v[18:19]
	v_fma_f64 v[32:33], -v[14:15], v[16:17], 1.0
	v_fmac_f64_e32 v[16:17], v[16:17], v[32:33]
	v_fma_f64 v[32:33], -v[14:15], v[16:17], 1.0
	v_fmac_f64_e32 v[16:17], v[16:17], v[32:33]
	v_mul_f64 v[32:33], v[30:31], v[16:17]
	v_fma_f64 v[14:15], -v[14:15], v[32:33], v[30:31]
	v_div_fmas_f64 v[14:15], v[14:15], v[16:17], v[32:33]
	v_div_fixup_f64 v[16:17], v[14:15], v[20:21], v[18:19]
	v_fma_f64 v[14:15], v[18:19], v[16:17], v[20:21]
	v_div_scale_f64 v[30:31], s[6:7], v[14:15], v[14:15], 1.0
	v_rcp_f64_e32 v[32:33], v[30:31]
	s_mov_b64 s[6:7], 0
	v_fma_f64 v[34:35], -v[30:31], v[32:33], 1.0
	v_fmac_f64_e32 v[32:33], v[32:33], v[34:35]
	v_fma_f64 v[34:35], -v[30:31], v[32:33], 1.0
	v_fmac_f64_e32 v[32:33], v[32:33], v[34:35]
	v_div_scale_f64 v[34:35], vcc, 1.0, v[14:15], 1.0
	v_mul_f64 v[36:37], v[34:35], v[32:33]
	v_fma_f64 v[30:31], -v[30:31], v[36:37], v[34:35]
	s_nop 1
	v_div_fmas_f64 v[30:31], v[30:31], v[32:33], v[36:37]
	v_div_fixup_f64 v[30:31], v[30:31], v[14:15], 1.0
	v_fma_f64 v[14:15], v[16:17], v[22:23], v[24:25]
	v_fma_f64 v[16:17], v[16:17], v[24:25], -v[22:23]
	v_mul_f64 v[14:15], v[14:15], v[30:31]
	v_mul_f64 v[16:17], v[16:17], v[30:31]
.LBB238_55:                             ;   in Loop: Header=BB238_47 Depth=1
	s_andn2_b64 vcc, exec, s[6:7]
	s_cbranch_vccnz .LBB238_57
; %bb.56:                               ;   in Loop: Header=BB238_47 Depth=1
	v_div_scale_f64 v[14:15], s[6:7], v[18:19], v[18:19], v[20:21]
	v_rcp_f64_e32 v[16:17], v[14:15]
	v_div_scale_f64 v[30:31], vcc, v[20:21], v[18:19], v[20:21]
	v_fma_f64 v[32:33], -v[14:15], v[16:17], 1.0
	v_fmac_f64_e32 v[16:17], v[16:17], v[32:33]
	v_fma_f64 v[32:33], -v[14:15], v[16:17], 1.0
	v_fmac_f64_e32 v[16:17], v[16:17], v[32:33]
	v_mul_f64 v[32:33], v[30:31], v[16:17]
	v_fma_f64 v[14:15], -v[14:15], v[32:33], v[30:31]
	v_div_fmas_f64 v[14:15], v[14:15], v[16:17], v[32:33]
	v_div_fixup_f64 v[16:17], v[14:15], v[18:19], v[20:21]
	v_fmac_f64_e32 v[18:19], v[20:21], v[16:17]
	v_div_scale_f64 v[14:15], s[6:7], v[18:19], v[18:19], 1.0
	v_rcp_f64_e32 v[20:21], v[14:15]
	s_nop 0
	v_fma_f64 v[30:31], -v[14:15], v[20:21], 1.0
	v_fmac_f64_e32 v[20:21], v[20:21], v[30:31]
	v_fma_f64 v[30:31], -v[14:15], v[20:21], 1.0
	v_fmac_f64_e32 v[20:21], v[20:21], v[30:31]
	v_div_scale_f64 v[30:31], vcc, 1.0, v[18:19], 1.0
	v_mul_f64 v[32:33], v[30:31], v[20:21]
	v_fma_f64 v[14:15], -v[14:15], v[32:33], v[30:31]
	s_nop 1
	v_div_fmas_f64 v[14:15], v[14:15], v[20:21], v[32:33]
	v_div_fixup_f64 v[18:19], v[14:15], v[18:19], 1.0
	v_fma_f64 v[14:15], v[16:17], v[24:25], v[22:23]
	v_fma_f64 v[16:17], -v[16:17], v[22:23], v[24:25]
	v_mul_f64 v[14:15], v[14:15], v[18:19]
	v_mul_f64 v[16:17], v[16:17], v[18:19]
.LBB238_57:                             ;   in Loop: Header=BB238_47 Depth=1
	s_sub_i32 s7, s15, 32
	s_lshl_b32 s6, s14, 9
	v_mov_b32_e32 v18, s7
	s_lshl_b32 s7, s13, 4
	s_add_i32 s6, s16, s6
	s_sub_i32 s16, s17, s7
	s_lshl_b32 s13, s14, 4
	ds_read_b128 v[18:21], v18
	s_add_i32 s7, s16, s13
	v_mov_b32_e32 v22, s7
	ds_read_b128 v[22:25], v22
	s_sub_i32 s14, s6, 32
	s_waitcnt lgkmcnt(1)
	v_mul_f64 v[30:31], v[12:13], v[20:21]
	v_fma_f64 v[30:31], v[10:11], v[18:19], -v[30:31]
	v_mul_f64 v[20:21], v[10:11], v[20:21]
	v_fmac_f64_e32 v[20:21], v[12:13], v[18:19]
	v_add_f64 v[18:19], v[6:7], -v[30:31]
	s_waitcnt lgkmcnt(0)
	v_mul_f64 v[6:7], v[16:17], v[24:25]
	v_fma_f64 v[30:31], v[14:15], v[22:23], -v[6:7]
	v_mov_b32_e32 v6, s14
	v_add_f64 v[20:21], v[8:9], -v[20:21]
	ds_read_b128 v[6:9], v6
	v_mul_f64 v[24:25], v[14:15], v[24:25]
	v_fmac_f64_e32 v[24:25], v[16:17], v[22:23]
	v_add_f64 v[22:23], v[18:19], -v[30:31]
	v_add_f64 v[24:25], v[20:21], -v[24:25]
	s_waitcnt lgkmcnt(0)
	v_cmp_ngt_f64_e64 s[18:19], |v[6:7]|, |v[8:9]|
	s_mov_b64 s[6:7], -1
	s_and_b64 vcc, exec, s[18:19]
	ds_write_b128 v29, v[14:17]
                                        ; implicit-def: $vgpr20_vgpr21
	s_cbranch_vccz .LBB238_59
; %bb.58:                               ;   in Loop: Header=BB238_47 Depth=1
	v_div_scale_f64 v[18:19], s[6:7], v[8:9], v[8:9], v[6:7]
	v_rcp_f64_e32 v[20:21], v[18:19]
	v_div_scale_f64 v[30:31], vcc, v[6:7], v[8:9], v[6:7]
	v_fma_f64 v[32:33], -v[18:19], v[20:21], 1.0
	v_fmac_f64_e32 v[20:21], v[20:21], v[32:33]
	v_fma_f64 v[32:33], -v[18:19], v[20:21], 1.0
	v_fmac_f64_e32 v[20:21], v[20:21], v[32:33]
	v_mul_f64 v[32:33], v[30:31], v[20:21]
	v_fma_f64 v[18:19], -v[18:19], v[32:33], v[30:31]
	v_div_fmas_f64 v[18:19], v[18:19], v[20:21], v[32:33]
	v_div_fixup_f64 v[20:21], v[18:19], v[8:9], v[6:7]
	v_fma_f64 v[18:19], v[6:7], v[20:21], v[8:9]
	v_div_scale_f64 v[30:31], s[6:7], v[18:19], v[18:19], 1.0
	v_rcp_f64_e32 v[32:33], v[30:31]
	s_mov_b64 s[6:7], 0
	v_fma_f64 v[34:35], -v[30:31], v[32:33], 1.0
	v_fmac_f64_e32 v[32:33], v[32:33], v[34:35]
	v_fma_f64 v[34:35], -v[30:31], v[32:33], 1.0
	v_fmac_f64_e32 v[32:33], v[32:33], v[34:35]
	v_div_scale_f64 v[34:35], vcc, 1.0, v[18:19], 1.0
	v_mul_f64 v[36:37], v[34:35], v[32:33]
	v_fma_f64 v[30:31], -v[30:31], v[36:37], v[34:35]
	s_nop 1
	v_div_fmas_f64 v[30:31], v[30:31], v[32:33], v[36:37]
	v_div_fixup_f64 v[30:31], v[30:31], v[18:19], 1.0
	v_fma_f64 v[18:19], v[20:21], v[22:23], v[24:25]
	v_fma_f64 v[20:21], v[20:21], v[24:25], -v[22:23]
	v_mul_f64 v[18:19], v[18:19], v[30:31]
	v_mul_f64 v[20:21], v[20:21], v[30:31]
.LBB238_59:                             ;   in Loop: Header=BB238_47 Depth=1
	s_andn2_b64 vcc, exec, s[6:7]
	s_cbranch_vccnz .LBB238_61
; %bb.60:                               ;   in Loop: Header=BB238_47 Depth=1
	v_div_scale_f64 v[18:19], s[6:7], v[6:7], v[6:7], v[8:9]
	v_rcp_f64_e32 v[20:21], v[18:19]
	v_div_scale_f64 v[30:31], vcc, v[8:9], v[6:7], v[8:9]
	v_fma_f64 v[32:33], -v[18:19], v[20:21], 1.0
	v_fmac_f64_e32 v[20:21], v[20:21], v[32:33]
	v_fma_f64 v[32:33], -v[18:19], v[20:21], 1.0
	v_fmac_f64_e32 v[20:21], v[20:21], v[32:33]
	v_mul_f64 v[32:33], v[30:31], v[20:21]
	v_fma_f64 v[18:19], -v[18:19], v[32:33], v[30:31]
	v_div_fmas_f64 v[18:19], v[18:19], v[20:21], v[32:33]
	v_div_fixup_f64 v[20:21], v[18:19], v[6:7], v[8:9]
	v_fmac_f64_e32 v[6:7], v[8:9], v[20:21]
	v_div_scale_f64 v[8:9], s[6:7], v[6:7], v[6:7], 1.0
	v_rcp_f64_e32 v[18:19], v[8:9]
	s_nop 0
	v_fma_f64 v[30:31], -v[8:9], v[18:19], 1.0
	v_fmac_f64_e32 v[18:19], v[18:19], v[30:31]
	v_fma_f64 v[30:31], -v[8:9], v[18:19], 1.0
	v_fmac_f64_e32 v[18:19], v[18:19], v[30:31]
	v_div_scale_f64 v[30:31], vcc, 1.0, v[6:7], 1.0
	v_mul_f64 v[32:33], v[30:31], v[18:19]
	v_fma_f64 v[8:9], -v[8:9], v[32:33], v[30:31]
	s_nop 1
	v_div_fmas_f64 v[8:9], v[8:9], v[18:19], v[32:33]
	v_div_fixup_f64 v[6:7], v[8:9], v[6:7], 1.0
	v_fma_f64 v[8:9], v[20:21], v[24:25], v[22:23]
	v_mul_f64 v[18:19], v[8:9], v[6:7]
	v_fma_f64 v[8:9], -v[20:21], v[22:23], v[24:25]
	v_mul_f64 v[20:21], v[8:9], v[6:7]
.LBB238_61:                             ;   in Loop: Header=BB238_47 Depth=1
	s_sub_i32 s6, s15, 48
	v_mov_b32_e32 v6, s6
	s_lshl_b32 s6, s12, 4
	s_add_i32 s7, s16, s6
	ds_read_b128 v[6:9], v6
	v_mov_b32_e32 v22, s7
	ds_read_b128 v[22:25], v22
	ds_write_b128 v28, v[18:21]
	s_sub_i32 s7, s14, s13
	s_waitcnt lgkmcnt(2)
	v_mul_f64 v[28:29], v[12:13], v[8:9]
	v_mul_f64 v[8:9], v[10:11], v[8:9]
	v_fma_f64 v[28:29], v[10:11], v[6:7], -v[28:29]
	v_fmac_f64_e32 v[8:9], v[12:13], v[6:7]
	s_waitcnt lgkmcnt(1)
	v_mul_f64 v[6:7], v[16:17], v[24:25]
	v_add_f64 v[2:3], v[2:3], -v[28:29]
	v_fma_f64 v[6:7], v[14:15], v[22:23], -v[6:7]
	s_add_i32 s6, s7, s6
	v_mul_f64 v[10:11], v[14:15], v[24:25]
	v_add_f64 v[12:13], v[2:3], -v[6:7]
	v_mov_b32_e32 v2, s6
	s_add_i32 s6, s14, 0xfffffdf0
	v_add_f64 v[4:5], v[4:5], -v[8:9]
	v_fmac_f64_e32 v[10:11], v[16:17], v[22:23]
	ds_read_b128 v[6:9], v2
	v_mov_b32_e32 v2, s6
	v_add_f64 v[14:15], v[4:5], -v[10:11]
	ds_read_b128 v[2:5], v2
	s_mov_b64 s[6:7], -1
	s_waitcnt lgkmcnt(1)
	v_mul_f64 v[10:11], v[20:21], v[8:9]
	v_mul_f64 v[8:9], v[18:19], v[8:9]
	v_fma_f64 v[10:11], v[18:19], v[6:7], -v[10:11]
	v_fmac_f64_e32 v[8:9], v[20:21], v[6:7]
	s_waitcnt lgkmcnt(0)
	v_cmp_ngt_f64_e64 s[12:13], |v[2:3]|, |v[4:5]|
	v_add_f64 v[10:11], v[12:13], -v[10:11]
	v_add_f64 v[12:13], v[14:15], -v[8:9]
	s_and_b64 vcc, exec, s[12:13]
                                        ; implicit-def: $vgpr8_vgpr9
	s_cbranch_vccz .LBB238_63
; %bb.62:                               ;   in Loop: Header=BB238_47 Depth=1
	v_div_scale_f64 v[6:7], s[6:7], v[4:5], v[4:5], v[2:3]
	v_rcp_f64_e32 v[8:9], v[6:7]
	v_div_scale_f64 v[14:15], vcc, v[2:3], v[4:5], v[2:3]
	v_fma_f64 v[16:17], -v[6:7], v[8:9], 1.0
	v_fmac_f64_e32 v[8:9], v[8:9], v[16:17]
	v_fma_f64 v[16:17], -v[6:7], v[8:9], 1.0
	v_fmac_f64_e32 v[8:9], v[8:9], v[16:17]
	v_mul_f64 v[16:17], v[14:15], v[8:9]
	v_fma_f64 v[6:7], -v[6:7], v[16:17], v[14:15]
	v_div_fmas_f64 v[6:7], v[6:7], v[8:9], v[16:17]
	v_div_fixup_f64 v[8:9], v[6:7], v[4:5], v[2:3]
	v_fma_f64 v[6:7], v[2:3], v[8:9], v[4:5]
	v_div_scale_f64 v[14:15], s[6:7], v[6:7], v[6:7], 1.0
	v_rcp_f64_e32 v[16:17], v[14:15]
	s_mov_b64 s[6:7], 0
	v_fma_f64 v[18:19], -v[14:15], v[16:17], 1.0
	v_fmac_f64_e32 v[16:17], v[16:17], v[18:19]
	v_fma_f64 v[18:19], -v[14:15], v[16:17], 1.0
	v_fmac_f64_e32 v[16:17], v[16:17], v[18:19]
	v_div_scale_f64 v[18:19], vcc, 1.0, v[6:7], 1.0
	v_mul_f64 v[20:21], v[18:19], v[16:17]
	v_fma_f64 v[14:15], -v[14:15], v[20:21], v[18:19]
	s_nop 1
	v_div_fmas_f64 v[14:15], v[14:15], v[16:17], v[20:21]
	v_div_fixup_f64 v[14:15], v[14:15], v[6:7], 1.0
	v_fma_f64 v[6:7], v[8:9], v[10:11], v[12:13]
	v_fma_f64 v[8:9], v[8:9], v[12:13], -v[10:11]
	v_mul_f64 v[6:7], v[6:7], v[14:15]
	v_mul_f64 v[8:9], v[8:9], v[14:15]
.LBB238_63:                             ;   in Loop: Header=BB238_47 Depth=1
	s_andn2_b64 vcc, exec, s[6:7]
	s_cbranch_vccnz .LBB238_65
; %bb.64:                               ;   in Loop: Header=BB238_47 Depth=1
	v_div_scale_f64 v[6:7], s[6:7], v[2:3], v[2:3], v[4:5]
	v_rcp_f64_e32 v[8:9], v[6:7]
	v_div_scale_f64 v[14:15], vcc, v[4:5], v[2:3], v[4:5]
	v_fma_f64 v[16:17], -v[6:7], v[8:9], 1.0
	v_fmac_f64_e32 v[8:9], v[8:9], v[16:17]
	v_fma_f64 v[16:17], -v[6:7], v[8:9], 1.0
	v_fmac_f64_e32 v[8:9], v[8:9], v[16:17]
	v_mul_f64 v[16:17], v[14:15], v[8:9]
	v_fma_f64 v[6:7], -v[6:7], v[16:17], v[14:15]
	v_div_fmas_f64 v[6:7], v[6:7], v[8:9], v[16:17]
	v_div_fixup_f64 v[8:9], v[6:7], v[2:3], v[4:5]
	v_fmac_f64_e32 v[2:3], v[4:5], v[8:9]
	v_div_scale_f64 v[4:5], s[6:7], v[2:3], v[2:3], 1.0
	v_rcp_f64_e32 v[6:7], v[4:5]
	s_nop 0
	v_fma_f64 v[14:15], -v[4:5], v[6:7], 1.0
	v_fmac_f64_e32 v[6:7], v[6:7], v[14:15]
	v_fma_f64 v[14:15], -v[4:5], v[6:7], 1.0
	v_fmac_f64_e32 v[6:7], v[6:7], v[14:15]
	v_div_scale_f64 v[14:15], vcc, 1.0, v[2:3], 1.0
	v_mul_f64 v[16:17], v[14:15], v[6:7]
	v_fma_f64 v[4:5], -v[4:5], v[16:17], v[14:15]
	s_nop 1
	v_div_fmas_f64 v[4:5], v[4:5], v[6:7], v[16:17]
	v_div_fixup_f64 v[2:3], v[4:5], v[2:3], 1.0
	v_fma_f64 v[4:5], v[8:9], v[12:13], v[10:11]
	v_mul_f64 v[6:7], v[4:5], v[2:3]
	v_fma_f64 v[4:5], -v[8:9], v[10:11], v[12:13]
	v_mul_f64 v[8:9], v[4:5], v[2:3]
.LBB238_65:                             ;   in Loop: Header=BB238_47 Depth=1
	s_add_i32 s12, s11, -4
	s_sub_i32 s10, s10, 64
	s_cmp_lt_i32 s11, 7
	ds_write_b128 v27, v[6:9]
	s_cbranch_scc1 .LBB238_67
; %bb.66:                               ;   in Loop: Header=BB238_47 Depth=1
	s_mov_b32 s11, s12
	s_branch .LBB238_47
.LBB238_67:
	s_cmp_lt_i32 s12, 0
	s_cbranch_scc1 .LBB238_76
; %bb.68:
	s_lshl_b32 s6, s25, 9
	s_lshl_b32 s7, s12, 4
	s_add_i32 s7, s6, s7
	v_lshl_or_b32 v2, v0, 4, s6
	s_add_i32 s10, s7, 0xfffffe00
	v_add_u32_e32 v14, 0x3e00, v2
	s_branch .LBB238_70
.LBB238_69:                             ;   in Loop: Header=BB238_70 Depth=1
	v_sub_co_u32_e64 v2, s[6:7], s12, 1
	s_nop 0
	v_readfirstlane_b32 s12, v2
	s_add_i32 s10, s10, -16
	s_and_b64 vcc, exec, s[6:7]
	ds_write_b128 v15, v[10:13]
	s_cbranch_vccnz .LBB238_76
.LBB238_70:                             ; =>This Loop Header: Depth=1
                                        ;     Child Loop BB238_71 Depth 2
	s_lshl_b32 s6, s12, 9
	v_add_u32_e32 v15, s6, v1
	ds_read_b128 v[2:5], v15
	s_cmp_le_i32 s9, s12
	v_mov_b32_e32 v6, v14
	s_mov_b32 s7, s10
	s_mov_b32 s11, s9
	s_cbranch_scc1 .LBB238_72
.LBB238_71:                             ;   Parent Loop BB238_70 Depth=1
                                        ; =>  This Inner Loop Header: Depth=2
	v_mov_b32_e32 v7, s7
	ds_read_b128 v[8:11], v6
	ds_read_b128 v[16:19], v7
	s_add_i32 s11, s11, -1
	s_addk_i32 s7, 0xfe00
	v_add_u32_e32 v6, 0xfffffe00, v6
	s_cmp_le_u32 s11, s12
	s_waitcnt lgkmcnt(0)
	v_mul_f64 v[12:13], v[18:19], v[10:11]
	v_mul_f64 v[10:11], v[16:17], v[10:11]
	v_fma_f64 v[12:13], v[16:17], v[8:9], -v[12:13]
	v_fmac_f64_e32 v[10:11], v[18:19], v[8:9]
	v_add_f64 v[2:3], v[2:3], -v[12:13]
	v_add_f64 v[4:5], v[4:5], -v[10:11]
	s_cbranch_scc0 .LBB238_71
.LBB238_72:                             ;   in Loop: Header=BB238_70 Depth=1
	s_lshl_b32 s7, s12, 4
	s_add_i32 s6, s7, s6
	v_mov_b32_e32 v6, s6
	ds_read_b128 v[6:9], v6
	s_mov_b64 s[6:7], -1
                                        ; implicit-def: $vgpr10_vgpr11
	s_waitcnt lgkmcnt(0)
	v_cmp_ngt_f64_e64 s[14:15], |v[6:7]|, |v[8:9]|
	s_and_b64 vcc, exec, s[14:15]
	s_cbranch_vccz .LBB238_74
; %bb.73:                               ;   in Loop: Header=BB238_70 Depth=1
	v_div_scale_f64 v[10:11], s[6:7], v[8:9], v[8:9], v[6:7]
	v_rcp_f64_e32 v[12:13], v[10:11]
	v_div_scale_f64 v[16:17], vcc, v[6:7], v[8:9], v[6:7]
	v_fma_f64 v[18:19], -v[10:11], v[12:13], 1.0
	v_fmac_f64_e32 v[12:13], v[12:13], v[18:19]
	v_fma_f64 v[18:19], -v[10:11], v[12:13], 1.0
	v_fmac_f64_e32 v[12:13], v[12:13], v[18:19]
	v_mul_f64 v[18:19], v[16:17], v[12:13]
	v_fma_f64 v[10:11], -v[10:11], v[18:19], v[16:17]
	v_div_fmas_f64 v[10:11], v[10:11], v[12:13], v[18:19]
	v_div_fixup_f64 v[12:13], v[10:11], v[8:9], v[6:7]
	v_fma_f64 v[10:11], v[6:7], v[12:13], v[8:9]
	v_div_scale_f64 v[16:17], s[6:7], v[10:11], v[10:11], 1.0
	v_rcp_f64_e32 v[18:19], v[16:17]
	s_mov_b64 s[6:7], 0
	v_fma_f64 v[20:21], -v[16:17], v[18:19], 1.0
	v_fmac_f64_e32 v[18:19], v[18:19], v[20:21]
	v_fma_f64 v[20:21], -v[16:17], v[18:19], 1.0
	v_fmac_f64_e32 v[18:19], v[18:19], v[20:21]
	v_div_scale_f64 v[20:21], vcc, 1.0, v[10:11], 1.0
	v_mul_f64 v[22:23], v[20:21], v[18:19]
	v_fma_f64 v[16:17], -v[16:17], v[22:23], v[20:21]
	s_nop 1
	v_div_fmas_f64 v[16:17], v[16:17], v[18:19], v[22:23]
	v_div_fixup_f64 v[16:17], v[16:17], v[10:11], 1.0
	v_fma_f64 v[10:11], v[2:3], v[12:13], v[4:5]
	v_fma_f64 v[12:13], v[4:5], v[12:13], -v[2:3]
	v_mul_f64 v[10:11], v[10:11], v[16:17]
	v_mul_f64 v[12:13], v[12:13], v[16:17]
.LBB238_74:                             ;   in Loop: Header=BB238_70 Depth=1
	s_andn2_b64 vcc, exec, s[6:7]
	s_cbranch_vccnz .LBB238_69
; %bb.75:                               ;   in Loop: Header=BB238_70 Depth=1
	v_div_scale_f64 v[10:11], s[6:7], v[6:7], v[6:7], v[8:9]
	v_rcp_f64_e32 v[12:13], v[10:11]
	v_div_scale_f64 v[16:17], vcc, v[8:9], v[6:7], v[8:9]
	v_fma_f64 v[18:19], -v[10:11], v[12:13], 1.0
	v_fmac_f64_e32 v[12:13], v[12:13], v[18:19]
	v_fma_f64 v[18:19], -v[10:11], v[12:13], 1.0
	v_fmac_f64_e32 v[12:13], v[12:13], v[18:19]
	v_mul_f64 v[18:19], v[16:17], v[12:13]
	v_fma_f64 v[10:11], -v[10:11], v[18:19], v[16:17]
	v_div_fmas_f64 v[10:11], v[10:11], v[12:13], v[18:19]
	v_div_fixup_f64 v[12:13], v[10:11], v[6:7], v[8:9]
	v_fmac_f64_e32 v[6:7], v[8:9], v[12:13]
	v_div_scale_f64 v[8:9], s[6:7], v[6:7], v[6:7], 1.0
	v_rcp_f64_e32 v[10:11], v[8:9]
	s_nop 0
	v_fma_f64 v[16:17], -v[8:9], v[10:11], 1.0
	v_fmac_f64_e32 v[10:11], v[10:11], v[16:17]
	v_fma_f64 v[16:17], -v[8:9], v[10:11], 1.0
	v_fmac_f64_e32 v[10:11], v[10:11], v[16:17]
	v_div_scale_f64 v[16:17], vcc, 1.0, v[6:7], 1.0
	v_mul_f64 v[18:19], v[16:17], v[10:11]
	v_fma_f64 v[8:9], -v[8:9], v[18:19], v[16:17]
	s_nop 1
	v_div_fmas_f64 v[8:9], v[8:9], v[10:11], v[18:19]
	v_div_fixup_f64 v[6:7], v[8:9], v[6:7], 1.0
	v_fma_f64 v[8:9], v[4:5], v[12:13], v[2:3]
	v_fma_f64 v[2:3], -v[2:3], v[12:13], v[4:5]
	v_mul_f64 v[10:11], v[8:9], v[6:7]
	v_mul_f64 v[12:13], v[2:3], v[6:7]
	s_branch .LBB238_69
.LBB238_76:
	s_mov_b64 s[10:11], 0
.LBB238_77:
	s_andn2_b64 vcc, exec, s[10:11]
	s_cbranch_vccnz .LBB238_109
; %bb.78:
	s_andn2_b64 vcc, exec, s[4:5]
	s_mov_b32 s10, s9
	s_cbranch_vccnz .LBB238_100
; %bb.79:
	v_lshlrev_b32_e32 v2, 4, v0
	v_lshl_or_b32 v2, s25, 9, v2
	s_mul_i32 s4, s25, 0x210
	v_add_u32_e32 v26, 0x3e00, v2
	s_add_i32 s6, s4, 0xfffff7f0
	s_mov_b32 s7, s9
.LBB238_80:                             ; =>This Loop Header: Depth=1
                                        ;     Child Loop BB238_81 Depth 2
	s_add_i32 s11, s7, -2
	v_lshl_add_u32 v30, s7, 9, v1
	s_add_i32 s13, s7, -1
	v_lshl_add_u32 v28, s11, 9, v1
	;; [unrolled: 2-line block ×3, first 2 shown]
	ds_read_b128 v[18:21], v30
	ds_read_b128 v[14:17], v29
	v_lshl_add_u32 v27, s10, 9, v1
	ds_read_b128 v[6:9], v28
	ds_read_b128 v[2:5], v27
	s_cmp_le_i32 s9, s7
	s_mov_b32 s4, s6
	v_mov_b32_e32 v10, v26
	s_mov_b32 s5, s9
	s_cbranch_scc1 .LBB238_82
.LBB238_81:                             ;   Parent Loop BB238_80 Depth=1
                                        ; =>  This Inner Loop Header: Depth=2
	v_mov_b32_e32 v11, s4
	ds_read_b128 v[22:25], v10
	ds_read_b128 v[32:35], v11 offset:1536
	ds_read_b128 v[36:39], v11 offset:1024
	;; [unrolled: 1-line block ×3, first 2 shown]
	ds_read_b128 v[44:47], v11
	s_add_i32 s5, s5, -1
	s_add_i32 s4, s4, -16
	v_add_u32_e32 v10, 0xfffffe00, v10
	s_waitcnt lgkmcnt(3)
	v_mul_f64 v[12:13], v[24:25], v[34:35]
	v_mul_f64 v[34:35], v[22:23], v[34:35]
	s_waitcnt lgkmcnt(2)
	v_mul_f64 v[48:49], v[24:25], v[38:39]
	v_mul_f64 v[38:39], v[22:23], v[38:39]
	;; [unrolled: 3-line block ×4, first 2 shown]
	v_fma_f64 v[12:13], v[22:23], v[32:33], -v[12:13]
	v_fmac_f64_e32 v[34:35], v[24:25], v[32:33]
	v_fma_f64 v[32:33], v[22:23], v[36:37], -v[48:49]
	v_fmac_f64_e32 v[38:39], v[24:25], v[36:37]
	;; [unrolled: 2-line block ×4, first 2 shown]
	s_cmp_le_i32 s5, s7
	v_add_f64 v[18:19], v[18:19], -v[12:13]
	v_add_f64 v[20:21], v[20:21], -v[34:35]
	;; [unrolled: 1-line block ×8, first 2 shown]
	s_cbranch_scc0 .LBB238_81
.LBB238_82:                             ;   in Loop: Header=BB238_80 Depth=1
	s_mul_i32 s4, s7, 0x210
	v_mov_b32_e32 v10, s4
	ds_read_b128 v[22:25], v10
	s_lshl_b32 s14, s13, 5
	s_lshl_b32 s15, s11, 5
	;; [unrolled: 1-line block ×3, first 2 shown]
	s_mov_b64 s[4:5], -1
	s_waitcnt lgkmcnt(0)
	v_cmp_ngt_f64_e64 s[16:17], |v[22:23]|, |v[24:25]|
	s_and_b64 vcc, exec, s[16:17]
                                        ; implicit-def: $vgpr12_vgpr13
	s_cbranch_vccz .LBB238_84
; %bb.83:                               ;   in Loop: Header=BB238_80 Depth=1
	v_div_scale_f64 v[10:11], s[4:5], v[24:25], v[24:25], v[22:23]
	v_rcp_f64_e32 v[12:13], v[10:11]
	v_div_scale_f64 v[32:33], vcc, v[22:23], v[24:25], v[22:23]
	v_fma_f64 v[34:35], -v[10:11], v[12:13], 1.0
	v_fmac_f64_e32 v[12:13], v[12:13], v[34:35]
	v_fma_f64 v[34:35], -v[10:11], v[12:13], 1.0
	v_fmac_f64_e32 v[12:13], v[12:13], v[34:35]
	v_mul_f64 v[34:35], v[32:33], v[12:13]
	v_fma_f64 v[10:11], -v[10:11], v[34:35], v[32:33]
	v_div_fmas_f64 v[10:11], v[10:11], v[12:13], v[34:35]
	v_div_fixup_f64 v[12:13], v[10:11], v[24:25], v[22:23]
	v_fma_f64 v[10:11], v[22:23], v[12:13], v[24:25]
	v_div_scale_f64 v[32:33], s[4:5], v[10:11], v[10:11], 1.0
	v_rcp_f64_e32 v[34:35], v[32:33]
	s_mov_b64 s[4:5], 0
	v_fma_f64 v[36:37], -v[32:33], v[34:35], 1.0
	v_fmac_f64_e32 v[34:35], v[34:35], v[36:37]
	v_fma_f64 v[36:37], -v[32:33], v[34:35], 1.0
	v_fmac_f64_e32 v[34:35], v[34:35], v[36:37]
	v_div_scale_f64 v[36:37], vcc, 1.0, v[10:11], 1.0
	v_mul_f64 v[38:39], v[36:37], v[34:35]
	v_fma_f64 v[32:33], -v[32:33], v[38:39], v[36:37]
	s_nop 1
	v_div_fmas_f64 v[32:33], v[32:33], v[34:35], v[38:39]
	v_div_fixup_f64 v[32:33], v[32:33], v[10:11], 1.0
	v_fma_f64 v[10:11], v[18:19], v[12:13], v[20:21]
	v_fma_f64 v[12:13], v[20:21], v[12:13], -v[18:19]
	v_mul_f64 v[10:11], v[10:11], v[32:33]
	v_mul_f64 v[12:13], v[12:13], v[32:33]
.LBB238_84:                             ;   in Loop: Header=BB238_80 Depth=1
	s_andn2_b64 vcc, exec, s[4:5]
	s_cbranch_vccnz .LBB238_86
; %bb.85:                               ;   in Loop: Header=BB238_80 Depth=1
	v_div_scale_f64 v[10:11], s[4:5], v[22:23], v[22:23], v[24:25]
	v_rcp_f64_e32 v[12:13], v[10:11]
	v_div_scale_f64 v[32:33], vcc, v[24:25], v[22:23], v[24:25]
	v_fma_f64 v[34:35], -v[10:11], v[12:13], 1.0
	v_fmac_f64_e32 v[12:13], v[12:13], v[34:35]
	v_fma_f64 v[34:35], -v[10:11], v[12:13], 1.0
	v_fmac_f64_e32 v[12:13], v[12:13], v[34:35]
	v_mul_f64 v[34:35], v[32:33], v[12:13]
	v_fma_f64 v[10:11], -v[10:11], v[34:35], v[32:33]
	v_div_fmas_f64 v[10:11], v[10:11], v[12:13], v[34:35]
	v_div_fixup_f64 v[12:13], v[10:11], v[22:23], v[24:25]
	v_fmac_f64_e32 v[22:23], v[24:25], v[12:13]
	v_div_scale_f64 v[10:11], s[4:5], v[22:23], v[22:23], 1.0
	v_rcp_f64_e32 v[24:25], v[10:11]
	s_nop 0
	v_fma_f64 v[32:33], -v[10:11], v[24:25], 1.0
	v_fmac_f64_e32 v[24:25], v[24:25], v[32:33]
	v_fma_f64 v[32:33], -v[10:11], v[24:25], 1.0
	v_fmac_f64_e32 v[24:25], v[24:25], v[32:33]
	v_div_scale_f64 v[32:33], vcc, 1.0, v[22:23], 1.0
	v_mul_f64 v[34:35], v[32:33], v[24:25]
	v_fma_f64 v[10:11], -v[10:11], v[34:35], v[32:33]
	s_nop 1
	v_div_fmas_f64 v[10:11], v[10:11], v[24:25], v[34:35]
	v_div_fixup_f64 v[22:23], v[10:11], v[22:23], 1.0
	v_fma_f64 v[10:11], v[20:21], v[12:13], v[18:19]
	v_fma_f64 v[12:13], -v[18:19], v[12:13], v[20:21]
	v_mul_f64 v[10:11], v[10:11], v[22:23]
	v_mul_f64 v[12:13], v[12:13], v[22:23]
.LBB238_86:                             ;   in Loop: Header=BB238_80 Depth=1
	s_lshl_b32 s4, s14, 4
	s_lshl_b32 s14, s7, 4
	s_add_i32 s5, s4, s14
	v_mov_b32_e32 v18, s5
	s_lshl_b32 s5, s13, 4
	s_add_i32 s4, s4, s5
	ds_read_b128 v[22:25], v18
	v_mov_b32_e32 v18, s4
	ds_read_b128 v[18:21], v18
	ds_write_b128 v30, v[10:13]
	s_mov_b64 s[4:5], -1
	s_waitcnt lgkmcnt(2)
	v_mul_f64 v[30:31], v[12:13], v[24:25]
	v_mul_f64 v[24:25], v[10:11], v[24:25]
	v_fma_f64 v[30:31], v[10:11], v[22:23], -v[30:31]
	v_fmac_f64_e32 v[24:25], v[12:13], v[22:23]
	s_waitcnt lgkmcnt(1)
	v_cmp_ngt_f64_e64 s[16:17], |v[18:19]|, |v[20:21]|
	v_add_f64 v[22:23], v[14:15], -v[30:31]
	v_add_f64 v[24:25], v[16:17], -v[24:25]
	s_and_b64 vcc, exec, s[16:17]
                                        ; implicit-def: $vgpr16_vgpr17
	s_cbranch_vccz .LBB238_88
; %bb.87:                               ;   in Loop: Header=BB238_80 Depth=1
	v_div_scale_f64 v[14:15], s[4:5], v[20:21], v[20:21], v[18:19]
	v_rcp_f64_e32 v[16:17], v[14:15]
	v_div_scale_f64 v[30:31], vcc, v[18:19], v[20:21], v[18:19]
	v_fma_f64 v[32:33], -v[14:15], v[16:17], 1.0
	v_fmac_f64_e32 v[16:17], v[16:17], v[32:33]
	v_fma_f64 v[32:33], -v[14:15], v[16:17], 1.0
	v_fmac_f64_e32 v[16:17], v[16:17], v[32:33]
	v_mul_f64 v[32:33], v[30:31], v[16:17]
	v_fma_f64 v[14:15], -v[14:15], v[32:33], v[30:31]
	v_div_fmas_f64 v[14:15], v[14:15], v[16:17], v[32:33]
	v_div_fixup_f64 v[16:17], v[14:15], v[20:21], v[18:19]
	v_fma_f64 v[14:15], v[18:19], v[16:17], v[20:21]
	v_div_scale_f64 v[30:31], s[4:5], v[14:15], v[14:15], 1.0
	v_rcp_f64_e32 v[32:33], v[30:31]
	s_mov_b64 s[4:5], 0
	v_fma_f64 v[34:35], -v[30:31], v[32:33], 1.0
	v_fmac_f64_e32 v[32:33], v[32:33], v[34:35]
	v_fma_f64 v[34:35], -v[30:31], v[32:33], 1.0
	v_fmac_f64_e32 v[32:33], v[32:33], v[34:35]
	v_div_scale_f64 v[34:35], vcc, 1.0, v[14:15], 1.0
	v_mul_f64 v[36:37], v[34:35], v[32:33]
	v_fma_f64 v[30:31], -v[30:31], v[36:37], v[34:35]
	s_nop 1
	v_div_fmas_f64 v[30:31], v[30:31], v[32:33], v[36:37]
	v_div_fixup_f64 v[30:31], v[30:31], v[14:15], 1.0
	v_fma_f64 v[14:15], v[16:17], v[22:23], v[24:25]
	v_fma_f64 v[16:17], v[16:17], v[24:25], -v[22:23]
	v_mul_f64 v[14:15], v[14:15], v[30:31]
	v_mul_f64 v[16:17], v[16:17], v[30:31]
.LBB238_88:                             ;   in Loop: Header=BB238_80 Depth=1
	s_andn2_b64 vcc, exec, s[4:5]
	s_cbranch_vccnz .LBB238_90
; %bb.89:                               ;   in Loop: Header=BB238_80 Depth=1
	v_div_scale_f64 v[14:15], s[4:5], v[18:19], v[18:19], v[20:21]
	v_rcp_f64_e32 v[16:17], v[14:15]
	v_div_scale_f64 v[30:31], vcc, v[20:21], v[18:19], v[20:21]
	v_fma_f64 v[32:33], -v[14:15], v[16:17], 1.0
	v_fmac_f64_e32 v[16:17], v[16:17], v[32:33]
	v_fma_f64 v[32:33], -v[14:15], v[16:17], 1.0
	v_fmac_f64_e32 v[16:17], v[16:17], v[32:33]
	v_mul_f64 v[32:33], v[30:31], v[16:17]
	v_fma_f64 v[14:15], -v[14:15], v[32:33], v[30:31]
	v_div_fmas_f64 v[14:15], v[14:15], v[16:17], v[32:33]
	v_div_fixup_f64 v[16:17], v[14:15], v[18:19], v[20:21]
	v_fmac_f64_e32 v[18:19], v[20:21], v[16:17]
	v_div_scale_f64 v[14:15], s[4:5], v[18:19], v[18:19], 1.0
	v_rcp_f64_e32 v[20:21], v[14:15]
	s_nop 0
	v_fma_f64 v[30:31], -v[14:15], v[20:21], 1.0
	v_fmac_f64_e32 v[20:21], v[20:21], v[30:31]
	v_fma_f64 v[30:31], -v[14:15], v[20:21], 1.0
	v_fmac_f64_e32 v[20:21], v[20:21], v[30:31]
	v_div_scale_f64 v[30:31], vcc, 1.0, v[18:19], 1.0
	v_mul_f64 v[32:33], v[30:31], v[20:21]
	v_fma_f64 v[14:15], -v[14:15], v[32:33], v[30:31]
	s_nop 1
	v_div_fmas_f64 v[14:15], v[14:15], v[20:21], v[32:33]
	v_div_fixup_f64 v[18:19], v[14:15], v[18:19], 1.0
	v_fma_f64 v[14:15], v[16:17], v[24:25], v[22:23]
	v_fma_f64 v[16:17], -v[16:17], v[22:23], v[24:25]
	v_mul_f64 v[14:15], v[14:15], v[18:19]
	v_mul_f64 v[16:17], v[16:17], v[18:19]
.LBB238_90:                             ;   in Loop: Header=BB238_80 Depth=1
	s_lshl_b32 s4, s15, 4
	s_add_i32 s5, s4, s14
	v_mov_b32_e32 v18, s5
	ds_read_b128 v[18:21], v18
	s_add_i32 s5, s5, -16
	v_mov_b32_e32 v22, s5
	ds_read_b128 v[22:25], v22
	s_lshl_b32 s5, s11, 4
	s_waitcnt lgkmcnt(1)
	v_mul_f64 v[30:31], v[12:13], v[20:21]
	v_fma_f64 v[30:31], v[10:11], v[18:19], -v[30:31]
	v_mul_f64 v[20:21], v[10:11], v[20:21]
	v_fmac_f64_e32 v[20:21], v[12:13], v[18:19]
	v_add_f64 v[18:19], v[6:7], -v[30:31]
	s_waitcnt lgkmcnt(0)
	v_mul_f64 v[6:7], v[16:17], v[24:25]
	s_add_i32 s4, s4, s5
	v_fma_f64 v[30:31], v[14:15], v[22:23], -v[6:7]
	v_mov_b32_e32 v6, s4
	v_add_f64 v[20:21], v[8:9], -v[20:21]
	ds_read_b128 v[6:9], v6
	v_mul_f64 v[24:25], v[14:15], v[24:25]
	v_fmac_f64_e32 v[24:25], v[16:17], v[22:23]
	v_add_f64 v[22:23], v[18:19], -v[30:31]
	v_add_f64 v[24:25], v[20:21], -v[24:25]
	s_waitcnt lgkmcnt(0)
	v_cmp_ngt_f64_e64 s[16:17], |v[6:7]|, |v[8:9]|
	s_mov_b64 s[4:5], -1
	s_and_b64 vcc, exec, s[16:17]
	ds_write_b128 v29, v[14:17]
                                        ; implicit-def: $vgpr20_vgpr21
	s_cbranch_vccz .LBB238_92
; %bb.91:                               ;   in Loop: Header=BB238_80 Depth=1
	v_div_scale_f64 v[18:19], s[4:5], v[8:9], v[8:9], v[6:7]
	v_rcp_f64_e32 v[20:21], v[18:19]
	v_div_scale_f64 v[30:31], vcc, v[6:7], v[8:9], v[6:7]
	v_fma_f64 v[32:33], -v[18:19], v[20:21], 1.0
	v_fmac_f64_e32 v[20:21], v[20:21], v[32:33]
	v_fma_f64 v[32:33], -v[18:19], v[20:21], 1.0
	v_fmac_f64_e32 v[20:21], v[20:21], v[32:33]
	v_mul_f64 v[32:33], v[30:31], v[20:21]
	v_fma_f64 v[18:19], -v[18:19], v[32:33], v[30:31]
	v_div_fmas_f64 v[18:19], v[18:19], v[20:21], v[32:33]
	v_div_fixup_f64 v[20:21], v[18:19], v[8:9], v[6:7]
	v_fma_f64 v[18:19], v[6:7], v[20:21], v[8:9]
	v_div_scale_f64 v[30:31], s[4:5], v[18:19], v[18:19], 1.0
	v_rcp_f64_e32 v[32:33], v[30:31]
	s_mov_b64 s[4:5], 0
	v_fma_f64 v[34:35], -v[30:31], v[32:33], 1.0
	v_fmac_f64_e32 v[32:33], v[32:33], v[34:35]
	v_fma_f64 v[34:35], -v[30:31], v[32:33], 1.0
	v_fmac_f64_e32 v[32:33], v[32:33], v[34:35]
	v_div_scale_f64 v[34:35], vcc, 1.0, v[18:19], 1.0
	v_mul_f64 v[36:37], v[34:35], v[32:33]
	v_fma_f64 v[30:31], -v[30:31], v[36:37], v[34:35]
	s_nop 1
	v_div_fmas_f64 v[30:31], v[30:31], v[32:33], v[36:37]
	v_div_fixup_f64 v[30:31], v[30:31], v[18:19], 1.0
	v_fma_f64 v[18:19], v[20:21], v[22:23], v[24:25]
	v_fma_f64 v[20:21], v[20:21], v[24:25], -v[22:23]
	v_mul_f64 v[18:19], v[18:19], v[30:31]
	v_mul_f64 v[20:21], v[20:21], v[30:31]
.LBB238_92:                             ;   in Loop: Header=BB238_80 Depth=1
	s_andn2_b64 vcc, exec, s[4:5]
	s_cbranch_vccnz .LBB238_94
; %bb.93:                               ;   in Loop: Header=BB238_80 Depth=1
	v_div_scale_f64 v[18:19], s[4:5], v[6:7], v[6:7], v[8:9]
	v_rcp_f64_e32 v[20:21], v[18:19]
	v_div_scale_f64 v[30:31], vcc, v[8:9], v[6:7], v[8:9]
	v_fma_f64 v[32:33], -v[18:19], v[20:21], 1.0
	v_fmac_f64_e32 v[20:21], v[20:21], v[32:33]
	v_fma_f64 v[32:33], -v[18:19], v[20:21], 1.0
	v_fmac_f64_e32 v[20:21], v[20:21], v[32:33]
	v_mul_f64 v[32:33], v[30:31], v[20:21]
	v_fma_f64 v[18:19], -v[18:19], v[32:33], v[30:31]
	v_div_fmas_f64 v[18:19], v[18:19], v[20:21], v[32:33]
	v_div_fixup_f64 v[20:21], v[18:19], v[6:7], v[8:9]
	v_fmac_f64_e32 v[6:7], v[8:9], v[20:21]
	v_div_scale_f64 v[8:9], s[4:5], v[6:7], v[6:7], 1.0
	v_rcp_f64_e32 v[18:19], v[8:9]
	s_nop 0
	v_fma_f64 v[30:31], -v[8:9], v[18:19], 1.0
	v_fmac_f64_e32 v[18:19], v[18:19], v[30:31]
	v_fma_f64 v[30:31], -v[8:9], v[18:19], 1.0
	v_fmac_f64_e32 v[18:19], v[18:19], v[30:31]
	v_div_scale_f64 v[30:31], vcc, 1.0, v[6:7], 1.0
	v_mul_f64 v[32:33], v[30:31], v[18:19]
	v_fma_f64 v[8:9], -v[8:9], v[32:33], v[30:31]
	s_nop 1
	v_div_fmas_f64 v[8:9], v[8:9], v[18:19], v[32:33]
	v_div_fixup_f64 v[6:7], v[8:9], v[6:7], 1.0
	v_fma_f64 v[8:9], v[20:21], v[24:25], v[22:23]
	v_mul_f64 v[18:19], v[8:9], v[6:7]
	v_fma_f64 v[8:9], -v[20:21], v[22:23], v[24:25]
	v_mul_f64 v[20:21], v[8:9], v[6:7]
.LBB238_94:                             ;   in Loop: Header=BB238_80 Depth=1
	s_lshl_b32 s4, s12, 4
	s_add_i32 s5, s4, s14
	v_mov_b32_e32 v6, s5
	s_add_i32 s11, s5, -16
	ds_read_b128 v[6:9], v6
	v_mov_b32_e32 v22, s11
	ds_read_b128 v[22:25], v22
	ds_write_b128 v28, v[18:21]
	s_sub_i32 s5, s5, 32
	s_waitcnt lgkmcnt(2)
	v_mul_f64 v[28:29], v[12:13], v[8:9]
	v_mul_f64 v[8:9], v[10:11], v[8:9]
	v_fma_f64 v[28:29], v[10:11], v[6:7], -v[28:29]
	v_fmac_f64_e32 v[8:9], v[12:13], v[6:7]
	s_waitcnt lgkmcnt(1)
	v_mul_f64 v[6:7], v[16:17], v[24:25]
	v_add_f64 v[2:3], v[2:3], -v[28:29]
	v_fma_f64 v[6:7], v[14:15], v[22:23], -v[6:7]
	v_add_f64 v[4:5], v[4:5], -v[8:9]
	v_mul_f64 v[8:9], v[14:15], v[24:25]
	v_add_f64 v[10:11], v[2:3], -v[6:7]
	v_mov_b32_e32 v2, s5
	s_lshl_b32 s5, s10, 4
	v_fmac_f64_e32 v[8:9], v[16:17], v[22:23]
	s_add_i32 s4, s4, s5
	v_add_f64 v[12:13], v[4:5], -v[8:9]
	ds_read_b128 v[6:9], v2
	v_mov_b32_e32 v2, s4
	ds_read_b128 v[2:5], v2
	s_mov_b64 s[4:5], -1
	s_waitcnt lgkmcnt(1)
	v_mul_f64 v[14:15], v[20:21], v[8:9]
	v_mul_f64 v[8:9], v[18:19], v[8:9]
	v_fma_f64 v[14:15], v[18:19], v[6:7], -v[14:15]
	v_fmac_f64_e32 v[8:9], v[20:21], v[6:7]
	s_waitcnt lgkmcnt(0)
	v_cmp_ngt_f64_e64 s[10:11], |v[2:3]|, |v[4:5]|
	v_add_f64 v[10:11], v[10:11], -v[14:15]
	v_add_f64 v[12:13], v[12:13], -v[8:9]
	s_and_b64 vcc, exec, s[10:11]
                                        ; implicit-def: $vgpr8_vgpr9
	s_cbranch_vccz .LBB238_96
; %bb.95:                               ;   in Loop: Header=BB238_80 Depth=1
	v_div_scale_f64 v[6:7], s[4:5], v[4:5], v[4:5], v[2:3]
	v_rcp_f64_e32 v[8:9], v[6:7]
	v_div_scale_f64 v[14:15], vcc, v[2:3], v[4:5], v[2:3]
	v_fma_f64 v[16:17], -v[6:7], v[8:9], 1.0
	v_fmac_f64_e32 v[8:9], v[8:9], v[16:17]
	v_fma_f64 v[16:17], -v[6:7], v[8:9], 1.0
	v_fmac_f64_e32 v[8:9], v[8:9], v[16:17]
	v_mul_f64 v[16:17], v[14:15], v[8:9]
	v_fma_f64 v[6:7], -v[6:7], v[16:17], v[14:15]
	v_div_fmas_f64 v[6:7], v[6:7], v[8:9], v[16:17]
	v_div_fixup_f64 v[8:9], v[6:7], v[4:5], v[2:3]
	v_fma_f64 v[6:7], v[2:3], v[8:9], v[4:5]
	v_div_scale_f64 v[14:15], s[4:5], v[6:7], v[6:7], 1.0
	v_rcp_f64_e32 v[16:17], v[14:15]
	s_mov_b64 s[4:5], 0
	v_fma_f64 v[18:19], -v[14:15], v[16:17], 1.0
	v_fmac_f64_e32 v[16:17], v[16:17], v[18:19]
	v_fma_f64 v[18:19], -v[14:15], v[16:17], 1.0
	v_fmac_f64_e32 v[16:17], v[16:17], v[18:19]
	v_div_scale_f64 v[18:19], vcc, 1.0, v[6:7], 1.0
	v_mul_f64 v[20:21], v[18:19], v[16:17]
	v_fma_f64 v[14:15], -v[14:15], v[20:21], v[18:19]
	s_nop 1
	v_div_fmas_f64 v[14:15], v[14:15], v[16:17], v[20:21]
	v_div_fixup_f64 v[14:15], v[14:15], v[6:7], 1.0
	v_fma_f64 v[6:7], v[8:9], v[10:11], v[12:13]
	v_fma_f64 v[8:9], v[8:9], v[12:13], -v[10:11]
	v_mul_f64 v[6:7], v[6:7], v[14:15]
	v_mul_f64 v[8:9], v[8:9], v[14:15]
.LBB238_96:                             ;   in Loop: Header=BB238_80 Depth=1
	s_andn2_b64 vcc, exec, s[4:5]
	s_cbranch_vccnz .LBB238_98
; %bb.97:                               ;   in Loop: Header=BB238_80 Depth=1
	v_div_scale_f64 v[6:7], s[4:5], v[2:3], v[2:3], v[4:5]
	v_rcp_f64_e32 v[8:9], v[6:7]
	v_div_scale_f64 v[14:15], vcc, v[4:5], v[2:3], v[4:5]
	v_fma_f64 v[16:17], -v[6:7], v[8:9], 1.0
	v_fmac_f64_e32 v[8:9], v[8:9], v[16:17]
	v_fma_f64 v[16:17], -v[6:7], v[8:9], 1.0
	v_fmac_f64_e32 v[8:9], v[8:9], v[16:17]
	v_mul_f64 v[16:17], v[14:15], v[8:9]
	v_fma_f64 v[6:7], -v[6:7], v[16:17], v[14:15]
	v_div_fmas_f64 v[6:7], v[6:7], v[8:9], v[16:17]
	v_div_fixup_f64 v[8:9], v[6:7], v[2:3], v[4:5]
	v_fmac_f64_e32 v[2:3], v[4:5], v[8:9]
	v_div_scale_f64 v[4:5], s[4:5], v[2:3], v[2:3], 1.0
	v_rcp_f64_e32 v[6:7], v[4:5]
	s_nop 0
	v_fma_f64 v[14:15], -v[4:5], v[6:7], 1.0
	v_fmac_f64_e32 v[6:7], v[6:7], v[14:15]
	v_fma_f64 v[14:15], -v[4:5], v[6:7], 1.0
	v_fmac_f64_e32 v[6:7], v[6:7], v[14:15]
	v_div_scale_f64 v[14:15], vcc, 1.0, v[2:3], 1.0
	v_mul_f64 v[16:17], v[14:15], v[6:7]
	v_fma_f64 v[4:5], -v[4:5], v[16:17], v[14:15]
	s_nop 1
	v_div_fmas_f64 v[4:5], v[4:5], v[6:7], v[16:17]
	v_div_fixup_f64 v[2:3], v[4:5], v[2:3], 1.0
	v_fma_f64 v[4:5], v[8:9], v[12:13], v[10:11]
	v_mul_f64 v[6:7], v[4:5], v[2:3]
	v_fma_f64 v[4:5], -v[8:9], v[10:11], v[12:13]
	v_mul_f64 v[8:9], v[4:5], v[2:3]
.LBB238_98:                             ;   in Loop: Header=BB238_80 Depth=1
	s_add_i32 s10, s7, -4
	s_addk_i32 s6, 0xf800
	s_cmp_lt_i32 s7, 7
	ds_write_b128 v27, v[6:9]
	s_cbranch_scc1 .LBB238_100
; %bb.99:                               ;   in Loop: Header=BB238_80 Depth=1
	s_mov_b32 s7, s10
	s_branch .LBB238_80
.LBB238_100:
	s_cmp_lt_i32 s10, 0
	s_cbranch_scc1 .LBB238_109
; %bb.101:
	v_lshlrev_b32_e32 v2, 4, v0
	s_lshl_b32 s4, s10, 9
	s_lshl_b32 s5, s25, 4
	v_lshl_or_b32 v2, s25, 9, v2
	s_add_i32 s4, s4, s5
	v_add_u32_e32 v14, 0x3e00, v2
	s_add_i32 s6, s4, -16
	s_branch .LBB238_103
.LBB238_102:                            ;   in Loop: Header=BB238_103 Depth=1
	v_sub_co_u32_e64 v2, s[4:5], s10, 1
	s_nop 0
	v_readfirstlane_b32 s10, v2
	s_addk_i32 s6, 0xfe00
	s_and_b64 vcc, exec, s[4:5]
	ds_write_b128 v15, v[10:13]
	s_cbranch_vccnz .LBB238_109
.LBB238_103:                            ; =>This Loop Header: Depth=1
                                        ;     Child Loop BB238_104 Depth 2
	v_lshl_add_u32 v15, s10, 9, v1
	ds_read_b128 v[2:5], v15
	s_cmp_le_i32 s9, s10
	s_mov_b32 s4, s6
	v_mov_b32_e32 v6, v14
	s_mov_b32 s5, s9
	s_cbranch_scc1 .LBB238_105
.LBB238_104:                            ;   Parent Loop BB238_103 Depth=1
                                        ; =>  This Inner Loop Header: Depth=2
	v_mov_b32_e32 v7, s4
	ds_read_b128 v[8:11], v6
	ds_read_b128 v[16:19], v7
	s_add_i32 s5, s5, -1
	s_add_i32 s4, s4, -16
	v_add_u32_e32 v6, 0xfffffe00, v6
	s_cmp_le_u32 s5, s10
	s_waitcnt lgkmcnt(0)
	v_mul_f64 v[12:13], v[18:19], v[10:11]
	v_mul_f64 v[10:11], v[16:17], v[10:11]
	v_fma_f64 v[12:13], v[16:17], v[8:9], -v[12:13]
	v_fmac_f64_e32 v[10:11], v[18:19], v[8:9]
	v_add_f64 v[2:3], v[2:3], -v[12:13]
	v_add_f64 v[4:5], v[4:5], -v[10:11]
	s_cbranch_scc0 .LBB238_104
.LBB238_105:                            ;   in Loop: Header=BB238_103 Depth=1
	s_mul_i32 s4, s10, 0x210
	v_mov_b32_e32 v6, s4
	ds_read_b128 v[6:9], v6
	s_mov_b64 s[4:5], -1
                                        ; implicit-def: $vgpr10_vgpr11
	s_waitcnt lgkmcnt(0)
	v_cmp_ngt_f64_e64 s[12:13], |v[6:7]|, |v[8:9]|
	s_and_b64 vcc, exec, s[12:13]
	s_cbranch_vccz .LBB238_107
; %bb.106:                              ;   in Loop: Header=BB238_103 Depth=1
	v_div_scale_f64 v[10:11], s[4:5], v[8:9], v[8:9], v[6:7]
	v_rcp_f64_e32 v[12:13], v[10:11]
	v_div_scale_f64 v[16:17], vcc, v[6:7], v[8:9], v[6:7]
	v_fma_f64 v[18:19], -v[10:11], v[12:13], 1.0
	v_fmac_f64_e32 v[12:13], v[12:13], v[18:19]
	v_fma_f64 v[18:19], -v[10:11], v[12:13], 1.0
	v_fmac_f64_e32 v[12:13], v[12:13], v[18:19]
	v_mul_f64 v[18:19], v[16:17], v[12:13]
	v_fma_f64 v[10:11], -v[10:11], v[18:19], v[16:17]
	v_div_fmas_f64 v[10:11], v[10:11], v[12:13], v[18:19]
	v_div_fixup_f64 v[12:13], v[10:11], v[8:9], v[6:7]
	v_fma_f64 v[10:11], v[6:7], v[12:13], v[8:9]
	v_div_scale_f64 v[16:17], s[4:5], v[10:11], v[10:11], 1.0
	v_rcp_f64_e32 v[18:19], v[16:17]
	s_mov_b64 s[4:5], 0
	v_fma_f64 v[20:21], -v[16:17], v[18:19], 1.0
	v_fmac_f64_e32 v[18:19], v[18:19], v[20:21]
	v_fma_f64 v[20:21], -v[16:17], v[18:19], 1.0
	v_fmac_f64_e32 v[18:19], v[18:19], v[20:21]
	v_div_scale_f64 v[20:21], vcc, 1.0, v[10:11], 1.0
	v_mul_f64 v[22:23], v[20:21], v[18:19]
	v_fma_f64 v[16:17], -v[16:17], v[22:23], v[20:21]
	s_nop 1
	v_div_fmas_f64 v[16:17], v[16:17], v[18:19], v[22:23]
	v_div_fixup_f64 v[16:17], v[16:17], v[10:11], 1.0
	v_fma_f64 v[10:11], v[2:3], v[12:13], v[4:5]
	v_fma_f64 v[12:13], v[4:5], v[12:13], -v[2:3]
	v_mul_f64 v[10:11], v[10:11], v[16:17]
	v_mul_f64 v[12:13], v[12:13], v[16:17]
.LBB238_107:                            ;   in Loop: Header=BB238_103 Depth=1
	s_andn2_b64 vcc, exec, s[4:5]
	s_cbranch_vccnz .LBB238_102
; %bb.108:                              ;   in Loop: Header=BB238_103 Depth=1
	v_div_scale_f64 v[10:11], s[4:5], v[6:7], v[6:7], v[8:9]
	v_rcp_f64_e32 v[12:13], v[10:11]
	v_div_scale_f64 v[16:17], vcc, v[8:9], v[6:7], v[8:9]
	v_fma_f64 v[18:19], -v[10:11], v[12:13], 1.0
	v_fmac_f64_e32 v[12:13], v[12:13], v[18:19]
	v_fma_f64 v[18:19], -v[10:11], v[12:13], 1.0
	v_fmac_f64_e32 v[12:13], v[12:13], v[18:19]
	v_mul_f64 v[18:19], v[16:17], v[12:13]
	v_fma_f64 v[10:11], -v[10:11], v[18:19], v[16:17]
	v_div_fmas_f64 v[10:11], v[10:11], v[12:13], v[18:19]
	v_div_fixup_f64 v[12:13], v[10:11], v[6:7], v[8:9]
	v_fmac_f64_e32 v[6:7], v[8:9], v[12:13]
	v_div_scale_f64 v[8:9], s[4:5], v[6:7], v[6:7], 1.0
	v_rcp_f64_e32 v[10:11], v[8:9]
	s_nop 0
	v_fma_f64 v[16:17], -v[8:9], v[10:11], 1.0
	v_fmac_f64_e32 v[10:11], v[10:11], v[16:17]
	v_fma_f64 v[16:17], -v[8:9], v[10:11], 1.0
	v_fmac_f64_e32 v[10:11], v[10:11], v[16:17]
	v_div_scale_f64 v[16:17], vcc, 1.0, v[6:7], 1.0
	v_mul_f64 v[18:19], v[16:17], v[10:11]
	v_fma_f64 v[8:9], -v[8:9], v[18:19], v[16:17]
	s_nop 1
	v_div_fmas_f64 v[8:9], v[8:9], v[10:11], v[18:19]
	v_div_fixup_f64 v[6:7], v[8:9], v[6:7], 1.0
	v_fma_f64 v[8:9], v[4:5], v[12:13], v[2:3]
	v_fma_f64 v[2:3], -v[2:3], v[12:13], v[4:5]
	v_mul_f64 v[10:11], v[8:9], v[6:7]
	v_mul_f64 v[12:13], v[2:3], v[6:7]
	s_branch .LBB238_102
.LBB238_109:
	s_mov_b64 s[10:11], 0
.LBB238_110:
	s_andn2_b64 vcc, exec, s[10:11]
	s_cbranch_vccnz .LBB238_142
; %bb.111:
	v_mov_b32_e32 v1, 0x4000
	v_lshl_or_b32 v1, v0, 4, v1
	s_cmp_lt_i32 s24, 4
	s_mov_b32 s9, 0
	s_cbranch_scc1 .LBB238_133
; %bb.112:
	s_mov_b32 s6, 0
	s_mov_b32 s7, 0
.LBB238_113:                            ; =>This Loop Header: Depth=1
                                        ;     Child Loop BB238_114 Depth 2
	s_or_b32 s10, s7, 2
	s_or_b32 s9, s7, 3
	v_lshl_add_u32 v29, s7, 9, v1
	s_or_b32 s12, s7, 1
	v_lshl_add_u32 v27, s10, 9, v1
	v_lshl_add_u32 v28, s12, 9, v1
	ds_read_b128 v[18:21], v29
	ds_read_b128 v[14:17], v28
	v_lshl_add_u32 v26, s9, 9, v1
	ds_read_b128 v[6:9], v27
	ds_read_b128 v[2:5], v26
	s_cmp_eq_u32 s7, 0
	s_mov_b32 s4, s6
	v_mov_b32_e32 v10, v1
	s_mov_b32 s5, s7
	s_cbranch_scc1 .LBB238_115
.LBB238_114:                            ;   Parent Loop BB238_113 Depth=1
                                        ; =>  This Inner Loop Header: Depth=2
	v_mov_b32_e32 v11, s4
	ds_read_b128 v[22:25], v10
	ds_read_b128 v[30:33], v11
	ds_read_b128 v[34:37], v11 offset:512
	ds_read_b128 v[38:41], v11 offset:1024
	;; [unrolled: 1-line block ×3, first 2 shown]
	s_add_i32 s5, s5, -1
	s_add_i32 s4, s4, 16
	v_add_u32_e32 v10, 0x200, v10
	s_waitcnt lgkmcnt(3)
	v_mul_f64 v[12:13], v[24:25], v[32:33]
	v_mul_f64 v[32:33], v[22:23], v[32:33]
	s_waitcnt lgkmcnt(2)
	v_mul_f64 v[46:47], v[24:25], v[36:37]
	v_mul_f64 v[36:37], v[22:23], v[36:37]
	;; [unrolled: 3-line block ×4, first 2 shown]
	v_fma_f64 v[12:13], v[22:23], v[30:31], -v[12:13]
	v_fmac_f64_e32 v[32:33], v[24:25], v[30:31]
	v_fma_f64 v[30:31], v[22:23], v[34:35], -v[46:47]
	v_fmac_f64_e32 v[36:37], v[24:25], v[34:35]
	;; [unrolled: 2-line block ×4, first 2 shown]
	s_cmp_eq_u32 s5, 0
	v_add_f64 v[18:19], v[18:19], -v[12:13]
	v_add_f64 v[20:21], v[20:21], -v[32:33]
	;; [unrolled: 1-line block ×8, first 2 shown]
	s_cbranch_scc0 .LBB238_114
.LBB238_115:                            ;   in Loop: Header=BB238_113 Depth=1
	s_mul_i32 s4, s7, 0x210
	v_mov_b32_e32 v10, s4
	ds_read_b128 v[22:25], v10
	s_lshl_b32 s13, s12, 5
	s_lshl_b32 s14, s10, 5
	;; [unrolled: 1-line block ×3, first 2 shown]
	s_mov_b64 s[4:5], -1
	s_waitcnt lgkmcnt(0)
	v_cmp_ngt_f64_e64 s[16:17], |v[22:23]|, |v[24:25]|
	s_and_b64 vcc, exec, s[16:17]
                                        ; implicit-def: $vgpr12_vgpr13
	s_cbranch_vccz .LBB238_117
; %bb.116:                              ;   in Loop: Header=BB238_113 Depth=1
	v_div_scale_f64 v[10:11], s[4:5], v[24:25], v[24:25], v[22:23]
	v_rcp_f64_e32 v[12:13], v[10:11]
	v_div_scale_f64 v[30:31], vcc, v[22:23], v[24:25], v[22:23]
	v_fma_f64 v[32:33], -v[10:11], v[12:13], 1.0
	v_fmac_f64_e32 v[12:13], v[12:13], v[32:33]
	v_fma_f64 v[32:33], -v[10:11], v[12:13], 1.0
	v_fmac_f64_e32 v[12:13], v[12:13], v[32:33]
	v_mul_f64 v[32:33], v[30:31], v[12:13]
	v_fma_f64 v[10:11], -v[10:11], v[32:33], v[30:31]
	v_div_fmas_f64 v[10:11], v[10:11], v[12:13], v[32:33]
	v_div_fixup_f64 v[12:13], v[10:11], v[24:25], v[22:23]
	v_fma_f64 v[10:11], v[22:23], v[12:13], v[24:25]
	v_div_scale_f64 v[30:31], s[4:5], v[10:11], v[10:11], 1.0
	v_rcp_f64_e32 v[32:33], v[30:31]
	s_mov_b64 s[4:5], 0
	v_fma_f64 v[34:35], -v[30:31], v[32:33], 1.0
	v_fmac_f64_e32 v[32:33], v[32:33], v[34:35]
	v_fma_f64 v[34:35], -v[30:31], v[32:33], 1.0
	v_fmac_f64_e32 v[32:33], v[32:33], v[34:35]
	v_div_scale_f64 v[34:35], vcc, 1.0, v[10:11], 1.0
	v_mul_f64 v[36:37], v[34:35], v[32:33]
	v_fma_f64 v[30:31], -v[30:31], v[36:37], v[34:35]
	s_nop 1
	v_div_fmas_f64 v[30:31], v[30:31], v[32:33], v[36:37]
	v_div_fixup_f64 v[30:31], v[30:31], v[10:11], 1.0
	v_fma_f64 v[10:11], v[18:19], v[12:13], v[20:21]
	v_fma_f64 v[12:13], v[20:21], v[12:13], -v[18:19]
	v_mul_f64 v[10:11], v[10:11], v[30:31]
	v_mul_f64 v[12:13], v[12:13], v[30:31]
.LBB238_117:                            ;   in Loop: Header=BB238_113 Depth=1
	s_andn2_b64 vcc, exec, s[4:5]
	s_cbranch_vccnz .LBB238_119
; %bb.118:                              ;   in Loop: Header=BB238_113 Depth=1
	v_div_scale_f64 v[10:11], s[4:5], v[22:23], v[22:23], v[24:25]
	v_rcp_f64_e32 v[12:13], v[10:11]
	v_div_scale_f64 v[30:31], vcc, v[24:25], v[22:23], v[24:25]
	v_fma_f64 v[32:33], -v[10:11], v[12:13], 1.0
	v_fmac_f64_e32 v[12:13], v[12:13], v[32:33]
	v_fma_f64 v[32:33], -v[10:11], v[12:13], 1.0
	v_fmac_f64_e32 v[12:13], v[12:13], v[32:33]
	v_mul_f64 v[32:33], v[30:31], v[12:13]
	v_fma_f64 v[10:11], -v[10:11], v[32:33], v[30:31]
	v_div_fmas_f64 v[10:11], v[10:11], v[12:13], v[32:33]
	v_div_fixup_f64 v[12:13], v[10:11], v[22:23], v[24:25]
	v_fmac_f64_e32 v[22:23], v[24:25], v[12:13]
	v_div_scale_f64 v[10:11], s[4:5], v[22:23], v[22:23], 1.0
	v_rcp_f64_e32 v[24:25], v[10:11]
	s_nop 0
	v_fma_f64 v[30:31], -v[10:11], v[24:25], 1.0
	v_fmac_f64_e32 v[24:25], v[24:25], v[30:31]
	v_fma_f64 v[30:31], -v[10:11], v[24:25], 1.0
	v_fmac_f64_e32 v[24:25], v[24:25], v[30:31]
	v_div_scale_f64 v[30:31], vcc, 1.0, v[22:23], 1.0
	v_mul_f64 v[32:33], v[30:31], v[24:25]
	v_fma_f64 v[10:11], -v[10:11], v[32:33], v[30:31]
	s_nop 1
	v_div_fmas_f64 v[10:11], v[10:11], v[24:25], v[32:33]
	v_div_fixup_f64 v[22:23], v[10:11], v[22:23], 1.0
	v_fma_f64 v[10:11], v[20:21], v[12:13], v[18:19]
	v_fma_f64 v[12:13], -v[18:19], v[12:13], v[20:21]
	v_mul_f64 v[10:11], v[10:11], v[22:23]
	v_mul_f64 v[12:13], v[12:13], v[22:23]
.LBB238_119:                            ;   in Loop: Header=BB238_113 Depth=1
	s_lshl_b32 s4, s13, 4
	s_lshl_b32 s13, s7, 4
	s_add_i32 s5, s4, s13
	v_mov_b32_e32 v18, s5
	s_lshl_b32 s5, s12, 4
	s_add_i32 s4, s4, s5
	ds_read_b128 v[22:25], v18
	v_mov_b32_e32 v18, s4
	ds_read_b128 v[18:21], v18
	s_mov_b64 s[4:5], -1
	ds_write_b128 v29, v[10:13]
	s_waitcnt lgkmcnt(2)
	v_mul_f64 v[30:31], v[12:13], v[24:25]
	v_mul_f64 v[24:25], v[10:11], v[24:25]
	v_fma_f64 v[30:31], v[10:11], v[22:23], -v[30:31]
	v_fmac_f64_e32 v[24:25], v[12:13], v[22:23]
	s_waitcnt lgkmcnt(1)
	v_cmp_ngt_f64_e64 s[16:17], |v[18:19]|, |v[20:21]|
	v_add_f64 v[22:23], v[14:15], -v[30:31]
	v_add_f64 v[24:25], v[16:17], -v[24:25]
	s_and_b64 vcc, exec, s[16:17]
                                        ; implicit-def: $vgpr16_vgpr17
	s_cbranch_vccz .LBB238_121
; %bb.120:                              ;   in Loop: Header=BB238_113 Depth=1
	v_div_scale_f64 v[14:15], s[4:5], v[20:21], v[20:21], v[18:19]
	v_rcp_f64_e32 v[16:17], v[14:15]
	v_div_scale_f64 v[30:31], vcc, v[18:19], v[20:21], v[18:19]
	v_fma_f64 v[32:33], -v[14:15], v[16:17], 1.0
	v_fmac_f64_e32 v[16:17], v[16:17], v[32:33]
	v_fma_f64 v[32:33], -v[14:15], v[16:17], 1.0
	v_fmac_f64_e32 v[16:17], v[16:17], v[32:33]
	v_mul_f64 v[32:33], v[30:31], v[16:17]
	v_fma_f64 v[14:15], -v[14:15], v[32:33], v[30:31]
	v_div_fmas_f64 v[14:15], v[14:15], v[16:17], v[32:33]
	v_div_fixup_f64 v[16:17], v[14:15], v[20:21], v[18:19]
	v_fma_f64 v[14:15], v[18:19], v[16:17], v[20:21]
	v_div_scale_f64 v[30:31], s[4:5], v[14:15], v[14:15], 1.0
	v_rcp_f64_e32 v[32:33], v[30:31]
	s_mov_b64 s[4:5], 0
	v_fma_f64 v[34:35], -v[30:31], v[32:33], 1.0
	v_fmac_f64_e32 v[32:33], v[32:33], v[34:35]
	v_fma_f64 v[34:35], -v[30:31], v[32:33], 1.0
	v_fmac_f64_e32 v[32:33], v[32:33], v[34:35]
	v_div_scale_f64 v[34:35], vcc, 1.0, v[14:15], 1.0
	v_mul_f64 v[36:37], v[34:35], v[32:33]
	v_fma_f64 v[30:31], -v[30:31], v[36:37], v[34:35]
	s_nop 1
	v_div_fmas_f64 v[30:31], v[30:31], v[32:33], v[36:37]
	v_div_fixup_f64 v[30:31], v[30:31], v[14:15], 1.0
	v_fma_f64 v[14:15], v[16:17], v[22:23], v[24:25]
	v_fma_f64 v[16:17], v[16:17], v[24:25], -v[22:23]
	v_mul_f64 v[14:15], v[14:15], v[30:31]
	v_mul_f64 v[16:17], v[16:17], v[30:31]
.LBB238_121:                            ;   in Loop: Header=BB238_113 Depth=1
	s_andn2_b64 vcc, exec, s[4:5]
	s_cbranch_vccnz .LBB238_123
; %bb.122:                              ;   in Loop: Header=BB238_113 Depth=1
	v_div_scale_f64 v[14:15], s[4:5], v[18:19], v[18:19], v[20:21]
	v_rcp_f64_e32 v[16:17], v[14:15]
	v_div_scale_f64 v[30:31], vcc, v[20:21], v[18:19], v[20:21]
	v_fma_f64 v[32:33], -v[14:15], v[16:17], 1.0
	v_fmac_f64_e32 v[16:17], v[16:17], v[32:33]
	v_fma_f64 v[32:33], -v[14:15], v[16:17], 1.0
	v_fmac_f64_e32 v[16:17], v[16:17], v[32:33]
	v_mul_f64 v[32:33], v[30:31], v[16:17]
	v_fma_f64 v[14:15], -v[14:15], v[32:33], v[30:31]
	v_div_fmas_f64 v[14:15], v[14:15], v[16:17], v[32:33]
	v_div_fixup_f64 v[16:17], v[14:15], v[18:19], v[20:21]
	v_fmac_f64_e32 v[18:19], v[20:21], v[16:17]
	v_div_scale_f64 v[14:15], s[4:5], v[18:19], v[18:19], 1.0
	v_rcp_f64_e32 v[20:21], v[14:15]
	s_nop 0
	v_fma_f64 v[30:31], -v[14:15], v[20:21], 1.0
	v_fmac_f64_e32 v[20:21], v[20:21], v[30:31]
	v_fma_f64 v[30:31], -v[14:15], v[20:21], 1.0
	v_fmac_f64_e32 v[20:21], v[20:21], v[30:31]
	v_div_scale_f64 v[30:31], vcc, 1.0, v[18:19], 1.0
	v_mul_f64 v[32:33], v[30:31], v[20:21]
	v_fma_f64 v[14:15], -v[14:15], v[32:33], v[30:31]
	s_nop 1
	v_div_fmas_f64 v[14:15], v[14:15], v[20:21], v[32:33]
	v_div_fixup_f64 v[18:19], v[14:15], v[18:19], 1.0
	v_fma_f64 v[14:15], v[16:17], v[24:25], v[22:23]
	v_fma_f64 v[16:17], -v[16:17], v[22:23], v[24:25]
	v_mul_f64 v[14:15], v[14:15], v[18:19]
	v_mul_f64 v[16:17], v[16:17], v[18:19]
.LBB238_123:                            ;   in Loop: Header=BB238_113 Depth=1
	s_lshl_b32 s4, s14, 4
	s_add_i32 s5, s4, s13
	v_mov_b32_e32 v22, s5
	ds_read_b128 v[18:21], v22
	ds_read_b128 v[22:25], v22 offset:16
	ds_write_b128 v28, v[14:17]
	s_lshl_b32 s5, s10, 4
	s_add_i32 s4, s4, s5
	s_waitcnt lgkmcnt(2)
	v_mul_f64 v[28:29], v[12:13], v[20:21]
	v_mul_f64 v[20:21], v[10:11], v[20:21]
	v_fma_f64 v[28:29], v[10:11], v[18:19], -v[28:29]
	v_fmac_f64_e32 v[20:21], v[12:13], v[18:19]
	v_add_f64 v[18:19], v[6:7], -v[28:29]
	s_waitcnt lgkmcnt(1)
	v_mul_f64 v[6:7], v[16:17], v[24:25]
	v_fma_f64 v[28:29], v[14:15], v[22:23], -v[6:7]
	v_mov_b32_e32 v6, s4
	v_add_f64 v[20:21], v[8:9], -v[20:21]
	ds_read_b128 v[6:9], v6
	v_mul_f64 v[24:25], v[14:15], v[24:25]
	v_fmac_f64_e32 v[24:25], v[16:17], v[22:23]
	v_add_f64 v[22:23], v[18:19], -v[28:29]
	v_add_f64 v[24:25], v[20:21], -v[24:25]
	s_waitcnt lgkmcnt(0)
	v_cmp_ngt_f64_e64 s[14:15], |v[6:7]|, |v[8:9]|
	s_mov_b64 s[4:5], -1
	s_and_b64 vcc, exec, s[14:15]
                                        ; implicit-def: $vgpr20_vgpr21
	s_cbranch_vccz .LBB238_125
; %bb.124:                              ;   in Loop: Header=BB238_113 Depth=1
	v_div_scale_f64 v[18:19], s[4:5], v[8:9], v[8:9], v[6:7]
	v_rcp_f64_e32 v[20:21], v[18:19]
	v_div_scale_f64 v[28:29], vcc, v[6:7], v[8:9], v[6:7]
	v_fma_f64 v[30:31], -v[18:19], v[20:21], 1.0
	v_fmac_f64_e32 v[20:21], v[20:21], v[30:31]
	v_fma_f64 v[30:31], -v[18:19], v[20:21], 1.0
	v_fmac_f64_e32 v[20:21], v[20:21], v[30:31]
	v_mul_f64 v[30:31], v[28:29], v[20:21]
	v_fma_f64 v[18:19], -v[18:19], v[30:31], v[28:29]
	v_div_fmas_f64 v[18:19], v[18:19], v[20:21], v[30:31]
	v_div_fixup_f64 v[20:21], v[18:19], v[8:9], v[6:7]
	v_fma_f64 v[18:19], v[6:7], v[20:21], v[8:9]
	v_div_scale_f64 v[28:29], s[4:5], v[18:19], v[18:19], 1.0
	v_rcp_f64_e32 v[30:31], v[28:29]
	s_mov_b64 s[4:5], 0
	v_fma_f64 v[32:33], -v[28:29], v[30:31], 1.0
	v_fmac_f64_e32 v[30:31], v[30:31], v[32:33]
	v_fma_f64 v[32:33], -v[28:29], v[30:31], 1.0
	v_fmac_f64_e32 v[30:31], v[30:31], v[32:33]
	v_div_scale_f64 v[32:33], vcc, 1.0, v[18:19], 1.0
	v_mul_f64 v[34:35], v[32:33], v[30:31]
	v_fma_f64 v[28:29], -v[28:29], v[34:35], v[32:33]
	s_nop 1
	v_div_fmas_f64 v[28:29], v[28:29], v[30:31], v[34:35]
	v_div_fixup_f64 v[28:29], v[28:29], v[18:19], 1.0
	v_fma_f64 v[18:19], v[20:21], v[22:23], v[24:25]
	v_fma_f64 v[20:21], v[20:21], v[24:25], -v[22:23]
	v_mul_f64 v[18:19], v[18:19], v[28:29]
	v_mul_f64 v[20:21], v[20:21], v[28:29]
.LBB238_125:                            ;   in Loop: Header=BB238_113 Depth=1
	s_andn2_b64 vcc, exec, s[4:5]
	s_cbranch_vccnz .LBB238_127
; %bb.126:                              ;   in Loop: Header=BB238_113 Depth=1
	v_div_scale_f64 v[18:19], s[4:5], v[6:7], v[6:7], v[8:9]
	v_rcp_f64_e32 v[20:21], v[18:19]
	v_div_scale_f64 v[28:29], vcc, v[8:9], v[6:7], v[8:9]
	v_fma_f64 v[30:31], -v[18:19], v[20:21], 1.0
	v_fmac_f64_e32 v[20:21], v[20:21], v[30:31]
	v_fma_f64 v[30:31], -v[18:19], v[20:21], 1.0
	v_fmac_f64_e32 v[20:21], v[20:21], v[30:31]
	v_mul_f64 v[30:31], v[28:29], v[20:21]
	v_fma_f64 v[18:19], -v[18:19], v[30:31], v[28:29]
	v_div_fmas_f64 v[18:19], v[18:19], v[20:21], v[30:31]
	v_div_fixup_f64 v[20:21], v[18:19], v[6:7], v[8:9]
	v_fmac_f64_e32 v[6:7], v[8:9], v[20:21]
	v_div_scale_f64 v[8:9], s[4:5], v[6:7], v[6:7], 1.0
	v_rcp_f64_e32 v[18:19], v[8:9]
	s_nop 0
	v_fma_f64 v[28:29], -v[8:9], v[18:19], 1.0
	v_fmac_f64_e32 v[18:19], v[18:19], v[28:29]
	v_fma_f64 v[28:29], -v[8:9], v[18:19], 1.0
	v_fmac_f64_e32 v[18:19], v[18:19], v[28:29]
	v_div_scale_f64 v[28:29], vcc, 1.0, v[6:7], 1.0
	v_mul_f64 v[30:31], v[28:29], v[18:19]
	v_fma_f64 v[8:9], -v[8:9], v[30:31], v[28:29]
	s_nop 1
	v_div_fmas_f64 v[8:9], v[8:9], v[18:19], v[30:31]
	v_div_fixup_f64 v[6:7], v[8:9], v[6:7], 1.0
	v_fma_f64 v[8:9], v[20:21], v[24:25], v[22:23]
	v_mul_f64 v[18:19], v[8:9], v[6:7]
	v_fma_f64 v[8:9], -v[20:21], v[22:23], v[24:25]
	v_mul_f64 v[20:21], v[8:9], v[6:7]
.LBB238_127:                            ;   in Loop: Header=BB238_113 Depth=1
	s_lshl_b32 s4, s11, 4
	s_add_i32 s5, s4, s13
	v_mov_b32_e32 v28, s5
	ds_read_b128 v[6:9], v28
	ds_write_b128 v27, v[18:21]
	ds_read_b128 v[22:25], v28 offset:16
	ds_read_b128 v[28:31], v28 offset:32
	s_lshl_b32 s5, s9, 4
	s_add_i32 s4, s4, s5
	s_waitcnt lgkmcnt(3)
	v_mul_f64 v[32:33], v[12:13], v[8:9]
	v_mul_f64 v[8:9], v[10:11], v[8:9]
	v_fma_f64 v[10:11], v[10:11], v[6:7], -v[32:33]
	v_fmac_f64_e32 v[8:9], v[12:13], v[6:7]
	s_waitcnt lgkmcnt(1)
	v_mul_f64 v[6:7], v[16:17], v[24:25]
	v_add_f64 v[2:3], v[2:3], -v[10:11]
	v_add_f64 v[4:5], v[4:5], -v[8:9]
	v_fma_f64 v[6:7], v[14:15], v[22:23], -v[6:7]
	v_mul_f64 v[8:9], v[14:15], v[24:25]
	v_fmac_f64_e32 v[8:9], v[16:17], v[22:23]
	v_add_f64 v[6:7], v[2:3], -v[6:7]
	v_mov_b32_e32 v2, s4
	v_add_f64 v[8:9], v[4:5], -v[8:9]
	ds_read_b128 v[2:5], v2
	s_waitcnt lgkmcnt(1)
	v_mul_f64 v[10:11], v[20:21], v[30:31]
	v_mul_f64 v[12:13], v[18:19], v[30:31]
	v_fma_f64 v[10:11], v[18:19], v[28:29], -v[10:11]
	v_fmac_f64_e32 v[12:13], v[20:21], v[28:29]
	s_waitcnt lgkmcnt(0)
	v_cmp_ngt_f64_e64 s[10:11], |v[2:3]|, |v[4:5]|
	v_add_f64 v[10:11], v[6:7], -v[10:11]
	v_add_f64 v[12:13], v[8:9], -v[12:13]
	s_mov_b64 s[4:5], -1
	s_and_b64 vcc, exec, s[10:11]
                                        ; implicit-def: $vgpr8_vgpr9
	s_cbranch_vccz .LBB238_129
; %bb.128:                              ;   in Loop: Header=BB238_113 Depth=1
	v_div_scale_f64 v[6:7], s[4:5], v[4:5], v[4:5], v[2:3]
	v_rcp_f64_e32 v[8:9], v[6:7]
	v_div_scale_f64 v[14:15], vcc, v[2:3], v[4:5], v[2:3]
	v_fma_f64 v[16:17], -v[6:7], v[8:9], 1.0
	v_fmac_f64_e32 v[8:9], v[8:9], v[16:17]
	v_fma_f64 v[16:17], -v[6:7], v[8:9], 1.0
	v_fmac_f64_e32 v[8:9], v[8:9], v[16:17]
	v_mul_f64 v[16:17], v[14:15], v[8:9]
	v_fma_f64 v[6:7], -v[6:7], v[16:17], v[14:15]
	v_div_fmas_f64 v[6:7], v[6:7], v[8:9], v[16:17]
	v_div_fixup_f64 v[8:9], v[6:7], v[4:5], v[2:3]
	v_fma_f64 v[6:7], v[2:3], v[8:9], v[4:5]
	v_div_scale_f64 v[14:15], s[4:5], v[6:7], v[6:7], 1.0
	v_rcp_f64_e32 v[16:17], v[14:15]
	s_mov_b64 s[4:5], 0
	v_fma_f64 v[18:19], -v[14:15], v[16:17], 1.0
	v_fmac_f64_e32 v[16:17], v[16:17], v[18:19]
	v_fma_f64 v[18:19], -v[14:15], v[16:17], 1.0
	v_fmac_f64_e32 v[16:17], v[16:17], v[18:19]
	v_div_scale_f64 v[18:19], vcc, 1.0, v[6:7], 1.0
	v_mul_f64 v[20:21], v[18:19], v[16:17]
	v_fma_f64 v[14:15], -v[14:15], v[20:21], v[18:19]
	s_nop 1
	v_div_fmas_f64 v[14:15], v[14:15], v[16:17], v[20:21]
	v_div_fixup_f64 v[14:15], v[14:15], v[6:7], 1.0
	v_fma_f64 v[6:7], v[8:9], v[10:11], v[12:13]
	v_fma_f64 v[8:9], v[8:9], v[12:13], -v[10:11]
	v_mul_f64 v[6:7], v[6:7], v[14:15]
	v_mul_f64 v[8:9], v[8:9], v[14:15]
.LBB238_129:                            ;   in Loop: Header=BB238_113 Depth=1
	s_andn2_b64 vcc, exec, s[4:5]
	s_cbranch_vccnz .LBB238_131
; %bb.130:                              ;   in Loop: Header=BB238_113 Depth=1
	v_div_scale_f64 v[6:7], s[4:5], v[2:3], v[2:3], v[4:5]
	v_rcp_f64_e32 v[8:9], v[6:7]
	v_div_scale_f64 v[14:15], vcc, v[4:5], v[2:3], v[4:5]
	v_fma_f64 v[16:17], -v[6:7], v[8:9], 1.0
	v_fmac_f64_e32 v[8:9], v[8:9], v[16:17]
	v_fma_f64 v[16:17], -v[6:7], v[8:9], 1.0
	v_fmac_f64_e32 v[8:9], v[8:9], v[16:17]
	v_mul_f64 v[16:17], v[14:15], v[8:9]
	v_fma_f64 v[6:7], -v[6:7], v[16:17], v[14:15]
	v_div_fmas_f64 v[6:7], v[6:7], v[8:9], v[16:17]
	v_div_fixup_f64 v[8:9], v[6:7], v[2:3], v[4:5]
	v_fmac_f64_e32 v[2:3], v[4:5], v[8:9]
	v_div_scale_f64 v[4:5], s[4:5], v[2:3], v[2:3], 1.0
	v_rcp_f64_e32 v[6:7], v[4:5]
	s_nop 0
	v_fma_f64 v[14:15], -v[4:5], v[6:7], 1.0
	v_fmac_f64_e32 v[6:7], v[6:7], v[14:15]
	v_fma_f64 v[14:15], -v[4:5], v[6:7], 1.0
	v_fmac_f64_e32 v[6:7], v[6:7], v[14:15]
	v_div_scale_f64 v[14:15], vcc, 1.0, v[2:3], 1.0
	v_mul_f64 v[16:17], v[14:15], v[6:7]
	v_fma_f64 v[4:5], -v[4:5], v[16:17], v[14:15]
	s_nop 1
	v_div_fmas_f64 v[4:5], v[4:5], v[6:7], v[16:17]
	v_div_fixup_f64 v[2:3], v[4:5], v[2:3], 1.0
	v_fma_f64 v[4:5], v[8:9], v[12:13], v[10:11]
	v_mul_f64 v[6:7], v[4:5], v[2:3]
	v_fma_f64 v[4:5], -v[8:9], v[10:11], v[12:13]
	v_mul_f64 v[8:9], v[4:5], v[2:3]
.LBB238_131:                            ;   in Loop: Header=BB238_113 Depth=1
	s_add_i32 s9, s7, 4
	s_add_i32 s4, s7, 7
	s_addk_i32 s6, 0x800
	s_cmp_ge_i32 s4, s25
	ds_write_b128 v26, v[6:9]
	s_cbranch_scc1 .LBB238_133
; %bb.132:                              ;   in Loop: Header=BB238_113 Depth=1
	s_mov_b32 s7, s9
	s_branch .LBB238_113
.LBB238_133:
	s_cmp_ge_i32 s9, s25
	s_cbranch_scc1 .LBB238_142
; %bb.134:
	v_mov_b32_e32 v2, 0x4000
	v_lshl_or_b32 v14, v0, 4, v2
	s_lshl_b32 s6, s9, 9
	s_branch .LBB238_136
.LBB238_135:                            ;   in Loop: Header=BB238_136 Depth=1
	s_add_i32 s9, s9, 1
	s_addk_i32 s6, 0x200
	s_cmp_ge_i32 s9, s25
	ds_write_b128 v15, v[10:13]
	s_cbranch_scc1 .LBB238_142
.LBB238_136:                            ; =>This Loop Header: Depth=1
                                        ;     Child Loop BB238_137 Depth 2
	v_lshl_add_u32 v15, s9, 9, v1
	ds_read_b128 v[2:5], v15
	s_cmp_eq_u32 s9, 0
	s_mov_b32 s4, s6
	v_mov_b32_e32 v6, v14
	s_mov_b32 s5, s9
	s_cbranch_scc1 .LBB238_138
.LBB238_137:                            ;   Parent Loop BB238_136 Depth=1
                                        ; =>  This Inner Loop Header: Depth=2
	v_mov_b32_e32 v7, s4
	ds_read_b128 v[8:11], v6
	ds_read_b128 v[16:19], v7
	s_add_i32 s5, s5, -1
	s_add_i32 s4, s4, 16
	v_add_u32_e32 v6, 0x200, v6
	s_cmp_eq_u32 s5, 0
	s_waitcnt lgkmcnt(0)
	v_mul_f64 v[12:13], v[18:19], v[10:11]
	v_mul_f64 v[10:11], v[16:17], v[10:11]
	v_fma_f64 v[12:13], v[16:17], v[8:9], -v[12:13]
	v_fmac_f64_e32 v[10:11], v[18:19], v[8:9]
	v_add_f64 v[2:3], v[2:3], -v[12:13]
	v_add_f64 v[4:5], v[4:5], -v[10:11]
	s_cbranch_scc0 .LBB238_137
.LBB238_138:                            ;   in Loop: Header=BB238_136 Depth=1
	s_mul_i32 s4, s9, 0x210
	v_mov_b32_e32 v6, s4
	ds_read_b128 v[6:9], v6
	s_mov_b64 s[4:5], -1
                                        ; implicit-def: $vgpr10_vgpr11
	s_waitcnt lgkmcnt(0)
	v_cmp_ngt_f64_e64 s[10:11], |v[6:7]|, |v[8:9]|
	s_and_b64 vcc, exec, s[10:11]
	s_cbranch_vccz .LBB238_140
; %bb.139:                              ;   in Loop: Header=BB238_136 Depth=1
	v_div_scale_f64 v[10:11], s[4:5], v[8:9], v[8:9], v[6:7]
	v_rcp_f64_e32 v[12:13], v[10:11]
	v_div_scale_f64 v[16:17], vcc, v[6:7], v[8:9], v[6:7]
	v_fma_f64 v[18:19], -v[10:11], v[12:13], 1.0
	v_fmac_f64_e32 v[12:13], v[12:13], v[18:19]
	v_fma_f64 v[18:19], -v[10:11], v[12:13], 1.0
	v_fmac_f64_e32 v[12:13], v[12:13], v[18:19]
	v_mul_f64 v[18:19], v[16:17], v[12:13]
	v_fma_f64 v[10:11], -v[10:11], v[18:19], v[16:17]
	v_div_fmas_f64 v[10:11], v[10:11], v[12:13], v[18:19]
	v_div_fixup_f64 v[12:13], v[10:11], v[8:9], v[6:7]
	v_fma_f64 v[10:11], v[6:7], v[12:13], v[8:9]
	v_div_scale_f64 v[16:17], s[4:5], v[10:11], v[10:11], 1.0
	v_rcp_f64_e32 v[18:19], v[16:17]
	s_mov_b64 s[4:5], 0
	v_fma_f64 v[20:21], -v[16:17], v[18:19], 1.0
	v_fmac_f64_e32 v[18:19], v[18:19], v[20:21]
	v_fma_f64 v[20:21], -v[16:17], v[18:19], 1.0
	v_fmac_f64_e32 v[18:19], v[18:19], v[20:21]
	v_div_scale_f64 v[20:21], vcc, 1.0, v[10:11], 1.0
	v_mul_f64 v[22:23], v[20:21], v[18:19]
	v_fma_f64 v[16:17], -v[16:17], v[22:23], v[20:21]
	s_nop 1
	v_div_fmas_f64 v[16:17], v[16:17], v[18:19], v[22:23]
	v_div_fixup_f64 v[16:17], v[16:17], v[10:11], 1.0
	v_fma_f64 v[10:11], v[2:3], v[12:13], v[4:5]
	v_fma_f64 v[12:13], v[4:5], v[12:13], -v[2:3]
	v_mul_f64 v[10:11], v[10:11], v[16:17]
	v_mul_f64 v[12:13], v[12:13], v[16:17]
.LBB238_140:                            ;   in Loop: Header=BB238_136 Depth=1
	s_andn2_b64 vcc, exec, s[4:5]
	s_cbranch_vccnz .LBB238_135
; %bb.141:                              ;   in Loop: Header=BB238_136 Depth=1
	v_div_scale_f64 v[10:11], s[4:5], v[6:7], v[6:7], v[8:9]
	v_rcp_f64_e32 v[12:13], v[10:11]
	v_div_scale_f64 v[16:17], vcc, v[8:9], v[6:7], v[8:9]
	v_fma_f64 v[18:19], -v[10:11], v[12:13], 1.0
	v_fmac_f64_e32 v[12:13], v[12:13], v[18:19]
	v_fma_f64 v[18:19], -v[10:11], v[12:13], 1.0
	v_fmac_f64_e32 v[12:13], v[12:13], v[18:19]
	v_mul_f64 v[18:19], v[16:17], v[12:13]
	v_fma_f64 v[10:11], -v[10:11], v[18:19], v[16:17]
	v_div_fmas_f64 v[10:11], v[10:11], v[12:13], v[18:19]
	v_div_fixup_f64 v[12:13], v[10:11], v[6:7], v[8:9]
	v_fmac_f64_e32 v[6:7], v[8:9], v[12:13]
	v_div_scale_f64 v[8:9], s[4:5], v[6:7], v[6:7], 1.0
	v_rcp_f64_e32 v[10:11], v[8:9]
	s_nop 0
	v_fma_f64 v[16:17], -v[8:9], v[10:11], 1.0
	v_fmac_f64_e32 v[10:11], v[10:11], v[16:17]
	v_fma_f64 v[16:17], -v[8:9], v[10:11], 1.0
	v_fmac_f64_e32 v[10:11], v[10:11], v[16:17]
	v_div_scale_f64 v[16:17], vcc, 1.0, v[6:7], 1.0
	v_mul_f64 v[18:19], v[16:17], v[10:11]
	v_fma_f64 v[8:9], -v[8:9], v[18:19], v[16:17]
	s_nop 1
	v_div_fmas_f64 v[8:9], v[8:9], v[10:11], v[18:19]
	v_div_fixup_f64 v[6:7], v[8:9], v[6:7], 1.0
	v_fma_f64 v[8:9], v[4:5], v[12:13], v[2:3]
	v_fma_f64 v[2:3], -v[2:3], v[12:13], v[4:5]
	v_mul_f64 v[10:11], v[8:9], v[6:7]
	v_mul_f64 v[12:13], v[2:3], v[6:7]
	s_branch .LBB238_135
.LBB238_142:
	s_and_saveexec_b64 s[4:5], s[0:1]
	s_cbranch_execz .LBB238_146
; %bb.143:
	s_cmp_lt_i32 s24, 1
	s_cbranch_scc1 .LBB238_146
; %bb.144:
	s_ashr_i32 s9, s8, 31
	v_lshlrev_b32_e32 v2, 4, v0
	v_mov_b32_e32 v3, 0
	v_lshl_add_u64 v[0:1], s[2:3], 0, v[2:3]
	s_lshl_b64 s[0:1], s[8:9], 4
	v_or_b32_e32 v2, 0x4000, v2
.LBB238_145:                            ; =>This Inner Loop Header: Depth=1
	ds_read2_b64 v[4:7], v2 offset1:1
	s_add_i32 s24, s24, -1
	v_add_u32_e32 v2, 0x200, v2
	s_cmp_lg_u32 s24, 0
	s_waitcnt lgkmcnt(0)
	flat_store_dwordx4 v[0:1], v[4:7]
	v_lshl_add_u64 v[0:1], v[0:1], 0, s[0:1]
	s_cbranch_scc1 .LBB238_145
.LBB238_146:
	s_endpgm
	.section	.rodata,"a",@progbits
	.p2align	6, 0x0
	.amdhsa_kernel _ZL31rocblas_trsm_small_right_deviceI19rocblas_complex_numIdES1_PKPKS1_PKPS1_Li32EEv13rocblas_fill_18rocblas_operation_17rocblas_diagonal_iiT0_T1_lilT2_lili
		.amdhsa_group_segment_fixed_size 32768
		.amdhsa_private_segment_fixed_size 0
		.amdhsa_kernarg_size 368
		.amdhsa_user_sgpr_count 2
		.amdhsa_user_sgpr_dispatch_ptr 0
		.amdhsa_user_sgpr_queue_ptr 0
		.amdhsa_user_sgpr_kernarg_segment_ptr 1
		.amdhsa_user_sgpr_dispatch_id 0
		.amdhsa_user_sgpr_kernarg_preload_length 0
		.amdhsa_user_sgpr_kernarg_preload_offset 0
		.amdhsa_user_sgpr_private_segment_size 0
		.amdhsa_uses_dynamic_stack 0
		.amdhsa_enable_private_segment 0
		.amdhsa_system_sgpr_workgroup_id_x 1
		.amdhsa_system_sgpr_workgroup_id_y 0
		.amdhsa_system_sgpr_workgroup_id_z 1
		.amdhsa_system_sgpr_workgroup_info 0
		.amdhsa_system_vgpr_workitem_id 0
		.amdhsa_next_free_vgpr 169
		.amdhsa_next_free_sgpr 96
		.amdhsa_accum_offset 56
		.amdhsa_reserve_vcc 1
		.amdhsa_float_round_mode_32 0
		.amdhsa_float_round_mode_16_64 0
		.amdhsa_float_denorm_mode_32 3
		.amdhsa_float_denorm_mode_16_64 3
		.amdhsa_dx10_clamp 1
		.amdhsa_ieee_mode 1
		.amdhsa_fp16_overflow 0
		.amdhsa_tg_split 0
		.amdhsa_exception_fp_ieee_invalid_op 0
		.amdhsa_exception_fp_denorm_src 0
		.amdhsa_exception_fp_ieee_div_zero 0
		.amdhsa_exception_fp_ieee_overflow 0
		.amdhsa_exception_fp_ieee_underflow 0
		.amdhsa_exception_fp_ieee_inexact 0
		.amdhsa_exception_int_div_zero 0
	.end_amdhsa_kernel
	.section	.text._ZL31rocblas_trsm_small_right_deviceI19rocblas_complex_numIdES1_PKPKS1_PKPS1_Li32EEv13rocblas_fill_18rocblas_operation_17rocblas_diagonal_iiT0_T1_lilT2_lili,"axG",@progbits,_ZL31rocblas_trsm_small_right_deviceI19rocblas_complex_numIdES1_PKPKS1_PKPS1_Li32EEv13rocblas_fill_18rocblas_operation_17rocblas_diagonal_iiT0_T1_lilT2_lili,comdat
.Lfunc_end238:
	.size	_ZL31rocblas_trsm_small_right_deviceI19rocblas_complex_numIdES1_PKPKS1_PKPS1_Li32EEv13rocblas_fill_18rocblas_operation_17rocblas_diagonal_iiT0_T1_lilT2_lili, .Lfunc_end238-_ZL31rocblas_trsm_small_right_deviceI19rocblas_complex_numIdES1_PKPKS1_PKPS1_Li32EEv13rocblas_fill_18rocblas_operation_17rocblas_diagonal_iiT0_T1_lilT2_lili
                                        ; -- End function
	.set _ZL31rocblas_trsm_small_right_deviceI19rocblas_complex_numIdES1_PKPKS1_PKPS1_Li32EEv13rocblas_fill_18rocblas_operation_17rocblas_diagonal_iiT0_T1_lilT2_lili.num_vgpr, 54
	.set _ZL31rocblas_trsm_small_right_deviceI19rocblas_complex_numIdES1_PKPKS1_PKPS1_Li32EEv13rocblas_fill_18rocblas_operation_17rocblas_diagonal_iiT0_T1_lilT2_lili.num_agpr, 0
	.set _ZL31rocblas_trsm_small_right_deviceI19rocblas_complex_numIdES1_PKPKS1_PKPS1_Li32EEv13rocblas_fill_18rocblas_operation_17rocblas_diagonal_iiT0_T1_lilT2_lili.numbered_sgpr, 28
	.set _ZL31rocblas_trsm_small_right_deviceI19rocblas_complex_numIdES1_PKPKS1_PKPS1_Li32EEv13rocblas_fill_18rocblas_operation_17rocblas_diagonal_iiT0_T1_lilT2_lili.num_named_barrier, 0
	.set _ZL31rocblas_trsm_small_right_deviceI19rocblas_complex_numIdES1_PKPKS1_PKPS1_Li32EEv13rocblas_fill_18rocblas_operation_17rocblas_diagonal_iiT0_T1_lilT2_lili.private_seg_size, 0
	.set _ZL31rocblas_trsm_small_right_deviceI19rocblas_complex_numIdES1_PKPKS1_PKPS1_Li32EEv13rocblas_fill_18rocblas_operation_17rocblas_diagonal_iiT0_T1_lilT2_lili.uses_vcc, 1
	.set _ZL31rocblas_trsm_small_right_deviceI19rocblas_complex_numIdES1_PKPKS1_PKPS1_Li32EEv13rocblas_fill_18rocblas_operation_17rocblas_diagonal_iiT0_T1_lilT2_lili.uses_flat_scratch, 0
	.set _ZL31rocblas_trsm_small_right_deviceI19rocblas_complex_numIdES1_PKPKS1_PKPS1_Li32EEv13rocblas_fill_18rocblas_operation_17rocblas_diagonal_iiT0_T1_lilT2_lili.has_dyn_sized_stack, 0
	.set _ZL31rocblas_trsm_small_right_deviceI19rocblas_complex_numIdES1_PKPKS1_PKPS1_Li32EEv13rocblas_fill_18rocblas_operation_17rocblas_diagonal_iiT0_T1_lilT2_lili.has_recursion, 0
	.set _ZL31rocblas_trsm_small_right_deviceI19rocblas_complex_numIdES1_PKPKS1_PKPS1_Li32EEv13rocblas_fill_18rocblas_operation_17rocblas_diagonal_iiT0_T1_lilT2_lili.has_indirect_call, 0
	.section	.AMDGPU.csdata,"",@progbits
; Kernel info:
; codeLenInByte = 13888
; TotalNumSgprs: 34
; NumVgprs: 54
; NumAgprs: 0
; TotalNumVgprs: 54
; ScratchSize: 0
; MemoryBound: 0
; FloatMode: 240
; IeeeMode: 1
; LDSByteSize: 32768 bytes/workgroup (compile time only)
; SGPRBlocks: 12
; VGPRBlocks: 21
; NumSGPRsForWavesPerEU: 102
; NumVGPRsForWavesPerEU: 169
; AccumOffset: 56
; Occupancy: 2
; WaveLimiterHint : 0
; COMPUTE_PGM_RSRC2:SCRATCH_EN: 0
; COMPUTE_PGM_RSRC2:USER_SGPR: 2
; COMPUTE_PGM_RSRC2:TRAP_HANDLER: 0
; COMPUTE_PGM_RSRC2:TGID_X_EN: 1
; COMPUTE_PGM_RSRC2:TGID_Y_EN: 0
; COMPUTE_PGM_RSRC2:TGID_Z_EN: 1
; COMPUTE_PGM_RSRC2:TIDIG_COMP_CNT: 0
; COMPUTE_PGM_RSRC3_GFX90A:ACCUM_OFFSET: 13
; COMPUTE_PGM_RSRC3_GFX90A:TG_SPLIT: 0
	.section	.text._ZL33rocblas_trsm_small_64_left_deviceI19rocblas_complex_numIdES1_PKPKS1_PKPS1_Li64EEv13rocblas_fill_18rocblas_operation_17rocblas_diagonal_iiT0_T1_lilT2_lili,"axG",@progbits,_ZL33rocblas_trsm_small_64_left_deviceI19rocblas_complex_numIdES1_PKPKS1_PKPS1_Li64EEv13rocblas_fill_18rocblas_operation_17rocblas_diagonal_iiT0_T1_lilT2_lili,comdat
	.globl	_ZL33rocblas_trsm_small_64_left_deviceI19rocblas_complex_numIdES1_PKPKS1_PKPS1_Li64EEv13rocblas_fill_18rocblas_operation_17rocblas_diagonal_iiT0_T1_lilT2_lili ; -- Begin function _ZL33rocblas_trsm_small_64_left_deviceI19rocblas_complex_numIdES1_PKPKS1_PKPS1_Li64EEv13rocblas_fill_18rocblas_operation_17rocblas_diagonal_iiT0_T1_lilT2_lili
	.p2align	8
	.type	_ZL33rocblas_trsm_small_64_left_deviceI19rocblas_complex_numIdES1_PKPKS1_PKPS1_Li64EEv13rocblas_fill_18rocblas_operation_17rocblas_diagonal_iiT0_T1_lilT2_lili,@function
_ZL33rocblas_trsm_small_64_left_deviceI19rocblas_complex_numIdES1_PKPKS1_PKPS1_Li64EEv13rocblas_fill_18rocblas_operation_17rocblas_diagonal_iiT0_T1_lilT2_lili: ; @_ZL33rocblas_trsm_small_64_left_deviceI19rocblas_complex_numIdES1_PKPKS1_PKPS1_Li64EEv13rocblas_fill_18rocblas_operation_17rocblas_diagonal_iiT0_T1_lilT2_lili
; %bb.0:
	s_mov_b32 s12, s3
	s_load_dword s16, s[0:1], 0x58
	s_load_dwordx8 s[4:11], s[0:1], 0x18
	s_load_dwordx4 s[20:23], s[0:1], 0x48
	s_load_dword s3, s[0:1], 0x70
	s_mov_b32 s13, 0
	s_waitcnt lgkmcnt(0)
	s_ashr_i32 s17, s16, 31
	s_lshl_b64 s[12:13], s[12:13], 3
	s_add_u32 s18, s8, s12
	s_addc_u32 s19, s9, s13
	s_add_u32 s20, s20, s12
	s_addc_u32 s21, s21, s13
	s_load_dwordx2 s[24:25], s[20:21], 0x0
	s_load_dwordx4 s[12:15], s[0:1], 0x0
	s_load_dword s26, s[0:1], 0x10
	s_load_dwordx2 s[8:9], s[18:19], 0x0
	s_lshl_b64 s[18:19], s[22:23], 4
	s_waitcnt lgkmcnt(0)
	s_add_u32 s18, s24, s18
	s_addc_u32 s19, s25, s19
	s_lshl_b32 s20, s2, 6
	s_min_i32 s23, s15, 64
	s_add_i32 s3, s3, -1
	s_sub_i32 s21, s26, s20
	s_cmp_ge_u32 s2, s3
	s_mul_hi_i32 s3, s16, s20
	s_mul_i32 s2, s16, s20
	s_cselect_b32 s22, s21, 64
	s_lshl_b64 s[2:3], s[2:3], 4
	s_add_u32 s2, s18, s2
	s_addc_u32 s3, s19, s3
	v_cmp_gt_i32_e32 vcc, s23, v0
	s_and_saveexec_b64 s[18:19], vcc
	s_cbranch_execz .LBB239_4
; %bb.1:
	s_cmp_lt_i32 s22, 1
	s_cbranch_scc1 .LBB239_4
; %bb.2:
	v_lshlrev_b32_e32 v2, 4, v0
	v_mov_b32_e32 v3, 0
	v_lshl_add_u64 v[4:5], s[2:3], 0, v[2:3]
	s_lshl_b64 s[20:21], s[16:17], 4
	s_mov_b32 s24, s22
.LBB239_3:                              ; =>This Inner Loop Header: Depth=1
	flat_load_dwordx4 v[6:9], v[4:5]
	s_add_i32 s24, s24, -1
	v_lshl_add_u64 v[4:5], v[4:5], 0, s[20:21]
	s_cmp_lg_u32 s24, 0
	s_waitcnt vmcnt(0) lgkmcnt(0)
	v_mul_f64 v[12:13], s[6:7], v[8:9]
	v_mul_f64 v[10:11], s[4:5], v[8:9]
	v_fma_f64 v[8:9], s[4:5], v[6:7], -v[12:13]
	v_fmac_f64_e32 v[10:11], s[6:7], v[6:7]
	ds_write_b128 v2, v[8:11]
	v_add_u32_e32 v2, 0x400, v2
	s_cbranch_scc1 .LBB239_3
.LBB239_4:
	s_or_b64 exec, exec, s[18:19]
	s_load_dword s6, s[0:1], 0x38
	s_lshl_b64 s[0:1], s[10:11], 4
	s_add_u32 s4, s8, s0
	s_addc_u32 s5, s9, s1
	s_cmpk_eq_i32 s12, 0x7a
	s_cselect_b64 s[0:1], -1, 0
	s_cmpk_lg_i32 s12, 0x7a
	s_cselect_b64 s[10:11], -1, 0
	s_cmpk_eq_i32 s13, 0x6f
	s_cselect_b64 s[8:9], -1, 0
	s_and_b64 s[18:19], s[0:1], s[8:9]
	s_andn2_b64 vcc, exec, s[18:19]
	s_mov_b64 s[18:19], -1
	s_waitcnt lgkmcnt(0)
	; wave barrier
	s_cbranch_vccz .LBB239_47
; %bb.5:
	s_xor_b64 s[0:1], s[0:1], -1
	s_add_i32 s24, s23, -1
	s_and_b64 s[0:1], s[8:9], s[0:1]
	s_cmp_gt_i32 s15, 0
	s_cselect_b64 s[8:9], -1, 0
	s_andn2_b64 vcc, exec, s[0:1]
	s_mov_b64 s[0:1], -1
	s_cbranch_vccz .LBB239_33
; %bb.6:
	s_cmpk_eq_i32 s13, 0x71
	s_cselect_b64 s[0:1], -1, 0
	s_andn2_b64 vcc, exec, s[10:11]
	s_mov_b64 s[10:11], -1
	s_cbranch_vccnz .LBB239_19
; %bb.7:
	s_andn2_b64 vcc, exec, s[8:9]
	s_cbranch_vccnz .LBB239_18
; %bb.8:
	s_ashr_i32 s7, s6, 31
	s_cmpk_lg_i32 s14, 0x84
	s_cselect_b64 s[10:11], -1, 0
	s_add_u32 s25, s6, 1
	v_lshlrev_b32_e32 v1, 10, v0
	s_addc_u32 s26, s7, 0
	s_lshl_b64 s[12:13], s[6:7], 4
	s_mov_b32 s7, 0
	s_mov_b64 s[18:19], s[4:5]
	s_branch .LBB239_11
.LBB239_9:                              ;   in Loop: Header=BB239_11 Depth=1
	s_or_b64 exec, exec, s[20:21]
	ds_write_b128 v14, v[8:11]
.LBB239_10:                             ;   in Loop: Header=BB239_11 Depth=1
	s_add_i32 s7, s7, 1
	s_add_u32 s18, s18, s12
	s_addc_u32 s19, s19, s13
	s_cmp_lg_u32 s7, s23
	s_cbranch_scc0 .LBB239_18
.LBB239_11:                             ; =>This Loop Header: Depth=1
                                        ;     Child Loop BB239_12 Depth 2
	v_lshl_add_u32 v14, s7, 4, v1
	ds_read_b128 v[2:5], v14
	s_cmp_eq_u32 s7, 0
	v_mov_b32_e32 v6, v1
	s_mov_b64 s[20:21], s[18:19]
	s_mov_b32 s27, s7
	s_cbranch_scc1 .LBB239_13
.LBB239_12:                             ;   Parent Loop BB239_11 Depth=1
                                        ; =>  This Inner Loop Header: Depth=2
	v_mov_b64_e32 v[8:9], s[20:21]
	flat_load_dwordx4 v[8:11], v[8:9]
	ds_read_b128 v[16:19], v6
	s_add_i32 s27, s27, -1
	s_add_u32 s20, s20, 16
	s_addc_u32 s21, s21, 0
	v_add_u32_e32 v6, 16, v6
	s_cmp_eq_u32 s27, 0
	s_waitcnt vmcnt(0) lgkmcnt(0)
	v_xor_b32_e32 v7, 0x80000000, v11
	v_cndmask_b32_e64 v11, v11, v7, s[0:1]
	v_mul_f64 v[12:13], v[8:9], v[18:19]
	v_mul_f64 v[18:19], v[10:11], v[18:19]
	v_fmac_f64_e32 v[12:13], v[10:11], v[16:17]
	v_fma_f64 v[8:9], v[8:9], v[16:17], -v[18:19]
	v_add_f64 v[4:5], v[4:5], -v[12:13]
	v_add_f64 v[2:3], v[2:3], -v[8:9]
	s_cbranch_scc0 .LBB239_12
.LBB239_13:                             ;   in Loop: Header=BB239_11 Depth=1
	s_and_b64 vcc, exec, s[10:11]
	s_waitcnt lgkmcnt(0)
	ds_write_b128 v14, v[2:5]
	s_cbranch_vccz .LBB239_10
; %bb.14:                               ;   in Loop: Header=BB239_11 Depth=1
	s_mul_i32 s20, s26, s7
	s_mul_hi_u32 s21, s25, s7
	s_add_i32 s21, s21, s20
	s_mul_i32 s20, s25, s7
	s_lshl_b64 s[20:21], s[20:21], 4
	s_add_u32 s20, s4, s20
	s_addc_u32 s21, s5, s21
	v_mov_b64_e32 v[6:7], s[20:21]
	flat_load_dwordx4 v[6:9], v[6:7]
	s_waitcnt vmcnt(0) lgkmcnt(0)
	v_xor_b32_e32 v10, 0x80000000, v9
	v_mov_b32_e32 v12, v8
	v_cndmask_b32_e64 v13, v9, v10, s[0:1]
	v_cmp_ngt_f64_e64 s[20:21], |v[6:7]|, |v[8:9]|
                                        ; implicit-def: $vgpr10_vgpr11
	s_and_saveexec_b64 s[28:29], s[20:21]
	s_xor_b64 s[20:21], exec, s[28:29]
	s_cbranch_execz .LBB239_16
; %bb.15:                               ;   in Loop: Header=BB239_11 Depth=1
	v_div_scale_f64 v[8:9], s[28:29], v[12:13], v[12:13], v[6:7]
	v_rcp_f64_e32 v[10:11], v[8:9]
	v_div_scale_f64 v[16:17], vcc, v[6:7], v[12:13], v[6:7]
	v_fma_f64 v[18:19], -v[8:9], v[10:11], 1.0
	v_fmac_f64_e32 v[10:11], v[10:11], v[18:19]
	v_fma_f64 v[18:19], -v[8:9], v[10:11], 1.0
	v_fmac_f64_e32 v[10:11], v[10:11], v[18:19]
	v_mul_f64 v[18:19], v[16:17], v[10:11]
	v_fma_f64 v[8:9], -v[8:9], v[18:19], v[16:17]
	v_div_fmas_f64 v[8:9], v[8:9], v[10:11], v[18:19]
	v_div_fixup_f64 v[10:11], v[8:9], v[12:13], v[6:7]
	v_fmac_f64_e32 v[12:13], v[6:7], v[10:11]
	v_div_scale_f64 v[6:7], s[28:29], v[12:13], v[12:13], 1.0
	v_rcp_f64_e32 v[8:9], v[6:7]
	s_nop 0
	v_fma_f64 v[16:17], -v[6:7], v[8:9], 1.0
	v_fmac_f64_e32 v[8:9], v[8:9], v[16:17]
	v_fma_f64 v[16:17], -v[6:7], v[8:9], 1.0
	v_fmac_f64_e32 v[8:9], v[8:9], v[16:17]
	v_div_scale_f64 v[16:17], vcc, 1.0, v[12:13], 1.0
	v_mul_f64 v[18:19], v[16:17], v[8:9]
	v_fma_f64 v[6:7], -v[6:7], v[18:19], v[16:17]
	s_nop 1
	v_div_fmas_f64 v[6:7], v[6:7], v[8:9], v[18:19]
	v_div_fixup_f64 v[6:7], v[6:7], v[12:13], 1.0
	v_fma_f64 v[8:9], v[2:3], v[10:11], v[4:5]
	v_fma_f64 v[2:3], v[4:5], v[10:11], -v[2:3]
	v_mul_f64 v[8:9], v[8:9], v[6:7]
	v_mul_f64 v[10:11], v[2:3], v[6:7]
                                        ; implicit-def: $vgpr6_vgpr7
                                        ; implicit-def: $vgpr12_vgpr13
                                        ; implicit-def: $vgpr4_vgpr5
.LBB239_16:                             ;   in Loop: Header=BB239_11 Depth=1
	s_andn2_saveexec_b64 s[20:21], s[20:21]
	s_cbranch_execz .LBB239_9
; %bb.17:                               ;   in Loop: Header=BB239_11 Depth=1
	v_div_scale_f64 v[8:9], s[28:29], v[6:7], v[6:7], v[12:13]
	v_rcp_f64_e32 v[10:11], v[8:9]
	v_div_scale_f64 v[16:17], vcc, v[12:13], v[6:7], v[12:13]
	v_fma_f64 v[18:19], -v[8:9], v[10:11], 1.0
	v_fmac_f64_e32 v[10:11], v[10:11], v[18:19]
	v_fma_f64 v[18:19], -v[8:9], v[10:11], 1.0
	v_fmac_f64_e32 v[10:11], v[10:11], v[18:19]
	v_mul_f64 v[18:19], v[16:17], v[10:11]
	v_fma_f64 v[8:9], -v[8:9], v[18:19], v[16:17]
	v_div_fmas_f64 v[8:9], v[8:9], v[10:11], v[18:19]
	v_div_fixup_f64 v[10:11], v[8:9], v[6:7], v[12:13]
	v_fmac_f64_e32 v[6:7], v[12:13], v[10:11]
	v_div_scale_f64 v[8:9], s[28:29], v[6:7], v[6:7], 1.0
	v_rcp_f64_e32 v[12:13], v[8:9]
	s_nop 0
	v_fma_f64 v[16:17], -v[8:9], v[12:13], 1.0
	v_fmac_f64_e32 v[12:13], v[12:13], v[16:17]
	v_fma_f64 v[16:17], -v[8:9], v[12:13], 1.0
	v_fmac_f64_e32 v[12:13], v[12:13], v[16:17]
	v_div_scale_f64 v[16:17], vcc, 1.0, v[6:7], 1.0
	v_mul_f64 v[18:19], v[16:17], v[12:13]
	v_fma_f64 v[8:9], -v[8:9], v[18:19], v[16:17]
	s_nop 1
	v_div_fmas_f64 v[8:9], v[8:9], v[12:13], v[18:19]
	v_div_fixup_f64 v[6:7], v[8:9], v[6:7], 1.0
	v_fma_f64 v[8:9], v[4:5], v[10:11], v[2:3]
	v_fma_f64 v[2:3], -v[2:3], v[10:11], v[4:5]
	v_mul_f64 v[8:9], v[8:9], v[6:7]
	v_mul_f64 v[10:11], v[2:3], v[6:7]
	s_branch .LBB239_9
.LBB239_18:
	s_mov_b64 s[10:11], 0
.LBB239_19:
	s_andn2_b64 vcc, exec, s[10:11]
	s_cbranch_vccnz .LBB239_32
; %bb.20:
	s_andn2_b64 vcc, exec, s[8:9]
	s_cbranch_vccnz .LBB239_32
; %bb.21:
	s_ashr_i32 s7, s6, 31
	s_cmpk_lg_i32 s14, 0x84
	s_cselect_b64 s[10:11], -1, 0
	s_add_u32 s20, s6, 1
	v_lshlrev_b32_e32 v1, 10, v0
	s_addc_u32 s21, s7, 0
	s_lshl_b32 s12, s23, 4
	v_add3_u32 v14, s12, v1, -16
	s_mov_b32 s13, 0
	s_mov_b32 s25, s24
	s_branch .LBB239_24
.LBB239_22:                             ;   in Loop: Header=BB239_24 Depth=1
	s_or_b64 exec, exec, s[18:19]
	ds_write_b128 v15, v[8:11]
.LBB239_23:                             ;   in Loop: Header=BB239_24 Depth=1
	s_add_i32 s12, s25, -1
	s_cmp_lt_i32 s25, 1
	s_mov_b32 s25, s12
	s_cbranch_scc1 .LBB239_32
.LBB239_24:                             ; =>This Loop Header: Depth=1
                                        ;     Child Loop BB239_26 Depth 2
	v_lshl_add_u32 v15, s25, 4, v1
	ds_read_b128 v[2:5], v15
	s_cmp_le_i32 s24, s25
	s_cbranch_scc1 .LBB239_27
; %bb.25:                               ;   in Loop: Header=BB239_24 Depth=1
	s_mul_i32 s12, s25, s7
	s_mul_hi_u32 s18, s25, s6
	s_add_i32 s19, s18, s12
	s_mul_i32 s18, s25, s6
	s_lshl_b64 s[18:19], s[18:19], 4
	s_add_u32 s18, s4, s18
	s_addc_u32 s19, s5, s19
	v_mov_b32_e32 v6, v14
	s_mov_b32 s12, s24
.LBB239_26:                             ;   Parent Loop BB239_24 Depth=1
                                        ; =>  This Inner Loop Header: Depth=2
	s_lshl_b64 s[26:27], s[12:13], 4
	s_add_u32 s26, s18, s26
	s_addc_u32 s27, s19, s27
	v_mov_b64_e32 v[8:9], s[26:27]
	flat_load_dwordx4 v[8:11], v[8:9]
	ds_read_b128 v[16:19], v6
	s_add_i32 s12, s12, -1
	v_add_u32_e32 v6, -16, v6
	s_cmp_le_i32 s12, s25
	s_waitcnt vmcnt(0) lgkmcnt(0)
	v_xor_b32_e32 v7, 0x80000000, v11
	v_cndmask_b32_e64 v11, v11, v7, s[0:1]
	v_mul_f64 v[12:13], v[8:9], v[18:19]
	v_mul_f64 v[18:19], v[10:11], v[18:19]
	v_fmac_f64_e32 v[12:13], v[10:11], v[16:17]
	v_fma_f64 v[8:9], v[8:9], v[16:17], -v[18:19]
	v_add_f64 v[4:5], v[4:5], -v[12:13]
	v_add_f64 v[2:3], v[2:3], -v[8:9]
	s_cbranch_scc0 .LBB239_26
.LBB239_27:                             ;   in Loop: Header=BB239_24 Depth=1
	s_and_b64 vcc, exec, s[10:11]
	s_waitcnt lgkmcnt(0)
	ds_write_b128 v15, v[2:5]
	s_cbranch_vccz .LBB239_23
; %bb.28:                               ;   in Loop: Header=BB239_24 Depth=1
	s_mul_i32 s12, s21, s25
	s_mul_hi_u32 s18, s20, s25
	s_add_i32 s19, s18, s12
	s_mul_i32 s18, s20, s25
	s_lshl_b64 s[18:19], s[18:19], 4
	s_add_u32 s18, s4, s18
	s_addc_u32 s19, s5, s19
	v_mov_b64_e32 v[6:7], s[18:19]
	flat_load_dwordx4 v[6:9], v[6:7]
	s_waitcnt vmcnt(0) lgkmcnt(0)
	v_xor_b32_e32 v10, 0x80000000, v9
	v_mov_b32_e32 v12, v8
	v_cndmask_b32_e64 v13, v9, v10, s[0:1]
	v_cmp_ngt_f64_e64 s[18:19], |v[6:7]|, |v[8:9]|
                                        ; implicit-def: $vgpr10_vgpr11
	s_and_saveexec_b64 s[26:27], s[18:19]
	s_xor_b64 s[18:19], exec, s[26:27]
	s_cbranch_execz .LBB239_30
; %bb.29:                               ;   in Loop: Header=BB239_24 Depth=1
	v_div_scale_f64 v[8:9], s[26:27], v[12:13], v[12:13], v[6:7]
	v_rcp_f64_e32 v[10:11], v[8:9]
	v_div_scale_f64 v[16:17], vcc, v[6:7], v[12:13], v[6:7]
	v_fma_f64 v[18:19], -v[8:9], v[10:11], 1.0
	v_fmac_f64_e32 v[10:11], v[10:11], v[18:19]
	v_fma_f64 v[18:19], -v[8:9], v[10:11], 1.0
	v_fmac_f64_e32 v[10:11], v[10:11], v[18:19]
	v_mul_f64 v[18:19], v[16:17], v[10:11]
	v_fma_f64 v[8:9], -v[8:9], v[18:19], v[16:17]
	v_div_fmas_f64 v[8:9], v[8:9], v[10:11], v[18:19]
	v_div_fixup_f64 v[10:11], v[8:9], v[12:13], v[6:7]
	v_fmac_f64_e32 v[12:13], v[6:7], v[10:11]
	v_div_scale_f64 v[6:7], s[26:27], v[12:13], v[12:13], 1.0
	v_rcp_f64_e32 v[8:9], v[6:7]
	s_nop 0
	v_fma_f64 v[16:17], -v[6:7], v[8:9], 1.0
	v_fmac_f64_e32 v[8:9], v[8:9], v[16:17]
	v_fma_f64 v[16:17], -v[6:7], v[8:9], 1.0
	v_fmac_f64_e32 v[8:9], v[8:9], v[16:17]
	v_div_scale_f64 v[16:17], vcc, 1.0, v[12:13], 1.0
	v_mul_f64 v[18:19], v[16:17], v[8:9]
	v_fma_f64 v[6:7], -v[6:7], v[18:19], v[16:17]
	s_nop 1
	v_div_fmas_f64 v[6:7], v[6:7], v[8:9], v[18:19]
	v_div_fixup_f64 v[6:7], v[6:7], v[12:13], 1.0
	v_fma_f64 v[8:9], v[2:3], v[10:11], v[4:5]
	v_fma_f64 v[2:3], v[4:5], v[10:11], -v[2:3]
	v_mul_f64 v[8:9], v[8:9], v[6:7]
	v_mul_f64 v[10:11], v[2:3], v[6:7]
                                        ; implicit-def: $vgpr6_vgpr7
                                        ; implicit-def: $vgpr12_vgpr13
                                        ; implicit-def: $vgpr4_vgpr5
.LBB239_30:                             ;   in Loop: Header=BB239_24 Depth=1
	s_andn2_saveexec_b64 s[18:19], s[18:19]
	s_cbranch_execz .LBB239_22
; %bb.31:                               ;   in Loop: Header=BB239_24 Depth=1
	v_div_scale_f64 v[8:9], s[26:27], v[6:7], v[6:7], v[12:13]
	v_rcp_f64_e32 v[10:11], v[8:9]
	v_div_scale_f64 v[16:17], vcc, v[12:13], v[6:7], v[12:13]
	v_fma_f64 v[18:19], -v[8:9], v[10:11], 1.0
	v_fmac_f64_e32 v[10:11], v[10:11], v[18:19]
	v_fma_f64 v[18:19], -v[8:9], v[10:11], 1.0
	v_fmac_f64_e32 v[10:11], v[10:11], v[18:19]
	v_mul_f64 v[18:19], v[16:17], v[10:11]
	v_fma_f64 v[8:9], -v[8:9], v[18:19], v[16:17]
	v_div_fmas_f64 v[8:9], v[8:9], v[10:11], v[18:19]
	v_div_fixup_f64 v[10:11], v[8:9], v[6:7], v[12:13]
	v_fmac_f64_e32 v[6:7], v[12:13], v[10:11]
	v_div_scale_f64 v[8:9], s[26:27], v[6:7], v[6:7], 1.0
	v_rcp_f64_e32 v[12:13], v[8:9]
	s_nop 0
	v_fma_f64 v[16:17], -v[8:9], v[12:13], 1.0
	v_fmac_f64_e32 v[12:13], v[12:13], v[16:17]
	v_fma_f64 v[16:17], -v[8:9], v[12:13], 1.0
	v_fmac_f64_e32 v[12:13], v[12:13], v[16:17]
	v_div_scale_f64 v[16:17], vcc, 1.0, v[6:7], 1.0
	v_mul_f64 v[18:19], v[16:17], v[12:13]
	v_fma_f64 v[8:9], -v[8:9], v[18:19], v[16:17]
	s_nop 1
	v_div_fmas_f64 v[8:9], v[8:9], v[12:13], v[18:19]
	v_div_fixup_f64 v[6:7], v[8:9], v[6:7], 1.0
	v_fma_f64 v[8:9], v[4:5], v[10:11], v[2:3]
	v_fma_f64 v[2:3], -v[2:3], v[10:11], v[4:5]
	v_mul_f64 v[8:9], v[8:9], v[6:7]
	v_mul_f64 v[10:11], v[2:3], v[6:7]
	s_branch .LBB239_22
.LBB239_32:
	s_mov_b64 s[0:1], 0
.LBB239_33:
	s_andn2_b64 vcc, exec, s[0:1]
	s_cbranch_vccnz .LBB239_46
; %bb.34:
	s_andn2_b64 vcc, exec, s[8:9]
	s_cbranch_vccnz .LBB239_46
; %bb.35:
	s_ashr_i32 s7, s6, 31
	s_cmpk_lg_i32 s14, 0x84
	s_cselect_b64 s[0:1], -1, 0
	s_add_u32 s12, s6, 1
	v_lshlrev_b32_e32 v1, 10, v0
	s_addc_u32 s13, s7, 0
	s_lshl_b32 s8, s23, 4
	v_add3_u32 v14, s8, v1, -16
	s_mov_b32 s9, 0
	s_mov_b32 s8, s24
	s_branch .LBB239_38
.LBB239_36:                             ;   in Loop: Header=BB239_38 Depth=1
	s_or_b64 exec, exec, s[10:11]
	ds_write_b128 v15, v[10:13]
.LBB239_37:                             ;   in Loop: Header=BB239_38 Depth=1
	s_add_i32 s10, s8, -1
	s_cmp_lt_i32 s8, 1
	s_mov_b32 s8, s10
	s_cbranch_scc1 .LBB239_46
.LBB239_38:                             ; =>This Loop Header: Depth=1
                                        ;     Child Loop BB239_40 Depth 2
	v_lshl_add_u32 v15, s8, 4, v1
	ds_read_b128 v[2:5], v15
	s_cmp_le_i32 s24, s8
	s_cbranch_scc1 .LBB239_41
; %bb.39:                               ;   in Loop: Header=BB239_38 Depth=1
	s_lshl_b64 s[10:11], s[8:9], 4
	s_add_u32 s10, s4, s10
	s_addc_u32 s11, s5, s11
	v_mov_b32_e32 v6, v14
	s_mov_b32 s18, s24
.LBB239_40:                             ;   Parent Loop BB239_38 Depth=1
                                        ; =>  This Inner Loop Header: Depth=2
	s_mul_i32 s19, s18, s7
	s_mul_hi_u32 s21, s18, s6
	s_mul_i32 s20, s18, s6
	s_add_i32 s21, s21, s19
	s_lshl_b64 s[20:21], s[20:21], 4
	s_add_u32 s20, s10, s20
	s_addc_u32 s21, s11, s21
	v_mov_b64_e32 v[8:9], s[20:21]
	flat_load_dwordx4 v[8:11], v[8:9]
	ds_read_b128 v[16:19], v6
	s_add_i32 s18, s18, -1
	v_add_u32_e32 v6, -16, v6
	s_cmp_le_i32 s18, s8
	s_waitcnt vmcnt(0) lgkmcnt(0)
	v_mul_f64 v[12:13], v[10:11], v[18:19]
	v_mul_f64 v[18:19], v[8:9], v[18:19]
	v_fma_f64 v[8:9], v[8:9], v[16:17], -v[12:13]
	v_fmac_f64_e32 v[18:19], v[10:11], v[16:17]
	v_add_f64 v[2:3], v[2:3], -v[8:9]
	v_add_f64 v[4:5], v[4:5], -v[18:19]
	s_cbranch_scc0 .LBB239_40
.LBB239_41:                             ;   in Loop: Header=BB239_38 Depth=1
	s_and_b64 vcc, exec, s[0:1]
	s_waitcnt lgkmcnt(0)
	ds_write_b128 v15, v[2:5]
	s_cbranch_vccz .LBB239_37
; %bb.42:                               ;   in Loop: Header=BB239_38 Depth=1
	s_mul_i32 s10, s13, s8
	s_mul_hi_u32 s11, s12, s8
	s_add_i32 s11, s11, s10
	s_mul_i32 s10, s12, s8
	s_lshl_b64 s[10:11], s[10:11], 4
	s_add_u32 s10, s4, s10
	s_addc_u32 s11, s5, s11
	v_mov_b64_e32 v[6:7], s[10:11]
	flat_load_dwordx4 v[6:9], v[6:7]
                                        ; implicit-def: $vgpr12_vgpr13
	s_waitcnt vmcnt(0) lgkmcnt(0)
	v_cmp_ngt_f64_e64 s[10:11], |v[6:7]|, |v[8:9]|
	s_and_saveexec_b64 s[18:19], s[10:11]
	s_xor_b64 s[10:11], exec, s[18:19]
	s_cbranch_execz .LBB239_44
; %bb.43:                               ;   in Loop: Header=BB239_38 Depth=1
	v_div_scale_f64 v[10:11], s[18:19], v[8:9], v[8:9], v[6:7]
	v_rcp_f64_e32 v[12:13], v[10:11]
	v_div_scale_f64 v[16:17], vcc, v[6:7], v[8:9], v[6:7]
	v_fma_f64 v[18:19], -v[10:11], v[12:13], 1.0
	v_fmac_f64_e32 v[12:13], v[12:13], v[18:19]
	v_fma_f64 v[18:19], -v[10:11], v[12:13], 1.0
	v_fmac_f64_e32 v[12:13], v[12:13], v[18:19]
	v_mul_f64 v[18:19], v[16:17], v[12:13]
	v_fma_f64 v[10:11], -v[10:11], v[18:19], v[16:17]
	v_div_fmas_f64 v[10:11], v[10:11], v[12:13], v[18:19]
	v_div_fixup_f64 v[12:13], v[10:11], v[8:9], v[6:7]
	v_fmac_f64_e32 v[8:9], v[6:7], v[12:13]
	v_div_scale_f64 v[6:7], s[18:19], v[8:9], v[8:9], 1.0
	v_rcp_f64_e32 v[10:11], v[6:7]
	s_nop 0
	v_fma_f64 v[16:17], -v[6:7], v[10:11], 1.0
	v_fmac_f64_e32 v[10:11], v[10:11], v[16:17]
	v_fma_f64 v[16:17], -v[6:7], v[10:11], 1.0
	v_fmac_f64_e32 v[10:11], v[10:11], v[16:17]
	v_div_scale_f64 v[16:17], vcc, 1.0, v[8:9], 1.0
	v_mul_f64 v[18:19], v[16:17], v[10:11]
	v_fma_f64 v[6:7], -v[6:7], v[18:19], v[16:17]
	s_nop 1
	v_div_fmas_f64 v[6:7], v[6:7], v[10:11], v[18:19]
	v_div_fixup_f64 v[6:7], v[6:7], v[8:9], 1.0
	v_fma_f64 v[8:9], v[2:3], v[12:13], v[4:5]
	v_fma_f64 v[2:3], v[4:5], v[12:13], -v[2:3]
	v_mul_f64 v[10:11], v[8:9], v[6:7]
	v_mul_f64 v[12:13], v[2:3], v[6:7]
                                        ; implicit-def: $vgpr6_vgpr7
                                        ; implicit-def: $vgpr4_vgpr5
.LBB239_44:                             ;   in Loop: Header=BB239_38 Depth=1
	s_andn2_saveexec_b64 s[10:11], s[10:11]
	s_cbranch_execz .LBB239_36
; %bb.45:                               ;   in Loop: Header=BB239_38 Depth=1
	v_div_scale_f64 v[10:11], s[18:19], v[6:7], v[6:7], v[8:9]
	v_rcp_f64_e32 v[12:13], v[10:11]
	v_div_scale_f64 v[16:17], vcc, v[8:9], v[6:7], v[8:9]
	v_fma_f64 v[18:19], -v[10:11], v[12:13], 1.0
	v_fmac_f64_e32 v[12:13], v[12:13], v[18:19]
	v_fma_f64 v[18:19], -v[10:11], v[12:13], 1.0
	v_fmac_f64_e32 v[12:13], v[12:13], v[18:19]
	v_mul_f64 v[18:19], v[16:17], v[12:13]
	v_fma_f64 v[10:11], -v[10:11], v[18:19], v[16:17]
	v_div_fmas_f64 v[10:11], v[10:11], v[12:13], v[18:19]
	v_div_fixup_f64 v[12:13], v[10:11], v[6:7], v[8:9]
	v_fmac_f64_e32 v[6:7], v[8:9], v[12:13]
	v_div_scale_f64 v[8:9], s[18:19], v[6:7], v[6:7], 1.0
	v_rcp_f64_e32 v[10:11], v[8:9]
	s_nop 0
	v_fma_f64 v[16:17], -v[8:9], v[10:11], 1.0
	v_fmac_f64_e32 v[10:11], v[10:11], v[16:17]
	v_fma_f64 v[16:17], -v[8:9], v[10:11], 1.0
	v_fmac_f64_e32 v[10:11], v[10:11], v[16:17]
	v_div_scale_f64 v[16:17], vcc, 1.0, v[6:7], 1.0
	v_mul_f64 v[18:19], v[16:17], v[10:11]
	v_fma_f64 v[8:9], -v[8:9], v[18:19], v[16:17]
	s_nop 1
	v_div_fmas_f64 v[8:9], v[8:9], v[10:11], v[18:19]
	v_div_fixup_f64 v[6:7], v[8:9], v[6:7], 1.0
	v_fma_f64 v[8:9], v[4:5], v[12:13], v[2:3]
	v_fma_f64 v[2:3], -v[2:3], v[12:13], v[4:5]
	v_mul_f64 v[10:11], v[8:9], v[6:7]
	v_mul_f64 v[12:13], v[2:3], v[6:7]
	s_branch .LBB239_36
.LBB239_46:
	s_mov_b64 s[18:19], 0
.LBB239_47:
	s_andn2_b64 vcc, exec, s[18:19]
	s_cbranch_vccnz .LBB239_60
; %bb.48:
	s_cmp_lt_i32 s15, 1
	s_cbranch_scc1 .LBB239_60
; %bb.49:
	s_ashr_i32 s7, s6, 31
	s_cmpk_lg_i32 s14, 0x84
	s_cselect_b64 s[0:1], -1, 0
	s_add_u32 s12, s6, 1
	v_lshlrev_b32_e32 v1, 10, v0
	s_addc_u32 s13, s7, 0
	s_lshl_b64 s[6:7], s[6:7], 4
	s_mov_b32 s14, 0
	s_mov_b64 s[8:9], s[4:5]
	s_branch .LBB239_52
.LBB239_50:                             ;   in Loop: Header=BB239_52 Depth=1
	s_or_b64 exec, exec, s[10:11]
.LBB239_51:                             ;   in Loop: Header=BB239_52 Depth=1
	s_add_i32 s14, s14, 1
	s_add_u32 s8, s8, 16
	s_addc_u32 s9, s9, 0
	s_cmp_eq_u32 s14, s23
	s_cbranch_scc1 .LBB239_60
.LBB239_52:                             ; =>This Loop Header: Depth=1
                                        ;     Child Loop BB239_54 Depth 2
	s_cmp_eq_u32 s14, 0
	v_lshl_add_u32 v6, s14, 4, v1
	s_cbranch_scc1 .LBB239_55
; %bb.53:                               ;   in Loop: Header=BB239_52 Depth=1
	ds_read_b128 v[2:5], v6
	v_mov_b32_e32 v7, v1
	s_mov_b64 s[10:11], s[8:9]
	s_mov_b32 s18, s14
.LBB239_54:                             ;   Parent Loop BB239_52 Depth=1
                                        ; =>  This Inner Loop Header: Depth=2
	v_mov_b64_e32 v[8:9], s[10:11]
	flat_load_dwordx4 v[8:11], v[8:9]
	ds_read_b128 v[12:15], v7
	s_add_i32 s18, s18, -1
	s_add_u32 s10, s10, s6
	s_addc_u32 s11, s11, s7
	v_add_u32_e32 v7, 16, v7
	s_cmp_eq_u32 s18, 0
	s_waitcnt vmcnt(0) lgkmcnt(0)
	v_mul_f64 v[16:17], v[10:11], v[14:15]
	v_mul_f64 v[14:15], v[8:9], v[14:15]
	v_fma_f64 v[8:9], v[8:9], v[12:13], -v[16:17]
	v_fmac_f64_e32 v[14:15], v[10:11], v[12:13]
	v_add_f64 v[2:3], v[2:3], -v[8:9]
	v_add_f64 v[4:5], v[4:5], -v[14:15]
	ds_write_b128 v6, v[2:5]
	s_cbranch_scc0 .LBB239_54
.LBB239_55:                             ;   in Loop: Header=BB239_52 Depth=1
	s_and_b64 vcc, exec, s[0:1]
	s_cbranch_vccz .LBB239_51
; %bb.56:                               ;   in Loop: Header=BB239_52 Depth=1
	s_mul_i32 s10, s13, s14
	s_mul_hi_u32 s11, s12, s14
	s_add_i32 s11, s11, s10
	s_mul_i32 s10, s12, s14
	s_lshl_b64 s[10:11], s[10:11], 4
	s_add_u32 s10, s4, s10
	s_addc_u32 s11, s5, s11
	v_mov_b64_e32 v[2:3], s[10:11]
	flat_load_dwordx4 v[2:5], v[2:3]
	s_waitcnt vmcnt(0) lgkmcnt(0)
	v_cmp_ngt_f64_e64 s[10:11], |v[2:3]|, |v[4:5]|
	s_and_saveexec_b64 s[18:19], s[10:11]
	s_xor_b64 s[10:11], exec, s[18:19]
	s_cbranch_execz .LBB239_58
; %bb.57:                               ;   in Loop: Header=BB239_52 Depth=1
	v_div_scale_f64 v[8:9], s[18:19], v[4:5], v[4:5], v[2:3]
	v_rcp_f64_e32 v[10:11], v[8:9]
	v_div_scale_f64 v[12:13], vcc, v[2:3], v[4:5], v[2:3]
	v_fma_f64 v[14:15], -v[8:9], v[10:11], 1.0
	v_fmac_f64_e32 v[10:11], v[10:11], v[14:15]
	v_fma_f64 v[14:15], -v[8:9], v[10:11], 1.0
	v_fmac_f64_e32 v[10:11], v[10:11], v[14:15]
	v_mul_f64 v[14:15], v[12:13], v[10:11]
	v_fma_f64 v[8:9], -v[8:9], v[14:15], v[12:13]
	v_div_fmas_f64 v[8:9], v[8:9], v[10:11], v[14:15]
	v_div_fixup_f64 v[12:13], v[8:9], v[4:5], v[2:3]
	v_fmac_f64_e32 v[4:5], v[2:3], v[12:13]
	v_div_scale_f64 v[2:3], s[18:19], v[4:5], v[4:5], 1.0
	v_rcp_f64_e32 v[14:15], v[2:3]
	v_div_scale_f64 v[16:17], vcc, 1.0, v[4:5], 1.0
	v_fma_f64 v[8:9], -v[2:3], v[14:15], 1.0
	v_fmac_f64_e32 v[14:15], v[14:15], v[8:9]
	v_fma_f64 v[8:9], -v[2:3], v[14:15], 1.0
	v_fmac_f64_e32 v[14:15], v[14:15], v[8:9]
	ds_read_b128 v[8:11], v6
	v_mul_f64 v[18:19], v[16:17], v[14:15]
	v_fma_f64 v[2:3], -v[2:3], v[18:19], v[16:17]
	v_div_fmas_f64 v[2:3], v[2:3], v[14:15], v[18:19]
	v_div_fixup_f64 v[4:5], v[2:3], v[4:5], 1.0
	s_waitcnt lgkmcnt(0)
	v_fma_f64 v[2:3], v[12:13], v[8:9], v[10:11]
	v_fma_f64 v[8:9], v[12:13], v[10:11], -v[8:9]
	v_mul_f64 v[2:3], v[4:5], v[2:3]
	v_mul_f64 v[4:5], v[4:5], v[8:9]
	ds_write_b128 v6, v[2:5]
                                        ; implicit-def: $vgpr2_vgpr3
                                        ; implicit-def: $vgpr6
.LBB239_58:                             ;   in Loop: Header=BB239_52 Depth=1
	s_andn2_saveexec_b64 s[10:11], s[10:11]
	s_cbranch_execz .LBB239_50
; %bb.59:                               ;   in Loop: Header=BB239_52 Depth=1
	v_div_scale_f64 v[8:9], s[18:19], v[2:3], v[2:3], v[4:5]
	v_rcp_f64_e32 v[10:11], v[8:9]
	v_div_scale_f64 v[12:13], vcc, v[4:5], v[2:3], v[4:5]
	v_fma_f64 v[14:15], -v[8:9], v[10:11], 1.0
	v_fmac_f64_e32 v[10:11], v[10:11], v[14:15]
	v_fma_f64 v[14:15], -v[8:9], v[10:11], 1.0
	v_fmac_f64_e32 v[10:11], v[10:11], v[14:15]
	v_mul_f64 v[14:15], v[12:13], v[10:11]
	v_fma_f64 v[8:9], -v[8:9], v[14:15], v[12:13]
	v_div_fmas_f64 v[8:9], v[8:9], v[10:11], v[14:15]
	v_div_fixup_f64 v[12:13], v[8:9], v[2:3], v[4:5]
	v_fmac_f64_e32 v[2:3], v[4:5], v[12:13]
	v_div_scale_f64 v[4:5], s[18:19], v[2:3], v[2:3], 1.0
	v_rcp_f64_e32 v[14:15], v[4:5]
	v_div_scale_f64 v[16:17], vcc, 1.0, v[2:3], 1.0
	v_fma_f64 v[8:9], -v[4:5], v[14:15], 1.0
	v_fmac_f64_e32 v[14:15], v[14:15], v[8:9]
	v_fma_f64 v[8:9], -v[4:5], v[14:15], 1.0
	v_fmac_f64_e32 v[14:15], v[14:15], v[8:9]
	ds_read_b128 v[8:11], v6
	v_mul_f64 v[18:19], v[16:17], v[14:15]
	v_fma_f64 v[4:5], -v[4:5], v[18:19], v[16:17]
	v_div_fmas_f64 v[4:5], v[4:5], v[14:15], v[18:19]
	v_div_fixup_f64 v[4:5], v[4:5], v[2:3], 1.0
	s_waitcnt lgkmcnt(0)
	v_fma_f64 v[2:3], v[12:13], v[10:11], v[8:9]
	v_fma_f64 v[8:9], -v[12:13], v[8:9], v[10:11]
	v_mul_f64 v[2:3], v[4:5], v[2:3]
	v_mul_f64 v[4:5], v[4:5], v[8:9]
	ds_write_b128 v6, v[2:5]
	s_branch .LBB239_50
.LBB239_60:
	v_cmp_gt_i32_e32 vcc, s15, v0
	s_waitcnt lgkmcnt(0)
	; wave barrier
	s_and_saveexec_b64 s[0:1], vcc
	s_cbranch_execz .LBB239_64
; %bb.61:
	s_cmp_lt_i32 s22, 1
	s_cbranch_scc1 .LBB239_64
; %bb.62:
	v_lshlrev_b32_e32 v0, 4, v0
	v_mov_b32_e32 v1, 0
	v_lshl_add_u64 v[2:3], s[2:3], 0, v[0:1]
	s_lshl_b64 s[0:1], s[16:17], 4
.LBB239_63:                             ; =>This Inner Loop Header: Depth=1
	ds_read2_b64 v[4:7], v0 offset1:1
	s_add_i32 s22, s22, -1
	v_add_u32_e32 v0, 0x400, v0
	s_cmp_lg_u32 s22, 0
	s_waitcnt lgkmcnt(0)
	flat_store_dwordx4 v[2:3], v[4:7]
	v_lshl_add_u64 v[2:3], v[2:3], 0, s[0:1]
	s_cbranch_scc1 .LBB239_63
.LBB239_64:
	s_endpgm
	.section	.rodata,"a",@progbits
	.p2align	6, 0x0
	.amdhsa_kernel _ZL33rocblas_trsm_small_64_left_deviceI19rocblas_complex_numIdES1_PKPKS1_PKPS1_Li64EEv13rocblas_fill_18rocblas_operation_17rocblas_diagonal_iiT0_T1_lilT2_lili
		.amdhsa_group_segment_fixed_size 65536
		.amdhsa_private_segment_fixed_size 0
		.amdhsa_kernarg_size 368
		.amdhsa_user_sgpr_count 2
		.amdhsa_user_sgpr_dispatch_ptr 0
		.amdhsa_user_sgpr_queue_ptr 0
		.amdhsa_user_sgpr_kernarg_segment_ptr 1
		.amdhsa_user_sgpr_dispatch_id 0
		.amdhsa_user_sgpr_kernarg_preload_length 0
		.amdhsa_user_sgpr_kernarg_preload_offset 0
		.amdhsa_user_sgpr_private_segment_size 0
		.amdhsa_uses_dynamic_stack 0
		.amdhsa_enable_private_segment 0
		.amdhsa_system_sgpr_workgroup_id_x 1
		.amdhsa_system_sgpr_workgroup_id_y 0
		.amdhsa_system_sgpr_workgroup_id_z 1
		.amdhsa_system_sgpr_workgroup_info 0
		.amdhsa_system_vgpr_workitem_id 0
		.amdhsa_next_free_vgpr 257
		.amdhsa_next_free_sgpr 96
		.amdhsa_accum_offset 20
		.amdhsa_reserve_vcc 1
		.amdhsa_float_round_mode_32 0
		.amdhsa_float_round_mode_16_64 0
		.amdhsa_float_denorm_mode_32 3
		.amdhsa_float_denorm_mode_16_64 3
		.amdhsa_dx10_clamp 1
		.amdhsa_ieee_mode 1
		.amdhsa_fp16_overflow 0
		.amdhsa_tg_split 0
		.amdhsa_exception_fp_ieee_invalid_op 0
		.amdhsa_exception_fp_denorm_src 0
		.amdhsa_exception_fp_ieee_div_zero 0
		.amdhsa_exception_fp_ieee_overflow 0
		.amdhsa_exception_fp_ieee_underflow 0
		.amdhsa_exception_fp_ieee_inexact 0
		.amdhsa_exception_int_div_zero 0
	.end_amdhsa_kernel
	.section	.text._ZL33rocblas_trsm_small_64_left_deviceI19rocblas_complex_numIdES1_PKPKS1_PKPS1_Li64EEv13rocblas_fill_18rocblas_operation_17rocblas_diagonal_iiT0_T1_lilT2_lili,"axG",@progbits,_ZL33rocblas_trsm_small_64_left_deviceI19rocblas_complex_numIdES1_PKPKS1_PKPS1_Li64EEv13rocblas_fill_18rocblas_operation_17rocblas_diagonal_iiT0_T1_lilT2_lili,comdat
.Lfunc_end239:
	.size	_ZL33rocblas_trsm_small_64_left_deviceI19rocblas_complex_numIdES1_PKPKS1_PKPS1_Li64EEv13rocblas_fill_18rocblas_operation_17rocblas_diagonal_iiT0_T1_lilT2_lili, .Lfunc_end239-_ZL33rocblas_trsm_small_64_left_deviceI19rocblas_complex_numIdES1_PKPKS1_PKPS1_Li64EEv13rocblas_fill_18rocblas_operation_17rocblas_diagonal_iiT0_T1_lilT2_lili
                                        ; -- End function
	.set _ZL33rocblas_trsm_small_64_left_deviceI19rocblas_complex_numIdES1_PKPKS1_PKPS1_Li64EEv13rocblas_fill_18rocblas_operation_17rocblas_diagonal_iiT0_T1_lilT2_lili.num_vgpr, 20
	.set _ZL33rocblas_trsm_small_64_left_deviceI19rocblas_complex_numIdES1_PKPKS1_PKPS1_Li64EEv13rocblas_fill_18rocblas_operation_17rocblas_diagonal_iiT0_T1_lilT2_lili.num_agpr, 0
	.set _ZL33rocblas_trsm_small_64_left_deviceI19rocblas_complex_numIdES1_PKPKS1_PKPS1_Li64EEv13rocblas_fill_18rocblas_operation_17rocblas_diagonal_iiT0_T1_lilT2_lili.numbered_sgpr, 30
	.set _ZL33rocblas_trsm_small_64_left_deviceI19rocblas_complex_numIdES1_PKPKS1_PKPS1_Li64EEv13rocblas_fill_18rocblas_operation_17rocblas_diagonal_iiT0_T1_lilT2_lili.num_named_barrier, 0
	.set _ZL33rocblas_trsm_small_64_left_deviceI19rocblas_complex_numIdES1_PKPKS1_PKPS1_Li64EEv13rocblas_fill_18rocblas_operation_17rocblas_diagonal_iiT0_T1_lilT2_lili.private_seg_size, 0
	.set _ZL33rocblas_trsm_small_64_left_deviceI19rocblas_complex_numIdES1_PKPKS1_PKPS1_Li64EEv13rocblas_fill_18rocblas_operation_17rocblas_diagonal_iiT0_T1_lilT2_lili.uses_vcc, 1
	.set _ZL33rocblas_trsm_small_64_left_deviceI19rocblas_complex_numIdES1_PKPKS1_PKPS1_Li64EEv13rocblas_fill_18rocblas_operation_17rocblas_diagonal_iiT0_T1_lilT2_lili.uses_flat_scratch, 0
	.set _ZL33rocblas_trsm_small_64_left_deviceI19rocblas_complex_numIdES1_PKPKS1_PKPS1_Li64EEv13rocblas_fill_18rocblas_operation_17rocblas_diagonal_iiT0_T1_lilT2_lili.has_dyn_sized_stack, 0
	.set _ZL33rocblas_trsm_small_64_left_deviceI19rocblas_complex_numIdES1_PKPKS1_PKPS1_Li64EEv13rocblas_fill_18rocblas_operation_17rocblas_diagonal_iiT0_T1_lilT2_lili.has_recursion, 0
	.set _ZL33rocblas_trsm_small_64_left_deviceI19rocblas_complex_numIdES1_PKPKS1_PKPS1_Li64EEv13rocblas_fill_18rocblas_operation_17rocblas_diagonal_iiT0_T1_lilT2_lili.has_indirect_call, 0
	.section	.AMDGPU.csdata,"",@progbits
; Kernel info:
; codeLenInByte = 3464
; TotalNumSgprs: 36
; NumVgprs: 20
; NumAgprs: 0
; TotalNumVgprs: 20
; ScratchSize: 0
; MemoryBound: 0
; FloatMode: 240
; IeeeMode: 1
; LDSByteSize: 65536 bytes/workgroup (compile time only)
; SGPRBlocks: 12
; VGPRBlocks: 32
; NumSGPRsForWavesPerEU: 102
; NumVGPRsForWavesPerEU: 257
; AccumOffset: 20
; Occupancy: 1
; WaveLimiterHint : 1
; COMPUTE_PGM_RSRC2:SCRATCH_EN: 0
; COMPUTE_PGM_RSRC2:USER_SGPR: 2
; COMPUTE_PGM_RSRC2:TRAP_HANDLER: 0
; COMPUTE_PGM_RSRC2:TGID_X_EN: 1
; COMPUTE_PGM_RSRC2:TGID_Y_EN: 0
; COMPUTE_PGM_RSRC2:TGID_Z_EN: 1
; COMPUTE_PGM_RSRC2:TIDIG_COMP_CNT: 0
; COMPUTE_PGM_RSRC3_GFX90A:ACCUM_OFFSET: 4
; COMPUTE_PGM_RSRC3_GFX90A:TG_SPLIT: 0
	.section	.text._ZL34rocblas_trsm_small_64_right_deviceI19rocblas_complex_numIdES1_PKPKS1_PKPS1_Li64EEv13rocblas_fill_18rocblas_operation_17rocblas_diagonal_iiT0_T1_lilT2_lili,"axG",@progbits,_ZL34rocblas_trsm_small_64_right_deviceI19rocblas_complex_numIdES1_PKPKS1_PKPS1_Li64EEv13rocblas_fill_18rocblas_operation_17rocblas_diagonal_iiT0_T1_lilT2_lili,comdat
	.globl	_ZL34rocblas_trsm_small_64_right_deviceI19rocblas_complex_numIdES1_PKPKS1_PKPS1_Li64EEv13rocblas_fill_18rocblas_operation_17rocblas_diagonal_iiT0_T1_lilT2_lili ; -- Begin function _ZL34rocblas_trsm_small_64_right_deviceI19rocblas_complex_numIdES1_PKPKS1_PKPS1_Li64EEv13rocblas_fill_18rocblas_operation_17rocblas_diagonal_iiT0_T1_lilT2_lili
	.p2align	8
	.type	_ZL34rocblas_trsm_small_64_right_deviceI19rocblas_complex_numIdES1_PKPKS1_PKPS1_Li64EEv13rocblas_fill_18rocblas_operation_17rocblas_diagonal_iiT0_T1_lilT2_lili,@function
_ZL34rocblas_trsm_small_64_right_deviceI19rocblas_complex_numIdES1_PKPKS1_PKPS1_Li64EEv13rocblas_fill_18rocblas_operation_17rocblas_diagonal_iiT0_T1_lilT2_lili: ; @_ZL34rocblas_trsm_small_64_right_deviceI19rocblas_complex_numIdES1_PKPKS1_PKPS1_Li64EEv13rocblas_fill_18rocblas_operation_17rocblas_diagonal_iiT0_T1_lilT2_lili
; %bb.0:
	s_load_dwordx8 s[8:15], s[0:1], 0x18
	s_load_dwordx4 s[20:23], s[0:1], 0x48
	s_mov_b32 s4, s3
	s_mov_b32 s5, 0
	s_lshl_b64 s[4:5], s[4:5], 3
	s_waitcnt lgkmcnt(0)
	s_add_u32 s12, s12, s4
	s_addc_u32 s13, s13, s5
	s_add_u32 s4, s20, s4
	s_load_dword s6, s[0:1], 0x58
	s_load_dword s3, s[0:1], 0x70
	s_addc_u32 s5, s21, s5
	s_load_dwordx2 s[26:27], s[4:5], 0x0
	s_load_dwordx4 s[16:19], s[0:1], 0x0
	s_load_dword s24, s[0:1], 0x10
	s_load_dwordx2 s[20:21], s[12:13], 0x0
	s_lshl_b64 s[4:5], s[22:23], 4
	s_waitcnt lgkmcnt(0)
	s_add_u32 s4, s26, s4
	s_addc_u32 s5, s27, s5
	s_lshl_b32 s7, s2, 6
	s_add_i32 s3, s3, -1
	s_sub_i32 s7, s19, s7
	s_cmp_ge_u32 s2, s3
	s_cselect_b32 s7, s7, 64
	s_ashr_i32 s3, s2, 31
	s_lshl_b64 s[2:3], s[2:3], 10
	s_add_u32 s12, s4, s2
	s_addc_u32 s13, s5, s3
	v_cmp_gt_i32_e64 s[4:5], s7, v0
	s_and_saveexec_b64 s[2:3], s[4:5]
	s_cbranch_execz .LBB240_4
; %bb.1:
	s_cmp_lt_i32 s24, 1
	s_cbranch_scc1 .LBB240_4
; %bb.2:
	v_lshlrev_b32_e32 v2, 4, v0
	s_ashr_i32 s7, s6, 31
	v_mov_b32_e32 v3, 0
	v_lshl_add_u64 v[4:5], s[12:13], 0, v[2:3]
	s_lshl_b64 s[22:23], s[6:7], 4
	s_mov_b32 s7, s24
.LBB240_3:                              ; =>This Inner Loop Header: Depth=1
	flat_load_dwordx4 v[6:9], v[4:5]
	s_add_i32 s7, s7, -1
	v_lshl_add_u64 v[4:5], v[4:5], 0, s[22:23]
	s_cmp_lg_u32 s7, 0
	s_waitcnt vmcnt(0) lgkmcnt(0)
	v_mul_f64 v[12:13], s[10:11], v[8:9]
	v_mul_f64 v[10:11], s[8:9], v[8:9]
	v_fma_f64 v[8:9], s[8:9], v[6:7], -v[12:13]
	v_fmac_f64_e32 v[10:11], s[10:11], v[6:7]
	ds_write_b128 v2, v[8:11]
	v_add_u32_e32 v2, 0x400, v2
	s_cbranch_scc1 .LBB240_3
.LBB240_4:
	s_or_b64 exec, exec, s[2:3]
	s_load_dword s8, s[0:1], 0x38
	s_lshl_b64 s[0:1], s[14:15], 4
	s_add_u32 s0, s20, s0
	s_addc_u32 s1, s21, s1
	s_min_i32 s7, s24, 64
	s_cmpk_eq_i32 s17, 0x6f
	s_cselect_b64 s[2:3], -1, 0
	s_cmpk_lg_i32 s16, 0x79
	s_cselect_b64 s[14:15], -1, 0
	s_cmpk_eq_i32 s16, 0x79
	s_cselect_b64 s[10:11], -1, 0
	s_and_b64 s[10:11], s[10:11], s[2:3]
	s_andn2_b64 vcc, exec, s[10:11]
	s_mov_b64 s[10:11], -1
	s_waitcnt lgkmcnt(0)
	; wave barrier
	s_cbranch_vccz .LBB240_47
; %bb.5:
	s_cmpk_lg_i32 s16, 0x7a
	s_cselect_b64 s[10:11], -1, 0
	s_xor_b64 s[2:3], s[2:3], -1
	s_add_i32 s19, s7, -1
	s_or_b64 s[2:3], s[10:11], s[2:3]
	s_cmp_gt_i32 s24, 0
	s_mov_b64 s[20:21], -1
	v_lshlrev_b32_e32 v1, 4, v0
	s_cselect_b64 s[10:11], -1, 0
	s_and_b64 vcc, exec, s[2:3]
	s_cbranch_vccz .LBB240_33
; %bb.6:
	s_cmpk_eq_i32 s17, 0x71
	s_cselect_b64 s[2:3], -1, 0
	s_andn2_b64 vcc, exec, s[14:15]
	s_mov_b64 s[14:15], -1
	s_cbranch_vccnz .LBB240_19
; %bb.7:
	s_andn2_b64 vcc, exec, s[10:11]
	s_cbranch_vccnz .LBB240_18
; %bb.8:
	s_ashr_i32 s9, s8, 31
	s_cmpk_lg_i32 s18, 0x84
	s_cselect_b64 s[14:15], -1, 0
	s_add_u32 s25, s8, 1
	s_addc_u32 s26, s9, 0
	s_lshl_b64 s[16:17], s[8:9], 4
	s_mov_b32 s9, 0
	s_mov_b64 s[20:21], s[0:1]
	s_branch .LBB240_11
.LBB240_9:                              ;   in Loop: Header=BB240_11 Depth=1
	s_or_b64 exec, exec, s[22:23]
	ds_write_b128 v14, v[8:11]
.LBB240_10:                             ;   in Loop: Header=BB240_11 Depth=1
	s_add_i32 s9, s9, 1
	s_add_u32 s20, s20, 16
	s_addc_u32 s21, s21, 0
	s_cmp_lg_u32 s9, s7
	s_cbranch_scc0 .LBB240_18
.LBB240_11:                             ; =>This Loop Header: Depth=1
                                        ;     Child Loop BB240_12 Depth 2
	s_lshl_b32 s27, s9, 10
	v_or_b32_e32 v2, s27, v1
	ds_read_b128 v[2:5], v2
	s_cmp_eq_u32 s9, 0
	v_mov_b32_e32 v6, v1
	s_mov_b64 s[22:23], s[20:21]
	s_mov_b32 s28, s9
	s_cbranch_scc1 .LBB240_13
.LBB240_12:                             ;   Parent Loop BB240_11 Depth=1
                                        ; =>  This Inner Loop Header: Depth=2
	v_mov_b64_e32 v[8:9], s[22:23]
	flat_load_dwordx4 v[8:11], v[8:9]
	ds_read_b128 v[12:15], v6
	s_add_i32 s28, s28, -1
	s_add_u32 s22, s22, s16
	s_addc_u32 s23, s23, s17
	v_add_u32_e32 v6, 0x400, v6
	s_cmp_eq_u32 s28, 0
	s_waitcnt vmcnt(0) lgkmcnt(0)
	v_xor_b32_e32 v7, 0x80000000, v11
	v_cndmask_b32_e64 v11, v11, v7, s[2:3]
	v_mul_f64 v[16:17], v[8:9], v[14:15]
	v_mul_f64 v[14:15], v[10:11], v[14:15]
	v_fmac_f64_e32 v[16:17], v[10:11], v[12:13]
	v_fma_f64 v[8:9], v[8:9], v[12:13], -v[14:15]
	v_add_f64 v[4:5], v[4:5], -v[16:17]
	v_add_f64 v[2:3], v[2:3], -v[8:9]
	s_cbranch_scc0 .LBB240_12
.LBB240_13:                             ;   in Loop: Header=BB240_11 Depth=1
	v_add_u32_e32 v14, s27, v1
	s_and_b64 vcc, exec, s[14:15]
	s_waitcnt lgkmcnt(0)
	ds_write_b128 v14, v[2:5]
	s_cbranch_vccz .LBB240_10
; %bb.14:                               ;   in Loop: Header=BB240_11 Depth=1
	s_mul_i32 s22, s26, s9
	s_mul_hi_u32 s23, s25, s9
	s_add_i32 s23, s23, s22
	s_mul_i32 s22, s25, s9
	s_lshl_b64 s[22:23], s[22:23], 4
	s_add_u32 s22, s0, s22
	s_addc_u32 s23, s1, s23
	v_mov_b64_e32 v[6:7], s[22:23]
	flat_load_dwordx4 v[6:9], v[6:7]
	s_waitcnt vmcnt(0) lgkmcnt(0)
	v_xor_b32_e32 v10, 0x80000000, v9
	v_mov_b32_e32 v12, v8
	v_cndmask_b32_e64 v13, v9, v10, s[2:3]
	v_cmp_ngt_f64_e64 s[22:23], |v[6:7]|, |v[8:9]|
                                        ; implicit-def: $vgpr10_vgpr11
	s_and_saveexec_b64 s[28:29], s[22:23]
	s_xor_b64 s[22:23], exec, s[28:29]
	s_cbranch_execz .LBB240_16
; %bb.15:                               ;   in Loop: Header=BB240_11 Depth=1
	v_div_scale_f64 v[8:9], s[28:29], v[12:13], v[12:13], v[6:7]
	v_rcp_f64_e32 v[10:11], v[8:9]
	v_div_scale_f64 v[16:17], vcc, v[6:7], v[12:13], v[6:7]
	v_fma_f64 v[18:19], -v[8:9], v[10:11], 1.0
	v_fmac_f64_e32 v[10:11], v[10:11], v[18:19]
	v_fma_f64 v[18:19], -v[8:9], v[10:11], 1.0
	v_fmac_f64_e32 v[10:11], v[10:11], v[18:19]
	v_mul_f64 v[18:19], v[16:17], v[10:11]
	v_fma_f64 v[8:9], -v[8:9], v[18:19], v[16:17]
	v_div_fmas_f64 v[8:9], v[8:9], v[10:11], v[18:19]
	v_div_fixup_f64 v[10:11], v[8:9], v[12:13], v[6:7]
	v_fmac_f64_e32 v[12:13], v[6:7], v[10:11]
	v_div_scale_f64 v[6:7], s[28:29], v[12:13], v[12:13], 1.0
	v_rcp_f64_e32 v[8:9], v[6:7]
	s_nop 0
	v_fma_f64 v[16:17], -v[6:7], v[8:9], 1.0
	v_fmac_f64_e32 v[8:9], v[8:9], v[16:17]
	v_fma_f64 v[16:17], -v[6:7], v[8:9], 1.0
	v_fmac_f64_e32 v[8:9], v[8:9], v[16:17]
	v_div_scale_f64 v[16:17], vcc, 1.0, v[12:13], 1.0
	v_mul_f64 v[18:19], v[16:17], v[8:9]
	v_fma_f64 v[6:7], -v[6:7], v[18:19], v[16:17]
	s_nop 1
	v_div_fmas_f64 v[6:7], v[6:7], v[8:9], v[18:19]
	v_div_fixup_f64 v[6:7], v[6:7], v[12:13], 1.0
	v_fma_f64 v[8:9], v[2:3], v[10:11], v[4:5]
	v_fma_f64 v[2:3], v[4:5], v[10:11], -v[2:3]
	v_mul_f64 v[8:9], v[8:9], v[6:7]
	v_mul_f64 v[10:11], v[2:3], v[6:7]
                                        ; implicit-def: $vgpr6_vgpr7
                                        ; implicit-def: $vgpr12_vgpr13
                                        ; implicit-def: $vgpr4_vgpr5
.LBB240_16:                             ;   in Loop: Header=BB240_11 Depth=1
	s_andn2_saveexec_b64 s[22:23], s[22:23]
	s_cbranch_execz .LBB240_9
; %bb.17:                               ;   in Loop: Header=BB240_11 Depth=1
	v_div_scale_f64 v[8:9], s[28:29], v[6:7], v[6:7], v[12:13]
	v_rcp_f64_e32 v[10:11], v[8:9]
	v_div_scale_f64 v[16:17], vcc, v[12:13], v[6:7], v[12:13]
	v_fma_f64 v[18:19], -v[8:9], v[10:11], 1.0
	v_fmac_f64_e32 v[10:11], v[10:11], v[18:19]
	v_fma_f64 v[18:19], -v[8:9], v[10:11], 1.0
	v_fmac_f64_e32 v[10:11], v[10:11], v[18:19]
	v_mul_f64 v[18:19], v[16:17], v[10:11]
	v_fma_f64 v[8:9], -v[8:9], v[18:19], v[16:17]
	v_div_fmas_f64 v[8:9], v[8:9], v[10:11], v[18:19]
	v_div_fixup_f64 v[10:11], v[8:9], v[6:7], v[12:13]
	v_fmac_f64_e32 v[6:7], v[12:13], v[10:11]
	v_div_scale_f64 v[8:9], s[28:29], v[6:7], v[6:7], 1.0
	v_rcp_f64_e32 v[12:13], v[8:9]
	s_nop 0
	v_fma_f64 v[16:17], -v[8:9], v[12:13], 1.0
	v_fmac_f64_e32 v[12:13], v[12:13], v[16:17]
	v_fma_f64 v[16:17], -v[8:9], v[12:13], 1.0
	v_fmac_f64_e32 v[12:13], v[12:13], v[16:17]
	v_div_scale_f64 v[16:17], vcc, 1.0, v[6:7], 1.0
	v_mul_f64 v[18:19], v[16:17], v[12:13]
	v_fma_f64 v[8:9], -v[8:9], v[18:19], v[16:17]
	s_nop 1
	v_div_fmas_f64 v[8:9], v[8:9], v[12:13], v[18:19]
	v_div_fixup_f64 v[6:7], v[8:9], v[6:7], 1.0
	v_fma_f64 v[8:9], v[4:5], v[10:11], v[2:3]
	v_fma_f64 v[2:3], -v[2:3], v[10:11], v[4:5]
	v_mul_f64 v[8:9], v[8:9], v[6:7]
	v_mul_f64 v[10:11], v[2:3], v[6:7]
	s_branch .LBB240_9
.LBB240_18:
	s_mov_b64 s[14:15], 0
.LBB240_19:
	s_andn2_b64 vcc, exec, s[14:15]
	s_cbranch_vccnz .LBB240_32
; %bb.20:
	s_andn2_b64 vcc, exec, s[10:11]
	s_cbranch_vccnz .LBB240_32
; %bb.21:
	s_ashr_i32 s9, s8, 31
	s_cmpk_lg_i32 s18, 0x84
	v_lshlrev_b32_e32 v2, 4, v0
	s_cselect_b64 s[14:15], -1, 0
	s_add_u32 s22, s8, 1
	v_lshl_or_b32 v2, s7, 10, v2
	s_addc_u32 s23, s9, 0
	v_add_u32_e32 v14, 0xfffffc00, v2
	s_mov_b32 s17, 0
	s_mov_b32 s16, s19
	s_branch .LBB240_24
.LBB240_22:                             ;   in Loop: Header=BB240_24 Depth=1
	s_or_b64 exec, exec, s[20:21]
	ds_write_b128 v15, v[8:11]
.LBB240_23:                             ;   in Loop: Header=BB240_24 Depth=1
	s_add_i32 s20, s16, -1
	s_cmp_lt_i32 s16, 1
	s_mov_b32 s16, s20
	s_cbranch_scc1 .LBB240_32
.LBB240_24:                             ; =>This Loop Header: Depth=1
                                        ;     Child Loop BB240_26 Depth 2
	s_lshl_b32 s20, s16, 10
	v_or_b32_e32 v2, s20, v1
	ds_read_b128 v[2:5], v2
	s_cmp_le_i32 s19, s16
	s_cbranch_scc1 .LBB240_27
; %bb.25:                               ;   in Loop: Header=BB240_24 Depth=1
	s_lshl_b64 s[26:27], s[16:17], 4
	s_add_u32 s21, s0, s26
	s_addc_u32 s25, s1, s27
	v_mov_b32_e32 v6, v14
	s_mov_b32 s26, s19
.LBB240_26:                             ;   Parent Loop BB240_24 Depth=1
                                        ; =>  This Inner Loop Header: Depth=2
	s_mul_i32 s27, s26, s9
	s_mul_hi_u32 s29, s26, s8
	s_mul_i32 s28, s26, s8
	s_add_i32 s29, s29, s27
	s_lshl_b64 s[28:29], s[28:29], 4
	s_add_u32 s28, s21, s28
	s_addc_u32 s29, s25, s29
	v_mov_b64_e32 v[8:9], s[28:29]
	flat_load_dwordx4 v[8:11], v[8:9]
	ds_read_b128 v[16:19], v6
	s_add_i32 s26, s26, -1
	v_add_u32_e32 v6, 0xfffffc00, v6
	s_cmp_le_i32 s26, s16
	s_waitcnt vmcnt(0) lgkmcnt(0)
	v_xor_b32_e32 v7, 0x80000000, v11
	v_cndmask_b32_e64 v11, v11, v7, s[2:3]
	v_mul_f64 v[12:13], v[8:9], v[18:19]
	v_mul_f64 v[18:19], v[10:11], v[18:19]
	v_fmac_f64_e32 v[12:13], v[10:11], v[16:17]
	v_fma_f64 v[8:9], v[8:9], v[16:17], -v[18:19]
	v_add_f64 v[4:5], v[4:5], -v[12:13]
	v_add_f64 v[2:3], v[2:3], -v[8:9]
	s_cbranch_scc0 .LBB240_26
.LBB240_27:                             ;   in Loop: Header=BB240_24 Depth=1
	v_add_u32_e32 v15, s20, v1
	s_and_b64 vcc, exec, s[14:15]
	s_waitcnt lgkmcnt(0)
	ds_write_b128 v15, v[2:5]
	s_cbranch_vccz .LBB240_23
; %bb.28:                               ;   in Loop: Header=BB240_24 Depth=1
	s_mul_i32 s20, s23, s16
	s_mul_hi_u32 s21, s22, s16
	s_add_i32 s21, s21, s20
	s_mul_i32 s20, s22, s16
	s_lshl_b64 s[20:21], s[20:21], 4
	s_add_u32 s20, s0, s20
	s_addc_u32 s21, s1, s21
	v_mov_b64_e32 v[6:7], s[20:21]
	flat_load_dwordx4 v[6:9], v[6:7]
	s_waitcnt vmcnt(0) lgkmcnt(0)
	v_xor_b32_e32 v10, 0x80000000, v9
	v_mov_b32_e32 v12, v8
	v_cndmask_b32_e64 v13, v9, v10, s[2:3]
	v_cmp_ngt_f64_e64 s[20:21], |v[6:7]|, |v[8:9]|
                                        ; implicit-def: $vgpr10_vgpr11
	s_and_saveexec_b64 s[26:27], s[20:21]
	s_xor_b64 s[20:21], exec, s[26:27]
	s_cbranch_execz .LBB240_30
; %bb.29:                               ;   in Loop: Header=BB240_24 Depth=1
	v_div_scale_f64 v[8:9], s[26:27], v[12:13], v[12:13], v[6:7]
	v_rcp_f64_e32 v[10:11], v[8:9]
	v_div_scale_f64 v[16:17], vcc, v[6:7], v[12:13], v[6:7]
	v_fma_f64 v[18:19], -v[8:9], v[10:11], 1.0
	v_fmac_f64_e32 v[10:11], v[10:11], v[18:19]
	v_fma_f64 v[18:19], -v[8:9], v[10:11], 1.0
	v_fmac_f64_e32 v[10:11], v[10:11], v[18:19]
	v_mul_f64 v[18:19], v[16:17], v[10:11]
	v_fma_f64 v[8:9], -v[8:9], v[18:19], v[16:17]
	v_div_fmas_f64 v[8:9], v[8:9], v[10:11], v[18:19]
	v_div_fixup_f64 v[10:11], v[8:9], v[12:13], v[6:7]
	v_fmac_f64_e32 v[12:13], v[6:7], v[10:11]
	v_div_scale_f64 v[6:7], s[26:27], v[12:13], v[12:13], 1.0
	v_rcp_f64_e32 v[8:9], v[6:7]
	s_nop 0
	v_fma_f64 v[16:17], -v[6:7], v[8:9], 1.0
	v_fmac_f64_e32 v[8:9], v[8:9], v[16:17]
	v_fma_f64 v[16:17], -v[6:7], v[8:9], 1.0
	v_fmac_f64_e32 v[8:9], v[8:9], v[16:17]
	v_div_scale_f64 v[16:17], vcc, 1.0, v[12:13], 1.0
	v_mul_f64 v[18:19], v[16:17], v[8:9]
	v_fma_f64 v[6:7], -v[6:7], v[18:19], v[16:17]
	s_nop 1
	v_div_fmas_f64 v[6:7], v[6:7], v[8:9], v[18:19]
	v_div_fixup_f64 v[6:7], v[6:7], v[12:13], 1.0
	v_fma_f64 v[8:9], v[2:3], v[10:11], v[4:5]
	v_fma_f64 v[2:3], v[4:5], v[10:11], -v[2:3]
	v_mul_f64 v[8:9], v[8:9], v[6:7]
	v_mul_f64 v[10:11], v[2:3], v[6:7]
                                        ; implicit-def: $vgpr6_vgpr7
                                        ; implicit-def: $vgpr12_vgpr13
                                        ; implicit-def: $vgpr4_vgpr5
.LBB240_30:                             ;   in Loop: Header=BB240_24 Depth=1
	s_andn2_saveexec_b64 s[20:21], s[20:21]
	s_cbranch_execz .LBB240_22
; %bb.31:                               ;   in Loop: Header=BB240_24 Depth=1
	v_div_scale_f64 v[8:9], s[26:27], v[6:7], v[6:7], v[12:13]
	v_rcp_f64_e32 v[10:11], v[8:9]
	v_div_scale_f64 v[16:17], vcc, v[12:13], v[6:7], v[12:13]
	v_fma_f64 v[18:19], -v[8:9], v[10:11], 1.0
	v_fmac_f64_e32 v[10:11], v[10:11], v[18:19]
	v_fma_f64 v[18:19], -v[8:9], v[10:11], 1.0
	v_fmac_f64_e32 v[10:11], v[10:11], v[18:19]
	v_mul_f64 v[18:19], v[16:17], v[10:11]
	v_fma_f64 v[8:9], -v[8:9], v[18:19], v[16:17]
	v_div_fmas_f64 v[8:9], v[8:9], v[10:11], v[18:19]
	v_div_fixup_f64 v[10:11], v[8:9], v[6:7], v[12:13]
	v_fmac_f64_e32 v[6:7], v[12:13], v[10:11]
	v_div_scale_f64 v[8:9], s[26:27], v[6:7], v[6:7], 1.0
	v_rcp_f64_e32 v[12:13], v[8:9]
	s_nop 0
	v_fma_f64 v[16:17], -v[8:9], v[12:13], 1.0
	v_fmac_f64_e32 v[12:13], v[12:13], v[16:17]
	v_fma_f64 v[16:17], -v[8:9], v[12:13], 1.0
	v_fmac_f64_e32 v[12:13], v[12:13], v[16:17]
	v_div_scale_f64 v[16:17], vcc, 1.0, v[6:7], 1.0
	v_mul_f64 v[18:19], v[16:17], v[12:13]
	v_fma_f64 v[8:9], -v[8:9], v[18:19], v[16:17]
	s_nop 1
	v_div_fmas_f64 v[8:9], v[8:9], v[12:13], v[18:19]
	v_div_fixup_f64 v[6:7], v[8:9], v[6:7], 1.0
	v_fma_f64 v[8:9], v[4:5], v[10:11], v[2:3]
	v_fma_f64 v[2:3], -v[2:3], v[10:11], v[4:5]
	v_mul_f64 v[8:9], v[8:9], v[6:7]
	v_mul_f64 v[10:11], v[2:3], v[6:7]
	s_branch .LBB240_22
.LBB240_32:
	s_mov_b64 s[20:21], 0
.LBB240_33:
	s_andn2_b64 vcc, exec, s[20:21]
	s_cbranch_vccnz .LBB240_46
; %bb.34:
	s_andn2_b64 vcc, exec, s[10:11]
	s_cbranch_vccnz .LBB240_46
; %bb.35:
	s_ashr_i32 s9, s8, 31
	s_cmpk_lg_i32 s18, 0x84
	v_lshlrev_b32_e32 v2, 4, v0
	s_cselect_b64 s[2:3], -1, 0
	s_add_u32 s16, s8, 1
	v_lshl_or_b32 v2, s7, 10, v2
	s_addc_u32 s17, s9, 0
	v_add_u32_e32 v14, 0xfffffc00, v2
	s_mov_b32 s11, 0
	s_mov_b32 s20, s19
	s_branch .LBB240_38
.LBB240_36:                             ;   in Loop: Header=BB240_38 Depth=1
	s_or_b64 exec, exec, s[14:15]
	ds_write_b128 v15, v[10:13]
.LBB240_37:                             ;   in Loop: Header=BB240_38 Depth=1
	s_add_i32 s10, s20, -1
	s_cmp_lt_i32 s20, 1
	s_mov_b32 s20, s10
	s_cbranch_scc1 .LBB240_46
.LBB240_38:                             ; =>This Loop Header: Depth=1
                                        ;     Child Loop BB240_40 Depth 2
	s_lshl_b32 s14, s20, 10
	v_or_b32_e32 v2, s14, v1
	ds_read_b128 v[2:5], v2
	s_cmp_le_i32 s19, s20
	s_cbranch_scc1 .LBB240_41
; %bb.39:                               ;   in Loop: Header=BB240_38 Depth=1
	s_mul_i32 s10, s20, s9
	s_mul_hi_u32 s15, s20, s8
	s_add_i32 s23, s15, s10
	s_mul_i32 s22, s20, s8
	s_lshl_b64 s[22:23], s[22:23], 4
	s_add_u32 s15, s0, s22
	s_addc_u32 s21, s1, s23
	v_mov_b32_e32 v6, v14
	s_mov_b32 s10, s19
.LBB240_40:                             ;   Parent Loop BB240_38 Depth=1
                                        ; =>  This Inner Loop Header: Depth=2
	s_lshl_b64 s[22:23], s[10:11], 4
	s_add_u32 s22, s15, s22
	s_addc_u32 s23, s21, s23
	v_mov_b64_e32 v[8:9], s[22:23]
	flat_load_dwordx4 v[8:11], v[8:9]
	ds_read_b128 v[16:19], v6
	s_add_i32 s10, s10, -1
	v_add_u32_e32 v6, 0xfffffc00, v6
	s_cmp_le_i32 s10, s20
	s_waitcnt vmcnt(0) lgkmcnt(0)
	v_mul_f64 v[12:13], v[10:11], v[18:19]
	v_mul_f64 v[18:19], v[8:9], v[18:19]
	v_fma_f64 v[8:9], v[8:9], v[16:17], -v[12:13]
	v_fmac_f64_e32 v[18:19], v[10:11], v[16:17]
	v_add_f64 v[2:3], v[2:3], -v[8:9]
	v_add_f64 v[4:5], v[4:5], -v[18:19]
	s_cbranch_scc0 .LBB240_40
.LBB240_41:                             ;   in Loop: Header=BB240_38 Depth=1
	v_add_u32_e32 v15, s14, v1
	s_and_b64 vcc, exec, s[2:3]
	s_waitcnt lgkmcnt(0)
	ds_write_b128 v15, v[2:5]
	s_cbranch_vccz .LBB240_37
; %bb.42:                               ;   in Loop: Header=BB240_38 Depth=1
	s_mul_i32 s10, s17, s20
	s_mul_hi_u32 s14, s16, s20
	s_add_i32 s15, s14, s10
	s_mul_i32 s14, s16, s20
	s_lshl_b64 s[14:15], s[14:15], 4
	s_add_u32 s14, s0, s14
	s_addc_u32 s15, s1, s15
	v_mov_b64_e32 v[6:7], s[14:15]
	flat_load_dwordx4 v[6:9], v[6:7]
                                        ; implicit-def: $vgpr12_vgpr13
	s_waitcnt vmcnt(0) lgkmcnt(0)
	v_cmp_ngt_f64_e64 s[14:15], |v[6:7]|, |v[8:9]|
	s_and_saveexec_b64 s[22:23], s[14:15]
	s_xor_b64 s[14:15], exec, s[22:23]
	s_cbranch_execz .LBB240_44
; %bb.43:                               ;   in Loop: Header=BB240_38 Depth=1
	v_div_scale_f64 v[10:11], s[22:23], v[8:9], v[8:9], v[6:7]
	v_rcp_f64_e32 v[12:13], v[10:11]
	v_div_scale_f64 v[16:17], vcc, v[6:7], v[8:9], v[6:7]
	v_fma_f64 v[18:19], -v[10:11], v[12:13], 1.0
	v_fmac_f64_e32 v[12:13], v[12:13], v[18:19]
	v_fma_f64 v[18:19], -v[10:11], v[12:13], 1.0
	v_fmac_f64_e32 v[12:13], v[12:13], v[18:19]
	v_mul_f64 v[18:19], v[16:17], v[12:13]
	v_fma_f64 v[10:11], -v[10:11], v[18:19], v[16:17]
	v_div_fmas_f64 v[10:11], v[10:11], v[12:13], v[18:19]
	v_div_fixup_f64 v[12:13], v[10:11], v[8:9], v[6:7]
	v_fmac_f64_e32 v[8:9], v[6:7], v[12:13]
	v_div_scale_f64 v[6:7], s[22:23], v[8:9], v[8:9], 1.0
	v_rcp_f64_e32 v[10:11], v[6:7]
	s_nop 0
	v_fma_f64 v[16:17], -v[6:7], v[10:11], 1.0
	v_fmac_f64_e32 v[10:11], v[10:11], v[16:17]
	v_fma_f64 v[16:17], -v[6:7], v[10:11], 1.0
	v_fmac_f64_e32 v[10:11], v[10:11], v[16:17]
	v_div_scale_f64 v[16:17], vcc, 1.0, v[8:9], 1.0
	v_mul_f64 v[18:19], v[16:17], v[10:11]
	v_fma_f64 v[6:7], -v[6:7], v[18:19], v[16:17]
	s_nop 1
	v_div_fmas_f64 v[6:7], v[6:7], v[10:11], v[18:19]
	v_div_fixup_f64 v[6:7], v[6:7], v[8:9], 1.0
	v_fma_f64 v[8:9], v[2:3], v[12:13], v[4:5]
	v_fma_f64 v[2:3], v[4:5], v[12:13], -v[2:3]
	v_mul_f64 v[10:11], v[8:9], v[6:7]
	v_mul_f64 v[12:13], v[2:3], v[6:7]
                                        ; implicit-def: $vgpr6_vgpr7
                                        ; implicit-def: $vgpr4_vgpr5
.LBB240_44:                             ;   in Loop: Header=BB240_38 Depth=1
	s_andn2_saveexec_b64 s[14:15], s[14:15]
	s_cbranch_execz .LBB240_36
; %bb.45:                               ;   in Loop: Header=BB240_38 Depth=1
	v_div_scale_f64 v[10:11], s[22:23], v[6:7], v[6:7], v[8:9]
	v_rcp_f64_e32 v[12:13], v[10:11]
	v_div_scale_f64 v[16:17], vcc, v[8:9], v[6:7], v[8:9]
	v_fma_f64 v[18:19], -v[10:11], v[12:13], 1.0
	v_fmac_f64_e32 v[12:13], v[12:13], v[18:19]
	v_fma_f64 v[18:19], -v[10:11], v[12:13], 1.0
	v_fmac_f64_e32 v[12:13], v[12:13], v[18:19]
	v_mul_f64 v[18:19], v[16:17], v[12:13]
	v_fma_f64 v[10:11], -v[10:11], v[18:19], v[16:17]
	v_div_fmas_f64 v[10:11], v[10:11], v[12:13], v[18:19]
	v_div_fixup_f64 v[12:13], v[10:11], v[6:7], v[8:9]
	v_fmac_f64_e32 v[6:7], v[8:9], v[12:13]
	v_div_scale_f64 v[8:9], s[22:23], v[6:7], v[6:7], 1.0
	v_rcp_f64_e32 v[10:11], v[8:9]
	s_nop 0
	v_fma_f64 v[16:17], -v[8:9], v[10:11], 1.0
	v_fmac_f64_e32 v[10:11], v[10:11], v[16:17]
	v_fma_f64 v[16:17], -v[8:9], v[10:11], 1.0
	v_fmac_f64_e32 v[10:11], v[10:11], v[16:17]
	v_div_scale_f64 v[16:17], vcc, 1.0, v[6:7], 1.0
	v_mul_f64 v[18:19], v[16:17], v[10:11]
	v_fma_f64 v[8:9], -v[8:9], v[18:19], v[16:17]
	s_nop 1
	v_div_fmas_f64 v[8:9], v[8:9], v[10:11], v[18:19]
	v_div_fixup_f64 v[6:7], v[8:9], v[6:7], 1.0
	v_fma_f64 v[8:9], v[4:5], v[12:13], v[2:3]
	v_fma_f64 v[2:3], -v[2:3], v[12:13], v[4:5]
	v_mul_f64 v[10:11], v[8:9], v[6:7]
	v_mul_f64 v[12:13], v[2:3], v[6:7]
	s_branch .LBB240_36
.LBB240_46:
	s_mov_b64 s[10:11], 0
.LBB240_47:
	s_andn2_b64 vcc, exec, s[10:11]
	s_cbranch_vccnz .LBB240_59
; %bb.48:
	s_cmp_lt_i32 s24, 1
	s_cbranch_scc1 .LBB240_59
; %bb.49:
	s_ashr_i32 s9, s8, 31
	s_cmpk_lg_i32 s18, 0x84
	s_cselect_b64 s[2:3], -1, 0
	s_add_u32 s16, s8, 1
	v_lshlrev_b32_e32 v1, 4, v0
	s_addc_u32 s17, s9, 0
	s_lshl_b64 s[8:9], s[8:9], 4
	s_mov_b32 s18, 0
	s_mov_b64 s[10:11], s[0:1]
	s_branch .LBB240_52
.LBB240_50:                             ;   in Loop: Header=BB240_52 Depth=1
	s_or_b64 exec, exec, s[14:15]
	ds_write_b128 v14, v[10:13]
.LBB240_51:                             ;   in Loop: Header=BB240_52 Depth=1
	s_add_i32 s18, s18, 1
	s_add_u32 s10, s10, s8
	s_addc_u32 s11, s11, s9
	s_cmp_eq_u32 s18, s7
	s_cbranch_scc1 .LBB240_59
.LBB240_52:                             ; =>This Loop Header: Depth=1
                                        ;     Child Loop BB240_53 Depth 2
	s_lshl_b32 s19, s18, 10
	v_or_b32_e32 v2, s19, v1
	ds_read_b128 v[2:5], v2
	s_cmp_eq_u32 s18, 0
	v_mov_b32_e32 v6, v1
	s_mov_b64 s[14:15], s[10:11]
	s_mov_b32 s20, s18
	s_cbranch_scc1 .LBB240_54
.LBB240_53:                             ;   Parent Loop BB240_52 Depth=1
                                        ; =>  This Inner Loop Header: Depth=2
	v_mov_b64_e32 v[8:9], s[14:15]
	flat_load_dwordx4 v[8:11], v[8:9]
	ds_read_b128 v[12:15], v6
	s_add_i32 s20, s20, -1
	s_add_u32 s14, s14, 16
	s_addc_u32 s15, s15, 0
	v_add_u32_e32 v6, 0x400, v6
	s_cmp_eq_u32 s20, 0
	s_waitcnt vmcnt(0) lgkmcnt(0)
	v_mul_f64 v[16:17], v[10:11], v[14:15]
	v_mul_f64 v[14:15], v[8:9], v[14:15]
	v_fma_f64 v[8:9], v[8:9], v[12:13], -v[16:17]
	v_fmac_f64_e32 v[14:15], v[10:11], v[12:13]
	v_add_f64 v[2:3], v[2:3], -v[8:9]
	v_add_f64 v[4:5], v[4:5], -v[14:15]
	s_cbranch_scc0 .LBB240_53
.LBB240_54:                             ;   in Loop: Header=BB240_52 Depth=1
	v_add_u32_e32 v14, s19, v1
	s_and_b64 vcc, exec, s[2:3]
	s_waitcnt lgkmcnt(0)
	ds_write_b128 v14, v[2:5]
	s_cbranch_vccz .LBB240_51
; %bb.55:                               ;   in Loop: Header=BB240_52 Depth=1
	s_mul_i32 s14, s17, s18
	s_mul_hi_u32 s15, s16, s18
	s_add_i32 s15, s15, s14
	s_mul_i32 s14, s16, s18
	s_lshl_b64 s[14:15], s[14:15], 4
	s_add_u32 s14, s0, s14
	s_addc_u32 s15, s1, s15
	v_mov_b64_e32 v[6:7], s[14:15]
	flat_load_dwordx4 v[6:9], v[6:7]
                                        ; implicit-def: $vgpr12_vgpr13
	s_waitcnt vmcnt(0) lgkmcnt(0)
	v_cmp_ngt_f64_e64 s[14:15], |v[6:7]|, |v[8:9]|
	s_and_saveexec_b64 s[20:21], s[14:15]
	s_xor_b64 s[14:15], exec, s[20:21]
	s_cbranch_execz .LBB240_57
; %bb.56:                               ;   in Loop: Header=BB240_52 Depth=1
	v_div_scale_f64 v[10:11], s[20:21], v[8:9], v[8:9], v[6:7]
	v_rcp_f64_e32 v[12:13], v[10:11]
	v_div_scale_f64 v[16:17], vcc, v[6:7], v[8:9], v[6:7]
	v_fma_f64 v[18:19], -v[10:11], v[12:13], 1.0
	v_fmac_f64_e32 v[12:13], v[12:13], v[18:19]
	v_fma_f64 v[18:19], -v[10:11], v[12:13], 1.0
	v_fmac_f64_e32 v[12:13], v[12:13], v[18:19]
	v_mul_f64 v[18:19], v[16:17], v[12:13]
	v_fma_f64 v[10:11], -v[10:11], v[18:19], v[16:17]
	v_div_fmas_f64 v[10:11], v[10:11], v[12:13], v[18:19]
	v_div_fixup_f64 v[12:13], v[10:11], v[8:9], v[6:7]
	v_fmac_f64_e32 v[8:9], v[6:7], v[12:13]
	v_div_scale_f64 v[6:7], s[20:21], v[8:9], v[8:9], 1.0
	v_rcp_f64_e32 v[10:11], v[6:7]
	s_nop 0
	v_fma_f64 v[16:17], -v[6:7], v[10:11], 1.0
	v_fmac_f64_e32 v[10:11], v[10:11], v[16:17]
	v_fma_f64 v[16:17], -v[6:7], v[10:11], 1.0
	v_fmac_f64_e32 v[10:11], v[10:11], v[16:17]
	v_div_scale_f64 v[16:17], vcc, 1.0, v[8:9], 1.0
	v_mul_f64 v[18:19], v[16:17], v[10:11]
	v_fma_f64 v[6:7], -v[6:7], v[18:19], v[16:17]
	s_nop 1
	v_div_fmas_f64 v[6:7], v[6:7], v[10:11], v[18:19]
	v_div_fixup_f64 v[6:7], v[6:7], v[8:9], 1.0
	v_fma_f64 v[8:9], v[2:3], v[12:13], v[4:5]
	v_fma_f64 v[2:3], v[4:5], v[12:13], -v[2:3]
	v_mul_f64 v[10:11], v[8:9], v[6:7]
	v_mul_f64 v[12:13], v[2:3], v[6:7]
                                        ; implicit-def: $vgpr6_vgpr7
                                        ; implicit-def: $vgpr4_vgpr5
.LBB240_57:                             ;   in Loop: Header=BB240_52 Depth=1
	s_andn2_saveexec_b64 s[14:15], s[14:15]
	s_cbranch_execz .LBB240_50
; %bb.58:                               ;   in Loop: Header=BB240_52 Depth=1
	v_div_scale_f64 v[10:11], s[20:21], v[6:7], v[6:7], v[8:9]
	v_rcp_f64_e32 v[12:13], v[10:11]
	v_div_scale_f64 v[16:17], vcc, v[8:9], v[6:7], v[8:9]
	v_fma_f64 v[18:19], -v[10:11], v[12:13], 1.0
	v_fmac_f64_e32 v[12:13], v[12:13], v[18:19]
	v_fma_f64 v[18:19], -v[10:11], v[12:13], 1.0
	v_fmac_f64_e32 v[12:13], v[12:13], v[18:19]
	v_mul_f64 v[18:19], v[16:17], v[12:13]
	v_fma_f64 v[10:11], -v[10:11], v[18:19], v[16:17]
	v_div_fmas_f64 v[10:11], v[10:11], v[12:13], v[18:19]
	v_div_fixup_f64 v[12:13], v[10:11], v[6:7], v[8:9]
	v_fmac_f64_e32 v[6:7], v[8:9], v[12:13]
	v_div_scale_f64 v[8:9], s[20:21], v[6:7], v[6:7], 1.0
	v_rcp_f64_e32 v[10:11], v[8:9]
	s_nop 0
	v_fma_f64 v[16:17], -v[8:9], v[10:11], 1.0
	v_fmac_f64_e32 v[10:11], v[10:11], v[16:17]
	v_fma_f64 v[16:17], -v[8:9], v[10:11], 1.0
	v_fmac_f64_e32 v[10:11], v[10:11], v[16:17]
	v_div_scale_f64 v[16:17], vcc, 1.0, v[6:7], 1.0
	v_mul_f64 v[18:19], v[16:17], v[10:11]
	v_fma_f64 v[8:9], -v[8:9], v[18:19], v[16:17]
	s_nop 1
	v_div_fmas_f64 v[8:9], v[8:9], v[10:11], v[18:19]
	v_div_fixup_f64 v[6:7], v[8:9], v[6:7], 1.0
	v_fma_f64 v[8:9], v[4:5], v[12:13], v[2:3]
	v_fma_f64 v[2:3], -v[2:3], v[12:13], v[4:5]
	v_mul_f64 v[10:11], v[8:9], v[6:7]
	v_mul_f64 v[12:13], v[2:3], v[6:7]
	s_branch .LBB240_50
.LBB240_59:
	s_and_saveexec_b64 s[0:1], s[4:5]
	s_cbranch_execz .LBB240_63
; %bb.60:
	s_cmp_lt_i32 s24, 1
	s_cbranch_scc1 .LBB240_63
; %bb.61:
	v_lshlrev_b32_e32 v0, 4, v0
	s_ashr_i32 s7, s6, 31
	v_mov_b32_e32 v1, 0
	v_lshl_add_u64 v[2:3], s[12:13], 0, v[0:1]
	s_lshl_b64 s[0:1], s[6:7], 4
.LBB240_62:                             ; =>This Inner Loop Header: Depth=1
	ds_read2_b64 v[4:7], v0 offset1:1
	s_add_i32 s24, s24, -1
	v_add_u32_e32 v0, 0x400, v0
	s_cmp_lg_u32 s24, 0
	s_waitcnt lgkmcnt(0)
	flat_store_dwordx4 v[2:3], v[4:7]
	v_lshl_add_u64 v[2:3], v[2:3], 0, s[0:1]
	s_cbranch_scc1 .LBB240_62
.LBB240_63:
	s_endpgm
	.section	.rodata,"a",@progbits
	.p2align	6, 0x0
	.amdhsa_kernel _ZL34rocblas_trsm_small_64_right_deviceI19rocblas_complex_numIdES1_PKPKS1_PKPS1_Li64EEv13rocblas_fill_18rocblas_operation_17rocblas_diagonal_iiT0_T1_lilT2_lili
		.amdhsa_group_segment_fixed_size 65536
		.amdhsa_private_segment_fixed_size 0
		.amdhsa_kernarg_size 368
		.amdhsa_user_sgpr_count 2
		.amdhsa_user_sgpr_dispatch_ptr 0
		.amdhsa_user_sgpr_queue_ptr 0
		.amdhsa_user_sgpr_kernarg_segment_ptr 1
		.amdhsa_user_sgpr_dispatch_id 0
		.amdhsa_user_sgpr_kernarg_preload_length 0
		.amdhsa_user_sgpr_kernarg_preload_offset 0
		.amdhsa_user_sgpr_private_segment_size 0
		.amdhsa_uses_dynamic_stack 0
		.amdhsa_enable_private_segment 0
		.amdhsa_system_sgpr_workgroup_id_x 1
		.amdhsa_system_sgpr_workgroup_id_y 0
		.amdhsa_system_sgpr_workgroup_id_z 1
		.amdhsa_system_sgpr_workgroup_info 0
		.amdhsa_system_vgpr_workitem_id 0
		.amdhsa_next_free_vgpr 257
		.amdhsa_next_free_sgpr 96
		.amdhsa_accum_offset 20
		.amdhsa_reserve_vcc 1
		.amdhsa_float_round_mode_32 0
		.amdhsa_float_round_mode_16_64 0
		.amdhsa_float_denorm_mode_32 3
		.amdhsa_float_denorm_mode_16_64 3
		.amdhsa_dx10_clamp 1
		.amdhsa_ieee_mode 1
		.amdhsa_fp16_overflow 0
		.amdhsa_tg_split 0
		.amdhsa_exception_fp_ieee_invalid_op 0
		.amdhsa_exception_fp_denorm_src 0
		.amdhsa_exception_fp_ieee_div_zero 0
		.amdhsa_exception_fp_ieee_overflow 0
		.amdhsa_exception_fp_ieee_underflow 0
		.amdhsa_exception_fp_ieee_inexact 0
		.amdhsa_exception_int_div_zero 0
	.end_amdhsa_kernel
	.section	.text._ZL34rocblas_trsm_small_64_right_deviceI19rocblas_complex_numIdES1_PKPKS1_PKPS1_Li64EEv13rocblas_fill_18rocblas_operation_17rocblas_diagonal_iiT0_T1_lilT2_lili,"axG",@progbits,_ZL34rocblas_trsm_small_64_right_deviceI19rocblas_complex_numIdES1_PKPKS1_PKPS1_Li64EEv13rocblas_fill_18rocblas_operation_17rocblas_diagonal_iiT0_T1_lilT2_lili,comdat
.Lfunc_end240:
	.size	_ZL34rocblas_trsm_small_64_right_deviceI19rocblas_complex_numIdES1_PKPKS1_PKPS1_Li64EEv13rocblas_fill_18rocblas_operation_17rocblas_diagonal_iiT0_T1_lilT2_lili, .Lfunc_end240-_ZL34rocblas_trsm_small_64_right_deviceI19rocblas_complex_numIdES1_PKPKS1_PKPS1_Li64EEv13rocblas_fill_18rocblas_operation_17rocblas_diagonal_iiT0_T1_lilT2_lili
                                        ; -- End function
	.set _ZL34rocblas_trsm_small_64_right_deviceI19rocblas_complex_numIdES1_PKPKS1_PKPS1_Li64EEv13rocblas_fill_18rocblas_operation_17rocblas_diagonal_iiT0_T1_lilT2_lili.num_vgpr, 20
	.set _ZL34rocblas_trsm_small_64_right_deviceI19rocblas_complex_numIdES1_PKPKS1_PKPS1_Li64EEv13rocblas_fill_18rocblas_operation_17rocblas_diagonal_iiT0_T1_lilT2_lili.num_agpr, 0
	.set _ZL34rocblas_trsm_small_64_right_deviceI19rocblas_complex_numIdES1_PKPKS1_PKPS1_Li64EEv13rocblas_fill_18rocblas_operation_17rocblas_diagonal_iiT0_T1_lilT2_lili.numbered_sgpr, 30
	.set _ZL34rocblas_trsm_small_64_right_deviceI19rocblas_complex_numIdES1_PKPKS1_PKPS1_Li64EEv13rocblas_fill_18rocblas_operation_17rocblas_diagonal_iiT0_T1_lilT2_lili.num_named_barrier, 0
	.set _ZL34rocblas_trsm_small_64_right_deviceI19rocblas_complex_numIdES1_PKPKS1_PKPS1_Li64EEv13rocblas_fill_18rocblas_operation_17rocblas_diagonal_iiT0_T1_lilT2_lili.private_seg_size, 0
	.set _ZL34rocblas_trsm_small_64_right_deviceI19rocblas_complex_numIdES1_PKPKS1_PKPS1_Li64EEv13rocblas_fill_18rocblas_operation_17rocblas_diagonal_iiT0_T1_lilT2_lili.uses_vcc, 1
	.set _ZL34rocblas_trsm_small_64_right_deviceI19rocblas_complex_numIdES1_PKPKS1_PKPS1_Li64EEv13rocblas_fill_18rocblas_operation_17rocblas_diagonal_iiT0_T1_lilT2_lili.uses_flat_scratch, 0
	.set _ZL34rocblas_trsm_small_64_right_deviceI19rocblas_complex_numIdES1_PKPKS1_PKPS1_Li64EEv13rocblas_fill_18rocblas_operation_17rocblas_diagonal_iiT0_T1_lilT2_lili.has_dyn_sized_stack, 0
	.set _ZL34rocblas_trsm_small_64_right_deviceI19rocblas_complex_numIdES1_PKPKS1_PKPS1_Li64EEv13rocblas_fill_18rocblas_operation_17rocblas_diagonal_iiT0_T1_lilT2_lili.has_recursion, 0
	.set _ZL34rocblas_trsm_small_64_right_deviceI19rocblas_complex_numIdES1_PKPKS1_PKPS1_Li64EEv13rocblas_fill_18rocblas_operation_17rocblas_diagonal_iiT0_T1_lilT2_lili.has_indirect_call, 0
	.section	.AMDGPU.csdata,"",@progbits
; Kernel info:
; codeLenInByte = 3496
; TotalNumSgprs: 36
; NumVgprs: 20
; NumAgprs: 0
; TotalNumVgprs: 20
; ScratchSize: 0
; MemoryBound: 0
; FloatMode: 240
; IeeeMode: 1
; LDSByteSize: 65536 bytes/workgroup (compile time only)
; SGPRBlocks: 12
; VGPRBlocks: 32
; NumSGPRsForWavesPerEU: 102
; NumVGPRsForWavesPerEU: 257
; AccumOffset: 20
; Occupancy: 1
; WaveLimiterHint : 1
; COMPUTE_PGM_RSRC2:SCRATCH_EN: 0
; COMPUTE_PGM_RSRC2:USER_SGPR: 2
; COMPUTE_PGM_RSRC2:TRAP_HANDLER: 0
; COMPUTE_PGM_RSRC2:TGID_X_EN: 1
; COMPUTE_PGM_RSRC2:TGID_Y_EN: 0
; COMPUTE_PGM_RSRC2:TGID_Z_EN: 1
; COMPUTE_PGM_RSRC2:TIDIG_COMP_CNT: 0
; COMPUTE_PGM_RSRC3_GFX90A:ACCUM_OFFSET: 4
; COMPUTE_PGM_RSRC3_GFX90A:TG_SPLIT: 0
	.section	.text._ZL39rocblas_trsm_block_forward_substitutionI19rocblas_complex_numIdES1_PKPKS1_PKPS1_Lb0ELb0ELb0EEv18rocblas_operation_llT0_T1_lllT2_lllib,"axG",@progbits,_ZL39rocblas_trsm_block_forward_substitutionI19rocblas_complex_numIdES1_PKPKS1_PKPS1_Lb0ELb0ELb0EEv18rocblas_operation_llT0_T1_lllT2_lllib,comdat
	.globl	_ZL39rocblas_trsm_block_forward_substitutionI19rocblas_complex_numIdES1_PKPKS1_PKPS1_Lb0ELb0ELb0EEv18rocblas_operation_llT0_T1_lllT2_lllib ; -- Begin function _ZL39rocblas_trsm_block_forward_substitutionI19rocblas_complex_numIdES1_PKPKS1_PKPS1_Lb0ELb0ELb0EEv18rocblas_operation_llT0_T1_lllT2_lllib
	.p2align	8
	.type	_ZL39rocblas_trsm_block_forward_substitutionI19rocblas_complex_numIdES1_PKPKS1_PKPS1_Lb0ELb0ELb0EEv18rocblas_operation_llT0_T1_lllT2_lllib,@function
_ZL39rocblas_trsm_block_forward_substitutionI19rocblas_complex_numIdES1_PKPKS1_PKPS1_Lb0ELb0ELb0EEv18rocblas_operation_llT0_T1_lllT2_lllib: ; @_ZL39rocblas_trsm_block_forward_substitutionI19rocblas_complex_numIdES1_PKPKS1_PKPS1_Lb0ELb0ELb0EEv18rocblas_operation_llT0_T1_lllT2_lllib
; %bb.0:
	s_load_dword s2, s[0:1], 0x6c
	s_load_dwordx4 s[24:27], s[0:1], 0x28
	s_load_dwordx2 s[16:17], s[0:1], 0x38
	s_load_dword s30, s[0:1], 0x7c
	s_mov_b32 s5, 0
	s_waitcnt lgkmcnt(0)
	s_bitcmp1_b32 s2, 0
	s_cselect_b64 s[6:7], -1, 0
	s_xor_b64 s[18:19], s[6:7], -1
	s_lshl_b64 s[28:29], s[4:5], 3
	s_add_u32 s20, s24, s28
	s_addc_u32 s21, s25, s29
	s_load_dwordx2 s[24:25], s[20:21], 0x0
	s_load_dwordx2 s[22:23], s[0:1], 0x58
	s_load_dwordx4 s[12:15], s[0:1], 0x48
	s_load_dwordx8 s[4:11], s[0:1], 0x8
	s_lshl_b64 s[20:21], s[26:27], 4
	s_waitcnt lgkmcnt(0)
	s_add_u32 s20, s24, s20
	s_addc_u32 s21, s25, s21
	s_add_u32 s12, s12, s28
	s_addc_u32 s13, s13, s29
	s_load_dwordx2 s[12:13], s[12:13], 0x0
	s_add_u32 s24, s0, 0x70
	v_and_b32_e32 v8, 0x3ff, v0
	v_bfe_u32 v16, v0, 10, 10
	s_addc_u32 s25, s1, 0
	s_lshr_b32 s2, s30, 16
	s_and_b64 vcc, exec, s[18:19]
	s_cbranch_vccnz .LBB241_15
; %bb.1:
	s_lshl_b32 s26, s2, 4
	v_cmp_lt_i64_e64 s[28:29], s[4:5], 1
	s_add_i32 s26, s26, 0
	s_and_b64 vcc, exec, s[28:29]
	s_cbranch_vccnz .LBB241_14
; %bb.2:
	v_mov_b32_e32 v9, 0
	v_lshlrev_b32_e32 v0, 4, v8
	v_mov_b32_e32 v1, v9
	v_add_u32_e32 v14, s26, v0
	v_lshl_add_u64 v[4:5], s[20:21], 0, v[0:1]
	v_mad_u64_u32 v[0:1], s[20:21], s16, v8, 0
	v_mov_b32_e32 v2, v1
	v_mad_u64_u32 v[2:3], s[20:21], s17, v8, v[2:3]
	v_cmp_le_u64_e32 vcc, s[4:5], v[8:9]
	v_mov_b32_e32 v1, v2
	v_lshl_add_u64 v[6:7], v[0:1], 4, v[4:5]
	s_xor_b64 s[20:21], vcc, -1
	s_mov_b32 s27, s2
	v_mov_b32_e32 v9, v16
	s_branch .LBB241_6
.LBB241_3:                              ;   in Loop: Header=BB241_6 Depth=1
	s_or_b64 exec, exec, s[34:35]
	s_load_dword s33, s[24:25], 0xc
	s_waitcnt lgkmcnt(0)
	s_and_b32 s33, s33, 0xffff
	v_mul_u32_u24_e32 v0, s33, v8
	v_lshl_add_u32 v0, v0, 4, v14
	ds_write2_b64 v0, v[10:11], v[12:13] offset1:1
.LBB241_4:                              ;   in Loop: Header=BB241_6 Depth=1
	s_or_b64 exec, exec, s[30:31]
.LBB241_5:                              ;   in Loop: Header=BB241_6 Depth=1
	s_or_b64 exec, exec, s[28:29]
	s_ashr_i32 s28, s27, 31
	v_mov_b32_e32 v0, s27
	v_mov_b32_e32 v1, s28
	v_cmp_le_i64_e32 vcc, s[4:5], v[0:1]
	v_add_u32_e32 v9, s2, v9
	s_add_i32 s27, s27, s2
	s_cbranch_vccnz .LBB241_14
.LBB241_6:                              ; =>This Inner Loop Header: Depth=1
	v_cmp_gt_i32_e32 vcc, v8, v9
	s_and_b64 s[28:29], s[20:21], vcc
	s_and_saveexec_b64 s[30:31], s[28:29]
	s_xor_b64 s[28:29], exec, s[30:31]
	s_cbranch_execz .LBB241_8
; %bb.7:                                ;   in Loop: Header=BB241_6 Depth=1
	v_ashrrev_i32_e32 v0, 31, v9
	v_mul_lo_u32 v2, s17, v9
	v_mul_lo_u32 v3, s16, v0
	v_mad_u64_u32 v[0:1], s[30:31], s16, v9, 0
	v_add3_u32 v1, v1, v3, v2
	v_lshl_add_u64 v[0:1], v[0:1], 4, v[4:5]
	flat_load_dwordx4 v[0:3], v[0:1]
	s_load_dword s30, s[24:25], 0xc
	s_waitcnt lgkmcnt(0)
	s_and_b32 s30, s30, 0xffff
	v_mul_lo_u32 v10, v9, s30
	v_lshl_add_u32 v10, v10, 4, v14
	s_waitcnt vmcnt(0)
	ds_write2_b64 v10, v[0:1], v[2:3] offset1:1
.LBB241_8:                              ;   in Loop: Header=BB241_6 Depth=1
	s_andn2_saveexec_b64 s[28:29], s[28:29]
	s_cbranch_execz .LBB241_5
; %bb.9:                                ;   in Loop: Header=BB241_6 Depth=1
	v_cmp_eq_u32_e32 vcc, v8, v9
	s_and_b64 s[34:35], s[20:21], vcc
	s_and_saveexec_b64 s[30:31], s[34:35]
	s_cbranch_execz .LBB241_4
; %bb.10:                               ;   in Loop: Header=BB241_6 Depth=1
	flat_load_dwordx4 v[0:3], v[6:7]
                                        ; implicit-def: $vgpr10_vgpr11
	s_waitcnt vmcnt(0) lgkmcnt(0)
	v_cmp_ngt_f64_e64 s[34:35], |v[0:1]|, |v[2:3]|
	s_and_saveexec_b64 s[36:37], s[34:35]
	s_xor_b64 s[34:35], exec, s[36:37]
                                        ; implicit-def: $vgpr12_vgpr13
	s_cbranch_execz .LBB241_12
; %bb.11:                               ;   in Loop: Header=BB241_6 Depth=1
	v_div_scale_f64 v[10:11], s[36:37], v[2:3], v[2:3], v[0:1]
	v_rcp_f64_e32 v[12:13], v[10:11]
	v_div_scale_f64 v[18:19], vcc, v[0:1], v[2:3], v[0:1]
	v_fma_f64 v[20:21], -v[10:11], v[12:13], 1.0
	v_fmac_f64_e32 v[12:13], v[12:13], v[20:21]
	v_fma_f64 v[20:21], -v[10:11], v[12:13], 1.0
	v_fmac_f64_e32 v[12:13], v[12:13], v[20:21]
	v_mul_f64 v[20:21], v[18:19], v[12:13]
	v_fma_f64 v[10:11], -v[10:11], v[20:21], v[18:19]
	v_div_fmas_f64 v[10:11], v[10:11], v[12:13], v[20:21]
	v_div_fixup_f64 v[10:11], v[10:11], v[2:3], v[0:1]
	v_fmac_f64_e32 v[2:3], v[0:1], v[10:11]
	v_div_scale_f64 v[0:1], s[36:37], v[2:3], v[2:3], 1.0
	v_rcp_f64_e32 v[12:13], v[0:1]
	s_nop 0
	v_fma_f64 v[18:19], -v[0:1], v[12:13], 1.0
	v_fmac_f64_e32 v[12:13], v[12:13], v[18:19]
	v_fma_f64 v[18:19], -v[0:1], v[12:13], 1.0
	v_fmac_f64_e32 v[12:13], v[12:13], v[18:19]
	v_div_scale_f64 v[18:19], vcc, 1.0, v[2:3], 1.0
	v_mul_f64 v[20:21], v[18:19], v[12:13]
	v_fma_f64 v[0:1], -v[0:1], v[20:21], v[18:19]
	s_nop 1
	v_div_fmas_f64 v[0:1], v[0:1], v[12:13], v[20:21]
	v_div_fixup_f64 v[12:13], v[0:1], v[2:3], 1.0
	v_mul_f64 v[10:11], v[10:11], v[12:13]
	v_xor_b32_e32 v13, 0x80000000, v13
                                        ; implicit-def: $vgpr0_vgpr1
.LBB241_12:                             ;   in Loop: Header=BB241_6 Depth=1
	s_andn2_saveexec_b64 s[34:35], s[34:35]
	s_cbranch_execz .LBB241_3
; %bb.13:                               ;   in Loop: Header=BB241_6 Depth=1
	v_div_scale_f64 v[10:11], s[36:37], v[0:1], v[0:1], v[2:3]
	v_rcp_f64_e32 v[12:13], v[10:11]
	v_div_scale_f64 v[18:19], vcc, v[2:3], v[0:1], v[2:3]
	v_fma_f64 v[20:21], -v[10:11], v[12:13], 1.0
	v_fmac_f64_e32 v[12:13], v[12:13], v[20:21]
	v_fma_f64 v[20:21], -v[10:11], v[12:13], 1.0
	v_fmac_f64_e32 v[12:13], v[12:13], v[20:21]
	v_mul_f64 v[20:21], v[18:19], v[12:13]
	v_fma_f64 v[10:11], -v[10:11], v[20:21], v[18:19]
	v_div_fmas_f64 v[10:11], v[10:11], v[12:13], v[20:21]
	v_div_fixup_f64 v[12:13], v[10:11], v[0:1], v[2:3]
	v_fmac_f64_e32 v[0:1], v[2:3], v[12:13]
	v_div_scale_f64 v[2:3], s[36:37], v[0:1], v[0:1], 1.0
	v_rcp_f64_e32 v[10:11], v[2:3]
	s_nop 0
	v_fma_f64 v[18:19], -v[2:3], v[10:11], 1.0
	v_fmac_f64_e32 v[10:11], v[10:11], v[18:19]
	v_fma_f64 v[18:19], -v[2:3], v[10:11], 1.0
	v_fmac_f64_e32 v[10:11], v[10:11], v[18:19]
	v_div_scale_f64 v[18:19], vcc, 1.0, v[0:1], 1.0
	v_mul_f64 v[20:21], v[18:19], v[10:11]
	v_fma_f64 v[2:3], -v[2:3], v[20:21], v[18:19]
	s_nop 1
	v_div_fmas_f64 v[2:3], v[2:3], v[10:11], v[20:21]
	v_div_fixup_f64 v[10:11], v[2:3], v[0:1], 1.0
	v_mul_f64 v[12:13], v[12:13], -v[10:11]
	s_branch .LBB241_3
.LBB241_14:
	s_load_dword s16, s[24:25], 0xc
	s_mov_b64 s[20:21], src_shared_base
	s_mov_b32 s27, s21
	s_mov_b32 s17, 0
	s_mov_b64 s[20:21], s[26:27]
	s_waitcnt lgkmcnt(0)
	s_and_b32 s16, s16, 0xffff
.LBB241_15:
	s_mul_i32 s3, s3, s2
	v_add_u32_e32 v0, s3, v16
	v_mov_b32_e32 v1, 0
	v_cmp_gt_i64_e32 vcc, s[6:7], v[0:1]
	s_and_saveexec_b64 s[2:3], vcc
	s_cbranch_execz .LBB241_39
; %bb.16:
	v_mov_b32_e32 v9, v1
	v_cmp_gt_i64_e32 vcc, s[4:5], v[8:9]
	s_and_b64 exec, exec, vcc
	s_cbranch_execz .LBB241_39
; %bb.17:
	v_mad_u64_u32 v[2:3], s[6:7], s22, v0, 0
	s_lshl_b64 s[2:3], s[14:15], 4
	v_mov_b32_e32 v4, v3
	s_waitcnt lgkmcnt(0)
	s_add_u32 s2, s12, s2
	v_mad_u64_u32 v[0:1], s[6:7], s23, v0, v[4:5]
	s_addc_u32 s3, s13, s3
	v_mov_b32_e32 v3, v0
	v_lshl_add_u64 v[0:1], v[2:3], 4, s[2:3]
	v_lshlrev_b32_e32 v4, 4, v8
	v_mov_b32_e32 v5, 0
	v_lshl_add_u64 v[10:11], v[0:1], 0, v[4:5]
	flat_load_dwordx4 v[12:15], v[10:11]
	v_cmp_lt_u64_e64 s[2:3], s[4:5], 2
	s_add_u32 s4, s4, -1
	s_addc_u32 s5, s5, -1
	s_and_b64 vcc, exec, s[2:3]
	s_waitcnt vmcnt(0) lgkmcnt(0)
	v_mul_f64 v[0:1], s[10:11], v[14:15]
	v_mul_f64 v[2:3], s[8:9], v[14:15]
	v_fma_f64 v[0:1], s[8:9], v[12:13], -v[0:1]
	v_fmac_f64_e32 v[2:3], s[10:11], v[12:13]
	s_cbranch_vccnz .LBB241_30
; %bb.18:
	s_load_dword s2, s[0:1], 0x0
	v_lshl_add_u64 v[12:13], s[20:21], 0, v[4:5]
	v_mad_u64_u32 v[4:5], s[0:1], v8, s16, v[8:9]
	v_mov_b32_e32 v6, v5
	s_waitcnt lgkmcnt(0)
	s_cmpk_eq_i32 s2, 0x71
	v_mad_u64_u32 v[6:7], s[2:3], v8, s17, v[6:7]
	v_mov_b32_e32 v5, v6
	v_lshl_add_u64 v[14:15], v[4:5], 4, s[20:21]
	v_cndmask_b32_e64 v4, 0, 1, s[18:19]
	s_cselect_b64 s[0:1], -1, 0
	v_lshl_add_u32 v16, v16, 4, 0
	s_lshl_b64 s[6:7], s[16:17], 4
	s_mov_b64 s[8:9], 0
	v_cmp_ne_u32_e64 s[2:3], 1, v4
	s_branch .LBB241_20
.LBB241_19:                             ;   in Loop: Header=BB241_20 Depth=1
	s_or_b64 exec, exec, s[10:11]
	s_add_u32 s8, s8, 1
	s_addc_u32 s9, s9, 0
	s_cmp_eq_u64 s[4:5], s[8:9]
	v_lshl_add_u64 v[12:13], v[12:13], 0, s[6:7]
	s_cbranch_scc1 .LBB241_30
.LBB241_20:                             ; =>This Inner Loop Header: Depth=1
	v_cmp_eq_u64_e32 vcc, s[8:9], v[8:9]
	s_barrier
	s_and_saveexec_b64 s[10:11], vcc
	s_cbranch_execz .LBB241_28
; %bb.21:                               ;   in Loop: Header=BB241_20 Depth=1
	flat_load_dwordx4 v[4:7], v[14:15]
	s_and_b64 vcc, exec, s[2:3]
	s_cbranch_vccnz .LBB241_27
; %bb.22:                               ;   in Loop: Header=BB241_20 Depth=1
	s_waitcnt vmcnt(0) lgkmcnt(0)
	v_cmp_ngt_f64_e64 s[12:13], |v[4:5]|, |v[6:7]|
	s_and_saveexec_b64 s[14:15], s[12:13]
	s_xor_b64 s[12:13], exec, s[14:15]
	s_cbranch_execz .LBB241_24
; %bb.23:                               ;   in Loop: Header=BB241_20 Depth=1
	v_div_scale_f64 v[18:19], s[14:15], v[6:7], v[6:7], v[4:5]
	v_rcp_f64_e32 v[20:21], v[18:19]
	v_div_scale_f64 v[22:23], vcc, v[4:5], v[6:7], v[4:5]
	v_fma_f64 v[24:25], -v[18:19], v[20:21], 1.0
	v_fmac_f64_e32 v[20:21], v[20:21], v[24:25]
	v_fma_f64 v[24:25], -v[18:19], v[20:21], 1.0
	v_fmac_f64_e32 v[20:21], v[20:21], v[24:25]
	v_mul_f64 v[24:25], v[22:23], v[20:21]
	v_fma_f64 v[18:19], -v[18:19], v[24:25], v[22:23]
	v_div_fmas_f64 v[18:19], v[18:19], v[20:21], v[24:25]
	v_div_fixup_f64 v[18:19], v[18:19], v[6:7], v[4:5]
	v_fmac_f64_e32 v[6:7], v[4:5], v[18:19]
	v_div_scale_f64 v[4:5], s[14:15], v[6:7], v[6:7], 1.0
	v_rcp_f64_e32 v[20:21], v[4:5]
	s_nop 0
	v_fma_f64 v[22:23], -v[4:5], v[20:21], 1.0
	v_fmac_f64_e32 v[20:21], v[20:21], v[22:23]
	v_fma_f64 v[22:23], -v[4:5], v[20:21], 1.0
	v_fmac_f64_e32 v[20:21], v[20:21], v[22:23]
	v_div_scale_f64 v[22:23], vcc, 1.0, v[6:7], 1.0
	v_mul_f64 v[24:25], v[22:23], v[20:21]
	v_fma_f64 v[4:5], -v[4:5], v[24:25], v[22:23]
	s_nop 1
	v_div_fmas_f64 v[4:5], v[4:5], v[20:21], v[24:25]
	v_div_fixup_f64 v[6:7], v[4:5], v[6:7], 1.0
	v_mul_f64 v[4:5], v[18:19], v[6:7]
	v_xor_b32_e32 v7, 0x80000000, v7
.LBB241_24:                             ;   in Loop: Header=BB241_20 Depth=1
	s_andn2_saveexec_b64 s[12:13], s[12:13]
	s_cbranch_execz .LBB241_26
; %bb.25:                               ;   in Loop: Header=BB241_20 Depth=1
	v_div_scale_f64 v[18:19], s[14:15], v[4:5], v[4:5], v[6:7]
	v_rcp_f64_e32 v[20:21], v[18:19]
	v_div_scale_f64 v[22:23], vcc, v[6:7], v[4:5], v[6:7]
	v_fma_f64 v[24:25], -v[18:19], v[20:21], 1.0
	v_fmac_f64_e32 v[20:21], v[20:21], v[24:25]
	v_fma_f64 v[24:25], -v[18:19], v[20:21], 1.0
	v_fmac_f64_e32 v[20:21], v[20:21], v[24:25]
	v_mul_f64 v[24:25], v[22:23], v[20:21]
	v_fma_f64 v[18:19], -v[18:19], v[24:25], v[22:23]
	v_div_fmas_f64 v[18:19], v[18:19], v[20:21], v[24:25]
	v_div_fixup_f64 v[18:19], v[18:19], v[4:5], v[6:7]
	v_fmac_f64_e32 v[4:5], v[6:7], v[18:19]
	v_div_scale_f64 v[6:7], s[14:15], v[4:5], v[4:5], 1.0
	v_rcp_f64_e32 v[20:21], v[6:7]
	s_nop 0
	v_fma_f64 v[22:23], -v[6:7], v[20:21], 1.0
	v_fmac_f64_e32 v[20:21], v[20:21], v[22:23]
	v_fma_f64 v[22:23], -v[6:7], v[20:21], 1.0
	v_fmac_f64_e32 v[20:21], v[20:21], v[22:23]
	v_div_scale_f64 v[22:23], vcc, 1.0, v[4:5], 1.0
	v_mul_f64 v[24:25], v[22:23], v[20:21]
	v_fma_f64 v[6:7], -v[6:7], v[24:25], v[22:23]
	s_nop 1
	v_div_fmas_f64 v[6:7], v[6:7], v[20:21], v[24:25]
	v_div_fixup_f64 v[4:5], v[6:7], v[4:5], 1.0
	v_mul_f64 v[6:7], v[18:19], -v[4:5]
.LBB241_26:                             ;   in Loop: Header=BB241_20 Depth=1
	s_or_b64 exec, exec, s[12:13]
.LBB241_27:                             ;   in Loop: Header=BB241_20 Depth=1
	s_waitcnt vmcnt(0) lgkmcnt(0)
	v_mul_f64 v[18:19], v[2:3], v[6:7]
	v_fma_f64 v[18:19], v[0:1], v[4:5], -v[18:19]
	v_mul_f64 v[0:1], v[0:1], v[6:7]
	v_fmac_f64_e32 v[0:1], v[2:3], v[4:5]
	ds_write2_b64 v16, v[18:19], v[0:1] offset1:1
	v_mov_b64_e32 v[2:3], v[0:1]
	v_mov_b64_e32 v[0:1], v[18:19]
.LBB241_28:                             ;   in Loop: Header=BB241_20 Depth=1
	s_or_b64 exec, exec, s[10:11]
	v_cmp_lt_u64_e32 vcc, s[8:9], v[8:9]
	s_waitcnt lgkmcnt(0)
	s_barrier
	s_and_saveexec_b64 s[10:11], vcc
	s_cbranch_execz .LBB241_19
; %bb.29:                               ;   in Loop: Header=BB241_20 Depth=1
	flat_load_dwordx4 v[4:7], v[12:13]
	ds_read2_b64 v[18:21], v16 offset1:1
	s_waitcnt vmcnt(0) lgkmcnt(0)
	v_xor_b32_e32 v17, 0x80000000, v7
	v_cndmask_b32_e64 v7, v7, v17, s[0:1]
	v_mul_f64 v[22:23], v[4:5], v[20:21]
	v_mul_f64 v[20:21], v[6:7], v[20:21]
	v_fmac_f64_e32 v[22:23], v[6:7], v[18:19]
	v_fma_f64 v[4:5], v[4:5], v[18:19], -v[20:21]
	v_add_f64 v[0:1], v[0:1], -v[4:5]
	v_add_f64 v[2:3], v[2:3], -v[22:23]
	s_branch .LBB241_19
.LBB241_30:
	v_cmp_eq_u64_e32 vcc, s[4:5], v[8:9]
	s_and_saveexec_b64 s[0:1], vcc
	s_cbranch_execz .LBB241_38
; %bb.31:
	v_mad_u64_u32 v[4:5], s[2:3], v8, s16, v[8:9]
	v_mov_b32_e32 v6, v5
	v_mad_u64_u32 v[6:7], s[2:3], v8, s17, v[6:7]
	v_mov_b32_e32 v5, v6
	v_lshl_add_u64 v[4:5], v[4:5], 4, s[20:21]
	flat_load_dwordx4 v[4:7], v[4:5]
	s_andn2_b64 vcc, exec, s[18:19]
	s_cbranch_vccnz .LBB241_37
; %bb.32:
	s_waitcnt vmcnt(0) lgkmcnt(0)
	v_cmp_ngt_f64_e64 s[2:3], |v[4:5]|, |v[6:7]|
	s_and_saveexec_b64 s[4:5], s[2:3]
	s_xor_b64 s[2:3], exec, s[4:5]
	s_cbranch_execz .LBB241_34
; %bb.33:
	v_div_scale_f64 v[8:9], s[4:5], v[6:7], v[6:7], v[4:5]
	v_rcp_f64_e32 v[12:13], v[8:9]
	v_div_scale_f64 v[14:15], vcc, v[4:5], v[6:7], v[4:5]
	v_fma_f64 v[16:17], -v[8:9], v[12:13], 1.0
	v_fmac_f64_e32 v[12:13], v[12:13], v[16:17]
	v_fma_f64 v[16:17], -v[8:9], v[12:13], 1.0
	v_fmac_f64_e32 v[12:13], v[12:13], v[16:17]
	v_mul_f64 v[16:17], v[14:15], v[12:13]
	v_fma_f64 v[8:9], -v[8:9], v[16:17], v[14:15]
	v_div_fmas_f64 v[8:9], v[8:9], v[12:13], v[16:17]
	v_div_fixup_f64 v[8:9], v[8:9], v[6:7], v[4:5]
	v_fmac_f64_e32 v[6:7], v[4:5], v[8:9]
	v_div_scale_f64 v[4:5], s[4:5], v[6:7], v[6:7], 1.0
	v_rcp_f64_e32 v[12:13], v[4:5]
	s_nop 0
	v_fma_f64 v[14:15], -v[4:5], v[12:13], 1.0
	v_fmac_f64_e32 v[12:13], v[12:13], v[14:15]
	v_fma_f64 v[14:15], -v[4:5], v[12:13], 1.0
	v_fmac_f64_e32 v[12:13], v[12:13], v[14:15]
	v_div_scale_f64 v[14:15], vcc, 1.0, v[6:7], 1.0
	v_mul_f64 v[16:17], v[14:15], v[12:13]
	v_fma_f64 v[4:5], -v[4:5], v[16:17], v[14:15]
	s_nop 1
	v_div_fmas_f64 v[4:5], v[4:5], v[12:13], v[16:17]
	v_div_fixup_f64 v[6:7], v[4:5], v[6:7], 1.0
	v_mul_f64 v[4:5], v[8:9], v[6:7]
	v_xor_b32_e32 v7, 0x80000000, v7
.LBB241_34:
	s_andn2_saveexec_b64 s[2:3], s[2:3]
	s_cbranch_execz .LBB241_36
; %bb.35:
	v_div_scale_f64 v[8:9], s[4:5], v[4:5], v[4:5], v[6:7]
	v_rcp_f64_e32 v[12:13], v[8:9]
	v_div_scale_f64 v[14:15], vcc, v[6:7], v[4:5], v[6:7]
	v_fma_f64 v[16:17], -v[8:9], v[12:13], 1.0
	v_fmac_f64_e32 v[12:13], v[12:13], v[16:17]
	v_fma_f64 v[16:17], -v[8:9], v[12:13], 1.0
	v_fmac_f64_e32 v[12:13], v[12:13], v[16:17]
	v_mul_f64 v[16:17], v[14:15], v[12:13]
	v_fma_f64 v[8:9], -v[8:9], v[16:17], v[14:15]
	v_div_fmas_f64 v[8:9], v[8:9], v[12:13], v[16:17]
	v_div_fixup_f64 v[8:9], v[8:9], v[4:5], v[6:7]
	v_fmac_f64_e32 v[4:5], v[6:7], v[8:9]
	v_div_scale_f64 v[6:7], s[4:5], v[4:5], v[4:5], 1.0
	v_rcp_f64_e32 v[12:13], v[6:7]
	s_nop 0
	v_fma_f64 v[14:15], -v[6:7], v[12:13], 1.0
	v_fmac_f64_e32 v[12:13], v[12:13], v[14:15]
	v_fma_f64 v[14:15], -v[6:7], v[12:13], 1.0
	v_fmac_f64_e32 v[12:13], v[12:13], v[14:15]
	v_div_scale_f64 v[14:15], vcc, 1.0, v[4:5], 1.0
	v_mul_f64 v[16:17], v[14:15], v[12:13]
	v_fma_f64 v[6:7], -v[6:7], v[16:17], v[14:15]
	s_nop 1
	v_div_fmas_f64 v[6:7], v[6:7], v[12:13], v[16:17]
	v_div_fixup_f64 v[4:5], v[6:7], v[4:5], 1.0
	v_mul_f64 v[6:7], v[8:9], -v[4:5]
.LBB241_36:
	s_or_b64 exec, exec, s[2:3]
.LBB241_37:
	s_waitcnt vmcnt(0) lgkmcnt(0)
	v_mul_f64 v[8:9], v[2:3], v[6:7]
	v_fma_f64 v[8:9], v[0:1], v[4:5], -v[8:9]
	v_mul_f64 v[2:3], v[2:3], v[4:5]
	v_fmac_f64_e32 v[2:3], v[0:1], v[6:7]
	v_mov_b64_e32 v[0:1], v[8:9]
.LBB241_38:
	s_or_b64 exec, exec, s[0:1]
	flat_store_dwordx4 v[10:11], v[0:3]
.LBB241_39:
	s_endpgm
	.section	.rodata,"a",@progbits
	.p2align	6, 0x0
	.amdhsa_kernel _ZL39rocblas_trsm_block_forward_substitutionI19rocblas_complex_numIdES1_PKPKS1_PKPS1_Lb0ELb0ELb0EEv18rocblas_operation_llT0_T1_lllT2_lllib
		.amdhsa_group_segment_fixed_size 0
		.amdhsa_private_segment_fixed_size 0
		.amdhsa_kernarg_size 368
		.amdhsa_user_sgpr_count 2
		.amdhsa_user_sgpr_dispatch_ptr 0
		.amdhsa_user_sgpr_queue_ptr 0
		.amdhsa_user_sgpr_kernarg_segment_ptr 1
		.amdhsa_user_sgpr_dispatch_id 0
		.amdhsa_user_sgpr_kernarg_preload_length 0
		.amdhsa_user_sgpr_kernarg_preload_offset 0
		.amdhsa_user_sgpr_private_segment_size 0
		.amdhsa_uses_dynamic_stack 0
		.amdhsa_enable_private_segment 0
		.amdhsa_system_sgpr_workgroup_id_x 1
		.amdhsa_system_sgpr_workgroup_id_y 1
		.amdhsa_system_sgpr_workgroup_id_z 1
		.amdhsa_system_sgpr_workgroup_info 0
		.amdhsa_system_vgpr_workitem_id 1
		.amdhsa_next_free_vgpr 26
		.amdhsa_next_free_sgpr 38
		.amdhsa_accum_offset 28
		.amdhsa_reserve_vcc 1
		.amdhsa_float_round_mode_32 0
		.amdhsa_float_round_mode_16_64 0
		.amdhsa_float_denorm_mode_32 3
		.amdhsa_float_denorm_mode_16_64 3
		.amdhsa_dx10_clamp 1
		.amdhsa_ieee_mode 1
		.amdhsa_fp16_overflow 0
		.amdhsa_tg_split 0
		.amdhsa_exception_fp_ieee_invalid_op 0
		.amdhsa_exception_fp_denorm_src 0
		.amdhsa_exception_fp_ieee_div_zero 0
		.amdhsa_exception_fp_ieee_overflow 0
		.amdhsa_exception_fp_ieee_underflow 0
		.amdhsa_exception_fp_ieee_inexact 0
		.amdhsa_exception_int_div_zero 0
	.end_amdhsa_kernel
	.section	.text._ZL39rocblas_trsm_block_forward_substitutionI19rocblas_complex_numIdES1_PKPKS1_PKPS1_Lb0ELb0ELb0EEv18rocblas_operation_llT0_T1_lllT2_lllib,"axG",@progbits,_ZL39rocblas_trsm_block_forward_substitutionI19rocblas_complex_numIdES1_PKPKS1_PKPS1_Lb0ELb0ELb0EEv18rocblas_operation_llT0_T1_lllT2_lllib,comdat
.Lfunc_end241:
	.size	_ZL39rocblas_trsm_block_forward_substitutionI19rocblas_complex_numIdES1_PKPKS1_PKPS1_Lb0ELb0ELb0EEv18rocblas_operation_llT0_T1_lllT2_lllib, .Lfunc_end241-_ZL39rocblas_trsm_block_forward_substitutionI19rocblas_complex_numIdES1_PKPKS1_PKPS1_Lb0ELb0ELb0EEv18rocblas_operation_llT0_T1_lllT2_lllib
                                        ; -- End function
	.set _ZL39rocblas_trsm_block_forward_substitutionI19rocblas_complex_numIdES1_PKPKS1_PKPS1_Lb0ELb0ELb0EEv18rocblas_operation_llT0_T1_lllT2_lllib.num_vgpr, 26
	.set _ZL39rocblas_trsm_block_forward_substitutionI19rocblas_complex_numIdES1_PKPKS1_PKPS1_Lb0ELb0ELb0EEv18rocblas_operation_llT0_T1_lllT2_lllib.num_agpr, 0
	.set _ZL39rocblas_trsm_block_forward_substitutionI19rocblas_complex_numIdES1_PKPKS1_PKPS1_Lb0ELb0ELb0EEv18rocblas_operation_llT0_T1_lllT2_lllib.numbered_sgpr, 38
	.set _ZL39rocblas_trsm_block_forward_substitutionI19rocblas_complex_numIdES1_PKPKS1_PKPS1_Lb0ELb0ELb0EEv18rocblas_operation_llT0_T1_lllT2_lllib.num_named_barrier, 0
	.set _ZL39rocblas_trsm_block_forward_substitutionI19rocblas_complex_numIdES1_PKPKS1_PKPS1_Lb0ELb0ELb0EEv18rocblas_operation_llT0_T1_lllT2_lllib.private_seg_size, 0
	.set _ZL39rocblas_trsm_block_forward_substitutionI19rocblas_complex_numIdES1_PKPKS1_PKPS1_Lb0ELb0ELb0EEv18rocblas_operation_llT0_T1_lllT2_lllib.uses_vcc, 1
	.set _ZL39rocblas_trsm_block_forward_substitutionI19rocblas_complex_numIdES1_PKPKS1_PKPS1_Lb0ELb0ELb0EEv18rocblas_operation_llT0_T1_lllT2_lllib.uses_flat_scratch, 0
	.set _ZL39rocblas_trsm_block_forward_substitutionI19rocblas_complex_numIdES1_PKPKS1_PKPS1_Lb0ELb0ELb0EEv18rocblas_operation_llT0_T1_lllT2_lllib.has_dyn_sized_stack, 0
	.set _ZL39rocblas_trsm_block_forward_substitutionI19rocblas_complex_numIdES1_PKPKS1_PKPS1_Lb0ELb0ELb0EEv18rocblas_operation_llT0_T1_lllT2_lllib.has_recursion, 0
	.set _ZL39rocblas_trsm_block_forward_substitutionI19rocblas_complex_numIdES1_PKPKS1_PKPS1_Lb0ELb0ELb0EEv18rocblas_operation_llT0_T1_lllT2_lllib.has_indirect_call, 0
	.section	.AMDGPU.csdata,"",@progbits
; Kernel info:
; codeLenInByte = 2292
; TotalNumSgprs: 44
; NumVgprs: 26
; NumAgprs: 0
; TotalNumVgprs: 26
; ScratchSize: 0
; MemoryBound: 1
; FloatMode: 240
; IeeeMode: 1
; LDSByteSize: 0 bytes/workgroup (compile time only)
; SGPRBlocks: 5
; VGPRBlocks: 3
; NumSGPRsForWavesPerEU: 44
; NumVGPRsForWavesPerEU: 26
; AccumOffset: 28
; Occupancy: 8
; WaveLimiterHint : 1
; COMPUTE_PGM_RSRC2:SCRATCH_EN: 0
; COMPUTE_PGM_RSRC2:USER_SGPR: 2
; COMPUTE_PGM_RSRC2:TRAP_HANDLER: 0
; COMPUTE_PGM_RSRC2:TGID_X_EN: 1
; COMPUTE_PGM_RSRC2:TGID_Y_EN: 1
; COMPUTE_PGM_RSRC2:TGID_Z_EN: 1
; COMPUTE_PGM_RSRC2:TIDIG_COMP_CNT: 1
; COMPUTE_PGM_RSRC3_GFX90A:ACCUM_OFFSET: 6
; COMPUTE_PGM_RSRC3_GFX90A:TG_SPLIT: 0
	.section	.text._ZL40rocblas_trsm_block_backward_substitutionI19rocblas_complex_numIdES1_PKPKS1_PKPS1_Lb0ELb0ELb0EEv18rocblas_operation_llT0_T1_lllT2_lllib,"axG",@progbits,_ZL40rocblas_trsm_block_backward_substitutionI19rocblas_complex_numIdES1_PKPKS1_PKPS1_Lb0ELb0ELb0EEv18rocblas_operation_llT0_T1_lllT2_lllib,comdat
	.globl	_ZL40rocblas_trsm_block_backward_substitutionI19rocblas_complex_numIdES1_PKPKS1_PKPS1_Lb0ELb0ELb0EEv18rocblas_operation_llT0_T1_lllT2_lllib ; -- Begin function _ZL40rocblas_trsm_block_backward_substitutionI19rocblas_complex_numIdES1_PKPKS1_PKPS1_Lb0ELb0ELb0EEv18rocblas_operation_llT0_T1_lllT2_lllib
	.p2align	8
	.type	_ZL40rocblas_trsm_block_backward_substitutionI19rocblas_complex_numIdES1_PKPKS1_PKPS1_Lb0ELb0ELb0EEv18rocblas_operation_llT0_T1_lllT2_lllib,@function
_ZL40rocblas_trsm_block_backward_substitutionI19rocblas_complex_numIdES1_PKPKS1_PKPS1_Lb0ELb0ELb0EEv18rocblas_operation_llT0_T1_lllT2_lllib: ; @_ZL40rocblas_trsm_block_backward_substitutionI19rocblas_complex_numIdES1_PKPKS1_PKPS1_Lb0ELb0ELb0EEv18rocblas_operation_llT0_T1_lllT2_lllib
; %bb.0:
	s_load_dword s2, s[0:1], 0x6c
	s_load_dwordx4 s[24:27], s[0:1], 0x28
	s_load_dwordx2 s[34:35], s[0:1], 0x38
	s_load_dword s28, s[0:1], 0x7c
	s_mov_b32 s5, 0
	s_waitcnt lgkmcnt(0)
	s_bitcmp1_b32 s2, 0
	s_cselect_b64 s[6:7], -1, 0
	s_xor_b64 s[20:21], s[6:7], -1
	s_lshl_b64 s[4:5], s[4:5], 3
	s_add_u32 s6, s24, s4
	s_addc_u32 s7, s25, s5
	s_load_dwordx2 s[24:25], s[6:7], 0x0
	s_load_dwordx2 s[22:23], s[0:1], 0x58
	s_load_dwordx4 s[16:19], s[0:1], 0x48
	s_load_dwordx8 s[8:15], s[0:1], 0x8
	s_lshl_b64 s[6:7], s[26:27], 4
	s_waitcnt lgkmcnt(0)
	s_add_u32 s6, s24, s6
	s_addc_u32 s7, s25, s7
	s_add_u32 s4, s16, s4
	s_addc_u32 s5, s17, s5
	s_load_dwordx2 s[24:25], s[4:5], 0x0
	s_add_u32 s26, s0, 0x70
	v_and_b32_e32 v8, 0x3ff, v0
	v_bfe_u32 v16, v0, 10, 10
	s_addc_u32 s27, s1, 0
	s_lshr_b32 s2, s28, 16
	s_mov_b64 s[4:5], 1
	s_and_b64 vcc, exec, s[20:21]
	s_cbranch_vccnz .LBB242_15
; %bb.1:
	s_lshl_b32 s4, s2, 4
	s_add_i32 s28, s4, 0
	v_cmp_lt_i64_e64 s[4:5], s[8:9], 1
	s_mov_b64 s[16:17], 1
	s_and_b64 vcc, exec, s[4:5]
	s_cbranch_vccnz .LBB242_16
; %bb.2:
	v_mad_u64_u32 v[2:3], s[36:37], s34, v8, 0
	v_mov_b32_e32 v4, v3
	v_mad_u64_u32 v[4:5], s[34:35], s35, v8, v[4:5]
	v_mov_b32_e32 v9, 0
	v_mov_b32_e32 v3, v4
	v_lshlrev_b32_e32 v0, 4, v8
	v_cmp_le_u64_e64 s[30:31], s[8:9], v[8:9]
	v_lshl_add_u64 v[4:5], v[2:3], 4, s[6:7]
	v_mov_b32_e32 v1, v9
	v_add_u32_e32 v17, s28, v0
	v_cmp_gt_u64_e64 s[4:5], s[8:9], v[8:9]
	v_lshl_add_u64 v[6:7], v[4:5], 0, v[0:1]
	s_xor_b64 s[34:35], s[30:31], -1
	s_mov_b32 s29, s2
	v_mov_b32_e32 v10, v16
	s_branch .LBB242_5
.LBB242_3:                              ;   in Loop: Header=BB242_5 Depth=1
	s_or_b64 exec, exec, s[36:37]
	s_load_dword s33, s[26:27], 0xc
	s_waitcnt lgkmcnt(0)
	s_and_b32 s33, s33, 0xffff
	v_mul_u32_u24_e32 v0, s33, v8
	v_lshl_add_u32 v0, v0, 4, v17
	ds_write2_b64 v0, v[12:13], v[14:15] offset1:1
.LBB242_4:                              ;   in Loop: Header=BB242_5 Depth=1
	s_or_b64 exec, exec, s[6:7]
	s_ashr_i32 s6, s29, 31
	v_mov_b32_e32 v0, s29
	v_mov_b32_e32 v1, s6
	v_cmp_le_i64_e32 vcc, s[8:9], v[0:1]
	v_add_u32_e32 v10, s2, v10
	s_add_i32 s29, s29, s2
	s_cbranch_vccnz .LBB242_16
.LBB242_5:                              ; =>This Inner Loop Header: Depth=1
	s_mov_b64 s[38:39], s[30:31]
	s_and_saveexec_b64 s[36:37], s[4:5]
	s_cbranch_execz .LBB242_9
; %bb.6:                                ;   in Loop: Header=BB242_5 Depth=1
	v_ashrrev_i32_e32 v11, 31, v10
	v_cmp_gt_i64_e32 vcc, s[8:9], v[10:11]
	v_cmp_lt_i32_e64 s[6:7], v8, v10
	s_and_b64 s[40:41], s[6:7], vcc
	s_mov_b64 s[38:39], -1
	s_and_saveexec_b64 s[6:7], s[40:41]
	s_cbranch_execz .LBB242_8
; %bb.7:                                ;   in Loop: Header=BB242_5 Depth=1
	v_lshl_add_u64 v[0:1], v[10:11], 4, v[4:5]
	flat_load_dwordx4 v[0:3], v[0:1]
	s_load_dword s33, s[26:27], 0xc
	s_xor_b64 s[38:39], exec, -1
	s_waitcnt lgkmcnt(0)
	s_and_b32 s33, s33, 0xffff
	v_mul_lo_u32 v9, v10, s33
	v_lshl_add_u32 v9, v9, 4, v17
	s_waitcnt vmcnt(0)
	ds_write2_b64 v9, v[0:1], v[2:3] offset1:1
.LBB242_8:                              ;   in Loop: Header=BB242_5 Depth=1
	s_or_b64 exec, exec, s[6:7]
	s_andn2_b64 s[6:7], s[30:31], exec
	s_and_b64 s[38:39], s[38:39], exec
	s_or_b64 s[38:39], s[6:7], s[38:39]
.LBB242_9:                              ;   in Loop: Header=BB242_5 Depth=1
	s_or_b64 exec, exec, s[36:37]
	s_and_saveexec_b64 s[6:7], s[38:39]
	s_cbranch_execz .LBB242_4
; %bb.10:                               ;   in Loop: Header=BB242_5 Depth=1
	v_cmp_eq_u32_e32 vcc, v8, v10
	s_and_b64 s[36:37], s[34:35], vcc
	s_and_b64 exec, exec, s[36:37]
	s_cbranch_execz .LBB242_4
; %bb.11:                               ;   in Loop: Header=BB242_5 Depth=1
	flat_load_dwordx4 v[0:3], v[6:7]
                                        ; implicit-def: $vgpr12_vgpr13
	s_waitcnt vmcnt(0) lgkmcnt(0)
	v_cmp_ngt_f64_e64 s[36:37], |v[0:1]|, |v[2:3]|
	s_and_saveexec_b64 s[38:39], s[36:37]
	s_xor_b64 s[36:37], exec, s[38:39]
                                        ; implicit-def: $vgpr14_vgpr15
	s_cbranch_execz .LBB242_13
; %bb.12:                               ;   in Loop: Header=BB242_5 Depth=1
	v_div_scale_f64 v[12:13], s[38:39], v[2:3], v[2:3], v[0:1]
	v_rcp_f64_e32 v[14:15], v[12:13]
	v_div_scale_f64 v[18:19], vcc, v[0:1], v[2:3], v[0:1]
	v_fma_f64 v[20:21], -v[12:13], v[14:15], 1.0
	v_fmac_f64_e32 v[14:15], v[14:15], v[20:21]
	v_fma_f64 v[20:21], -v[12:13], v[14:15], 1.0
	v_fmac_f64_e32 v[14:15], v[14:15], v[20:21]
	v_mul_f64 v[20:21], v[18:19], v[14:15]
	v_fma_f64 v[12:13], -v[12:13], v[20:21], v[18:19]
	v_div_fmas_f64 v[12:13], v[12:13], v[14:15], v[20:21]
	v_div_fixup_f64 v[12:13], v[12:13], v[2:3], v[0:1]
	v_fmac_f64_e32 v[2:3], v[0:1], v[12:13]
	v_div_scale_f64 v[0:1], s[38:39], v[2:3], v[2:3], 1.0
	v_rcp_f64_e32 v[14:15], v[0:1]
	s_nop 0
	v_fma_f64 v[18:19], -v[0:1], v[14:15], 1.0
	v_fmac_f64_e32 v[14:15], v[14:15], v[18:19]
	v_fma_f64 v[18:19], -v[0:1], v[14:15], 1.0
	v_fmac_f64_e32 v[14:15], v[14:15], v[18:19]
	v_div_scale_f64 v[18:19], vcc, 1.0, v[2:3], 1.0
	v_mul_f64 v[20:21], v[18:19], v[14:15]
	v_fma_f64 v[0:1], -v[0:1], v[20:21], v[18:19]
	s_nop 1
	v_div_fmas_f64 v[0:1], v[0:1], v[14:15], v[20:21]
	v_div_fixup_f64 v[14:15], v[0:1], v[2:3], 1.0
	v_mul_f64 v[12:13], v[12:13], v[14:15]
	v_xor_b32_e32 v15, 0x80000000, v15
                                        ; implicit-def: $vgpr0_vgpr1
.LBB242_13:                             ;   in Loop: Header=BB242_5 Depth=1
	s_andn2_saveexec_b64 s[36:37], s[36:37]
	s_cbranch_execz .LBB242_3
; %bb.14:                               ;   in Loop: Header=BB242_5 Depth=1
	v_div_scale_f64 v[12:13], s[38:39], v[0:1], v[0:1], v[2:3]
	v_rcp_f64_e32 v[14:15], v[12:13]
	v_div_scale_f64 v[18:19], vcc, v[2:3], v[0:1], v[2:3]
	v_fma_f64 v[20:21], -v[12:13], v[14:15], 1.0
	v_fmac_f64_e32 v[14:15], v[14:15], v[20:21]
	v_fma_f64 v[20:21], -v[12:13], v[14:15], 1.0
	v_fmac_f64_e32 v[14:15], v[14:15], v[20:21]
	v_mul_f64 v[20:21], v[18:19], v[14:15]
	v_fma_f64 v[12:13], -v[12:13], v[20:21], v[18:19]
	v_div_fmas_f64 v[12:13], v[12:13], v[14:15], v[20:21]
	v_div_fixup_f64 v[14:15], v[12:13], v[0:1], v[2:3]
	v_fmac_f64_e32 v[0:1], v[2:3], v[14:15]
	v_div_scale_f64 v[2:3], s[38:39], v[0:1], v[0:1], 1.0
	v_rcp_f64_e32 v[12:13], v[2:3]
	s_nop 0
	v_fma_f64 v[18:19], -v[2:3], v[12:13], 1.0
	v_fmac_f64_e32 v[12:13], v[12:13], v[18:19]
	v_fma_f64 v[18:19], -v[2:3], v[12:13], 1.0
	v_fmac_f64_e32 v[12:13], v[12:13], v[18:19]
	v_div_scale_f64 v[18:19], vcc, 1.0, v[0:1], 1.0
	v_mul_f64 v[20:21], v[18:19], v[12:13]
	v_fma_f64 v[2:3], -v[2:3], v[20:21], v[18:19]
	s_nop 1
	v_div_fmas_f64 v[2:3], v[2:3], v[12:13], v[20:21]
	v_div_fixup_f64 v[12:13], v[2:3], v[0:1], 1.0
	v_mul_f64 v[14:15], v[14:15], -v[12:13]
	s_branch .LBB242_3
.LBB242_15:
	s_mov_b64 s[16:17], s[34:35]
	s_branch .LBB242_17
.LBB242_16:
	s_load_dword s4, s[26:27], 0xc
	s_mov_b64 s[6:7], src_shared_base
	s_mov_b32 s29, s7
	s_mov_b32 s5, 0
	s_mov_b64 s[6:7], s[28:29]
	s_waitcnt lgkmcnt(0)
	s_and_b32 s4, s4, 0xffff
.LBB242_17:
	s_mul_i32 s3, s3, s2
	v_add_u32_e32 v0, s3, v16
	v_mov_b32_e32 v1, 0
	v_cmp_gt_i64_e32 vcc, s[10:11], v[0:1]
	s_and_saveexec_b64 s[2:3], vcc
	s_cbranch_execz .LBB242_42
; %bb.18:
	v_mov_b32_e32 v9, v1
	v_cmp_gt_i64_e32 vcc, s[8:9], v[8:9]
	s_and_b64 exec, exec, vcc
	s_cbranch_execz .LBB242_42
; %bb.19:
	v_mad_u64_u32 v[2:3], s[10:11], s22, v8, 0
	s_lshl_b64 s[2:3], s[18:19], 4
	v_mov_b32_e32 v4, v3
	s_waitcnt lgkmcnt(0)
	s_add_u32 s2, s24, s2
	v_mad_u64_u32 v[4:5], s[10:11], s23, v8, v[4:5]
	s_addc_u32 s3, s25, s3
	v_mov_b32_e32 v3, v4
	v_lshl_add_u64 v[2:3], v[2:3], 4, s[2:3]
	v_lshl_add_u64 v[10:11], v[0:1], 4, v[2:3]
	flat_load_dwordx4 v[4:7], v[10:11]
	v_cmp_lt_u64_e64 s[2:3], s[8:9], 2
	s_and_b64 vcc, exec, s[2:3]
	s_waitcnt vmcnt(0) lgkmcnt(0)
	v_mul_f64 v[0:1], s[14:15], v[6:7]
	v_mul_f64 v[2:3], s[12:13], v[6:7]
	v_fma_f64 v[0:1], s[12:13], v[4:5], -v[0:1]
	v_fmac_f64_e32 v[2:3], s[14:15], v[4:5]
	s_cbranch_vccnz .LBB242_33
; %bb.20:
	s_load_dword s0, s[0:1], 0x0
	v_lshl_add_u32 v16, v16, 4, 0
	s_waitcnt lgkmcnt(0)
	s_cmpk_eq_i32 s0, 0x71
	s_cselect_b64 s[0:1], -1, 0
	s_add_u32 s2, s4, s16
	v_mad_u64_u32 v[4:5], s[2:3], s2, v8, 0
	s_addc_u32 s10, s5, s17
	v_mov_b32_e32 v6, v5
	v_mad_u64_u32 v[6:7], s[2:3], s10, v8, v[6:7]
	v_mov_b32_e32 v5, v6
	v_lshl_add_u64 v[12:13], v[4:5], 4, s[6:7]
	v_mad_u64_u32 v[4:5], s[2:3], s16, v8, 0
	v_mov_b32_e32 v6, v5
	s_add_u32 s8, s8, -1
	v_mad_u64_u32 v[6:7], s[2:3], s17, v8, v[6:7]
	s_addc_u32 s9, s9, -1
	s_mul_i32 s2, s4, s9
	s_mul_hi_u32 s3, s4, s8
	s_add_i32 s3, s3, s2
	s_mul_i32 s2, s4, s8
	s_lshl_b64 s[2:3], s[2:3], 4
	s_add_u32 s2, s6, s2
	v_mov_b32_e32 v5, v6
	s_addc_u32 s3, s7, s3
	v_lshl_add_u64 v[14:15], v[4:5], 4, s[2:3]
	s_lshl_b32 s2, s4, 4
	s_sub_u32 s10, 0, s2
	v_cndmask_b32_e64 v4, 0, 1, s[20:21]
	s_subb_u32 s11, 0, 0
	v_cmp_ne_u32_e64 s[2:3], 1, v4
.LBB242_21:                             ; =>This Inner Loop Header: Depth=1
	v_cmp_eq_u64_e32 vcc, s[8:9], v[8:9]
	s_barrier
	s_and_saveexec_b64 s[12:13], vcc
	s_cbranch_execz .LBB242_29
; %bb.22:                               ;   in Loop: Header=BB242_21 Depth=1
	flat_load_dwordx4 v[4:7], v[12:13]
	s_and_b64 vcc, exec, s[2:3]
	s_cbranch_vccnz .LBB242_28
; %bb.23:                               ;   in Loop: Header=BB242_21 Depth=1
	s_waitcnt vmcnt(0) lgkmcnt(0)
	v_cmp_ngt_f64_e64 s[14:15], |v[4:5]|, |v[6:7]|
	s_and_saveexec_b64 s[18:19], s[14:15]
	s_xor_b64 s[14:15], exec, s[18:19]
	s_cbranch_execz .LBB242_25
; %bb.24:                               ;   in Loop: Header=BB242_21 Depth=1
	v_div_scale_f64 v[18:19], s[18:19], v[6:7], v[6:7], v[4:5]
	v_rcp_f64_e32 v[20:21], v[18:19]
	v_div_scale_f64 v[22:23], vcc, v[4:5], v[6:7], v[4:5]
	v_fma_f64 v[24:25], -v[18:19], v[20:21], 1.0
	v_fmac_f64_e32 v[20:21], v[20:21], v[24:25]
	v_fma_f64 v[24:25], -v[18:19], v[20:21], 1.0
	v_fmac_f64_e32 v[20:21], v[20:21], v[24:25]
	v_mul_f64 v[24:25], v[22:23], v[20:21]
	v_fma_f64 v[18:19], -v[18:19], v[24:25], v[22:23]
	v_div_fmas_f64 v[18:19], v[18:19], v[20:21], v[24:25]
	v_div_fixup_f64 v[18:19], v[18:19], v[6:7], v[4:5]
	v_fmac_f64_e32 v[6:7], v[4:5], v[18:19]
	v_div_scale_f64 v[4:5], s[18:19], v[6:7], v[6:7], 1.0
	v_rcp_f64_e32 v[20:21], v[4:5]
	s_nop 0
	v_fma_f64 v[22:23], -v[4:5], v[20:21], 1.0
	v_fmac_f64_e32 v[20:21], v[20:21], v[22:23]
	v_fma_f64 v[22:23], -v[4:5], v[20:21], 1.0
	v_fmac_f64_e32 v[20:21], v[20:21], v[22:23]
	v_div_scale_f64 v[22:23], vcc, 1.0, v[6:7], 1.0
	v_mul_f64 v[24:25], v[22:23], v[20:21]
	v_fma_f64 v[4:5], -v[4:5], v[24:25], v[22:23]
	s_nop 1
	v_div_fmas_f64 v[4:5], v[4:5], v[20:21], v[24:25]
	v_div_fixup_f64 v[6:7], v[4:5], v[6:7], 1.0
	v_mul_f64 v[4:5], v[18:19], v[6:7]
	v_xor_b32_e32 v7, 0x80000000, v7
.LBB242_25:                             ;   in Loop: Header=BB242_21 Depth=1
	s_andn2_saveexec_b64 s[14:15], s[14:15]
	s_cbranch_execz .LBB242_27
; %bb.26:                               ;   in Loop: Header=BB242_21 Depth=1
	v_div_scale_f64 v[18:19], s[18:19], v[4:5], v[4:5], v[6:7]
	v_rcp_f64_e32 v[20:21], v[18:19]
	v_div_scale_f64 v[22:23], vcc, v[6:7], v[4:5], v[6:7]
	v_fma_f64 v[24:25], -v[18:19], v[20:21], 1.0
	v_fmac_f64_e32 v[20:21], v[20:21], v[24:25]
	v_fma_f64 v[24:25], -v[18:19], v[20:21], 1.0
	v_fmac_f64_e32 v[20:21], v[20:21], v[24:25]
	v_mul_f64 v[24:25], v[22:23], v[20:21]
	v_fma_f64 v[18:19], -v[18:19], v[24:25], v[22:23]
	v_div_fmas_f64 v[18:19], v[18:19], v[20:21], v[24:25]
	v_div_fixup_f64 v[18:19], v[18:19], v[4:5], v[6:7]
	v_fmac_f64_e32 v[4:5], v[6:7], v[18:19]
	v_div_scale_f64 v[6:7], s[18:19], v[4:5], v[4:5], 1.0
	v_rcp_f64_e32 v[20:21], v[6:7]
	s_nop 0
	v_fma_f64 v[22:23], -v[6:7], v[20:21], 1.0
	v_fmac_f64_e32 v[20:21], v[20:21], v[22:23]
	v_fma_f64 v[22:23], -v[6:7], v[20:21], 1.0
	v_fmac_f64_e32 v[20:21], v[20:21], v[22:23]
	v_div_scale_f64 v[22:23], vcc, 1.0, v[4:5], 1.0
	v_mul_f64 v[24:25], v[22:23], v[20:21]
	v_fma_f64 v[6:7], -v[6:7], v[24:25], v[22:23]
	s_nop 1
	v_div_fmas_f64 v[6:7], v[6:7], v[20:21], v[24:25]
	v_div_fixup_f64 v[4:5], v[6:7], v[4:5], 1.0
	v_mul_f64 v[6:7], v[18:19], -v[4:5]
.LBB242_27:                             ;   in Loop: Header=BB242_21 Depth=1
	s_or_b64 exec, exec, s[14:15]
.LBB242_28:                             ;   in Loop: Header=BB242_21 Depth=1
	s_waitcnt vmcnt(0) lgkmcnt(0)
	v_mul_f64 v[18:19], v[2:3], v[6:7]
	v_fma_f64 v[18:19], v[0:1], v[4:5], -v[18:19]
	v_mul_f64 v[0:1], v[0:1], v[6:7]
	v_fmac_f64_e32 v[0:1], v[2:3], v[4:5]
	ds_write2_b64 v16, v[18:19], v[0:1] offset1:1
	v_mov_b64_e32 v[2:3], v[0:1]
	v_mov_b64_e32 v[0:1], v[18:19]
.LBB242_29:                             ;   in Loop: Header=BB242_21 Depth=1
	s_or_b64 exec, exec, s[12:13]
	v_cmp_gt_i64_e32 vcc, s[8:9], v[8:9]
	s_waitcnt lgkmcnt(0)
	s_barrier
	s_and_saveexec_b64 s[12:13], vcc
	s_cbranch_execz .LBB242_31
; %bb.30:                               ;   in Loop: Header=BB242_21 Depth=1
	flat_load_dwordx4 v[4:7], v[14:15]
	ds_read2_b64 v[18:21], v16 offset1:1
	s_waitcnt vmcnt(0) lgkmcnt(0)
	v_xor_b32_e32 v17, 0x80000000, v7
	v_cndmask_b32_e64 v7, v7, v17, s[0:1]
	v_mul_f64 v[22:23], v[4:5], v[20:21]
	v_mul_f64 v[20:21], v[6:7], v[20:21]
	v_fmac_f64_e32 v[22:23], v[6:7], v[18:19]
	v_fma_f64 v[4:5], v[4:5], v[18:19], -v[20:21]
	v_add_f64 v[0:1], v[0:1], -v[4:5]
	v_add_f64 v[2:3], v[2:3], -v[22:23]
.LBB242_31:                             ;   in Loop: Header=BB242_21 Depth=1
	s_or_b64 exec, exec, s[12:13]
	s_add_u32 s12, s8, -1
	s_addc_u32 s13, s9, -1
	s_add_u32 s8, s8, 1
	s_addc_u32 s9, s9, 0
	v_cmp_lt_u64_e64 s[8:9], s[8:9], 3
	v_lshl_add_u64 v[14:15], v[14:15], 0, s[10:11]
	s_and_b64 vcc, exec, s[8:9]
	s_cbranch_vccnz .LBB242_33
; %bb.32:                               ;   in Loop: Header=BB242_21 Depth=1
	s_mov_b64 s[8:9], s[12:13]
	s_branch .LBB242_21
.LBB242_33:
	v_cmp_eq_u32_e32 vcc, 0, v8
	s_and_saveexec_b64 s[0:1], vcc
	s_cbranch_execz .LBB242_41
; %bb.34:
	s_add_u32 s2, s4, s16
	v_mad_u64_u32 v[4:5], s[2:3], s2, v8, 0
	s_addc_u32 s4, s5, s17
	v_mov_b32_e32 v6, v5
	v_mad_u64_u32 v[6:7], s[2:3], s4, v8, v[6:7]
	v_mov_b32_e32 v5, v6
	v_lshl_add_u64 v[4:5], v[4:5], 4, s[6:7]
	flat_load_dwordx4 v[4:7], v[4:5]
	s_andn2_b64 vcc, exec, s[20:21]
	s_cbranch_vccnz .LBB242_40
; %bb.35:
	s_waitcnt vmcnt(0) lgkmcnt(0)
	v_cmp_ngt_f64_e64 s[2:3], |v[4:5]|, |v[6:7]|
	s_and_saveexec_b64 s[4:5], s[2:3]
	s_xor_b64 s[2:3], exec, s[4:5]
	s_cbranch_execz .LBB242_37
; %bb.36:
	v_div_scale_f64 v[8:9], s[4:5], v[6:7], v[6:7], v[4:5]
	v_rcp_f64_e32 v[12:13], v[8:9]
	v_div_scale_f64 v[14:15], vcc, v[4:5], v[6:7], v[4:5]
	v_fma_f64 v[16:17], -v[8:9], v[12:13], 1.0
	v_fmac_f64_e32 v[12:13], v[12:13], v[16:17]
	v_fma_f64 v[16:17], -v[8:9], v[12:13], 1.0
	v_fmac_f64_e32 v[12:13], v[12:13], v[16:17]
	v_mul_f64 v[16:17], v[14:15], v[12:13]
	v_fma_f64 v[8:9], -v[8:9], v[16:17], v[14:15]
	v_div_fmas_f64 v[8:9], v[8:9], v[12:13], v[16:17]
	v_div_fixup_f64 v[8:9], v[8:9], v[6:7], v[4:5]
	v_fmac_f64_e32 v[6:7], v[4:5], v[8:9]
	v_div_scale_f64 v[4:5], s[4:5], v[6:7], v[6:7], 1.0
	v_rcp_f64_e32 v[12:13], v[4:5]
	s_nop 0
	v_fma_f64 v[14:15], -v[4:5], v[12:13], 1.0
	v_fmac_f64_e32 v[12:13], v[12:13], v[14:15]
	v_fma_f64 v[14:15], -v[4:5], v[12:13], 1.0
	v_fmac_f64_e32 v[12:13], v[12:13], v[14:15]
	v_div_scale_f64 v[14:15], vcc, 1.0, v[6:7], 1.0
	v_mul_f64 v[16:17], v[14:15], v[12:13]
	v_fma_f64 v[4:5], -v[4:5], v[16:17], v[14:15]
	s_nop 1
	v_div_fmas_f64 v[4:5], v[4:5], v[12:13], v[16:17]
	v_div_fixup_f64 v[6:7], v[4:5], v[6:7], 1.0
	v_mul_f64 v[4:5], v[8:9], v[6:7]
	v_xor_b32_e32 v7, 0x80000000, v7
.LBB242_37:
	s_andn2_saveexec_b64 s[2:3], s[2:3]
	s_cbranch_execz .LBB242_39
; %bb.38:
	v_div_scale_f64 v[8:9], s[4:5], v[4:5], v[4:5], v[6:7]
	v_rcp_f64_e32 v[12:13], v[8:9]
	v_div_scale_f64 v[14:15], vcc, v[6:7], v[4:5], v[6:7]
	v_fma_f64 v[16:17], -v[8:9], v[12:13], 1.0
	v_fmac_f64_e32 v[12:13], v[12:13], v[16:17]
	v_fma_f64 v[16:17], -v[8:9], v[12:13], 1.0
	v_fmac_f64_e32 v[12:13], v[12:13], v[16:17]
	v_mul_f64 v[16:17], v[14:15], v[12:13]
	v_fma_f64 v[8:9], -v[8:9], v[16:17], v[14:15]
	v_div_fmas_f64 v[8:9], v[8:9], v[12:13], v[16:17]
	v_div_fixup_f64 v[8:9], v[8:9], v[4:5], v[6:7]
	v_fmac_f64_e32 v[4:5], v[6:7], v[8:9]
	v_div_scale_f64 v[6:7], s[4:5], v[4:5], v[4:5], 1.0
	v_rcp_f64_e32 v[12:13], v[6:7]
	s_nop 0
	v_fma_f64 v[14:15], -v[6:7], v[12:13], 1.0
	v_fmac_f64_e32 v[12:13], v[12:13], v[14:15]
	v_fma_f64 v[14:15], -v[6:7], v[12:13], 1.0
	v_fmac_f64_e32 v[12:13], v[12:13], v[14:15]
	v_div_scale_f64 v[14:15], vcc, 1.0, v[4:5], 1.0
	v_mul_f64 v[16:17], v[14:15], v[12:13]
	v_fma_f64 v[6:7], -v[6:7], v[16:17], v[14:15]
	s_nop 1
	v_div_fmas_f64 v[6:7], v[6:7], v[12:13], v[16:17]
	v_div_fixup_f64 v[4:5], v[6:7], v[4:5], 1.0
	v_mul_f64 v[6:7], v[8:9], -v[4:5]
.LBB242_39:
	s_or_b64 exec, exec, s[2:3]
.LBB242_40:
	s_waitcnt vmcnt(0) lgkmcnt(0)
	v_mul_f64 v[8:9], v[2:3], v[6:7]
	v_fma_f64 v[8:9], v[0:1], v[4:5], -v[8:9]
	v_mul_f64 v[2:3], v[2:3], v[4:5]
	v_fmac_f64_e32 v[2:3], v[0:1], v[6:7]
	v_mov_b64_e32 v[0:1], v[8:9]
.LBB242_41:
	s_or_b64 exec, exec, s[0:1]
	flat_store_dwordx4 v[10:11], v[0:3]
.LBB242_42:
	s_endpgm
	.section	.rodata,"a",@progbits
	.p2align	6, 0x0
	.amdhsa_kernel _ZL40rocblas_trsm_block_backward_substitutionI19rocblas_complex_numIdES1_PKPKS1_PKPS1_Lb0ELb0ELb0EEv18rocblas_operation_llT0_T1_lllT2_lllib
		.amdhsa_group_segment_fixed_size 0
		.amdhsa_private_segment_fixed_size 0
		.amdhsa_kernarg_size 368
		.amdhsa_user_sgpr_count 2
		.amdhsa_user_sgpr_dispatch_ptr 0
		.amdhsa_user_sgpr_queue_ptr 0
		.amdhsa_user_sgpr_kernarg_segment_ptr 1
		.amdhsa_user_sgpr_dispatch_id 0
		.amdhsa_user_sgpr_kernarg_preload_length 0
		.amdhsa_user_sgpr_kernarg_preload_offset 0
		.amdhsa_user_sgpr_private_segment_size 0
		.amdhsa_uses_dynamic_stack 0
		.amdhsa_enable_private_segment 0
		.amdhsa_system_sgpr_workgroup_id_x 1
		.amdhsa_system_sgpr_workgroup_id_y 1
		.amdhsa_system_sgpr_workgroup_id_z 1
		.amdhsa_system_sgpr_workgroup_info 0
		.amdhsa_system_vgpr_workitem_id 1
		.amdhsa_next_free_vgpr 26
		.amdhsa_next_free_sgpr 42
		.amdhsa_accum_offset 28
		.amdhsa_reserve_vcc 1
		.amdhsa_float_round_mode_32 0
		.amdhsa_float_round_mode_16_64 0
		.amdhsa_float_denorm_mode_32 3
		.amdhsa_float_denorm_mode_16_64 3
		.amdhsa_dx10_clamp 1
		.amdhsa_ieee_mode 1
		.amdhsa_fp16_overflow 0
		.amdhsa_tg_split 0
		.amdhsa_exception_fp_ieee_invalid_op 0
		.amdhsa_exception_fp_denorm_src 0
		.amdhsa_exception_fp_ieee_div_zero 0
		.amdhsa_exception_fp_ieee_overflow 0
		.amdhsa_exception_fp_ieee_underflow 0
		.amdhsa_exception_fp_ieee_inexact 0
		.amdhsa_exception_int_div_zero 0
	.end_amdhsa_kernel
	.section	.text._ZL40rocblas_trsm_block_backward_substitutionI19rocblas_complex_numIdES1_PKPKS1_PKPS1_Lb0ELb0ELb0EEv18rocblas_operation_llT0_T1_lllT2_lllib,"axG",@progbits,_ZL40rocblas_trsm_block_backward_substitutionI19rocblas_complex_numIdES1_PKPKS1_PKPS1_Lb0ELb0ELb0EEv18rocblas_operation_llT0_T1_lllT2_lllib,comdat
.Lfunc_end242:
	.size	_ZL40rocblas_trsm_block_backward_substitutionI19rocblas_complex_numIdES1_PKPKS1_PKPS1_Lb0ELb0ELb0EEv18rocblas_operation_llT0_T1_lllT2_lllib, .Lfunc_end242-_ZL40rocblas_trsm_block_backward_substitutionI19rocblas_complex_numIdES1_PKPKS1_PKPS1_Lb0ELb0ELb0EEv18rocblas_operation_llT0_T1_lllT2_lllib
                                        ; -- End function
	.set _ZL40rocblas_trsm_block_backward_substitutionI19rocblas_complex_numIdES1_PKPKS1_PKPS1_Lb0ELb0ELb0EEv18rocblas_operation_llT0_T1_lllT2_lllib.num_vgpr, 26
	.set _ZL40rocblas_trsm_block_backward_substitutionI19rocblas_complex_numIdES1_PKPKS1_PKPS1_Lb0ELb0ELb0EEv18rocblas_operation_llT0_T1_lllT2_lllib.num_agpr, 0
	.set _ZL40rocblas_trsm_block_backward_substitutionI19rocblas_complex_numIdES1_PKPKS1_PKPS1_Lb0ELb0ELb0EEv18rocblas_operation_llT0_T1_lllT2_lllib.numbered_sgpr, 42
	.set _ZL40rocblas_trsm_block_backward_substitutionI19rocblas_complex_numIdES1_PKPKS1_PKPS1_Lb0ELb0ELb0EEv18rocblas_operation_llT0_T1_lllT2_lllib.num_named_barrier, 0
	.set _ZL40rocblas_trsm_block_backward_substitutionI19rocblas_complex_numIdES1_PKPKS1_PKPS1_Lb0ELb0ELb0EEv18rocblas_operation_llT0_T1_lllT2_lllib.private_seg_size, 0
	.set _ZL40rocblas_trsm_block_backward_substitutionI19rocblas_complex_numIdES1_PKPKS1_PKPS1_Lb0ELb0ELb0EEv18rocblas_operation_llT0_T1_lllT2_lllib.uses_vcc, 1
	.set _ZL40rocblas_trsm_block_backward_substitutionI19rocblas_complex_numIdES1_PKPKS1_PKPS1_Lb0ELb0ELb0EEv18rocblas_operation_llT0_T1_lllT2_lllib.uses_flat_scratch, 0
	.set _ZL40rocblas_trsm_block_backward_substitutionI19rocblas_complex_numIdES1_PKPKS1_PKPS1_Lb0ELb0ELb0EEv18rocblas_operation_llT0_T1_lllT2_lllib.has_dyn_sized_stack, 0
	.set _ZL40rocblas_trsm_block_backward_substitutionI19rocblas_complex_numIdES1_PKPKS1_PKPS1_Lb0ELb0ELb0EEv18rocblas_operation_llT0_T1_lllT2_lllib.has_recursion, 0
	.set _ZL40rocblas_trsm_block_backward_substitutionI19rocblas_complex_numIdES1_PKPKS1_PKPS1_Lb0ELb0ELb0EEv18rocblas_operation_llT0_T1_lllT2_lllib.has_indirect_call, 0
	.section	.AMDGPU.csdata,"",@progbits
; Kernel info:
; codeLenInByte = 2408
; TotalNumSgprs: 48
; NumVgprs: 26
; NumAgprs: 0
; TotalNumVgprs: 26
; ScratchSize: 0
; MemoryBound: 1
; FloatMode: 240
; IeeeMode: 1
; LDSByteSize: 0 bytes/workgroup (compile time only)
; SGPRBlocks: 5
; VGPRBlocks: 3
; NumSGPRsForWavesPerEU: 48
; NumVGPRsForWavesPerEU: 26
; AccumOffset: 28
; Occupancy: 8
; WaveLimiterHint : 1
; COMPUTE_PGM_RSRC2:SCRATCH_EN: 0
; COMPUTE_PGM_RSRC2:USER_SGPR: 2
; COMPUTE_PGM_RSRC2:TRAP_HANDLER: 0
; COMPUTE_PGM_RSRC2:TGID_X_EN: 1
; COMPUTE_PGM_RSRC2:TGID_Y_EN: 1
; COMPUTE_PGM_RSRC2:TGID_Z_EN: 1
; COMPUTE_PGM_RSRC2:TIDIG_COMP_CNT: 1
; COMPUTE_PGM_RSRC3_GFX90A:ACCUM_OFFSET: 6
; COMPUTE_PGM_RSRC3_GFX90A:TG_SPLIT: 0
	.section	.text._ZL39rocblas_trsm_block_forward_substitutionI19rocblas_complex_numIdES1_PKPKS1_PKPS1_Lb0ELb0ELb1EEv18rocblas_operation_llT0_T1_lllT2_lllib,"axG",@progbits,_ZL39rocblas_trsm_block_forward_substitutionI19rocblas_complex_numIdES1_PKPKS1_PKPS1_Lb0ELb0ELb1EEv18rocblas_operation_llT0_T1_lllT2_lllib,comdat
	.globl	_ZL39rocblas_trsm_block_forward_substitutionI19rocblas_complex_numIdES1_PKPKS1_PKPS1_Lb0ELb0ELb1EEv18rocblas_operation_llT0_T1_lllT2_lllib ; -- Begin function _ZL39rocblas_trsm_block_forward_substitutionI19rocblas_complex_numIdES1_PKPKS1_PKPS1_Lb0ELb0ELb1EEv18rocblas_operation_llT0_T1_lllT2_lllib
	.p2align	8
	.type	_ZL39rocblas_trsm_block_forward_substitutionI19rocblas_complex_numIdES1_PKPKS1_PKPS1_Lb0ELb0ELb1EEv18rocblas_operation_llT0_T1_lllT2_lllib,@function
_ZL39rocblas_trsm_block_forward_substitutionI19rocblas_complex_numIdES1_PKPKS1_PKPS1_Lb0ELb0ELb1EEv18rocblas_operation_llT0_T1_lllT2_lllib: ; @_ZL39rocblas_trsm_block_forward_substitutionI19rocblas_complex_numIdES1_PKPKS1_PKPS1_Lb0ELb0ELb1EEv18rocblas_operation_llT0_T1_lllT2_lllib
; %bb.0:
	s_load_dwordx4 s[20:23], s[0:1], 0x28
	s_load_dwordx2 s[16:17], s[0:1], 0x38
	s_mov_b32 s5, 0
	s_lshl_b64 s[24:25], s[4:5], 3
	v_and_b32_e32 v4, 0x3ff, v0
	s_waitcnt lgkmcnt(0)
	s_add_u32 s20, s20, s24
	s_addc_u32 s21, s21, s25
	s_load_dwordx2 s[26:27], s[20:21], 0x0
	s_load_dwordx2 s[18:19], s[0:1], 0x58
	s_load_dwordx4 s[4:7], s[0:1], 0x48
	s_load_dwordx8 s[8:15], s[0:1], 0x8
	s_lshl_b64 s[20:21], s[22:23], 4
	s_waitcnt lgkmcnt(0)
	s_add_u32 s22, s26, s20
	s_addc_u32 s23, s27, s21
	s_add_u32 s4, s4, s24
	s_addc_u32 s5, s5, s25
	s_load_dword s26, s[0:1], 0x6c
	s_load_dword s2, s[0:1], 0x7c
	s_load_dwordx2 s[20:21], s[4:5], 0x0
	s_add_u32 s24, s0, 0x70
	s_addc_u32 s25, s1, 0
	v_bfe_u32 v10, v0, 10, 10
	s_waitcnt lgkmcnt(0)
	s_lshr_b32 s2, s2, 16
	s_bitcmp0_b32 s26, 0
	s_cbranch_scc1 .LBB243_7
; %bb.1:
	s_lshl_b32 s4, s2, 4
	s_add_i32 s26, s4, 0
	v_cmp_lt_i64_e64 s[4:5], s[8:9], 1
	s_and_b64 vcc, exec, s[4:5]
	s_cbranch_vccnz .LBB243_6
; %bb.2:
	v_mov_b32_e32 v5, 0
	v_lshlrev_b32_e32 v0, 4, v4
	v_mov_b32_e32 v1, v5
	v_add_u32_e32 v2, s26, v0
	v_cmp_gt_u64_e64 s[4:5], s[8:9], v[4:5]
	v_lshl_add_u64 v[0:1], s[22:23], 0, v[0:1]
	s_mov_b32 s27, 0
	s_branch .LBB243_4
.LBB243_3:                              ;   in Loop: Header=BB243_4 Depth=1
	s_or_b64 exec, exec, s[22:23]
	s_add_i32 s27, s27, s2
	s_ashr_i32 s22, s27, 31
	v_mov_b32_e32 v6, s27
	v_mov_b32_e32 v7, s22
	v_cmp_le_i64_e32 vcc, s[8:9], v[6:7]
	s_cbranch_vccnz .LBB243_6
.LBB243_4:                              ; =>This Inner Loop Header: Depth=1
	v_add_u32_e32 v3, s27, v10
	v_cmp_gt_i32_e32 vcc, v4, v3
	s_and_b64 s[28:29], s[4:5], vcc
	s_and_saveexec_b64 s[22:23], s[28:29]
	s_cbranch_execz .LBB243_3
; %bb.5:                                ;   in Loop: Header=BB243_4 Depth=1
	v_ashrrev_i32_e32 v5, 31, v3
	v_mul_lo_u32 v8, s17, v3
	v_mul_lo_u32 v5, s16, v5
	v_mad_u64_u32 v[6:7], s[28:29], s16, v3, 0
	v_add3_u32 v7, v7, v5, v8
	v_lshl_add_u64 v[6:7], v[6:7], 4, v[0:1]
	flat_load_dwordx4 v[6:9], v[6:7]
	s_load_dword s28, s[24:25], 0xc
	s_waitcnt lgkmcnt(0)
	s_and_b32 s28, s28, 0xffff
	v_mul_lo_u32 v3, v3, s28
	v_lshl_add_u32 v3, v3, 4, v2
	s_waitcnt vmcnt(0)
	ds_write2_b64 v3, v[6:7], v[8:9] offset1:1
	s_branch .LBB243_3
.LBB243_6:
	s_mov_b64 s[4:5], src_shared_base
	s_load_dword s4, s[24:25], 0xc
	s_mov_b32 s27, s5
	s_mov_b32 s17, 0
	s_mov_b64 s[22:23], s[26:27]
	s_waitcnt lgkmcnt(0)
	s_and_b32 s16, s4, 0xffff
.LBB243_7:
	s_mul_i32 s3, s3, s2
	v_add_u32_e32 v0, s3, v10
	v_mov_b32_e32 v1, 0
	v_cmp_gt_i64_e32 vcc, s[10:11], v[0:1]
	s_and_saveexec_b64 s[2:3], vcc
	s_cbranch_execz .LBB243_17
; %bb.8:
	v_mov_b32_e32 v5, v1
	v_cmp_gt_i64_e32 vcc, s[8:9], v[4:5]
	s_and_b64 exec, exec, vcc
	s_cbranch_execz .LBB243_17
; %bb.9:
	v_mad_u64_u32 v[2:3], s[4:5], s18, v0, 0
	s_lshl_b64 s[2:3], s[6:7], 4
	v_mov_b32_e32 v6, v3
	s_add_u32 s2, s20, s2
	v_mad_u64_u32 v[0:1], s[4:5], s19, v0, v[6:7]
	s_addc_u32 s3, s21, s3
	v_mov_b32_e32 v3, v0
	v_lshl_add_u64 v[0:1], v[2:3], 4, s[2:3]
	v_lshlrev_b32_e32 v8, 4, v4
	v_mov_b32_e32 v9, 0
	v_lshl_add_u64 v[6:7], v[0:1], 0, v[8:9]
	flat_load_dwordx4 v[12:15], v[6:7]
	v_cmp_lt_u64_e64 s[2:3], s[8:9], 2
	s_and_b64 vcc, exec, s[2:3]
	s_waitcnt vmcnt(0) lgkmcnt(0)
	v_mul_f64 v[0:1], s[14:15], v[14:15]
	v_mul_f64 v[2:3], s[12:13], v[14:15]
	v_fma_f64 v[0:1], s[12:13], v[12:13], -v[0:1]
	v_fmac_f64_e32 v[2:3], s[14:15], v[12:13]
	s_cbranch_vccnz .LBB243_16
; %bb.10:
	s_load_dword s0, s[0:1], 0x0
	v_lshl_add_u64 v[8:9], s[22:23], 0, v[8:9]
	v_lshl_add_u32 v10, v10, 4, 0
	s_mov_b64 s[6:7], 0
	s_waitcnt lgkmcnt(0)
	s_cmpk_eq_i32 s0, 0x71
	s_cselect_b64 vcc, -1, 0
	s_add_u32 s2, s8, -1
	s_addc_u32 s3, s9, -1
	s_lshl_b64 s[4:5], s[16:17], 4
	s_branch .LBB243_12
.LBB243_11:                             ;   in Loop: Header=BB243_12 Depth=1
	s_or_b64 exec, exec, s[8:9]
	s_add_u32 s6, s6, 1
	s_addc_u32 s7, s7, 0
	s_cmp_eq_u64 s[2:3], s[6:7]
	v_lshl_add_u64 v[8:9], v[8:9], 0, s[4:5]
	s_cbranch_scc1 .LBB243_16
.LBB243_12:                             ; =>This Inner Loop Header: Depth=1
	v_cmp_eq_u64_e64 s[0:1], s[6:7], v[4:5]
	s_barrier
	s_and_saveexec_b64 s[8:9], s[0:1]
; %bb.13:                               ;   in Loop: Header=BB243_12 Depth=1
	ds_write2_b64 v10, v[0:1], v[2:3] offset1:1
; %bb.14:                               ;   in Loop: Header=BB243_12 Depth=1
	s_or_b64 exec, exec, s[8:9]
	v_cmp_lt_u64_e64 s[0:1], s[6:7], v[4:5]
	s_waitcnt lgkmcnt(0)
	s_barrier
	s_and_saveexec_b64 s[8:9], s[0:1]
	s_cbranch_execz .LBB243_11
; %bb.15:                               ;   in Loop: Header=BB243_12 Depth=1
	flat_load_dwordx4 v[12:15], v[8:9]
	ds_read2_b64 v[16:19], v10 offset1:1
	s_waitcnt vmcnt(0) lgkmcnt(0)
	v_xor_b32_e32 v11, 0x80000000, v15
	v_cndmask_b32_e32 v15, v15, v11, vcc
	v_mul_f64 v[20:21], v[12:13], v[18:19]
	v_mul_f64 v[18:19], v[14:15], v[18:19]
	v_fmac_f64_e32 v[20:21], v[14:15], v[16:17]
	v_fma_f64 v[12:13], v[12:13], v[16:17], -v[18:19]
	v_add_f64 v[0:1], v[0:1], -v[12:13]
	v_add_f64 v[2:3], v[2:3], -v[20:21]
	s_branch .LBB243_11
.LBB243_16:
	flat_store_dwordx4 v[6:7], v[0:3]
.LBB243_17:
	s_endpgm
	.section	.rodata,"a",@progbits
	.p2align	6, 0x0
	.amdhsa_kernel _ZL39rocblas_trsm_block_forward_substitutionI19rocblas_complex_numIdES1_PKPKS1_PKPS1_Lb0ELb0ELb1EEv18rocblas_operation_llT0_T1_lllT2_lllib
		.amdhsa_group_segment_fixed_size 0
		.amdhsa_private_segment_fixed_size 0
		.amdhsa_kernarg_size 368
		.amdhsa_user_sgpr_count 2
		.amdhsa_user_sgpr_dispatch_ptr 0
		.amdhsa_user_sgpr_queue_ptr 0
		.amdhsa_user_sgpr_kernarg_segment_ptr 1
		.amdhsa_user_sgpr_dispatch_id 0
		.amdhsa_user_sgpr_kernarg_preload_length 0
		.amdhsa_user_sgpr_kernarg_preload_offset 0
		.amdhsa_user_sgpr_private_segment_size 0
		.amdhsa_uses_dynamic_stack 0
		.amdhsa_enable_private_segment 0
		.amdhsa_system_sgpr_workgroup_id_x 1
		.amdhsa_system_sgpr_workgroup_id_y 1
		.amdhsa_system_sgpr_workgroup_id_z 1
		.amdhsa_system_sgpr_workgroup_info 0
		.amdhsa_system_vgpr_workitem_id 1
		.amdhsa_next_free_vgpr 22
		.amdhsa_next_free_sgpr 30
		.amdhsa_accum_offset 24
		.amdhsa_reserve_vcc 1
		.amdhsa_float_round_mode_32 0
		.amdhsa_float_round_mode_16_64 0
		.amdhsa_float_denorm_mode_32 3
		.amdhsa_float_denorm_mode_16_64 3
		.amdhsa_dx10_clamp 1
		.amdhsa_ieee_mode 1
		.amdhsa_fp16_overflow 0
		.amdhsa_tg_split 0
		.amdhsa_exception_fp_ieee_invalid_op 0
		.amdhsa_exception_fp_denorm_src 0
		.amdhsa_exception_fp_ieee_div_zero 0
		.amdhsa_exception_fp_ieee_overflow 0
		.amdhsa_exception_fp_ieee_underflow 0
		.amdhsa_exception_fp_ieee_inexact 0
		.amdhsa_exception_int_div_zero 0
	.end_amdhsa_kernel
	.section	.text._ZL39rocblas_trsm_block_forward_substitutionI19rocblas_complex_numIdES1_PKPKS1_PKPS1_Lb0ELb0ELb1EEv18rocblas_operation_llT0_T1_lllT2_lllib,"axG",@progbits,_ZL39rocblas_trsm_block_forward_substitutionI19rocblas_complex_numIdES1_PKPKS1_PKPS1_Lb0ELb0ELb1EEv18rocblas_operation_llT0_T1_lllT2_lllib,comdat
.Lfunc_end243:
	.size	_ZL39rocblas_trsm_block_forward_substitutionI19rocblas_complex_numIdES1_PKPKS1_PKPS1_Lb0ELb0ELb1EEv18rocblas_operation_llT0_T1_lllT2_lllib, .Lfunc_end243-_ZL39rocblas_trsm_block_forward_substitutionI19rocblas_complex_numIdES1_PKPKS1_PKPS1_Lb0ELb0ELb1EEv18rocblas_operation_llT0_T1_lllT2_lllib
                                        ; -- End function
	.set _ZL39rocblas_trsm_block_forward_substitutionI19rocblas_complex_numIdES1_PKPKS1_PKPS1_Lb0ELb0ELb1EEv18rocblas_operation_llT0_T1_lllT2_lllib.num_vgpr, 22
	.set _ZL39rocblas_trsm_block_forward_substitutionI19rocblas_complex_numIdES1_PKPKS1_PKPS1_Lb0ELb0ELb1EEv18rocblas_operation_llT0_T1_lllT2_lllib.num_agpr, 0
	.set _ZL39rocblas_trsm_block_forward_substitutionI19rocblas_complex_numIdES1_PKPKS1_PKPS1_Lb0ELb0ELb1EEv18rocblas_operation_llT0_T1_lllT2_lllib.numbered_sgpr, 30
	.set _ZL39rocblas_trsm_block_forward_substitutionI19rocblas_complex_numIdES1_PKPKS1_PKPS1_Lb0ELb0ELb1EEv18rocblas_operation_llT0_T1_lllT2_lllib.num_named_barrier, 0
	.set _ZL39rocblas_trsm_block_forward_substitutionI19rocblas_complex_numIdES1_PKPKS1_PKPS1_Lb0ELb0ELb1EEv18rocblas_operation_llT0_T1_lllT2_lllib.private_seg_size, 0
	.set _ZL39rocblas_trsm_block_forward_substitutionI19rocblas_complex_numIdES1_PKPKS1_PKPS1_Lb0ELb0ELb1EEv18rocblas_operation_llT0_T1_lllT2_lllib.uses_vcc, 1
	.set _ZL39rocblas_trsm_block_forward_substitutionI19rocblas_complex_numIdES1_PKPKS1_PKPS1_Lb0ELb0ELb1EEv18rocblas_operation_llT0_T1_lllT2_lllib.uses_flat_scratch, 0
	.set _ZL39rocblas_trsm_block_forward_substitutionI19rocblas_complex_numIdES1_PKPKS1_PKPS1_Lb0ELb0ELb1EEv18rocblas_operation_llT0_T1_lllT2_lllib.has_dyn_sized_stack, 0
	.set _ZL39rocblas_trsm_block_forward_substitutionI19rocblas_complex_numIdES1_PKPKS1_PKPS1_Lb0ELb0ELb1EEv18rocblas_operation_llT0_T1_lllT2_lllib.has_recursion, 0
	.set _ZL39rocblas_trsm_block_forward_substitutionI19rocblas_complex_numIdES1_PKPKS1_PKPS1_Lb0ELb0ELb1EEv18rocblas_operation_llT0_T1_lllT2_lllib.has_indirect_call, 0
	.section	.AMDGPU.csdata,"",@progbits
; Kernel info:
; codeLenInByte = 796
; TotalNumSgprs: 36
; NumVgprs: 22
; NumAgprs: 0
; TotalNumVgprs: 22
; ScratchSize: 0
; MemoryBound: 0
; FloatMode: 240
; IeeeMode: 1
; LDSByteSize: 0 bytes/workgroup (compile time only)
; SGPRBlocks: 4
; VGPRBlocks: 2
; NumSGPRsForWavesPerEU: 36
; NumVGPRsForWavesPerEU: 22
; AccumOffset: 24
; Occupancy: 8
; WaveLimiterHint : 1
; COMPUTE_PGM_RSRC2:SCRATCH_EN: 0
; COMPUTE_PGM_RSRC2:USER_SGPR: 2
; COMPUTE_PGM_RSRC2:TRAP_HANDLER: 0
; COMPUTE_PGM_RSRC2:TGID_X_EN: 1
; COMPUTE_PGM_RSRC2:TGID_Y_EN: 1
; COMPUTE_PGM_RSRC2:TGID_Z_EN: 1
; COMPUTE_PGM_RSRC2:TIDIG_COMP_CNT: 1
; COMPUTE_PGM_RSRC3_GFX90A:ACCUM_OFFSET: 5
; COMPUTE_PGM_RSRC3_GFX90A:TG_SPLIT: 0
	.section	.text._ZL40rocblas_trsm_block_backward_substitutionI19rocblas_complex_numIdES1_PKPKS1_PKPS1_Lb0ELb0ELb1EEv18rocblas_operation_llT0_T1_lllT2_lllib,"axG",@progbits,_ZL40rocblas_trsm_block_backward_substitutionI19rocblas_complex_numIdES1_PKPKS1_PKPS1_Lb0ELb0ELb1EEv18rocblas_operation_llT0_T1_lllT2_lllib,comdat
	.globl	_ZL40rocblas_trsm_block_backward_substitutionI19rocblas_complex_numIdES1_PKPKS1_PKPS1_Lb0ELb0ELb1EEv18rocblas_operation_llT0_T1_lllT2_lllib ; -- Begin function _ZL40rocblas_trsm_block_backward_substitutionI19rocblas_complex_numIdES1_PKPKS1_PKPS1_Lb0ELb0ELb1EEv18rocblas_operation_llT0_T1_lllT2_lllib
	.p2align	8
	.type	_ZL40rocblas_trsm_block_backward_substitutionI19rocblas_complex_numIdES1_PKPKS1_PKPS1_Lb0ELb0ELb1EEv18rocblas_operation_llT0_T1_lllT2_lllib,@function
_ZL40rocblas_trsm_block_backward_substitutionI19rocblas_complex_numIdES1_PKPKS1_PKPS1_Lb0ELb0ELb1EEv18rocblas_operation_llT0_T1_lllT2_lllib: ; @_ZL40rocblas_trsm_block_backward_substitutionI19rocblas_complex_numIdES1_PKPKS1_PKPS1_Lb0ELb0ELb1EEv18rocblas_operation_llT0_T1_lllT2_lllib
; %bb.0:
	s_load_dwordx4 s[20:23], s[0:1], 0x28
	s_load_dwordx2 s[28:29], s[0:1], 0x38
	s_mov_b32 s5, 0
	s_lshl_b64 s[4:5], s[4:5], 3
	v_and_b32_e32 v4, 0x3ff, v0
	s_waitcnt lgkmcnt(0)
	s_add_u32 s6, s20, s4
	s_addc_u32 s7, s21, s5
	s_load_dwordx2 s[24:25], s[6:7], 0x0
	s_load_dwordx2 s[20:21], s[0:1], 0x58
	s_load_dwordx4 s[16:19], s[0:1], 0x48
	s_load_dwordx8 s[8:15], s[0:1], 0x8
	s_lshl_b64 s[6:7], s[22:23], 4
	s_waitcnt lgkmcnt(0)
	s_add_u32 s6, s24, s6
	s_addc_u32 s7, s25, s7
	s_add_u32 s4, s16, s4
	s_addc_u32 s5, s17, s5
	s_load_dwordx2 s[22:23], s[4:5], 0x0
	s_load_dword s16, s[0:1], 0x6c
	s_load_dword s2, s[0:1], 0x7c
	s_add_u32 s24, s0, 0x70
	s_addc_u32 s25, s1, 0
	v_bfe_u32 v8, v0, 10, 10
	s_mov_b64 s[4:5], 1
	s_waitcnt lgkmcnt(0)
	s_lshr_b32 s2, s2, 16
	s_bitcmp0_b32 s16, 0
	s_cbranch_scc1 .LBB244_6
; %bb.1:
	s_lshl_b32 s4, s2, 4
	s_add_i32 s26, s4, 0
	v_cmp_lt_i64_e64 s[4:5], s[8:9], 1
	s_mov_b64 s[16:17], 1
	s_and_b64 vcc, exec, s[4:5]
	s_cbranch_vccnz .LBB244_7
; %bb.2:
	v_mad_u64_u32 v[0:1], s[30:31], s28, v4, 0
	v_mov_b32_e32 v2, v1
	v_mad_u64_u32 v[2:3], s[28:29], s29, v4, v[2:3]
	v_mov_b32_e32 v5, 0
	v_mov_b32_e32 v1, v2
	v_lshl_add_u32 v6, v4, 4, s26
	v_cmp_gt_u64_e64 s[4:5], s[8:9], v[4:5]
	v_lshl_add_u64 v[0:1], v[0:1], 4, s[6:7]
	s_mov_b32 s27, 0
	s_branch .LBB244_4
.LBB244_3:                              ;   in Loop: Header=BB244_4 Depth=1
	s_or_b64 exec, exec, s[6:7]
	s_add_i32 s27, s27, s2
	s_ashr_i32 s6, s27, 31
	v_mov_b32_e32 v2, s27
	v_mov_b32_e32 v3, s6
	v_cmp_le_i64_e32 vcc, s[8:9], v[2:3]
	s_cbranch_vccnz .LBB244_7
.LBB244_4:                              ; =>This Inner Loop Header: Depth=1
	v_add_u32_e32 v2, s27, v8
	v_ashrrev_i32_e32 v3, 31, v2
	v_cmp_gt_i64_e32 vcc, s[8:9], v[2:3]
	v_cmp_lt_i32_e64 s[6:7], v4, v2
	s_and_b64 s[6:7], s[6:7], vcc
	s_and_b64 s[28:29], s[4:5], s[6:7]
	s_and_saveexec_b64 s[6:7], s[28:29]
	s_cbranch_execz .LBB244_3
; %bb.5:                                ;   in Loop: Header=BB244_4 Depth=1
	v_lshl_add_u64 v[10:11], v[2:3], 4, v[0:1]
	flat_load_dwordx4 v[10:13], v[10:11]
	s_load_dword s28, s[24:25], 0xc
	s_waitcnt lgkmcnt(0)
	s_and_b32 s28, s28, 0xffff
	v_mul_lo_u32 v2, v2, s28
	v_lshl_add_u32 v2, v2, 4, v6
	s_waitcnt vmcnt(0)
	ds_write2_b64 v2, v[10:11], v[12:13] offset1:1
	s_branch .LBB244_3
.LBB244_6:
	s_mov_b64 s[16:17], s[28:29]
	s_branch .LBB244_8
.LBB244_7:
	s_mov_b64 s[4:5], src_shared_base
	s_load_dword s4, s[24:25], 0xc
	s_mov_b32 s27, s5
	s_mov_b64 s[6:7], s[26:27]
	s_waitcnt lgkmcnt(0)
	s_and_b32 s4, s4, 0xffff
.LBB244_8:
	s_mul_i32 s3, s3, s2
	v_add_u32_e32 v0, s3, v8
	v_mov_b32_e32 v1, 0
	v_cmp_gt_i64_e32 vcc, s[10:11], v[0:1]
	s_and_saveexec_b64 s[2:3], vcc
	s_cbranch_execz .LBB244_19
; %bb.9:
	v_mov_b32_e32 v5, v1
	v_cmp_gt_i64_e32 vcc, s[8:9], v[4:5]
	s_and_b64 exec, exec, vcc
	s_cbranch_execz .LBB244_19
; %bb.10:
	v_mad_u64_u32 v[2:3], s[10:11], s20, v4, 0
	s_lshl_b64 s[2:3], s[18:19], 4
	v_mov_b32_e32 v6, v3
	s_add_u32 s2, s22, s2
	v_mad_u64_u32 v[6:7], s[10:11], s21, v4, v[6:7]
	s_addc_u32 s3, s23, s3
	v_mov_b32_e32 v3, v6
	v_lshl_add_u64 v[2:3], v[2:3], 4, s[2:3]
	v_lshl_add_u64 v[6:7], v[0:1], 4, v[2:3]
	flat_load_dwordx4 v[10:13], v[6:7]
	v_cmp_lt_u64_e64 s[2:3], s[8:9], 2
	s_and_b64 vcc, exec, s[2:3]
	s_waitcnt vmcnt(0) lgkmcnt(0)
	v_mul_f64 v[0:1], s[14:15], v[12:13]
	v_mul_f64 v[2:3], s[12:13], v[12:13]
	v_fma_f64 v[0:1], s[12:13], v[10:11], -v[0:1]
	v_fmac_f64_e32 v[2:3], s[14:15], v[10:11]
	s_cbranch_vccnz .LBB244_18
; %bb.11:
	s_load_dword s2, s[0:1], 0x0
	v_lshl_add_u32 v10, v8, 4, 0
	v_mad_u64_u32 v[8:9], s[0:1], s16, v4, 0
	v_mov_b32_e32 v12, v9
	s_waitcnt lgkmcnt(0)
	s_cmpk_eq_i32 s2, 0x71
	v_mad_u64_u32 v[12:13], s[2:3], s17, v4, v[12:13]
	s_cselect_b64 s[0:1], -1, 0
	s_add_u32 s2, s8, -1
	s_addc_u32 s3, s9, -1
	s_mul_i32 s5, s4, s3
	s_mul_hi_u32 s8, s4, s2
	s_add_i32 s9, s8, s5
	s_mul_i32 s8, s4, s2
	s_lshl_b64 s[8:9], s[8:9], 4
	s_add_u32 s6, s6, s8
	s_addc_u32 s7, s7, s9
	s_lshl_b32 s4, s4, 4
	v_mov_b32_e32 v9, v12
	s_sub_u32 s4, 0, s4
	v_lshl_add_u64 v[8:9], v[8:9], 4, s[6:7]
	s_subb_u32 s5, 0, 0
.LBB244_12:                             ; =>This Inner Loop Header: Depth=1
	v_cmp_eq_u64_e32 vcc, s[2:3], v[4:5]
	s_barrier
	s_and_saveexec_b64 s[6:7], vcc
; %bb.13:                               ;   in Loop: Header=BB244_12 Depth=1
	ds_write2_b64 v10, v[0:1], v[2:3] offset1:1
; %bb.14:                               ;   in Loop: Header=BB244_12 Depth=1
	s_or_b64 exec, exec, s[6:7]
	v_cmp_gt_i64_e32 vcc, s[2:3], v[4:5]
	s_waitcnt lgkmcnt(0)
	s_barrier
	s_and_saveexec_b64 s[6:7], vcc
	s_cbranch_execz .LBB244_16
; %bb.15:                               ;   in Loop: Header=BB244_12 Depth=1
	flat_load_dwordx4 v[12:15], v[8:9]
	ds_read2_b64 v[16:19], v10 offset1:1
	s_waitcnt vmcnt(0) lgkmcnt(0)
	v_xor_b32_e32 v11, 0x80000000, v15
	v_cndmask_b32_e64 v15, v15, v11, s[0:1]
	v_mul_f64 v[20:21], v[12:13], v[18:19]
	v_mul_f64 v[18:19], v[14:15], v[18:19]
	v_fmac_f64_e32 v[20:21], v[14:15], v[16:17]
	v_fma_f64 v[12:13], v[12:13], v[16:17], -v[18:19]
	v_add_f64 v[0:1], v[0:1], -v[12:13]
	v_add_f64 v[2:3], v[2:3], -v[20:21]
.LBB244_16:                             ;   in Loop: Header=BB244_12 Depth=1
	s_or_b64 exec, exec, s[6:7]
	s_add_u32 s6, s2, -1
	s_addc_u32 s7, s3, -1
	s_add_u32 s2, s2, 1
	s_addc_u32 s3, s3, 0
	v_cmp_lt_u64_e64 s[2:3], s[2:3], 3
	v_lshl_add_u64 v[8:9], v[8:9], 0, s[4:5]
	s_and_b64 vcc, exec, s[2:3]
	s_cbranch_vccnz .LBB244_18
; %bb.17:                               ;   in Loop: Header=BB244_12 Depth=1
	s_mov_b64 s[2:3], s[6:7]
	s_branch .LBB244_12
.LBB244_18:
	flat_store_dwordx4 v[6:7], v[0:3]
.LBB244_19:
	s_endpgm
	.section	.rodata,"a",@progbits
	.p2align	6, 0x0
	.amdhsa_kernel _ZL40rocblas_trsm_block_backward_substitutionI19rocblas_complex_numIdES1_PKPKS1_PKPS1_Lb0ELb0ELb1EEv18rocblas_operation_llT0_T1_lllT2_lllib
		.amdhsa_group_segment_fixed_size 0
		.amdhsa_private_segment_fixed_size 0
		.amdhsa_kernarg_size 368
		.amdhsa_user_sgpr_count 2
		.amdhsa_user_sgpr_dispatch_ptr 0
		.amdhsa_user_sgpr_queue_ptr 0
		.amdhsa_user_sgpr_kernarg_segment_ptr 1
		.amdhsa_user_sgpr_dispatch_id 0
		.amdhsa_user_sgpr_kernarg_preload_length 0
		.amdhsa_user_sgpr_kernarg_preload_offset 0
		.amdhsa_user_sgpr_private_segment_size 0
		.amdhsa_uses_dynamic_stack 0
		.amdhsa_enable_private_segment 0
		.amdhsa_system_sgpr_workgroup_id_x 1
		.amdhsa_system_sgpr_workgroup_id_y 1
		.amdhsa_system_sgpr_workgroup_id_z 1
		.amdhsa_system_sgpr_workgroup_info 0
		.amdhsa_system_vgpr_workitem_id 1
		.amdhsa_next_free_vgpr 22
		.amdhsa_next_free_sgpr 32
		.amdhsa_accum_offset 24
		.amdhsa_reserve_vcc 1
		.amdhsa_float_round_mode_32 0
		.amdhsa_float_round_mode_16_64 0
		.amdhsa_float_denorm_mode_32 3
		.amdhsa_float_denorm_mode_16_64 3
		.amdhsa_dx10_clamp 1
		.amdhsa_ieee_mode 1
		.amdhsa_fp16_overflow 0
		.amdhsa_tg_split 0
		.amdhsa_exception_fp_ieee_invalid_op 0
		.amdhsa_exception_fp_denorm_src 0
		.amdhsa_exception_fp_ieee_div_zero 0
		.amdhsa_exception_fp_ieee_overflow 0
		.amdhsa_exception_fp_ieee_underflow 0
		.amdhsa_exception_fp_ieee_inexact 0
		.amdhsa_exception_int_div_zero 0
	.end_amdhsa_kernel
	.section	.text._ZL40rocblas_trsm_block_backward_substitutionI19rocblas_complex_numIdES1_PKPKS1_PKPS1_Lb0ELb0ELb1EEv18rocblas_operation_llT0_T1_lllT2_lllib,"axG",@progbits,_ZL40rocblas_trsm_block_backward_substitutionI19rocblas_complex_numIdES1_PKPKS1_PKPS1_Lb0ELb0ELb1EEv18rocblas_operation_llT0_T1_lllT2_lllib,comdat
.Lfunc_end244:
	.size	_ZL40rocblas_trsm_block_backward_substitutionI19rocblas_complex_numIdES1_PKPKS1_PKPS1_Lb0ELb0ELb1EEv18rocblas_operation_llT0_T1_lllT2_lllib, .Lfunc_end244-_ZL40rocblas_trsm_block_backward_substitutionI19rocblas_complex_numIdES1_PKPKS1_PKPS1_Lb0ELb0ELb1EEv18rocblas_operation_llT0_T1_lllT2_lllib
                                        ; -- End function
	.set _ZL40rocblas_trsm_block_backward_substitutionI19rocblas_complex_numIdES1_PKPKS1_PKPS1_Lb0ELb0ELb1EEv18rocblas_operation_llT0_T1_lllT2_lllib.num_vgpr, 22
	.set _ZL40rocblas_trsm_block_backward_substitutionI19rocblas_complex_numIdES1_PKPKS1_PKPS1_Lb0ELb0ELb1EEv18rocblas_operation_llT0_T1_lllT2_lllib.num_agpr, 0
	.set _ZL40rocblas_trsm_block_backward_substitutionI19rocblas_complex_numIdES1_PKPKS1_PKPS1_Lb0ELb0ELb1EEv18rocblas_operation_llT0_T1_lllT2_lllib.numbered_sgpr, 32
	.set _ZL40rocblas_trsm_block_backward_substitutionI19rocblas_complex_numIdES1_PKPKS1_PKPS1_Lb0ELb0ELb1EEv18rocblas_operation_llT0_T1_lllT2_lllib.num_named_barrier, 0
	.set _ZL40rocblas_trsm_block_backward_substitutionI19rocblas_complex_numIdES1_PKPKS1_PKPS1_Lb0ELb0ELb1EEv18rocblas_operation_llT0_T1_lllT2_lllib.private_seg_size, 0
	.set _ZL40rocblas_trsm_block_backward_substitutionI19rocblas_complex_numIdES1_PKPKS1_PKPS1_Lb0ELb0ELb1EEv18rocblas_operation_llT0_T1_lllT2_lllib.uses_vcc, 1
	.set _ZL40rocblas_trsm_block_backward_substitutionI19rocblas_complex_numIdES1_PKPKS1_PKPS1_Lb0ELb0ELb1EEv18rocblas_operation_llT0_T1_lllT2_lllib.uses_flat_scratch, 0
	.set _ZL40rocblas_trsm_block_backward_substitutionI19rocblas_complex_numIdES1_PKPKS1_PKPS1_Lb0ELb0ELb1EEv18rocblas_operation_llT0_T1_lllT2_lllib.has_dyn_sized_stack, 0
	.set _ZL40rocblas_trsm_block_backward_substitutionI19rocblas_complex_numIdES1_PKPKS1_PKPS1_Lb0ELb0ELb1EEv18rocblas_operation_llT0_T1_lllT2_lllib.has_recursion, 0
	.set _ZL40rocblas_trsm_block_backward_substitutionI19rocblas_complex_numIdES1_PKPKS1_PKPS1_Lb0ELb0ELb1EEv18rocblas_operation_llT0_T1_lllT2_lllib.has_indirect_call, 0
	.section	.AMDGPU.csdata,"",@progbits
; Kernel info:
; codeLenInByte = 868
; TotalNumSgprs: 38
; NumVgprs: 22
; NumAgprs: 0
; TotalNumVgprs: 22
; ScratchSize: 0
; MemoryBound: 0
; FloatMode: 240
; IeeeMode: 1
; LDSByteSize: 0 bytes/workgroup (compile time only)
; SGPRBlocks: 4
; VGPRBlocks: 2
; NumSGPRsForWavesPerEU: 38
; NumVGPRsForWavesPerEU: 22
; AccumOffset: 24
; Occupancy: 8
; WaveLimiterHint : 1
; COMPUTE_PGM_RSRC2:SCRATCH_EN: 0
; COMPUTE_PGM_RSRC2:USER_SGPR: 2
; COMPUTE_PGM_RSRC2:TRAP_HANDLER: 0
; COMPUTE_PGM_RSRC2:TGID_X_EN: 1
; COMPUTE_PGM_RSRC2:TGID_Y_EN: 1
; COMPUTE_PGM_RSRC2:TGID_Z_EN: 1
; COMPUTE_PGM_RSRC2:TIDIG_COMP_CNT: 1
; COMPUTE_PGM_RSRC3_GFX90A:ACCUM_OFFSET: 5
; COMPUTE_PGM_RSRC3_GFX90A:TG_SPLIT: 0
	.section	.text._ZL39rocblas_trsm_block_forward_substitutionI19rocblas_complex_numIdES1_PKPKS1_PKPS1_Lb0ELb1ELb0EEv18rocblas_operation_llT0_T1_lllT2_lllib,"axG",@progbits,_ZL39rocblas_trsm_block_forward_substitutionI19rocblas_complex_numIdES1_PKPKS1_PKPS1_Lb0ELb1ELb0EEv18rocblas_operation_llT0_T1_lllT2_lllib,comdat
	.globl	_ZL39rocblas_trsm_block_forward_substitutionI19rocblas_complex_numIdES1_PKPKS1_PKPS1_Lb0ELb1ELb0EEv18rocblas_operation_llT0_T1_lllT2_lllib ; -- Begin function _ZL39rocblas_trsm_block_forward_substitutionI19rocblas_complex_numIdES1_PKPKS1_PKPS1_Lb0ELb1ELb0EEv18rocblas_operation_llT0_T1_lllT2_lllib
	.p2align	8
	.type	_ZL39rocblas_trsm_block_forward_substitutionI19rocblas_complex_numIdES1_PKPKS1_PKPS1_Lb0ELb1ELb0EEv18rocblas_operation_llT0_T1_lllT2_lllib,@function
_ZL39rocblas_trsm_block_forward_substitutionI19rocblas_complex_numIdES1_PKPKS1_PKPS1_Lb0ELb1ELb0EEv18rocblas_operation_llT0_T1_lllT2_lllib: ; @_ZL39rocblas_trsm_block_forward_substitutionI19rocblas_complex_numIdES1_PKPKS1_PKPS1_Lb0ELb1ELb0EEv18rocblas_operation_llT0_T1_lllT2_lllib
; %bb.0:
	s_load_dword s2, s[0:1], 0x6c
	s_load_dwordx4 s[24:27], s[0:1], 0x28
	s_load_dwordx2 s[16:17], s[0:1], 0x38
	s_load_dword s30, s[0:1], 0x7c
	s_mov_b32 s5, 0
	s_waitcnt lgkmcnt(0)
	s_bitcmp1_b32 s2, 0
	s_cselect_b64 s[6:7], -1, 0
	s_xor_b64 s[18:19], s[6:7], -1
	s_lshl_b64 s[28:29], s[4:5], 3
	s_add_u32 s20, s24, s28
	s_addc_u32 s21, s25, s29
	s_load_dwordx2 s[24:25], s[20:21], 0x0
	s_load_dwordx2 s[22:23], s[0:1], 0x58
	s_load_dwordx4 s[12:15], s[0:1], 0x48
	s_load_dwordx8 s[4:11], s[0:1], 0x8
	s_lshl_b64 s[20:21], s[26:27], 4
	s_waitcnt lgkmcnt(0)
	s_add_u32 s20, s24, s20
	s_addc_u32 s21, s25, s21
	s_add_u32 s12, s12, s28
	s_addc_u32 s13, s13, s29
	s_load_dwordx2 s[12:13], s[12:13], 0x0
	s_add_u32 s24, s0, 0x70
	v_and_b32_e32 v8, 0x3ff, v0
	v_bfe_u32 v16, v0, 10, 10
	s_addc_u32 s25, s1, 0
	s_lshr_b32 s2, s30, 16
	s_and_b64 vcc, exec, s[18:19]
	s_cbranch_vccnz .LBB245_15
; %bb.1:
	s_lshl_b32 s26, s2, 4
	v_cmp_lt_i64_e64 s[28:29], s[4:5], 1
	s_add_i32 s26, s26, 0
	s_and_b64 vcc, exec, s[28:29]
	s_cbranch_vccnz .LBB245_14
; %bb.2:
	v_mov_b32_e32 v9, 0
	v_lshlrev_b32_e32 v0, 4, v8
	v_mov_b32_e32 v1, v9
	v_add_u32_e32 v14, s26, v0
	v_lshl_add_u64 v[4:5], s[20:21], 0, v[0:1]
	v_mad_u64_u32 v[0:1], s[20:21], s16, v8, 0
	v_mov_b32_e32 v2, v1
	v_mad_u64_u32 v[2:3], s[20:21], s17, v8, v[2:3]
	v_cmp_le_u64_e32 vcc, s[4:5], v[8:9]
	v_mov_b32_e32 v1, v2
	v_lshl_add_u64 v[6:7], v[0:1], 4, v[4:5]
	s_xor_b64 s[20:21], vcc, -1
	s_mov_b32 s27, s2
	v_mov_b32_e32 v9, v16
	s_branch .LBB245_6
.LBB245_3:                              ;   in Loop: Header=BB245_6 Depth=1
	s_or_b64 exec, exec, s[34:35]
	s_load_dword s33, s[24:25], 0xc
	s_waitcnt lgkmcnt(0)
	s_and_b32 s33, s33, 0xffff
	v_mul_u32_u24_e32 v0, s33, v8
	v_lshl_add_u32 v0, v0, 4, v14
	ds_write2_b64 v0, v[10:11], v[12:13] offset1:1
.LBB245_4:                              ;   in Loop: Header=BB245_6 Depth=1
	s_or_b64 exec, exec, s[30:31]
.LBB245_5:                              ;   in Loop: Header=BB245_6 Depth=1
	s_or_b64 exec, exec, s[28:29]
	s_ashr_i32 s28, s27, 31
	v_mov_b32_e32 v0, s27
	v_mov_b32_e32 v1, s28
	v_cmp_le_i64_e32 vcc, s[4:5], v[0:1]
	v_add_u32_e32 v9, s2, v9
	s_add_i32 s27, s27, s2
	s_cbranch_vccnz .LBB245_14
.LBB245_6:                              ; =>This Inner Loop Header: Depth=1
	v_cmp_gt_i32_e32 vcc, v8, v9
	s_and_b64 s[28:29], s[20:21], vcc
	s_and_saveexec_b64 s[30:31], s[28:29]
	s_xor_b64 s[28:29], exec, s[30:31]
	s_cbranch_execz .LBB245_8
; %bb.7:                                ;   in Loop: Header=BB245_6 Depth=1
	v_ashrrev_i32_e32 v0, 31, v9
	v_mul_lo_u32 v2, s17, v9
	v_mul_lo_u32 v3, s16, v0
	v_mad_u64_u32 v[0:1], s[30:31], s16, v9, 0
	v_add3_u32 v1, v1, v3, v2
	v_lshl_add_u64 v[0:1], v[0:1], 4, v[4:5]
	flat_load_dwordx4 v[0:3], v[0:1]
	s_load_dword s30, s[24:25], 0xc
	s_waitcnt lgkmcnt(0)
	s_and_b32 s30, s30, 0xffff
	v_mul_lo_u32 v10, v9, s30
	v_lshl_add_u32 v10, v10, 4, v14
	s_waitcnt vmcnt(0)
	ds_write2_b64 v10, v[0:1], v[2:3] offset1:1
.LBB245_8:                              ;   in Loop: Header=BB245_6 Depth=1
	s_andn2_saveexec_b64 s[28:29], s[28:29]
	s_cbranch_execz .LBB245_5
; %bb.9:                                ;   in Loop: Header=BB245_6 Depth=1
	v_cmp_eq_u32_e32 vcc, v8, v9
	s_and_b64 s[34:35], s[20:21], vcc
	s_and_saveexec_b64 s[30:31], s[34:35]
	s_cbranch_execz .LBB245_4
; %bb.10:                               ;   in Loop: Header=BB245_6 Depth=1
	flat_load_dwordx4 v[0:3], v[6:7]
                                        ; implicit-def: $vgpr10_vgpr11
	s_waitcnt vmcnt(0) lgkmcnt(0)
	v_cmp_ngt_f64_e64 s[34:35], |v[0:1]|, |v[2:3]|
	s_and_saveexec_b64 s[36:37], s[34:35]
	s_xor_b64 s[34:35], exec, s[36:37]
                                        ; implicit-def: $vgpr12_vgpr13
	s_cbranch_execz .LBB245_12
; %bb.11:                               ;   in Loop: Header=BB245_6 Depth=1
	v_div_scale_f64 v[10:11], s[36:37], v[2:3], v[2:3], v[0:1]
	v_rcp_f64_e32 v[12:13], v[10:11]
	v_div_scale_f64 v[18:19], vcc, v[0:1], v[2:3], v[0:1]
	v_fma_f64 v[20:21], -v[10:11], v[12:13], 1.0
	v_fmac_f64_e32 v[12:13], v[12:13], v[20:21]
	v_fma_f64 v[20:21], -v[10:11], v[12:13], 1.0
	v_fmac_f64_e32 v[12:13], v[12:13], v[20:21]
	v_mul_f64 v[20:21], v[18:19], v[12:13]
	v_fma_f64 v[10:11], -v[10:11], v[20:21], v[18:19]
	v_div_fmas_f64 v[10:11], v[10:11], v[12:13], v[20:21]
	v_div_fixup_f64 v[10:11], v[10:11], v[2:3], v[0:1]
	v_fmac_f64_e32 v[2:3], v[0:1], v[10:11]
	v_div_scale_f64 v[0:1], s[36:37], v[2:3], v[2:3], 1.0
	v_rcp_f64_e32 v[12:13], v[0:1]
	s_nop 0
	v_fma_f64 v[18:19], -v[0:1], v[12:13], 1.0
	v_fmac_f64_e32 v[12:13], v[12:13], v[18:19]
	v_fma_f64 v[18:19], -v[0:1], v[12:13], 1.0
	v_fmac_f64_e32 v[12:13], v[12:13], v[18:19]
	v_div_scale_f64 v[18:19], vcc, 1.0, v[2:3], 1.0
	v_mul_f64 v[20:21], v[18:19], v[12:13]
	v_fma_f64 v[0:1], -v[0:1], v[20:21], v[18:19]
	s_nop 1
	v_div_fmas_f64 v[0:1], v[0:1], v[12:13], v[20:21]
	v_div_fixup_f64 v[12:13], v[0:1], v[2:3], 1.0
	v_mul_f64 v[10:11], v[10:11], v[12:13]
	v_xor_b32_e32 v13, 0x80000000, v13
                                        ; implicit-def: $vgpr0_vgpr1
.LBB245_12:                             ;   in Loop: Header=BB245_6 Depth=1
	s_andn2_saveexec_b64 s[34:35], s[34:35]
	s_cbranch_execz .LBB245_3
; %bb.13:                               ;   in Loop: Header=BB245_6 Depth=1
	v_div_scale_f64 v[10:11], s[36:37], v[0:1], v[0:1], v[2:3]
	v_rcp_f64_e32 v[12:13], v[10:11]
	v_div_scale_f64 v[18:19], vcc, v[2:3], v[0:1], v[2:3]
	v_fma_f64 v[20:21], -v[10:11], v[12:13], 1.0
	v_fmac_f64_e32 v[12:13], v[12:13], v[20:21]
	v_fma_f64 v[20:21], -v[10:11], v[12:13], 1.0
	v_fmac_f64_e32 v[12:13], v[12:13], v[20:21]
	v_mul_f64 v[20:21], v[18:19], v[12:13]
	v_fma_f64 v[10:11], -v[10:11], v[20:21], v[18:19]
	v_div_fmas_f64 v[10:11], v[10:11], v[12:13], v[20:21]
	v_div_fixup_f64 v[12:13], v[10:11], v[0:1], v[2:3]
	v_fmac_f64_e32 v[0:1], v[2:3], v[12:13]
	v_div_scale_f64 v[2:3], s[36:37], v[0:1], v[0:1], 1.0
	v_rcp_f64_e32 v[10:11], v[2:3]
	s_nop 0
	v_fma_f64 v[18:19], -v[2:3], v[10:11], 1.0
	v_fmac_f64_e32 v[10:11], v[10:11], v[18:19]
	v_fma_f64 v[18:19], -v[2:3], v[10:11], 1.0
	v_fmac_f64_e32 v[10:11], v[10:11], v[18:19]
	v_div_scale_f64 v[18:19], vcc, 1.0, v[0:1], 1.0
	v_mul_f64 v[20:21], v[18:19], v[10:11]
	v_fma_f64 v[2:3], -v[2:3], v[20:21], v[18:19]
	s_nop 1
	v_div_fmas_f64 v[2:3], v[2:3], v[10:11], v[20:21]
	v_div_fixup_f64 v[10:11], v[2:3], v[0:1], 1.0
	v_mul_f64 v[12:13], v[12:13], -v[10:11]
	s_branch .LBB245_3
.LBB245_14:
	s_load_dword s16, s[24:25], 0xc
	s_mov_b64 s[20:21], src_shared_base
	s_mov_b32 s27, s21
	s_mov_b32 s17, 0
	s_mov_b64 s[20:21], s[26:27]
	s_waitcnt lgkmcnt(0)
	s_and_b32 s16, s16, 0xffff
.LBB245_15:
	s_mul_i32 s3, s3, s2
	v_add_u32_e32 v0, s3, v16
	v_mov_b32_e32 v1, 0
	v_cmp_gt_i64_e32 vcc, s[6:7], v[0:1]
	s_and_saveexec_b64 s[2:3], vcc
	s_cbranch_execz .LBB245_39
; %bb.16:
	v_mov_b32_e32 v9, v1
	v_cmp_gt_i64_e32 vcc, s[4:5], v[8:9]
	s_and_b64 exec, exec, vcc
	s_cbranch_execz .LBB245_39
; %bb.17:
	v_mad_u64_u32 v[2:3], s[6:7], s22, v8, 0
	s_lshl_b64 s[2:3], s[14:15], 4
	v_mov_b32_e32 v4, v3
	s_waitcnt lgkmcnt(0)
	s_add_u32 s2, s12, s2
	v_mad_u64_u32 v[4:5], s[6:7], s23, v8, v[4:5]
	s_addc_u32 s3, s13, s3
	v_mov_b32_e32 v3, v4
	v_lshl_add_u64 v[2:3], v[2:3], 4, s[2:3]
	v_lshl_add_u64 v[10:11], v[0:1], 4, v[2:3]
	flat_load_dwordx4 v[4:7], v[10:11]
	v_cmp_lt_u64_e64 s[2:3], s[4:5], 2
	s_add_u32 s4, s4, -1
	s_addc_u32 s5, s5, -1
	s_and_b64 vcc, exec, s[2:3]
	s_waitcnt vmcnt(0) lgkmcnt(0)
	v_mul_f64 v[0:1], s[10:11], v[6:7]
	v_mul_f64 v[2:3], s[8:9], v[6:7]
	v_fma_f64 v[0:1], s[8:9], v[4:5], -v[0:1]
	v_fmac_f64_e32 v[2:3], s[10:11], v[4:5]
	s_cbranch_vccnz .LBB245_30
; %bb.18:
	s_load_dword s0, s[0:1], 0x0
	v_lshlrev_b32_e32 v4, 4, v8
	v_mov_b32_e32 v5, 0
	v_lshl_add_u64 v[12:13], s[20:21], 0, v[4:5]
	v_mad_u64_u32 v[4:5], s[2:3], v8, s16, v[8:9]
	v_mov_b32_e32 v6, v5
	v_mad_u64_u32 v[6:7], s[2:3], v8, s17, v[6:7]
	v_mov_b32_e32 v5, v6
	s_waitcnt lgkmcnt(0)
	s_cmpk_eq_i32 s0, 0x71
	v_lshl_add_u64 v[14:15], v[4:5], 4, s[20:21]
	v_cndmask_b32_e64 v4, 0, 1, s[18:19]
	s_cselect_b64 s[0:1], -1, 0
	v_lshl_add_u32 v16, v16, 4, 0
	s_lshl_b64 s[6:7], s[16:17], 4
	s_mov_b64 s[8:9], 0
	v_cmp_ne_u32_e64 s[2:3], 1, v4
	s_branch .LBB245_20
.LBB245_19:                             ;   in Loop: Header=BB245_20 Depth=1
	s_or_b64 exec, exec, s[10:11]
	s_add_u32 s8, s8, 1
	s_addc_u32 s9, s9, 0
	s_cmp_eq_u64 s[4:5], s[8:9]
	v_lshl_add_u64 v[12:13], v[12:13], 0, s[6:7]
	s_cbranch_scc1 .LBB245_30
.LBB245_20:                             ; =>This Inner Loop Header: Depth=1
	v_cmp_eq_u64_e32 vcc, s[8:9], v[8:9]
	s_barrier
	s_and_saveexec_b64 s[10:11], vcc
	s_cbranch_execz .LBB245_28
; %bb.21:                               ;   in Loop: Header=BB245_20 Depth=1
	flat_load_dwordx4 v[4:7], v[14:15]
	s_and_b64 vcc, exec, s[2:3]
	s_cbranch_vccnz .LBB245_27
; %bb.22:                               ;   in Loop: Header=BB245_20 Depth=1
	s_waitcnt vmcnt(0) lgkmcnt(0)
	v_cmp_ngt_f64_e64 s[12:13], |v[4:5]|, |v[6:7]|
	s_and_saveexec_b64 s[14:15], s[12:13]
	s_xor_b64 s[12:13], exec, s[14:15]
	s_cbranch_execz .LBB245_24
; %bb.23:                               ;   in Loop: Header=BB245_20 Depth=1
	v_div_scale_f64 v[18:19], s[14:15], v[6:7], v[6:7], v[4:5]
	v_rcp_f64_e32 v[20:21], v[18:19]
	v_div_scale_f64 v[22:23], vcc, v[4:5], v[6:7], v[4:5]
	v_fma_f64 v[24:25], -v[18:19], v[20:21], 1.0
	v_fmac_f64_e32 v[20:21], v[20:21], v[24:25]
	v_fma_f64 v[24:25], -v[18:19], v[20:21], 1.0
	v_fmac_f64_e32 v[20:21], v[20:21], v[24:25]
	v_mul_f64 v[24:25], v[22:23], v[20:21]
	v_fma_f64 v[18:19], -v[18:19], v[24:25], v[22:23]
	v_div_fmas_f64 v[18:19], v[18:19], v[20:21], v[24:25]
	v_div_fixup_f64 v[18:19], v[18:19], v[6:7], v[4:5]
	v_fmac_f64_e32 v[6:7], v[4:5], v[18:19]
	v_div_scale_f64 v[4:5], s[14:15], v[6:7], v[6:7], 1.0
	v_rcp_f64_e32 v[20:21], v[4:5]
	s_nop 0
	v_fma_f64 v[22:23], -v[4:5], v[20:21], 1.0
	v_fmac_f64_e32 v[20:21], v[20:21], v[22:23]
	v_fma_f64 v[22:23], -v[4:5], v[20:21], 1.0
	v_fmac_f64_e32 v[20:21], v[20:21], v[22:23]
	v_div_scale_f64 v[22:23], vcc, 1.0, v[6:7], 1.0
	v_mul_f64 v[24:25], v[22:23], v[20:21]
	v_fma_f64 v[4:5], -v[4:5], v[24:25], v[22:23]
	s_nop 1
	v_div_fmas_f64 v[4:5], v[4:5], v[20:21], v[24:25]
	v_div_fixup_f64 v[6:7], v[4:5], v[6:7], 1.0
	v_mul_f64 v[4:5], v[18:19], v[6:7]
	v_xor_b32_e32 v7, 0x80000000, v7
.LBB245_24:                             ;   in Loop: Header=BB245_20 Depth=1
	s_andn2_saveexec_b64 s[12:13], s[12:13]
	s_cbranch_execz .LBB245_26
; %bb.25:                               ;   in Loop: Header=BB245_20 Depth=1
	v_div_scale_f64 v[18:19], s[14:15], v[4:5], v[4:5], v[6:7]
	v_rcp_f64_e32 v[20:21], v[18:19]
	v_div_scale_f64 v[22:23], vcc, v[6:7], v[4:5], v[6:7]
	v_fma_f64 v[24:25], -v[18:19], v[20:21], 1.0
	v_fmac_f64_e32 v[20:21], v[20:21], v[24:25]
	v_fma_f64 v[24:25], -v[18:19], v[20:21], 1.0
	v_fmac_f64_e32 v[20:21], v[20:21], v[24:25]
	v_mul_f64 v[24:25], v[22:23], v[20:21]
	v_fma_f64 v[18:19], -v[18:19], v[24:25], v[22:23]
	v_div_fmas_f64 v[18:19], v[18:19], v[20:21], v[24:25]
	v_div_fixup_f64 v[18:19], v[18:19], v[4:5], v[6:7]
	v_fmac_f64_e32 v[4:5], v[6:7], v[18:19]
	v_div_scale_f64 v[6:7], s[14:15], v[4:5], v[4:5], 1.0
	v_rcp_f64_e32 v[20:21], v[6:7]
	s_nop 0
	v_fma_f64 v[22:23], -v[6:7], v[20:21], 1.0
	v_fmac_f64_e32 v[20:21], v[20:21], v[22:23]
	v_fma_f64 v[22:23], -v[6:7], v[20:21], 1.0
	v_fmac_f64_e32 v[20:21], v[20:21], v[22:23]
	v_div_scale_f64 v[22:23], vcc, 1.0, v[4:5], 1.0
	v_mul_f64 v[24:25], v[22:23], v[20:21]
	v_fma_f64 v[6:7], -v[6:7], v[24:25], v[22:23]
	s_nop 1
	v_div_fmas_f64 v[6:7], v[6:7], v[20:21], v[24:25]
	v_div_fixup_f64 v[4:5], v[6:7], v[4:5], 1.0
	v_mul_f64 v[6:7], v[18:19], -v[4:5]
.LBB245_26:                             ;   in Loop: Header=BB245_20 Depth=1
	s_or_b64 exec, exec, s[12:13]
.LBB245_27:                             ;   in Loop: Header=BB245_20 Depth=1
	s_waitcnt vmcnt(0) lgkmcnt(0)
	v_mul_f64 v[18:19], v[2:3], v[6:7]
	v_fma_f64 v[18:19], v[0:1], v[4:5], -v[18:19]
	v_mul_f64 v[0:1], v[0:1], v[6:7]
	v_fmac_f64_e32 v[0:1], v[2:3], v[4:5]
	ds_write2_b64 v16, v[18:19], v[0:1] offset1:1
	v_mov_b64_e32 v[2:3], v[0:1]
	v_mov_b64_e32 v[0:1], v[18:19]
.LBB245_28:                             ;   in Loop: Header=BB245_20 Depth=1
	s_or_b64 exec, exec, s[10:11]
	v_cmp_lt_u64_e32 vcc, s[8:9], v[8:9]
	s_waitcnt lgkmcnt(0)
	s_barrier
	s_and_saveexec_b64 s[10:11], vcc
	s_cbranch_execz .LBB245_19
; %bb.29:                               ;   in Loop: Header=BB245_20 Depth=1
	flat_load_dwordx4 v[4:7], v[12:13]
	ds_read2_b64 v[18:21], v16 offset1:1
	s_waitcnt vmcnt(0) lgkmcnt(0)
	v_xor_b32_e32 v17, 0x80000000, v7
	v_cndmask_b32_e64 v7, v7, v17, s[0:1]
	v_mul_f64 v[22:23], v[4:5], v[20:21]
	v_mul_f64 v[20:21], v[6:7], v[20:21]
	v_fmac_f64_e32 v[22:23], v[6:7], v[18:19]
	v_fma_f64 v[4:5], v[4:5], v[18:19], -v[20:21]
	v_add_f64 v[0:1], v[0:1], -v[4:5]
	v_add_f64 v[2:3], v[2:3], -v[22:23]
	s_branch .LBB245_19
.LBB245_30:
	v_cmp_eq_u64_e32 vcc, s[4:5], v[8:9]
	s_and_saveexec_b64 s[0:1], vcc
	s_cbranch_execz .LBB245_38
; %bb.31:
	v_mad_u64_u32 v[4:5], s[2:3], v8, s16, v[8:9]
	v_mov_b32_e32 v6, v5
	v_mad_u64_u32 v[6:7], s[2:3], v8, s17, v[6:7]
	v_mov_b32_e32 v5, v6
	v_lshl_add_u64 v[4:5], v[4:5], 4, s[20:21]
	flat_load_dwordx4 v[4:7], v[4:5]
	s_andn2_b64 vcc, exec, s[18:19]
	s_cbranch_vccnz .LBB245_37
; %bb.32:
	s_waitcnt vmcnt(0) lgkmcnt(0)
	v_cmp_ngt_f64_e64 s[2:3], |v[4:5]|, |v[6:7]|
	s_and_saveexec_b64 s[4:5], s[2:3]
	s_xor_b64 s[2:3], exec, s[4:5]
	s_cbranch_execz .LBB245_34
; %bb.33:
	v_div_scale_f64 v[8:9], s[4:5], v[6:7], v[6:7], v[4:5]
	v_rcp_f64_e32 v[12:13], v[8:9]
	v_div_scale_f64 v[14:15], vcc, v[4:5], v[6:7], v[4:5]
	v_fma_f64 v[16:17], -v[8:9], v[12:13], 1.0
	v_fmac_f64_e32 v[12:13], v[12:13], v[16:17]
	v_fma_f64 v[16:17], -v[8:9], v[12:13], 1.0
	v_fmac_f64_e32 v[12:13], v[12:13], v[16:17]
	v_mul_f64 v[16:17], v[14:15], v[12:13]
	v_fma_f64 v[8:9], -v[8:9], v[16:17], v[14:15]
	v_div_fmas_f64 v[8:9], v[8:9], v[12:13], v[16:17]
	v_div_fixup_f64 v[8:9], v[8:9], v[6:7], v[4:5]
	v_fmac_f64_e32 v[6:7], v[4:5], v[8:9]
	v_div_scale_f64 v[4:5], s[4:5], v[6:7], v[6:7], 1.0
	v_rcp_f64_e32 v[12:13], v[4:5]
	s_nop 0
	v_fma_f64 v[14:15], -v[4:5], v[12:13], 1.0
	v_fmac_f64_e32 v[12:13], v[12:13], v[14:15]
	v_fma_f64 v[14:15], -v[4:5], v[12:13], 1.0
	v_fmac_f64_e32 v[12:13], v[12:13], v[14:15]
	v_div_scale_f64 v[14:15], vcc, 1.0, v[6:7], 1.0
	v_mul_f64 v[16:17], v[14:15], v[12:13]
	v_fma_f64 v[4:5], -v[4:5], v[16:17], v[14:15]
	s_nop 1
	v_div_fmas_f64 v[4:5], v[4:5], v[12:13], v[16:17]
	v_div_fixup_f64 v[6:7], v[4:5], v[6:7], 1.0
	v_mul_f64 v[4:5], v[8:9], v[6:7]
	v_xor_b32_e32 v7, 0x80000000, v7
.LBB245_34:
	s_andn2_saveexec_b64 s[2:3], s[2:3]
	s_cbranch_execz .LBB245_36
; %bb.35:
	v_div_scale_f64 v[8:9], s[4:5], v[4:5], v[4:5], v[6:7]
	v_rcp_f64_e32 v[12:13], v[8:9]
	v_div_scale_f64 v[14:15], vcc, v[6:7], v[4:5], v[6:7]
	v_fma_f64 v[16:17], -v[8:9], v[12:13], 1.0
	v_fmac_f64_e32 v[12:13], v[12:13], v[16:17]
	v_fma_f64 v[16:17], -v[8:9], v[12:13], 1.0
	v_fmac_f64_e32 v[12:13], v[12:13], v[16:17]
	v_mul_f64 v[16:17], v[14:15], v[12:13]
	v_fma_f64 v[8:9], -v[8:9], v[16:17], v[14:15]
	v_div_fmas_f64 v[8:9], v[8:9], v[12:13], v[16:17]
	v_div_fixup_f64 v[8:9], v[8:9], v[4:5], v[6:7]
	v_fmac_f64_e32 v[4:5], v[6:7], v[8:9]
	v_div_scale_f64 v[6:7], s[4:5], v[4:5], v[4:5], 1.0
	v_rcp_f64_e32 v[12:13], v[6:7]
	s_nop 0
	v_fma_f64 v[14:15], -v[6:7], v[12:13], 1.0
	v_fmac_f64_e32 v[12:13], v[12:13], v[14:15]
	v_fma_f64 v[14:15], -v[6:7], v[12:13], 1.0
	v_fmac_f64_e32 v[12:13], v[12:13], v[14:15]
	v_div_scale_f64 v[14:15], vcc, 1.0, v[4:5], 1.0
	v_mul_f64 v[16:17], v[14:15], v[12:13]
	v_fma_f64 v[6:7], -v[6:7], v[16:17], v[14:15]
	s_nop 1
	v_div_fmas_f64 v[6:7], v[6:7], v[12:13], v[16:17]
	v_div_fixup_f64 v[4:5], v[6:7], v[4:5], 1.0
	v_mul_f64 v[6:7], v[8:9], -v[4:5]
.LBB245_36:
	s_or_b64 exec, exec, s[2:3]
.LBB245_37:
	s_waitcnt vmcnt(0) lgkmcnt(0)
	v_mul_f64 v[8:9], v[2:3], v[6:7]
	v_fma_f64 v[8:9], v[0:1], v[4:5], -v[8:9]
	v_mul_f64 v[2:3], v[2:3], v[4:5]
	v_fmac_f64_e32 v[2:3], v[0:1], v[6:7]
	v_mov_b64_e32 v[0:1], v[8:9]
.LBB245_38:
	s_or_b64 exec, exec, s[0:1]
	flat_store_dwordx4 v[10:11], v[0:3]
.LBB245_39:
	s_endpgm
	.section	.rodata,"a",@progbits
	.p2align	6, 0x0
	.amdhsa_kernel _ZL39rocblas_trsm_block_forward_substitutionI19rocblas_complex_numIdES1_PKPKS1_PKPS1_Lb0ELb1ELb0EEv18rocblas_operation_llT0_T1_lllT2_lllib
		.amdhsa_group_segment_fixed_size 0
		.amdhsa_private_segment_fixed_size 0
		.amdhsa_kernarg_size 368
		.amdhsa_user_sgpr_count 2
		.amdhsa_user_sgpr_dispatch_ptr 0
		.amdhsa_user_sgpr_queue_ptr 0
		.amdhsa_user_sgpr_kernarg_segment_ptr 1
		.amdhsa_user_sgpr_dispatch_id 0
		.amdhsa_user_sgpr_kernarg_preload_length 0
		.amdhsa_user_sgpr_kernarg_preload_offset 0
		.amdhsa_user_sgpr_private_segment_size 0
		.amdhsa_uses_dynamic_stack 0
		.amdhsa_enable_private_segment 0
		.amdhsa_system_sgpr_workgroup_id_x 1
		.amdhsa_system_sgpr_workgroup_id_y 1
		.amdhsa_system_sgpr_workgroup_id_z 1
		.amdhsa_system_sgpr_workgroup_info 0
		.amdhsa_system_vgpr_workitem_id 1
		.amdhsa_next_free_vgpr 26
		.amdhsa_next_free_sgpr 38
		.amdhsa_accum_offset 28
		.amdhsa_reserve_vcc 1
		.amdhsa_float_round_mode_32 0
		.amdhsa_float_round_mode_16_64 0
		.amdhsa_float_denorm_mode_32 3
		.amdhsa_float_denorm_mode_16_64 3
		.amdhsa_dx10_clamp 1
		.amdhsa_ieee_mode 1
		.amdhsa_fp16_overflow 0
		.amdhsa_tg_split 0
		.amdhsa_exception_fp_ieee_invalid_op 0
		.amdhsa_exception_fp_denorm_src 0
		.amdhsa_exception_fp_ieee_div_zero 0
		.amdhsa_exception_fp_ieee_overflow 0
		.amdhsa_exception_fp_ieee_underflow 0
		.amdhsa_exception_fp_ieee_inexact 0
		.amdhsa_exception_int_div_zero 0
	.end_amdhsa_kernel
	.section	.text._ZL39rocblas_trsm_block_forward_substitutionI19rocblas_complex_numIdES1_PKPKS1_PKPS1_Lb0ELb1ELb0EEv18rocblas_operation_llT0_T1_lllT2_lllib,"axG",@progbits,_ZL39rocblas_trsm_block_forward_substitutionI19rocblas_complex_numIdES1_PKPKS1_PKPS1_Lb0ELb1ELb0EEv18rocblas_operation_llT0_T1_lllT2_lllib,comdat
.Lfunc_end245:
	.size	_ZL39rocblas_trsm_block_forward_substitutionI19rocblas_complex_numIdES1_PKPKS1_PKPS1_Lb0ELb1ELb0EEv18rocblas_operation_llT0_T1_lllT2_lllib, .Lfunc_end245-_ZL39rocblas_trsm_block_forward_substitutionI19rocblas_complex_numIdES1_PKPKS1_PKPS1_Lb0ELb1ELb0EEv18rocblas_operation_llT0_T1_lllT2_lllib
                                        ; -- End function
	.set _ZL39rocblas_trsm_block_forward_substitutionI19rocblas_complex_numIdES1_PKPKS1_PKPS1_Lb0ELb1ELb0EEv18rocblas_operation_llT0_T1_lllT2_lllib.num_vgpr, 26
	.set _ZL39rocblas_trsm_block_forward_substitutionI19rocblas_complex_numIdES1_PKPKS1_PKPS1_Lb0ELb1ELb0EEv18rocblas_operation_llT0_T1_lllT2_lllib.num_agpr, 0
	.set _ZL39rocblas_trsm_block_forward_substitutionI19rocblas_complex_numIdES1_PKPKS1_PKPS1_Lb0ELb1ELb0EEv18rocblas_operation_llT0_T1_lllT2_lllib.numbered_sgpr, 38
	.set _ZL39rocblas_trsm_block_forward_substitutionI19rocblas_complex_numIdES1_PKPKS1_PKPS1_Lb0ELb1ELb0EEv18rocblas_operation_llT0_T1_lllT2_lllib.num_named_barrier, 0
	.set _ZL39rocblas_trsm_block_forward_substitutionI19rocblas_complex_numIdES1_PKPKS1_PKPS1_Lb0ELb1ELb0EEv18rocblas_operation_llT0_T1_lllT2_lllib.private_seg_size, 0
	.set _ZL39rocblas_trsm_block_forward_substitutionI19rocblas_complex_numIdES1_PKPKS1_PKPS1_Lb0ELb1ELb0EEv18rocblas_operation_llT0_T1_lllT2_lllib.uses_vcc, 1
	.set _ZL39rocblas_trsm_block_forward_substitutionI19rocblas_complex_numIdES1_PKPKS1_PKPS1_Lb0ELb1ELb0EEv18rocblas_operation_llT0_T1_lllT2_lllib.uses_flat_scratch, 0
	.set _ZL39rocblas_trsm_block_forward_substitutionI19rocblas_complex_numIdES1_PKPKS1_PKPS1_Lb0ELb1ELb0EEv18rocblas_operation_llT0_T1_lllT2_lllib.has_dyn_sized_stack, 0
	.set _ZL39rocblas_trsm_block_forward_substitutionI19rocblas_complex_numIdES1_PKPKS1_PKPS1_Lb0ELb1ELb0EEv18rocblas_operation_llT0_T1_lllT2_lllib.has_recursion, 0
	.set _ZL39rocblas_trsm_block_forward_substitutionI19rocblas_complex_numIdES1_PKPKS1_PKPS1_Lb0ELb1ELb0EEv18rocblas_operation_llT0_T1_lllT2_lllib.has_indirect_call, 0
	.section	.AMDGPU.csdata,"",@progbits
; Kernel info:
; codeLenInByte = 2292
; TotalNumSgprs: 44
; NumVgprs: 26
; NumAgprs: 0
; TotalNumVgprs: 26
; ScratchSize: 0
; MemoryBound: 1
; FloatMode: 240
; IeeeMode: 1
; LDSByteSize: 0 bytes/workgroup (compile time only)
; SGPRBlocks: 5
; VGPRBlocks: 3
; NumSGPRsForWavesPerEU: 44
; NumVGPRsForWavesPerEU: 26
; AccumOffset: 28
; Occupancy: 8
; WaveLimiterHint : 1
; COMPUTE_PGM_RSRC2:SCRATCH_EN: 0
; COMPUTE_PGM_RSRC2:USER_SGPR: 2
; COMPUTE_PGM_RSRC2:TRAP_HANDLER: 0
; COMPUTE_PGM_RSRC2:TGID_X_EN: 1
; COMPUTE_PGM_RSRC2:TGID_Y_EN: 1
; COMPUTE_PGM_RSRC2:TGID_Z_EN: 1
; COMPUTE_PGM_RSRC2:TIDIG_COMP_CNT: 1
; COMPUTE_PGM_RSRC3_GFX90A:ACCUM_OFFSET: 6
; COMPUTE_PGM_RSRC3_GFX90A:TG_SPLIT: 0
	.section	.text._ZL40rocblas_trsm_block_backward_substitutionI19rocblas_complex_numIdES1_PKPKS1_PKPS1_Lb0ELb1ELb0EEv18rocblas_operation_llT0_T1_lllT2_lllib,"axG",@progbits,_ZL40rocblas_trsm_block_backward_substitutionI19rocblas_complex_numIdES1_PKPKS1_PKPS1_Lb0ELb1ELb0EEv18rocblas_operation_llT0_T1_lllT2_lllib,comdat
	.globl	_ZL40rocblas_trsm_block_backward_substitutionI19rocblas_complex_numIdES1_PKPKS1_PKPS1_Lb0ELb1ELb0EEv18rocblas_operation_llT0_T1_lllT2_lllib ; -- Begin function _ZL40rocblas_trsm_block_backward_substitutionI19rocblas_complex_numIdES1_PKPKS1_PKPS1_Lb0ELb1ELb0EEv18rocblas_operation_llT0_T1_lllT2_lllib
	.p2align	8
	.type	_ZL40rocblas_trsm_block_backward_substitutionI19rocblas_complex_numIdES1_PKPKS1_PKPS1_Lb0ELb1ELb0EEv18rocblas_operation_llT0_T1_lllT2_lllib,@function
_ZL40rocblas_trsm_block_backward_substitutionI19rocblas_complex_numIdES1_PKPKS1_PKPS1_Lb0ELb1ELb0EEv18rocblas_operation_llT0_T1_lllT2_lllib: ; @_ZL40rocblas_trsm_block_backward_substitutionI19rocblas_complex_numIdES1_PKPKS1_PKPS1_Lb0ELb1ELb0EEv18rocblas_operation_llT0_T1_lllT2_lllib
; %bb.0:
	s_load_dword s2, s[0:1], 0x6c
	s_load_dwordx4 s[24:27], s[0:1], 0x28
	s_load_dwordx2 s[34:35], s[0:1], 0x38
	s_load_dword s28, s[0:1], 0x7c
	s_mov_b32 s5, 0
	s_waitcnt lgkmcnt(0)
	s_bitcmp1_b32 s2, 0
	s_cselect_b64 s[6:7], -1, 0
	s_xor_b64 s[20:21], s[6:7], -1
	s_lshl_b64 s[4:5], s[4:5], 3
	s_add_u32 s6, s24, s4
	s_addc_u32 s7, s25, s5
	s_load_dwordx2 s[24:25], s[6:7], 0x0
	s_load_dwordx2 s[22:23], s[0:1], 0x58
	s_load_dwordx4 s[16:19], s[0:1], 0x48
	s_load_dwordx8 s[8:15], s[0:1], 0x8
	s_lshl_b64 s[6:7], s[26:27], 4
	s_waitcnt lgkmcnt(0)
	s_add_u32 s6, s24, s6
	s_addc_u32 s7, s25, s7
	s_add_u32 s4, s16, s4
	s_addc_u32 s5, s17, s5
	s_load_dwordx2 s[24:25], s[4:5], 0x0
	s_add_u32 s26, s0, 0x70
	v_and_b32_e32 v8, 0x3ff, v0
	v_bfe_u32 v16, v0, 10, 10
	s_addc_u32 s27, s1, 0
	s_lshr_b32 s2, s28, 16
	s_mov_b64 s[4:5], 1
	s_and_b64 vcc, exec, s[20:21]
	s_cbranch_vccnz .LBB246_15
; %bb.1:
	s_lshl_b32 s4, s2, 4
	s_add_i32 s28, s4, 0
	v_cmp_lt_i64_e64 s[4:5], s[8:9], 1
	s_mov_b64 s[16:17], 1
	s_and_b64 vcc, exec, s[4:5]
	s_cbranch_vccnz .LBB246_16
; %bb.2:
	v_mad_u64_u32 v[2:3], s[36:37], s34, v8, 0
	v_mov_b32_e32 v4, v3
	v_mad_u64_u32 v[4:5], s[34:35], s35, v8, v[4:5]
	v_mov_b32_e32 v9, 0
	v_mov_b32_e32 v3, v4
	v_lshlrev_b32_e32 v0, 4, v8
	v_cmp_le_u64_e64 s[30:31], s[8:9], v[8:9]
	v_lshl_add_u64 v[4:5], v[2:3], 4, s[6:7]
	v_mov_b32_e32 v1, v9
	v_add_u32_e32 v17, s28, v0
	v_cmp_gt_u64_e64 s[4:5], s[8:9], v[8:9]
	v_lshl_add_u64 v[6:7], v[4:5], 0, v[0:1]
	s_xor_b64 s[34:35], s[30:31], -1
	s_mov_b32 s29, s2
	v_mov_b32_e32 v10, v16
	s_branch .LBB246_5
.LBB246_3:                              ;   in Loop: Header=BB246_5 Depth=1
	s_or_b64 exec, exec, s[36:37]
	s_load_dword s33, s[26:27], 0xc
	s_waitcnt lgkmcnt(0)
	s_and_b32 s33, s33, 0xffff
	v_mul_u32_u24_e32 v0, s33, v8
	v_lshl_add_u32 v0, v0, 4, v17
	ds_write2_b64 v0, v[12:13], v[14:15] offset1:1
.LBB246_4:                              ;   in Loop: Header=BB246_5 Depth=1
	s_or_b64 exec, exec, s[6:7]
	s_ashr_i32 s6, s29, 31
	v_mov_b32_e32 v0, s29
	v_mov_b32_e32 v1, s6
	v_cmp_le_i64_e32 vcc, s[8:9], v[0:1]
	v_add_u32_e32 v10, s2, v10
	s_add_i32 s29, s29, s2
	s_cbranch_vccnz .LBB246_16
.LBB246_5:                              ; =>This Inner Loop Header: Depth=1
	s_mov_b64 s[38:39], s[30:31]
	s_and_saveexec_b64 s[36:37], s[4:5]
	s_cbranch_execz .LBB246_9
; %bb.6:                                ;   in Loop: Header=BB246_5 Depth=1
	v_ashrrev_i32_e32 v11, 31, v10
	v_cmp_gt_i64_e32 vcc, s[8:9], v[10:11]
	v_cmp_lt_i32_e64 s[6:7], v8, v10
	s_and_b64 s[40:41], s[6:7], vcc
	s_mov_b64 s[38:39], -1
	s_and_saveexec_b64 s[6:7], s[40:41]
	s_cbranch_execz .LBB246_8
; %bb.7:                                ;   in Loop: Header=BB246_5 Depth=1
	v_lshl_add_u64 v[0:1], v[10:11], 4, v[4:5]
	flat_load_dwordx4 v[0:3], v[0:1]
	s_load_dword s33, s[26:27], 0xc
	s_xor_b64 s[38:39], exec, -1
	s_waitcnt lgkmcnt(0)
	s_and_b32 s33, s33, 0xffff
	v_mul_lo_u32 v9, v10, s33
	v_lshl_add_u32 v9, v9, 4, v17
	s_waitcnt vmcnt(0)
	ds_write2_b64 v9, v[0:1], v[2:3] offset1:1
.LBB246_8:                              ;   in Loop: Header=BB246_5 Depth=1
	s_or_b64 exec, exec, s[6:7]
	s_andn2_b64 s[6:7], s[30:31], exec
	s_and_b64 s[38:39], s[38:39], exec
	s_or_b64 s[38:39], s[6:7], s[38:39]
.LBB246_9:                              ;   in Loop: Header=BB246_5 Depth=1
	s_or_b64 exec, exec, s[36:37]
	s_and_saveexec_b64 s[6:7], s[38:39]
	s_cbranch_execz .LBB246_4
; %bb.10:                               ;   in Loop: Header=BB246_5 Depth=1
	v_cmp_eq_u32_e32 vcc, v8, v10
	s_and_b64 s[36:37], s[34:35], vcc
	s_and_b64 exec, exec, s[36:37]
	s_cbranch_execz .LBB246_4
; %bb.11:                               ;   in Loop: Header=BB246_5 Depth=1
	flat_load_dwordx4 v[0:3], v[6:7]
                                        ; implicit-def: $vgpr12_vgpr13
	s_waitcnt vmcnt(0) lgkmcnt(0)
	v_cmp_ngt_f64_e64 s[36:37], |v[0:1]|, |v[2:3]|
	s_and_saveexec_b64 s[38:39], s[36:37]
	s_xor_b64 s[36:37], exec, s[38:39]
                                        ; implicit-def: $vgpr14_vgpr15
	s_cbranch_execz .LBB246_13
; %bb.12:                               ;   in Loop: Header=BB246_5 Depth=1
	v_div_scale_f64 v[12:13], s[38:39], v[2:3], v[2:3], v[0:1]
	v_rcp_f64_e32 v[14:15], v[12:13]
	v_div_scale_f64 v[18:19], vcc, v[0:1], v[2:3], v[0:1]
	v_fma_f64 v[20:21], -v[12:13], v[14:15], 1.0
	v_fmac_f64_e32 v[14:15], v[14:15], v[20:21]
	v_fma_f64 v[20:21], -v[12:13], v[14:15], 1.0
	v_fmac_f64_e32 v[14:15], v[14:15], v[20:21]
	v_mul_f64 v[20:21], v[18:19], v[14:15]
	v_fma_f64 v[12:13], -v[12:13], v[20:21], v[18:19]
	v_div_fmas_f64 v[12:13], v[12:13], v[14:15], v[20:21]
	v_div_fixup_f64 v[12:13], v[12:13], v[2:3], v[0:1]
	v_fmac_f64_e32 v[2:3], v[0:1], v[12:13]
	v_div_scale_f64 v[0:1], s[38:39], v[2:3], v[2:3], 1.0
	v_rcp_f64_e32 v[14:15], v[0:1]
	s_nop 0
	v_fma_f64 v[18:19], -v[0:1], v[14:15], 1.0
	v_fmac_f64_e32 v[14:15], v[14:15], v[18:19]
	v_fma_f64 v[18:19], -v[0:1], v[14:15], 1.0
	v_fmac_f64_e32 v[14:15], v[14:15], v[18:19]
	v_div_scale_f64 v[18:19], vcc, 1.0, v[2:3], 1.0
	v_mul_f64 v[20:21], v[18:19], v[14:15]
	v_fma_f64 v[0:1], -v[0:1], v[20:21], v[18:19]
	s_nop 1
	v_div_fmas_f64 v[0:1], v[0:1], v[14:15], v[20:21]
	v_div_fixup_f64 v[14:15], v[0:1], v[2:3], 1.0
	v_mul_f64 v[12:13], v[12:13], v[14:15]
	v_xor_b32_e32 v15, 0x80000000, v15
                                        ; implicit-def: $vgpr0_vgpr1
.LBB246_13:                             ;   in Loop: Header=BB246_5 Depth=1
	s_andn2_saveexec_b64 s[36:37], s[36:37]
	s_cbranch_execz .LBB246_3
; %bb.14:                               ;   in Loop: Header=BB246_5 Depth=1
	v_div_scale_f64 v[12:13], s[38:39], v[0:1], v[0:1], v[2:3]
	v_rcp_f64_e32 v[14:15], v[12:13]
	v_div_scale_f64 v[18:19], vcc, v[2:3], v[0:1], v[2:3]
	v_fma_f64 v[20:21], -v[12:13], v[14:15], 1.0
	v_fmac_f64_e32 v[14:15], v[14:15], v[20:21]
	v_fma_f64 v[20:21], -v[12:13], v[14:15], 1.0
	v_fmac_f64_e32 v[14:15], v[14:15], v[20:21]
	v_mul_f64 v[20:21], v[18:19], v[14:15]
	v_fma_f64 v[12:13], -v[12:13], v[20:21], v[18:19]
	v_div_fmas_f64 v[12:13], v[12:13], v[14:15], v[20:21]
	v_div_fixup_f64 v[14:15], v[12:13], v[0:1], v[2:3]
	v_fmac_f64_e32 v[0:1], v[2:3], v[14:15]
	v_div_scale_f64 v[2:3], s[38:39], v[0:1], v[0:1], 1.0
	v_rcp_f64_e32 v[12:13], v[2:3]
	s_nop 0
	v_fma_f64 v[18:19], -v[2:3], v[12:13], 1.0
	v_fmac_f64_e32 v[12:13], v[12:13], v[18:19]
	v_fma_f64 v[18:19], -v[2:3], v[12:13], 1.0
	v_fmac_f64_e32 v[12:13], v[12:13], v[18:19]
	v_div_scale_f64 v[18:19], vcc, 1.0, v[0:1], 1.0
	v_mul_f64 v[20:21], v[18:19], v[12:13]
	v_fma_f64 v[2:3], -v[2:3], v[20:21], v[18:19]
	s_nop 1
	v_div_fmas_f64 v[2:3], v[2:3], v[12:13], v[20:21]
	v_div_fixup_f64 v[12:13], v[2:3], v[0:1], 1.0
	v_mul_f64 v[14:15], v[14:15], -v[12:13]
	s_branch .LBB246_3
.LBB246_15:
	s_mov_b64 s[16:17], s[34:35]
	s_branch .LBB246_17
.LBB246_16:
	s_load_dword s4, s[26:27], 0xc
	s_mov_b64 s[6:7], src_shared_base
	s_mov_b32 s29, s7
	s_mov_b32 s5, 0
	s_mov_b64 s[6:7], s[28:29]
	s_waitcnt lgkmcnt(0)
	s_and_b32 s4, s4, 0xffff
.LBB246_17:
	s_mul_i32 s3, s3, s2
	v_add_u32_e32 v0, s3, v16
	v_mov_b32_e32 v1, 0
	v_cmp_gt_i64_e32 vcc, s[10:11], v[0:1]
	s_and_saveexec_b64 s[2:3], vcc
	s_cbranch_execz .LBB246_42
; %bb.18:
	v_mov_b32_e32 v9, v1
	v_cmp_gt_i64_e32 vcc, s[8:9], v[8:9]
	s_and_b64 exec, exec, vcc
	s_cbranch_execz .LBB246_42
; %bb.19:
	v_mad_u64_u32 v[2:3], s[10:11], s22, v0, 0
	s_lshl_b64 s[2:3], s[18:19], 4
	v_mov_b32_e32 v4, v3
	s_waitcnt lgkmcnt(0)
	s_add_u32 s2, s24, s2
	v_mad_u64_u32 v[0:1], s[10:11], s23, v0, v[4:5]
	s_addc_u32 s3, s25, s3
	v_mov_b32_e32 v3, v0
	v_lshl_add_u64 v[0:1], v[2:3], 4, s[2:3]
	v_lshlrev_b32_e32 v2, 4, v8
	v_mov_b32_e32 v3, 0
	v_lshl_add_u64 v[10:11], v[0:1], 0, v[2:3]
	flat_load_dwordx4 v[4:7], v[10:11]
	v_cmp_lt_u64_e64 s[2:3], s[8:9], 2
	s_and_b64 vcc, exec, s[2:3]
	s_waitcnt vmcnt(0) lgkmcnt(0)
	v_mul_f64 v[0:1], s[14:15], v[6:7]
	v_mul_f64 v[2:3], s[12:13], v[6:7]
	v_fma_f64 v[0:1], s[12:13], v[4:5], -v[0:1]
	v_fmac_f64_e32 v[2:3], s[14:15], v[4:5]
	s_cbranch_vccnz .LBB246_33
; %bb.20:
	s_load_dword s0, s[0:1], 0x0
	v_lshl_add_u32 v16, v16, 4, 0
	s_waitcnt lgkmcnt(0)
	s_cmpk_eq_i32 s0, 0x71
	s_cselect_b64 s[0:1], -1, 0
	s_add_u32 s2, s4, s16
	v_mad_u64_u32 v[4:5], s[2:3], s2, v8, 0
	s_addc_u32 s10, s5, s17
	v_mov_b32_e32 v6, v5
	v_mad_u64_u32 v[6:7], s[2:3], s10, v8, v[6:7]
	v_mov_b32_e32 v5, v6
	v_lshl_add_u64 v[12:13], v[4:5], 4, s[6:7]
	v_mad_u64_u32 v[4:5], s[2:3], s16, v8, 0
	v_mov_b32_e32 v6, v5
	s_add_u32 s8, s8, -1
	v_mad_u64_u32 v[6:7], s[2:3], s17, v8, v[6:7]
	s_addc_u32 s9, s9, -1
	s_mul_i32 s2, s4, s9
	s_mul_hi_u32 s3, s4, s8
	s_add_i32 s3, s3, s2
	s_mul_i32 s2, s4, s8
	s_lshl_b64 s[2:3], s[2:3], 4
	s_add_u32 s2, s6, s2
	v_mov_b32_e32 v5, v6
	s_addc_u32 s3, s7, s3
	v_lshl_add_u64 v[14:15], v[4:5], 4, s[2:3]
	s_lshl_b32 s2, s4, 4
	s_sub_u32 s10, 0, s2
	v_cndmask_b32_e64 v4, 0, 1, s[20:21]
	s_subb_u32 s11, 0, 0
	v_cmp_ne_u32_e64 s[2:3], 1, v4
.LBB246_21:                             ; =>This Inner Loop Header: Depth=1
	v_cmp_eq_u64_e32 vcc, s[8:9], v[8:9]
	s_barrier
	s_and_saveexec_b64 s[12:13], vcc
	s_cbranch_execz .LBB246_29
; %bb.22:                               ;   in Loop: Header=BB246_21 Depth=1
	flat_load_dwordx4 v[4:7], v[12:13]
	s_and_b64 vcc, exec, s[2:3]
	s_cbranch_vccnz .LBB246_28
; %bb.23:                               ;   in Loop: Header=BB246_21 Depth=1
	s_waitcnt vmcnt(0) lgkmcnt(0)
	v_cmp_ngt_f64_e64 s[14:15], |v[4:5]|, |v[6:7]|
	s_and_saveexec_b64 s[18:19], s[14:15]
	s_xor_b64 s[14:15], exec, s[18:19]
	s_cbranch_execz .LBB246_25
; %bb.24:                               ;   in Loop: Header=BB246_21 Depth=1
	v_div_scale_f64 v[18:19], s[18:19], v[6:7], v[6:7], v[4:5]
	v_rcp_f64_e32 v[20:21], v[18:19]
	v_div_scale_f64 v[22:23], vcc, v[4:5], v[6:7], v[4:5]
	v_fma_f64 v[24:25], -v[18:19], v[20:21], 1.0
	v_fmac_f64_e32 v[20:21], v[20:21], v[24:25]
	v_fma_f64 v[24:25], -v[18:19], v[20:21], 1.0
	v_fmac_f64_e32 v[20:21], v[20:21], v[24:25]
	v_mul_f64 v[24:25], v[22:23], v[20:21]
	v_fma_f64 v[18:19], -v[18:19], v[24:25], v[22:23]
	v_div_fmas_f64 v[18:19], v[18:19], v[20:21], v[24:25]
	v_div_fixup_f64 v[18:19], v[18:19], v[6:7], v[4:5]
	v_fmac_f64_e32 v[6:7], v[4:5], v[18:19]
	v_div_scale_f64 v[4:5], s[18:19], v[6:7], v[6:7], 1.0
	v_rcp_f64_e32 v[20:21], v[4:5]
	s_nop 0
	v_fma_f64 v[22:23], -v[4:5], v[20:21], 1.0
	v_fmac_f64_e32 v[20:21], v[20:21], v[22:23]
	v_fma_f64 v[22:23], -v[4:5], v[20:21], 1.0
	v_fmac_f64_e32 v[20:21], v[20:21], v[22:23]
	v_div_scale_f64 v[22:23], vcc, 1.0, v[6:7], 1.0
	v_mul_f64 v[24:25], v[22:23], v[20:21]
	v_fma_f64 v[4:5], -v[4:5], v[24:25], v[22:23]
	s_nop 1
	v_div_fmas_f64 v[4:5], v[4:5], v[20:21], v[24:25]
	v_div_fixup_f64 v[6:7], v[4:5], v[6:7], 1.0
	v_mul_f64 v[4:5], v[18:19], v[6:7]
	v_xor_b32_e32 v7, 0x80000000, v7
.LBB246_25:                             ;   in Loop: Header=BB246_21 Depth=1
	s_andn2_saveexec_b64 s[14:15], s[14:15]
	s_cbranch_execz .LBB246_27
; %bb.26:                               ;   in Loop: Header=BB246_21 Depth=1
	v_div_scale_f64 v[18:19], s[18:19], v[4:5], v[4:5], v[6:7]
	v_rcp_f64_e32 v[20:21], v[18:19]
	v_div_scale_f64 v[22:23], vcc, v[6:7], v[4:5], v[6:7]
	v_fma_f64 v[24:25], -v[18:19], v[20:21], 1.0
	v_fmac_f64_e32 v[20:21], v[20:21], v[24:25]
	v_fma_f64 v[24:25], -v[18:19], v[20:21], 1.0
	v_fmac_f64_e32 v[20:21], v[20:21], v[24:25]
	v_mul_f64 v[24:25], v[22:23], v[20:21]
	v_fma_f64 v[18:19], -v[18:19], v[24:25], v[22:23]
	v_div_fmas_f64 v[18:19], v[18:19], v[20:21], v[24:25]
	v_div_fixup_f64 v[18:19], v[18:19], v[4:5], v[6:7]
	v_fmac_f64_e32 v[4:5], v[6:7], v[18:19]
	v_div_scale_f64 v[6:7], s[18:19], v[4:5], v[4:5], 1.0
	v_rcp_f64_e32 v[20:21], v[6:7]
	s_nop 0
	v_fma_f64 v[22:23], -v[6:7], v[20:21], 1.0
	v_fmac_f64_e32 v[20:21], v[20:21], v[22:23]
	v_fma_f64 v[22:23], -v[6:7], v[20:21], 1.0
	v_fmac_f64_e32 v[20:21], v[20:21], v[22:23]
	v_div_scale_f64 v[22:23], vcc, 1.0, v[4:5], 1.0
	v_mul_f64 v[24:25], v[22:23], v[20:21]
	v_fma_f64 v[6:7], -v[6:7], v[24:25], v[22:23]
	s_nop 1
	v_div_fmas_f64 v[6:7], v[6:7], v[20:21], v[24:25]
	v_div_fixup_f64 v[4:5], v[6:7], v[4:5], 1.0
	v_mul_f64 v[6:7], v[18:19], -v[4:5]
.LBB246_27:                             ;   in Loop: Header=BB246_21 Depth=1
	s_or_b64 exec, exec, s[14:15]
.LBB246_28:                             ;   in Loop: Header=BB246_21 Depth=1
	s_waitcnt vmcnt(0) lgkmcnt(0)
	v_mul_f64 v[18:19], v[2:3], v[6:7]
	v_fma_f64 v[18:19], v[0:1], v[4:5], -v[18:19]
	v_mul_f64 v[0:1], v[0:1], v[6:7]
	v_fmac_f64_e32 v[0:1], v[2:3], v[4:5]
	ds_write2_b64 v16, v[18:19], v[0:1] offset1:1
	v_mov_b64_e32 v[2:3], v[0:1]
	v_mov_b64_e32 v[0:1], v[18:19]
.LBB246_29:                             ;   in Loop: Header=BB246_21 Depth=1
	s_or_b64 exec, exec, s[12:13]
	v_cmp_gt_i64_e32 vcc, s[8:9], v[8:9]
	s_waitcnt lgkmcnt(0)
	s_barrier
	s_and_saveexec_b64 s[12:13], vcc
	s_cbranch_execz .LBB246_31
; %bb.30:                               ;   in Loop: Header=BB246_21 Depth=1
	flat_load_dwordx4 v[4:7], v[14:15]
	ds_read2_b64 v[18:21], v16 offset1:1
	s_waitcnt vmcnt(0) lgkmcnt(0)
	v_xor_b32_e32 v17, 0x80000000, v7
	v_cndmask_b32_e64 v7, v7, v17, s[0:1]
	v_mul_f64 v[22:23], v[4:5], v[20:21]
	v_mul_f64 v[20:21], v[6:7], v[20:21]
	v_fmac_f64_e32 v[22:23], v[6:7], v[18:19]
	v_fma_f64 v[4:5], v[4:5], v[18:19], -v[20:21]
	v_add_f64 v[0:1], v[0:1], -v[4:5]
	v_add_f64 v[2:3], v[2:3], -v[22:23]
.LBB246_31:                             ;   in Loop: Header=BB246_21 Depth=1
	s_or_b64 exec, exec, s[12:13]
	s_add_u32 s12, s8, -1
	s_addc_u32 s13, s9, -1
	s_add_u32 s8, s8, 1
	s_addc_u32 s9, s9, 0
	v_cmp_lt_u64_e64 s[8:9], s[8:9], 3
	v_lshl_add_u64 v[14:15], v[14:15], 0, s[10:11]
	s_and_b64 vcc, exec, s[8:9]
	s_cbranch_vccnz .LBB246_33
; %bb.32:                               ;   in Loop: Header=BB246_21 Depth=1
	s_mov_b64 s[8:9], s[12:13]
	s_branch .LBB246_21
.LBB246_33:
	v_cmp_eq_u32_e32 vcc, 0, v8
	s_and_saveexec_b64 s[0:1], vcc
	s_cbranch_execz .LBB246_41
; %bb.34:
	s_add_u32 s2, s4, s16
	v_mad_u64_u32 v[4:5], s[2:3], s2, v8, 0
	s_addc_u32 s4, s5, s17
	v_mov_b32_e32 v6, v5
	v_mad_u64_u32 v[6:7], s[2:3], s4, v8, v[6:7]
	v_mov_b32_e32 v5, v6
	v_lshl_add_u64 v[4:5], v[4:5], 4, s[6:7]
	flat_load_dwordx4 v[4:7], v[4:5]
	s_andn2_b64 vcc, exec, s[20:21]
	s_cbranch_vccnz .LBB246_40
; %bb.35:
	s_waitcnt vmcnt(0) lgkmcnt(0)
	v_cmp_ngt_f64_e64 s[2:3], |v[4:5]|, |v[6:7]|
	s_and_saveexec_b64 s[4:5], s[2:3]
	s_xor_b64 s[2:3], exec, s[4:5]
	s_cbranch_execz .LBB246_37
; %bb.36:
	v_div_scale_f64 v[8:9], s[4:5], v[6:7], v[6:7], v[4:5]
	v_rcp_f64_e32 v[12:13], v[8:9]
	v_div_scale_f64 v[14:15], vcc, v[4:5], v[6:7], v[4:5]
	v_fma_f64 v[16:17], -v[8:9], v[12:13], 1.0
	v_fmac_f64_e32 v[12:13], v[12:13], v[16:17]
	v_fma_f64 v[16:17], -v[8:9], v[12:13], 1.0
	v_fmac_f64_e32 v[12:13], v[12:13], v[16:17]
	v_mul_f64 v[16:17], v[14:15], v[12:13]
	v_fma_f64 v[8:9], -v[8:9], v[16:17], v[14:15]
	v_div_fmas_f64 v[8:9], v[8:9], v[12:13], v[16:17]
	v_div_fixup_f64 v[8:9], v[8:9], v[6:7], v[4:5]
	v_fmac_f64_e32 v[6:7], v[4:5], v[8:9]
	v_div_scale_f64 v[4:5], s[4:5], v[6:7], v[6:7], 1.0
	v_rcp_f64_e32 v[12:13], v[4:5]
	s_nop 0
	v_fma_f64 v[14:15], -v[4:5], v[12:13], 1.0
	v_fmac_f64_e32 v[12:13], v[12:13], v[14:15]
	v_fma_f64 v[14:15], -v[4:5], v[12:13], 1.0
	v_fmac_f64_e32 v[12:13], v[12:13], v[14:15]
	v_div_scale_f64 v[14:15], vcc, 1.0, v[6:7], 1.0
	v_mul_f64 v[16:17], v[14:15], v[12:13]
	v_fma_f64 v[4:5], -v[4:5], v[16:17], v[14:15]
	s_nop 1
	v_div_fmas_f64 v[4:5], v[4:5], v[12:13], v[16:17]
	v_div_fixup_f64 v[6:7], v[4:5], v[6:7], 1.0
	v_mul_f64 v[4:5], v[8:9], v[6:7]
	v_xor_b32_e32 v7, 0x80000000, v7
.LBB246_37:
	s_andn2_saveexec_b64 s[2:3], s[2:3]
	s_cbranch_execz .LBB246_39
; %bb.38:
	v_div_scale_f64 v[8:9], s[4:5], v[4:5], v[4:5], v[6:7]
	v_rcp_f64_e32 v[12:13], v[8:9]
	v_div_scale_f64 v[14:15], vcc, v[6:7], v[4:5], v[6:7]
	v_fma_f64 v[16:17], -v[8:9], v[12:13], 1.0
	v_fmac_f64_e32 v[12:13], v[12:13], v[16:17]
	v_fma_f64 v[16:17], -v[8:9], v[12:13], 1.0
	v_fmac_f64_e32 v[12:13], v[12:13], v[16:17]
	v_mul_f64 v[16:17], v[14:15], v[12:13]
	v_fma_f64 v[8:9], -v[8:9], v[16:17], v[14:15]
	v_div_fmas_f64 v[8:9], v[8:9], v[12:13], v[16:17]
	v_div_fixup_f64 v[8:9], v[8:9], v[4:5], v[6:7]
	v_fmac_f64_e32 v[4:5], v[6:7], v[8:9]
	v_div_scale_f64 v[6:7], s[4:5], v[4:5], v[4:5], 1.0
	v_rcp_f64_e32 v[12:13], v[6:7]
	s_nop 0
	v_fma_f64 v[14:15], -v[6:7], v[12:13], 1.0
	v_fmac_f64_e32 v[12:13], v[12:13], v[14:15]
	v_fma_f64 v[14:15], -v[6:7], v[12:13], 1.0
	v_fmac_f64_e32 v[12:13], v[12:13], v[14:15]
	v_div_scale_f64 v[14:15], vcc, 1.0, v[4:5], 1.0
	v_mul_f64 v[16:17], v[14:15], v[12:13]
	v_fma_f64 v[6:7], -v[6:7], v[16:17], v[14:15]
	s_nop 1
	v_div_fmas_f64 v[6:7], v[6:7], v[12:13], v[16:17]
	v_div_fixup_f64 v[4:5], v[6:7], v[4:5], 1.0
	v_mul_f64 v[6:7], v[8:9], -v[4:5]
.LBB246_39:
	s_or_b64 exec, exec, s[2:3]
.LBB246_40:
	s_waitcnt vmcnt(0) lgkmcnt(0)
	v_mul_f64 v[8:9], v[2:3], v[6:7]
	v_fma_f64 v[8:9], v[0:1], v[4:5], -v[8:9]
	v_mul_f64 v[2:3], v[2:3], v[4:5]
	v_fmac_f64_e32 v[2:3], v[0:1], v[6:7]
	v_mov_b64_e32 v[0:1], v[8:9]
.LBB246_41:
	s_or_b64 exec, exec, s[0:1]
	flat_store_dwordx4 v[10:11], v[0:3]
.LBB246_42:
	s_endpgm
	.section	.rodata,"a",@progbits
	.p2align	6, 0x0
	.amdhsa_kernel _ZL40rocblas_trsm_block_backward_substitutionI19rocblas_complex_numIdES1_PKPKS1_PKPS1_Lb0ELb1ELb0EEv18rocblas_operation_llT0_T1_lllT2_lllib
		.amdhsa_group_segment_fixed_size 0
		.amdhsa_private_segment_fixed_size 0
		.amdhsa_kernarg_size 368
		.amdhsa_user_sgpr_count 2
		.amdhsa_user_sgpr_dispatch_ptr 0
		.amdhsa_user_sgpr_queue_ptr 0
		.amdhsa_user_sgpr_kernarg_segment_ptr 1
		.amdhsa_user_sgpr_dispatch_id 0
		.amdhsa_user_sgpr_kernarg_preload_length 0
		.amdhsa_user_sgpr_kernarg_preload_offset 0
		.amdhsa_user_sgpr_private_segment_size 0
		.amdhsa_uses_dynamic_stack 0
		.amdhsa_enable_private_segment 0
		.amdhsa_system_sgpr_workgroup_id_x 1
		.amdhsa_system_sgpr_workgroup_id_y 1
		.amdhsa_system_sgpr_workgroup_id_z 1
		.amdhsa_system_sgpr_workgroup_info 0
		.amdhsa_system_vgpr_workitem_id 1
		.amdhsa_next_free_vgpr 26
		.amdhsa_next_free_sgpr 42
		.amdhsa_accum_offset 28
		.amdhsa_reserve_vcc 1
		.amdhsa_float_round_mode_32 0
		.amdhsa_float_round_mode_16_64 0
		.amdhsa_float_denorm_mode_32 3
		.amdhsa_float_denorm_mode_16_64 3
		.amdhsa_dx10_clamp 1
		.amdhsa_ieee_mode 1
		.amdhsa_fp16_overflow 0
		.amdhsa_tg_split 0
		.amdhsa_exception_fp_ieee_invalid_op 0
		.amdhsa_exception_fp_denorm_src 0
		.amdhsa_exception_fp_ieee_div_zero 0
		.amdhsa_exception_fp_ieee_overflow 0
		.amdhsa_exception_fp_ieee_underflow 0
		.amdhsa_exception_fp_ieee_inexact 0
		.amdhsa_exception_int_div_zero 0
	.end_amdhsa_kernel
	.section	.text._ZL40rocblas_trsm_block_backward_substitutionI19rocblas_complex_numIdES1_PKPKS1_PKPS1_Lb0ELb1ELb0EEv18rocblas_operation_llT0_T1_lllT2_lllib,"axG",@progbits,_ZL40rocblas_trsm_block_backward_substitutionI19rocblas_complex_numIdES1_PKPKS1_PKPS1_Lb0ELb1ELb0EEv18rocblas_operation_llT0_T1_lllT2_lllib,comdat
.Lfunc_end246:
	.size	_ZL40rocblas_trsm_block_backward_substitutionI19rocblas_complex_numIdES1_PKPKS1_PKPS1_Lb0ELb1ELb0EEv18rocblas_operation_llT0_T1_lllT2_lllib, .Lfunc_end246-_ZL40rocblas_trsm_block_backward_substitutionI19rocblas_complex_numIdES1_PKPKS1_PKPS1_Lb0ELb1ELb0EEv18rocblas_operation_llT0_T1_lllT2_lllib
                                        ; -- End function
	.set _ZL40rocblas_trsm_block_backward_substitutionI19rocblas_complex_numIdES1_PKPKS1_PKPS1_Lb0ELb1ELb0EEv18rocblas_operation_llT0_T1_lllT2_lllib.num_vgpr, 26
	.set _ZL40rocblas_trsm_block_backward_substitutionI19rocblas_complex_numIdES1_PKPKS1_PKPS1_Lb0ELb1ELb0EEv18rocblas_operation_llT0_T1_lllT2_lllib.num_agpr, 0
	.set _ZL40rocblas_trsm_block_backward_substitutionI19rocblas_complex_numIdES1_PKPKS1_PKPS1_Lb0ELb1ELb0EEv18rocblas_operation_llT0_T1_lllT2_lllib.numbered_sgpr, 42
	.set _ZL40rocblas_trsm_block_backward_substitutionI19rocblas_complex_numIdES1_PKPKS1_PKPS1_Lb0ELb1ELb0EEv18rocblas_operation_llT0_T1_lllT2_lllib.num_named_barrier, 0
	.set _ZL40rocblas_trsm_block_backward_substitutionI19rocblas_complex_numIdES1_PKPKS1_PKPS1_Lb0ELb1ELb0EEv18rocblas_operation_llT0_T1_lllT2_lllib.private_seg_size, 0
	.set _ZL40rocblas_trsm_block_backward_substitutionI19rocblas_complex_numIdES1_PKPKS1_PKPS1_Lb0ELb1ELb0EEv18rocblas_operation_llT0_T1_lllT2_lllib.uses_vcc, 1
	.set _ZL40rocblas_trsm_block_backward_substitutionI19rocblas_complex_numIdES1_PKPKS1_PKPS1_Lb0ELb1ELb0EEv18rocblas_operation_llT0_T1_lllT2_lllib.uses_flat_scratch, 0
	.set _ZL40rocblas_trsm_block_backward_substitutionI19rocblas_complex_numIdES1_PKPKS1_PKPS1_Lb0ELb1ELb0EEv18rocblas_operation_llT0_T1_lllT2_lllib.has_dyn_sized_stack, 0
	.set _ZL40rocblas_trsm_block_backward_substitutionI19rocblas_complex_numIdES1_PKPKS1_PKPS1_Lb0ELb1ELb0EEv18rocblas_operation_llT0_T1_lllT2_lllib.has_recursion, 0
	.set _ZL40rocblas_trsm_block_backward_substitutionI19rocblas_complex_numIdES1_PKPKS1_PKPS1_Lb0ELb1ELb0EEv18rocblas_operation_llT0_T1_lllT2_lllib.has_indirect_call, 0
	.section	.AMDGPU.csdata,"",@progbits
; Kernel info:
; codeLenInByte = 2416
; TotalNumSgprs: 48
; NumVgprs: 26
; NumAgprs: 0
; TotalNumVgprs: 26
; ScratchSize: 0
; MemoryBound: 1
; FloatMode: 240
; IeeeMode: 1
; LDSByteSize: 0 bytes/workgroup (compile time only)
; SGPRBlocks: 5
; VGPRBlocks: 3
; NumSGPRsForWavesPerEU: 48
; NumVGPRsForWavesPerEU: 26
; AccumOffset: 28
; Occupancy: 8
; WaveLimiterHint : 1
; COMPUTE_PGM_RSRC2:SCRATCH_EN: 0
; COMPUTE_PGM_RSRC2:USER_SGPR: 2
; COMPUTE_PGM_RSRC2:TRAP_HANDLER: 0
; COMPUTE_PGM_RSRC2:TGID_X_EN: 1
; COMPUTE_PGM_RSRC2:TGID_Y_EN: 1
; COMPUTE_PGM_RSRC2:TGID_Z_EN: 1
; COMPUTE_PGM_RSRC2:TIDIG_COMP_CNT: 1
; COMPUTE_PGM_RSRC3_GFX90A:ACCUM_OFFSET: 6
; COMPUTE_PGM_RSRC3_GFX90A:TG_SPLIT: 0
	.section	.text._ZL39rocblas_trsm_block_forward_substitutionI19rocblas_complex_numIdES1_PKPKS1_PKPS1_Lb0ELb1ELb1EEv18rocblas_operation_llT0_T1_lllT2_lllib,"axG",@progbits,_ZL39rocblas_trsm_block_forward_substitutionI19rocblas_complex_numIdES1_PKPKS1_PKPS1_Lb0ELb1ELb1EEv18rocblas_operation_llT0_T1_lllT2_lllib,comdat
	.globl	_ZL39rocblas_trsm_block_forward_substitutionI19rocblas_complex_numIdES1_PKPKS1_PKPS1_Lb0ELb1ELb1EEv18rocblas_operation_llT0_T1_lllT2_lllib ; -- Begin function _ZL39rocblas_trsm_block_forward_substitutionI19rocblas_complex_numIdES1_PKPKS1_PKPS1_Lb0ELb1ELb1EEv18rocblas_operation_llT0_T1_lllT2_lllib
	.p2align	8
	.type	_ZL39rocblas_trsm_block_forward_substitutionI19rocblas_complex_numIdES1_PKPKS1_PKPS1_Lb0ELb1ELb1EEv18rocblas_operation_llT0_T1_lllT2_lllib,@function
_ZL39rocblas_trsm_block_forward_substitutionI19rocblas_complex_numIdES1_PKPKS1_PKPS1_Lb0ELb1ELb1EEv18rocblas_operation_llT0_T1_lllT2_lllib: ; @_ZL39rocblas_trsm_block_forward_substitutionI19rocblas_complex_numIdES1_PKPKS1_PKPS1_Lb0ELb1ELb1EEv18rocblas_operation_llT0_T1_lllT2_lllib
; %bb.0:
	s_load_dwordx4 s[20:23], s[0:1], 0x28
	s_load_dwordx2 s[16:17], s[0:1], 0x38
	s_mov_b32 s5, 0
	s_lshl_b64 s[24:25], s[4:5], 3
	v_and_b32_e32 v4, 0x3ff, v0
	s_waitcnt lgkmcnt(0)
	s_add_u32 s20, s20, s24
	s_addc_u32 s21, s21, s25
	s_load_dwordx2 s[26:27], s[20:21], 0x0
	s_load_dwordx2 s[18:19], s[0:1], 0x58
	s_load_dwordx4 s[4:7], s[0:1], 0x48
	s_load_dwordx8 s[8:15], s[0:1], 0x8
	s_lshl_b64 s[20:21], s[22:23], 4
	s_waitcnt lgkmcnt(0)
	s_add_u32 s22, s26, s20
	s_addc_u32 s23, s27, s21
	s_add_u32 s4, s4, s24
	s_addc_u32 s5, s5, s25
	s_load_dword s26, s[0:1], 0x6c
	s_load_dword s2, s[0:1], 0x7c
	s_load_dwordx2 s[20:21], s[4:5], 0x0
	s_add_u32 s24, s0, 0x70
	s_addc_u32 s25, s1, 0
	v_bfe_u32 v8, v0, 10, 10
	s_waitcnt lgkmcnt(0)
	s_lshr_b32 s2, s2, 16
	s_bitcmp0_b32 s26, 0
	s_cbranch_scc1 .LBB247_7
; %bb.1:
	s_lshl_b32 s4, s2, 4
	s_add_i32 s26, s4, 0
	v_cmp_lt_i64_e64 s[4:5], s[8:9], 1
	s_and_b64 vcc, exec, s[4:5]
	s_cbranch_vccnz .LBB247_6
; %bb.2:
	v_mov_b32_e32 v5, 0
	v_lshlrev_b32_e32 v0, 4, v4
	v_mov_b32_e32 v1, v5
	v_add_u32_e32 v2, s26, v0
	v_cmp_gt_u64_e64 s[4:5], s[8:9], v[4:5]
	v_lshl_add_u64 v[0:1], s[22:23], 0, v[0:1]
	s_mov_b32 s27, 0
	s_branch .LBB247_4
.LBB247_3:                              ;   in Loop: Header=BB247_4 Depth=1
	s_or_b64 exec, exec, s[22:23]
	s_add_i32 s27, s27, s2
	s_ashr_i32 s22, s27, 31
	v_mov_b32_e32 v6, s27
	v_mov_b32_e32 v7, s22
	v_cmp_le_i64_e32 vcc, s[8:9], v[6:7]
	s_cbranch_vccnz .LBB247_6
.LBB247_4:                              ; =>This Inner Loop Header: Depth=1
	v_add_u32_e32 v3, s27, v8
	v_cmp_gt_i32_e32 vcc, v4, v3
	s_and_b64 s[28:29], s[4:5], vcc
	s_and_saveexec_b64 s[22:23], s[28:29]
	s_cbranch_execz .LBB247_3
; %bb.5:                                ;   in Loop: Header=BB247_4 Depth=1
	v_ashrrev_i32_e32 v5, 31, v3
	v_mul_lo_u32 v9, s17, v3
	v_mul_lo_u32 v5, s16, v5
	v_mad_u64_u32 v[6:7], s[28:29], s16, v3, 0
	v_add3_u32 v7, v7, v5, v9
	v_lshl_add_u64 v[6:7], v[6:7], 4, v[0:1]
	flat_load_dwordx4 v[10:13], v[6:7]
	s_load_dword s28, s[24:25], 0xc
	s_waitcnt lgkmcnt(0)
	s_and_b32 s28, s28, 0xffff
	v_mul_lo_u32 v3, v3, s28
	v_lshl_add_u32 v3, v3, 4, v2
	s_waitcnt vmcnt(0)
	ds_write2_b64 v3, v[10:11], v[12:13] offset1:1
	s_branch .LBB247_3
.LBB247_6:
	s_mov_b64 s[4:5], src_shared_base
	s_load_dword s4, s[24:25], 0xc
	s_mov_b32 s27, s5
	s_mov_b32 s17, 0
	s_mov_b64 s[22:23], s[26:27]
	s_waitcnt lgkmcnt(0)
	s_and_b32 s16, s4, 0xffff
.LBB247_7:
	s_mul_i32 s3, s3, s2
	v_add_u32_e32 v0, s3, v8
	v_mov_b32_e32 v1, 0
	v_cmp_gt_i64_e32 vcc, s[10:11], v[0:1]
	s_and_saveexec_b64 s[2:3], vcc
	s_cbranch_execz .LBB247_17
; %bb.8:
	v_mov_b32_e32 v5, v1
	v_cmp_gt_i64_e32 vcc, s[8:9], v[4:5]
	s_and_b64 exec, exec, vcc
	s_cbranch_execz .LBB247_17
; %bb.9:
	v_mad_u64_u32 v[2:3], s[4:5], s18, v4, 0
	s_lshl_b64 s[2:3], s[6:7], 4
	v_mov_b32_e32 v6, v3
	s_add_u32 s2, s20, s2
	v_mad_u64_u32 v[6:7], s[4:5], s19, v4, v[6:7]
	s_addc_u32 s3, s21, s3
	v_mov_b32_e32 v3, v6
	v_lshl_add_u64 v[2:3], v[2:3], 4, s[2:3]
	v_lshl_add_u64 v[6:7], v[0:1], 4, v[2:3]
	flat_load_dwordx4 v[10:13], v[6:7]
	v_cmp_lt_u64_e64 s[2:3], s[8:9], 2
	s_and_b64 vcc, exec, s[2:3]
	s_waitcnt vmcnt(0) lgkmcnt(0)
	v_mul_f64 v[0:1], s[14:15], v[12:13]
	v_mul_f64 v[2:3], s[12:13], v[12:13]
	v_fma_f64 v[0:1], s[12:13], v[10:11], -v[0:1]
	v_fmac_f64_e32 v[2:3], s[14:15], v[10:11]
	s_cbranch_vccnz .LBB247_16
; %bb.10:
	s_load_dword s0, s[0:1], 0x0
	v_lshlrev_b32_e32 v12, 4, v4
	v_mov_b32_e32 v13, 0
	v_lshl_add_u32 v10, v8, 4, 0
	v_lshl_add_u64 v[8:9], s[22:23], 0, v[12:13]
	s_waitcnt lgkmcnt(0)
	s_cmpk_eq_i32 s0, 0x71
	s_cselect_b64 vcc, -1, 0
	s_add_u32 s2, s8, -1
	s_addc_u32 s3, s9, -1
	s_lshl_b64 s[4:5], s[16:17], 4
	s_mov_b64 s[6:7], 0
	s_branch .LBB247_12
.LBB247_11:                             ;   in Loop: Header=BB247_12 Depth=1
	s_or_b64 exec, exec, s[8:9]
	s_add_u32 s6, s6, 1
	s_addc_u32 s7, s7, 0
	s_cmp_eq_u64 s[2:3], s[6:7]
	v_lshl_add_u64 v[8:9], v[8:9], 0, s[4:5]
	s_cbranch_scc1 .LBB247_16
.LBB247_12:                             ; =>This Inner Loop Header: Depth=1
	v_cmp_eq_u64_e64 s[0:1], s[6:7], v[4:5]
	s_barrier
	s_and_saveexec_b64 s[8:9], s[0:1]
; %bb.13:                               ;   in Loop: Header=BB247_12 Depth=1
	ds_write2_b64 v10, v[0:1], v[2:3] offset1:1
; %bb.14:                               ;   in Loop: Header=BB247_12 Depth=1
	s_or_b64 exec, exec, s[8:9]
	v_cmp_lt_u64_e64 s[0:1], s[6:7], v[4:5]
	s_waitcnt lgkmcnt(0)
	s_barrier
	s_and_saveexec_b64 s[8:9], s[0:1]
	s_cbranch_execz .LBB247_11
; %bb.15:                               ;   in Loop: Header=BB247_12 Depth=1
	flat_load_dwordx4 v[12:15], v[8:9]
	ds_read2_b64 v[16:19], v10 offset1:1
	s_waitcnt vmcnt(0) lgkmcnt(0)
	v_xor_b32_e32 v11, 0x80000000, v15
	v_cndmask_b32_e32 v15, v15, v11, vcc
	v_mul_f64 v[20:21], v[12:13], v[18:19]
	v_mul_f64 v[18:19], v[14:15], v[18:19]
	v_fmac_f64_e32 v[20:21], v[14:15], v[16:17]
	v_fma_f64 v[12:13], v[12:13], v[16:17], -v[18:19]
	v_add_f64 v[0:1], v[0:1], -v[12:13]
	v_add_f64 v[2:3], v[2:3], -v[20:21]
	s_branch .LBB247_11
.LBB247_16:
	flat_store_dwordx4 v[6:7], v[0:3]
.LBB247_17:
	s_endpgm
	.section	.rodata,"a",@progbits
	.p2align	6, 0x0
	.amdhsa_kernel _ZL39rocblas_trsm_block_forward_substitutionI19rocblas_complex_numIdES1_PKPKS1_PKPS1_Lb0ELb1ELb1EEv18rocblas_operation_llT0_T1_lllT2_lllib
		.amdhsa_group_segment_fixed_size 0
		.amdhsa_private_segment_fixed_size 0
		.amdhsa_kernarg_size 368
		.amdhsa_user_sgpr_count 2
		.amdhsa_user_sgpr_dispatch_ptr 0
		.amdhsa_user_sgpr_queue_ptr 0
		.amdhsa_user_sgpr_kernarg_segment_ptr 1
		.amdhsa_user_sgpr_dispatch_id 0
		.amdhsa_user_sgpr_kernarg_preload_length 0
		.amdhsa_user_sgpr_kernarg_preload_offset 0
		.amdhsa_user_sgpr_private_segment_size 0
		.amdhsa_uses_dynamic_stack 0
		.amdhsa_enable_private_segment 0
		.amdhsa_system_sgpr_workgroup_id_x 1
		.amdhsa_system_sgpr_workgroup_id_y 1
		.amdhsa_system_sgpr_workgroup_id_z 1
		.amdhsa_system_sgpr_workgroup_info 0
		.amdhsa_system_vgpr_workitem_id 1
		.amdhsa_next_free_vgpr 22
		.amdhsa_next_free_sgpr 30
		.amdhsa_accum_offset 24
		.amdhsa_reserve_vcc 1
		.amdhsa_float_round_mode_32 0
		.amdhsa_float_round_mode_16_64 0
		.amdhsa_float_denorm_mode_32 3
		.amdhsa_float_denorm_mode_16_64 3
		.amdhsa_dx10_clamp 1
		.amdhsa_ieee_mode 1
		.amdhsa_fp16_overflow 0
		.amdhsa_tg_split 0
		.amdhsa_exception_fp_ieee_invalid_op 0
		.amdhsa_exception_fp_denorm_src 0
		.amdhsa_exception_fp_ieee_div_zero 0
		.amdhsa_exception_fp_ieee_overflow 0
		.amdhsa_exception_fp_ieee_underflow 0
		.amdhsa_exception_fp_ieee_inexact 0
		.amdhsa_exception_int_div_zero 0
	.end_amdhsa_kernel
	.section	.text._ZL39rocblas_trsm_block_forward_substitutionI19rocblas_complex_numIdES1_PKPKS1_PKPS1_Lb0ELb1ELb1EEv18rocblas_operation_llT0_T1_lllT2_lllib,"axG",@progbits,_ZL39rocblas_trsm_block_forward_substitutionI19rocblas_complex_numIdES1_PKPKS1_PKPS1_Lb0ELb1ELb1EEv18rocblas_operation_llT0_T1_lllT2_lllib,comdat
.Lfunc_end247:
	.size	_ZL39rocblas_trsm_block_forward_substitutionI19rocblas_complex_numIdES1_PKPKS1_PKPS1_Lb0ELb1ELb1EEv18rocblas_operation_llT0_T1_lllT2_lllib, .Lfunc_end247-_ZL39rocblas_trsm_block_forward_substitutionI19rocblas_complex_numIdES1_PKPKS1_PKPS1_Lb0ELb1ELb1EEv18rocblas_operation_llT0_T1_lllT2_lllib
                                        ; -- End function
	.set _ZL39rocblas_trsm_block_forward_substitutionI19rocblas_complex_numIdES1_PKPKS1_PKPS1_Lb0ELb1ELb1EEv18rocblas_operation_llT0_T1_lllT2_lllib.num_vgpr, 22
	.set _ZL39rocblas_trsm_block_forward_substitutionI19rocblas_complex_numIdES1_PKPKS1_PKPS1_Lb0ELb1ELb1EEv18rocblas_operation_llT0_T1_lllT2_lllib.num_agpr, 0
	.set _ZL39rocblas_trsm_block_forward_substitutionI19rocblas_complex_numIdES1_PKPKS1_PKPS1_Lb0ELb1ELb1EEv18rocblas_operation_llT0_T1_lllT2_lllib.numbered_sgpr, 30
	.set _ZL39rocblas_trsm_block_forward_substitutionI19rocblas_complex_numIdES1_PKPKS1_PKPS1_Lb0ELb1ELb1EEv18rocblas_operation_llT0_T1_lllT2_lllib.num_named_barrier, 0
	.set _ZL39rocblas_trsm_block_forward_substitutionI19rocblas_complex_numIdES1_PKPKS1_PKPS1_Lb0ELb1ELb1EEv18rocblas_operation_llT0_T1_lllT2_lllib.private_seg_size, 0
	.set _ZL39rocblas_trsm_block_forward_substitutionI19rocblas_complex_numIdES1_PKPKS1_PKPS1_Lb0ELb1ELb1EEv18rocblas_operation_llT0_T1_lllT2_lllib.uses_vcc, 1
	.set _ZL39rocblas_trsm_block_forward_substitutionI19rocblas_complex_numIdES1_PKPKS1_PKPS1_Lb0ELb1ELb1EEv18rocblas_operation_llT0_T1_lllT2_lllib.uses_flat_scratch, 0
	.set _ZL39rocblas_trsm_block_forward_substitutionI19rocblas_complex_numIdES1_PKPKS1_PKPS1_Lb0ELb1ELb1EEv18rocblas_operation_llT0_T1_lllT2_lllib.has_dyn_sized_stack, 0
	.set _ZL39rocblas_trsm_block_forward_substitutionI19rocblas_complex_numIdES1_PKPKS1_PKPS1_Lb0ELb1ELb1EEv18rocblas_operation_llT0_T1_lllT2_lllib.has_recursion, 0
	.set _ZL39rocblas_trsm_block_forward_substitutionI19rocblas_complex_numIdES1_PKPKS1_PKPS1_Lb0ELb1ELb1EEv18rocblas_operation_llT0_T1_lllT2_lllib.has_indirect_call, 0
	.section	.AMDGPU.csdata,"",@progbits
; Kernel info:
; codeLenInByte = 796
; TotalNumSgprs: 36
; NumVgprs: 22
; NumAgprs: 0
; TotalNumVgprs: 22
; ScratchSize: 0
; MemoryBound: 0
; FloatMode: 240
; IeeeMode: 1
; LDSByteSize: 0 bytes/workgroup (compile time only)
; SGPRBlocks: 4
; VGPRBlocks: 2
; NumSGPRsForWavesPerEU: 36
; NumVGPRsForWavesPerEU: 22
; AccumOffset: 24
; Occupancy: 8
; WaveLimiterHint : 1
; COMPUTE_PGM_RSRC2:SCRATCH_EN: 0
; COMPUTE_PGM_RSRC2:USER_SGPR: 2
; COMPUTE_PGM_RSRC2:TRAP_HANDLER: 0
; COMPUTE_PGM_RSRC2:TGID_X_EN: 1
; COMPUTE_PGM_RSRC2:TGID_Y_EN: 1
; COMPUTE_PGM_RSRC2:TGID_Z_EN: 1
; COMPUTE_PGM_RSRC2:TIDIG_COMP_CNT: 1
; COMPUTE_PGM_RSRC3_GFX90A:ACCUM_OFFSET: 5
; COMPUTE_PGM_RSRC3_GFX90A:TG_SPLIT: 0
	.section	.text._ZL40rocblas_trsm_block_backward_substitutionI19rocblas_complex_numIdES1_PKPKS1_PKPS1_Lb0ELb1ELb1EEv18rocblas_operation_llT0_T1_lllT2_lllib,"axG",@progbits,_ZL40rocblas_trsm_block_backward_substitutionI19rocblas_complex_numIdES1_PKPKS1_PKPS1_Lb0ELb1ELb1EEv18rocblas_operation_llT0_T1_lllT2_lllib,comdat
	.globl	_ZL40rocblas_trsm_block_backward_substitutionI19rocblas_complex_numIdES1_PKPKS1_PKPS1_Lb0ELb1ELb1EEv18rocblas_operation_llT0_T1_lllT2_lllib ; -- Begin function _ZL40rocblas_trsm_block_backward_substitutionI19rocblas_complex_numIdES1_PKPKS1_PKPS1_Lb0ELb1ELb1EEv18rocblas_operation_llT0_T1_lllT2_lllib
	.p2align	8
	.type	_ZL40rocblas_trsm_block_backward_substitutionI19rocblas_complex_numIdES1_PKPKS1_PKPS1_Lb0ELb1ELb1EEv18rocblas_operation_llT0_T1_lllT2_lllib,@function
_ZL40rocblas_trsm_block_backward_substitutionI19rocblas_complex_numIdES1_PKPKS1_PKPS1_Lb0ELb1ELb1EEv18rocblas_operation_llT0_T1_lllT2_lllib: ; @_ZL40rocblas_trsm_block_backward_substitutionI19rocblas_complex_numIdES1_PKPKS1_PKPS1_Lb0ELb1ELb1EEv18rocblas_operation_llT0_T1_lllT2_lllib
; %bb.0:
	s_load_dwordx4 s[20:23], s[0:1], 0x28
	s_load_dwordx2 s[28:29], s[0:1], 0x38
	s_mov_b32 s5, 0
	s_lshl_b64 s[4:5], s[4:5], 3
	v_and_b32_e32 v4, 0x3ff, v0
	s_waitcnt lgkmcnt(0)
	s_add_u32 s6, s20, s4
	s_addc_u32 s7, s21, s5
	s_load_dwordx2 s[24:25], s[6:7], 0x0
	s_load_dwordx2 s[20:21], s[0:1], 0x58
	s_load_dwordx4 s[16:19], s[0:1], 0x48
	s_load_dwordx8 s[8:15], s[0:1], 0x8
	s_lshl_b64 s[6:7], s[22:23], 4
	s_waitcnt lgkmcnt(0)
	s_add_u32 s6, s24, s6
	s_addc_u32 s7, s25, s7
	s_add_u32 s4, s16, s4
	s_addc_u32 s5, s17, s5
	s_load_dwordx2 s[22:23], s[4:5], 0x0
	s_load_dword s16, s[0:1], 0x6c
	s_load_dword s2, s[0:1], 0x7c
	s_add_u32 s24, s0, 0x70
	s_addc_u32 s25, s1, 0
	v_bfe_u32 v8, v0, 10, 10
	s_mov_b64 s[4:5], 1
	s_waitcnt lgkmcnt(0)
	s_lshr_b32 s2, s2, 16
	s_bitcmp0_b32 s16, 0
	s_cbranch_scc1 .LBB248_6
; %bb.1:
	s_lshl_b32 s4, s2, 4
	s_add_i32 s26, s4, 0
	v_cmp_lt_i64_e64 s[4:5], s[8:9], 1
	s_mov_b64 s[16:17], 1
	s_and_b64 vcc, exec, s[4:5]
	s_cbranch_vccnz .LBB248_7
; %bb.2:
	v_mad_u64_u32 v[0:1], s[30:31], s28, v4, 0
	v_mov_b32_e32 v2, v1
	v_mad_u64_u32 v[2:3], s[28:29], s29, v4, v[2:3]
	v_mov_b32_e32 v5, 0
	v_mov_b32_e32 v1, v2
	v_lshl_add_u32 v6, v4, 4, s26
	v_cmp_gt_u64_e64 s[4:5], s[8:9], v[4:5]
	v_lshl_add_u64 v[0:1], v[0:1], 4, s[6:7]
	s_mov_b32 s27, 0
	s_branch .LBB248_4
.LBB248_3:                              ;   in Loop: Header=BB248_4 Depth=1
	s_or_b64 exec, exec, s[6:7]
	s_add_i32 s27, s27, s2
	s_ashr_i32 s6, s27, 31
	v_mov_b32_e32 v2, s27
	v_mov_b32_e32 v3, s6
	v_cmp_le_i64_e32 vcc, s[8:9], v[2:3]
	s_cbranch_vccnz .LBB248_7
.LBB248_4:                              ; =>This Inner Loop Header: Depth=1
	v_add_u32_e32 v2, s27, v8
	v_ashrrev_i32_e32 v3, 31, v2
	v_cmp_gt_i64_e32 vcc, s[8:9], v[2:3]
	v_cmp_lt_i32_e64 s[6:7], v4, v2
	s_and_b64 s[6:7], s[6:7], vcc
	s_and_b64 s[28:29], s[4:5], s[6:7]
	s_and_saveexec_b64 s[6:7], s[28:29]
	s_cbranch_execz .LBB248_3
; %bb.5:                                ;   in Loop: Header=BB248_4 Depth=1
	v_lshl_add_u64 v[10:11], v[2:3], 4, v[0:1]
	flat_load_dwordx4 v[10:13], v[10:11]
	s_load_dword s28, s[24:25], 0xc
	s_waitcnt lgkmcnt(0)
	s_and_b32 s28, s28, 0xffff
	v_mul_lo_u32 v2, v2, s28
	v_lshl_add_u32 v2, v2, 4, v6
	s_waitcnt vmcnt(0)
	ds_write2_b64 v2, v[10:11], v[12:13] offset1:1
	s_branch .LBB248_3
.LBB248_6:
	s_mov_b64 s[16:17], s[28:29]
	s_branch .LBB248_8
.LBB248_7:
	s_mov_b64 s[4:5], src_shared_base
	s_load_dword s4, s[24:25], 0xc
	s_mov_b32 s27, s5
	s_mov_b64 s[6:7], s[26:27]
	s_waitcnt lgkmcnt(0)
	s_and_b32 s4, s4, 0xffff
.LBB248_8:
	s_mul_i32 s3, s3, s2
	v_add_u32_e32 v0, s3, v8
	v_mov_b32_e32 v1, 0
	v_cmp_gt_i64_e32 vcc, s[10:11], v[0:1]
	s_and_saveexec_b64 s[2:3], vcc
	s_cbranch_execz .LBB248_19
; %bb.9:
	v_mov_b32_e32 v5, v1
	v_cmp_gt_i64_e32 vcc, s[8:9], v[4:5]
	s_and_b64 exec, exec, vcc
	s_cbranch_execz .LBB248_19
; %bb.10:
	v_mad_u64_u32 v[2:3], s[10:11], s20, v0, 0
	s_lshl_b64 s[2:3], s[18:19], 4
	v_mov_b32_e32 v6, v3
	s_add_u32 s2, s22, s2
	v_mad_u64_u32 v[0:1], s[10:11], s21, v0, v[6:7]
	s_addc_u32 s3, s23, s3
	v_mov_b32_e32 v3, v0
	v_lshl_add_u64 v[0:1], v[2:3], 4, s[2:3]
	v_lshlrev_b32_e32 v2, 4, v4
	v_mov_b32_e32 v3, 0
	v_lshl_add_u64 v[6:7], v[0:1], 0, v[2:3]
	flat_load_dwordx4 v[10:13], v[6:7]
	v_cmp_lt_u64_e64 s[2:3], s[8:9], 2
	s_and_b64 vcc, exec, s[2:3]
	s_waitcnt vmcnt(0) lgkmcnt(0)
	v_mul_f64 v[0:1], s[14:15], v[12:13]
	v_mul_f64 v[2:3], s[12:13], v[12:13]
	v_fma_f64 v[0:1], s[12:13], v[10:11], -v[0:1]
	v_fmac_f64_e32 v[2:3], s[14:15], v[10:11]
	s_cbranch_vccnz .LBB248_18
; %bb.11:
	s_load_dword s2, s[0:1], 0x0
	v_lshl_add_u32 v10, v8, 4, 0
	v_mad_u64_u32 v[8:9], s[0:1], s16, v4, 0
	v_mov_b32_e32 v12, v9
	s_waitcnt lgkmcnt(0)
	s_cmpk_eq_i32 s2, 0x71
	v_mad_u64_u32 v[12:13], s[2:3], s17, v4, v[12:13]
	s_cselect_b64 s[0:1], -1, 0
	s_add_u32 s2, s8, -1
	s_addc_u32 s3, s9, -1
	s_mul_i32 s5, s4, s3
	s_mul_hi_u32 s8, s4, s2
	s_add_i32 s9, s8, s5
	s_mul_i32 s8, s4, s2
	s_lshl_b64 s[8:9], s[8:9], 4
	s_add_u32 s6, s6, s8
	s_addc_u32 s7, s7, s9
	s_lshl_b32 s4, s4, 4
	v_mov_b32_e32 v9, v12
	s_sub_u32 s4, 0, s4
	v_lshl_add_u64 v[8:9], v[8:9], 4, s[6:7]
	s_subb_u32 s5, 0, 0
.LBB248_12:                             ; =>This Inner Loop Header: Depth=1
	v_cmp_eq_u64_e32 vcc, s[2:3], v[4:5]
	s_barrier
	s_and_saveexec_b64 s[6:7], vcc
; %bb.13:                               ;   in Loop: Header=BB248_12 Depth=1
	ds_write2_b64 v10, v[0:1], v[2:3] offset1:1
; %bb.14:                               ;   in Loop: Header=BB248_12 Depth=1
	s_or_b64 exec, exec, s[6:7]
	v_cmp_gt_i64_e32 vcc, s[2:3], v[4:5]
	s_waitcnt lgkmcnt(0)
	s_barrier
	s_and_saveexec_b64 s[6:7], vcc
	s_cbranch_execz .LBB248_16
; %bb.15:                               ;   in Loop: Header=BB248_12 Depth=1
	flat_load_dwordx4 v[12:15], v[8:9]
	ds_read2_b64 v[16:19], v10 offset1:1
	s_waitcnt vmcnt(0) lgkmcnt(0)
	v_xor_b32_e32 v11, 0x80000000, v15
	v_cndmask_b32_e64 v15, v15, v11, s[0:1]
	v_mul_f64 v[20:21], v[12:13], v[18:19]
	v_mul_f64 v[18:19], v[14:15], v[18:19]
	v_fmac_f64_e32 v[20:21], v[14:15], v[16:17]
	v_fma_f64 v[12:13], v[12:13], v[16:17], -v[18:19]
	v_add_f64 v[0:1], v[0:1], -v[12:13]
	v_add_f64 v[2:3], v[2:3], -v[20:21]
.LBB248_16:                             ;   in Loop: Header=BB248_12 Depth=1
	s_or_b64 exec, exec, s[6:7]
	s_add_u32 s6, s2, -1
	s_addc_u32 s7, s3, -1
	s_add_u32 s2, s2, 1
	s_addc_u32 s3, s3, 0
	v_cmp_lt_u64_e64 s[2:3], s[2:3], 3
	v_lshl_add_u64 v[8:9], v[8:9], 0, s[4:5]
	s_and_b64 vcc, exec, s[2:3]
	s_cbranch_vccnz .LBB248_18
; %bb.17:                               ;   in Loop: Header=BB248_12 Depth=1
	s_mov_b64 s[2:3], s[6:7]
	s_branch .LBB248_12
.LBB248_18:
	flat_store_dwordx4 v[6:7], v[0:3]
.LBB248_19:
	s_endpgm
	.section	.rodata,"a",@progbits
	.p2align	6, 0x0
	.amdhsa_kernel _ZL40rocblas_trsm_block_backward_substitutionI19rocblas_complex_numIdES1_PKPKS1_PKPS1_Lb0ELb1ELb1EEv18rocblas_operation_llT0_T1_lllT2_lllib
		.amdhsa_group_segment_fixed_size 0
		.amdhsa_private_segment_fixed_size 0
		.amdhsa_kernarg_size 368
		.amdhsa_user_sgpr_count 2
		.amdhsa_user_sgpr_dispatch_ptr 0
		.amdhsa_user_sgpr_queue_ptr 0
		.amdhsa_user_sgpr_kernarg_segment_ptr 1
		.amdhsa_user_sgpr_dispatch_id 0
		.amdhsa_user_sgpr_kernarg_preload_length 0
		.amdhsa_user_sgpr_kernarg_preload_offset 0
		.amdhsa_user_sgpr_private_segment_size 0
		.amdhsa_uses_dynamic_stack 0
		.amdhsa_enable_private_segment 0
		.amdhsa_system_sgpr_workgroup_id_x 1
		.amdhsa_system_sgpr_workgroup_id_y 1
		.amdhsa_system_sgpr_workgroup_id_z 1
		.amdhsa_system_sgpr_workgroup_info 0
		.amdhsa_system_vgpr_workitem_id 1
		.amdhsa_next_free_vgpr 22
		.amdhsa_next_free_sgpr 32
		.amdhsa_accum_offset 24
		.amdhsa_reserve_vcc 1
		.amdhsa_float_round_mode_32 0
		.amdhsa_float_round_mode_16_64 0
		.amdhsa_float_denorm_mode_32 3
		.amdhsa_float_denorm_mode_16_64 3
		.amdhsa_dx10_clamp 1
		.amdhsa_ieee_mode 1
		.amdhsa_fp16_overflow 0
		.amdhsa_tg_split 0
		.amdhsa_exception_fp_ieee_invalid_op 0
		.amdhsa_exception_fp_denorm_src 0
		.amdhsa_exception_fp_ieee_div_zero 0
		.amdhsa_exception_fp_ieee_overflow 0
		.amdhsa_exception_fp_ieee_underflow 0
		.amdhsa_exception_fp_ieee_inexact 0
		.amdhsa_exception_int_div_zero 0
	.end_amdhsa_kernel
	.section	.text._ZL40rocblas_trsm_block_backward_substitutionI19rocblas_complex_numIdES1_PKPKS1_PKPS1_Lb0ELb1ELb1EEv18rocblas_operation_llT0_T1_lllT2_lllib,"axG",@progbits,_ZL40rocblas_trsm_block_backward_substitutionI19rocblas_complex_numIdES1_PKPKS1_PKPS1_Lb0ELb1ELb1EEv18rocblas_operation_llT0_T1_lllT2_lllib,comdat
.Lfunc_end248:
	.size	_ZL40rocblas_trsm_block_backward_substitutionI19rocblas_complex_numIdES1_PKPKS1_PKPS1_Lb0ELb1ELb1EEv18rocblas_operation_llT0_T1_lllT2_lllib, .Lfunc_end248-_ZL40rocblas_trsm_block_backward_substitutionI19rocblas_complex_numIdES1_PKPKS1_PKPS1_Lb0ELb1ELb1EEv18rocblas_operation_llT0_T1_lllT2_lllib
                                        ; -- End function
	.set _ZL40rocblas_trsm_block_backward_substitutionI19rocblas_complex_numIdES1_PKPKS1_PKPS1_Lb0ELb1ELb1EEv18rocblas_operation_llT0_T1_lllT2_lllib.num_vgpr, 22
	.set _ZL40rocblas_trsm_block_backward_substitutionI19rocblas_complex_numIdES1_PKPKS1_PKPS1_Lb0ELb1ELb1EEv18rocblas_operation_llT0_T1_lllT2_lllib.num_agpr, 0
	.set _ZL40rocblas_trsm_block_backward_substitutionI19rocblas_complex_numIdES1_PKPKS1_PKPS1_Lb0ELb1ELb1EEv18rocblas_operation_llT0_T1_lllT2_lllib.numbered_sgpr, 32
	.set _ZL40rocblas_trsm_block_backward_substitutionI19rocblas_complex_numIdES1_PKPKS1_PKPS1_Lb0ELb1ELb1EEv18rocblas_operation_llT0_T1_lllT2_lllib.num_named_barrier, 0
	.set _ZL40rocblas_trsm_block_backward_substitutionI19rocblas_complex_numIdES1_PKPKS1_PKPS1_Lb0ELb1ELb1EEv18rocblas_operation_llT0_T1_lllT2_lllib.private_seg_size, 0
	.set _ZL40rocblas_trsm_block_backward_substitutionI19rocblas_complex_numIdES1_PKPKS1_PKPS1_Lb0ELb1ELb1EEv18rocblas_operation_llT0_T1_lllT2_lllib.uses_vcc, 1
	.set _ZL40rocblas_trsm_block_backward_substitutionI19rocblas_complex_numIdES1_PKPKS1_PKPS1_Lb0ELb1ELb1EEv18rocblas_operation_llT0_T1_lllT2_lllib.uses_flat_scratch, 0
	.set _ZL40rocblas_trsm_block_backward_substitutionI19rocblas_complex_numIdES1_PKPKS1_PKPS1_Lb0ELb1ELb1EEv18rocblas_operation_llT0_T1_lllT2_lllib.has_dyn_sized_stack, 0
	.set _ZL40rocblas_trsm_block_backward_substitutionI19rocblas_complex_numIdES1_PKPKS1_PKPS1_Lb0ELb1ELb1EEv18rocblas_operation_llT0_T1_lllT2_lllib.has_recursion, 0
	.set _ZL40rocblas_trsm_block_backward_substitutionI19rocblas_complex_numIdES1_PKPKS1_PKPS1_Lb0ELb1ELb1EEv18rocblas_operation_llT0_T1_lllT2_lllib.has_indirect_call, 0
	.section	.AMDGPU.csdata,"",@progbits
; Kernel info:
; codeLenInByte = 876
; TotalNumSgprs: 38
; NumVgprs: 22
; NumAgprs: 0
; TotalNumVgprs: 22
; ScratchSize: 0
; MemoryBound: 0
; FloatMode: 240
; IeeeMode: 1
; LDSByteSize: 0 bytes/workgroup (compile time only)
; SGPRBlocks: 4
; VGPRBlocks: 2
; NumSGPRsForWavesPerEU: 38
; NumVGPRsForWavesPerEU: 22
; AccumOffset: 24
; Occupancy: 8
; WaveLimiterHint : 1
; COMPUTE_PGM_RSRC2:SCRATCH_EN: 0
; COMPUTE_PGM_RSRC2:USER_SGPR: 2
; COMPUTE_PGM_RSRC2:TRAP_HANDLER: 0
; COMPUTE_PGM_RSRC2:TGID_X_EN: 1
; COMPUTE_PGM_RSRC2:TGID_Y_EN: 1
; COMPUTE_PGM_RSRC2:TGID_Z_EN: 1
; COMPUTE_PGM_RSRC2:TIDIG_COMP_CNT: 1
; COMPUTE_PGM_RSRC3_GFX90A:ACCUM_OFFSET: 5
; COMPUTE_PGM_RSRC3_GFX90A:TG_SPLIT: 0
	.section	.text._ZL39rocblas_trsm_block_forward_substitutionI19rocblas_complex_numIdES1_PKPKS1_PKPS1_Lb1ELb1ELb0EEv18rocblas_operation_llT0_T1_lllT2_lllib,"axG",@progbits,_ZL39rocblas_trsm_block_forward_substitutionI19rocblas_complex_numIdES1_PKPKS1_PKPS1_Lb1ELb1ELb0EEv18rocblas_operation_llT0_T1_lllT2_lllib,comdat
	.globl	_ZL39rocblas_trsm_block_forward_substitutionI19rocblas_complex_numIdES1_PKPKS1_PKPS1_Lb1ELb1ELb0EEv18rocblas_operation_llT0_T1_lllT2_lllib ; -- Begin function _ZL39rocblas_trsm_block_forward_substitutionI19rocblas_complex_numIdES1_PKPKS1_PKPS1_Lb1ELb1ELb0EEv18rocblas_operation_llT0_T1_lllT2_lllib
	.p2align	8
	.type	_ZL39rocblas_trsm_block_forward_substitutionI19rocblas_complex_numIdES1_PKPKS1_PKPS1_Lb1ELb1ELb0EEv18rocblas_operation_llT0_T1_lllT2_lllib,@function
_ZL39rocblas_trsm_block_forward_substitutionI19rocblas_complex_numIdES1_PKPKS1_PKPS1_Lb1ELb1ELb0EEv18rocblas_operation_llT0_T1_lllT2_lllib: ; @_ZL39rocblas_trsm_block_forward_substitutionI19rocblas_complex_numIdES1_PKPKS1_PKPS1_Lb1ELb1ELb0EEv18rocblas_operation_llT0_T1_lllT2_lllib
; %bb.0:
	s_load_dword s2, s[0:1], 0x6c
	s_load_dwordx4 s[24:27], s[0:1], 0x28
	s_load_dwordx2 s[30:31], s[0:1], 0x38
	s_load_dword s28, s[0:1], 0x7c
	s_mov_b32 s5, 0
	s_waitcnt lgkmcnt(0)
	s_bitcmp1_b32 s2, 0
	s_cselect_b64 s[6:7], -1, 0
	s_xor_b64 s[16:17], s[6:7], -1
	s_lshl_b64 s[20:21], s[4:5], 3
	s_add_u32 s18, s24, s20
	s_addc_u32 s19, s25, s21
	s_load_dwordx2 s[24:25], s[18:19], 0x0
	s_load_dwordx2 s[22:23], s[0:1], 0x58
	s_load_dwordx4 s[12:15], s[0:1], 0x48
	s_load_dwordx8 s[4:11], s[0:1], 0x8
	s_lshl_b64 s[18:19], s[26:27], 4
	s_waitcnt lgkmcnt(0)
	s_add_u32 s18, s24, s18
	s_addc_u32 s19, s25, s19
	s_add_u32 s12, s12, s20
	s_addc_u32 s13, s13, s21
	s_load_dwordx2 s[24:25], s[12:13], 0x0
	s_add_u32 s26, s0, 0x70
	v_and_b32_e32 v8, 0x3ff, v0
	v_bfe_u32 v16, v0, 10, 10
	s_addc_u32 s27, s1, 0
	s_lshr_b32 s2, s28, 16
	s_mov_b64 s[20:21], 1
	s_and_b64 vcc, exec, s[16:17]
	s_cbranch_vccnz .LBB249_14
; %bb.1:
	s_lshl_b32 s12, s2, 4
	v_cmp_lt_i64_e64 s[20:21], s[4:5], 1
	s_add_i32 s28, s12, 0
	s_mov_b64 s[12:13], 1
	s_and_b64 vcc, exec, s[20:21]
	s_cbranch_vccnz .LBB249_15
; %bb.2:
	v_mad_u64_u32 v[2:3], s[20:21], s30, v8, 0
	v_mov_b32_e32 v4, v3
	v_mad_u64_u32 v[4:5], s[20:21], s31, v8, v[4:5]
	v_mov_b32_e32 v9, 0
	v_mov_b32_e32 v3, v4
	v_lshlrev_b32_e32 v0, 4, v8
	v_cmp_le_u64_e32 vcc, s[4:5], v[8:9]
	v_lshl_add_u64 v[4:5], v[2:3], 4, s[18:19]
	v_mov_b32_e32 v1, v9
	v_add_u32_e32 v17, s28, v0
	v_lshl_add_u64 v[6:7], v[4:5], 0, v[0:1]
	s_xor_b64 s[18:19], vcc, -1
	s_mov_b32 s29, s2
	v_mov_b32_e32 v10, v16
	s_branch .LBB249_6
.LBB249_3:                              ;   in Loop: Header=BB249_6 Depth=1
	s_or_b64 exec, exec, s[34:35]
	s_load_dword s33, s[26:27], 0xc
	s_waitcnt lgkmcnt(0)
	s_and_b32 s33, s33, 0xffff
	v_mul_u32_u24_e32 v0, s33, v8
	v_lshl_add_u32 v0, v0, 4, v17
	ds_write2_b64 v0, v[12:13], v[14:15] offset1:1
.LBB249_4:                              ;   in Loop: Header=BB249_6 Depth=1
	s_or_b64 exec, exec, s[30:31]
.LBB249_5:                              ;   in Loop: Header=BB249_6 Depth=1
	s_or_b64 exec, exec, s[20:21]
	s_ashr_i32 s20, s29, 31
	v_mov_b32_e32 v0, s29
	v_mov_b32_e32 v1, s20
	v_cmp_le_i64_e32 vcc, s[4:5], v[0:1]
	v_add_u32_e32 v10, s2, v10
	s_add_i32 s29, s29, s2
	s_cbranch_vccnz .LBB249_15
.LBB249_6:                              ; =>This Inner Loop Header: Depth=1
	v_cmp_gt_i32_e32 vcc, v8, v10
	s_and_b64 s[20:21], s[18:19], vcc
	s_and_saveexec_b64 s[30:31], s[20:21]
	s_xor_b64 s[20:21], exec, s[30:31]
	s_cbranch_execz .LBB249_8
; %bb.7:                                ;   in Loop: Header=BB249_6 Depth=1
	v_ashrrev_i32_e32 v11, 31, v10
	v_lshl_add_u64 v[0:1], v[10:11], 4, v[4:5]
	flat_load_dwordx4 v[0:3], v[0:1]
	s_load_dword s30, s[26:27], 0xc
	s_waitcnt lgkmcnt(0)
	s_and_b32 s30, s30, 0xffff
	v_mul_lo_u32 v9, v10, s30
	v_lshl_add_u32 v9, v9, 4, v17
	s_waitcnt vmcnt(0)
	ds_write2_b64 v9, v[0:1], v[2:3] offset1:1
.LBB249_8:                              ;   in Loop: Header=BB249_6 Depth=1
	s_andn2_saveexec_b64 s[20:21], s[20:21]
	s_cbranch_execz .LBB249_5
; %bb.9:                                ;   in Loop: Header=BB249_6 Depth=1
	v_cmp_eq_u32_e32 vcc, v8, v10
	s_and_b64 s[34:35], s[18:19], vcc
	s_and_saveexec_b64 s[30:31], s[34:35]
	s_cbranch_execz .LBB249_4
; %bb.10:                               ;   in Loop: Header=BB249_6 Depth=1
	flat_load_dwordx4 v[0:3], v[6:7]
                                        ; implicit-def: $vgpr12_vgpr13
	s_waitcnt vmcnt(0) lgkmcnt(0)
	v_cmp_ngt_f64_e64 s[34:35], |v[0:1]|, |v[2:3]|
	s_and_saveexec_b64 s[36:37], s[34:35]
	s_xor_b64 s[34:35], exec, s[36:37]
                                        ; implicit-def: $vgpr14_vgpr15
	s_cbranch_execz .LBB249_12
; %bb.11:                               ;   in Loop: Header=BB249_6 Depth=1
	v_div_scale_f64 v[12:13], s[36:37], v[2:3], v[2:3], v[0:1]
	v_rcp_f64_e32 v[14:15], v[12:13]
	v_div_scale_f64 v[18:19], vcc, v[0:1], v[2:3], v[0:1]
	v_fma_f64 v[20:21], -v[12:13], v[14:15], 1.0
	v_fmac_f64_e32 v[14:15], v[14:15], v[20:21]
	v_fma_f64 v[20:21], -v[12:13], v[14:15], 1.0
	v_fmac_f64_e32 v[14:15], v[14:15], v[20:21]
	v_mul_f64 v[20:21], v[18:19], v[14:15]
	v_fma_f64 v[12:13], -v[12:13], v[20:21], v[18:19]
	v_div_fmas_f64 v[12:13], v[12:13], v[14:15], v[20:21]
	v_div_fixup_f64 v[12:13], v[12:13], v[2:3], v[0:1]
	v_fmac_f64_e32 v[2:3], v[0:1], v[12:13]
	v_div_scale_f64 v[0:1], s[36:37], v[2:3], v[2:3], 1.0
	v_rcp_f64_e32 v[14:15], v[0:1]
	s_nop 0
	v_fma_f64 v[18:19], -v[0:1], v[14:15], 1.0
	v_fmac_f64_e32 v[14:15], v[14:15], v[18:19]
	v_fma_f64 v[18:19], -v[0:1], v[14:15], 1.0
	v_fmac_f64_e32 v[14:15], v[14:15], v[18:19]
	v_div_scale_f64 v[18:19], vcc, 1.0, v[2:3], 1.0
	v_mul_f64 v[20:21], v[18:19], v[14:15]
	v_fma_f64 v[0:1], -v[0:1], v[20:21], v[18:19]
	s_nop 1
	v_div_fmas_f64 v[0:1], v[0:1], v[14:15], v[20:21]
	v_div_fixup_f64 v[14:15], v[0:1], v[2:3], 1.0
	v_mul_f64 v[12:13], v[12:13], v[14:15]
	v_xor_b32_e32 v15, 0x80000000, v15
                                        ; implicit-def: $vgpr0_vgpr1
.LBB249_12:                             ;   in Loop: Header=BB249_6 Depth=1
	s_andn2_saveexec_b64 s[34:35], s[34:35]
	s_cbranch_execz .LBB249_3
; %bb.13:                               ;   in Loop: Header=BB249_6 Depth=1
	v_div_scale_f64 v[12:13], s[36:37], v[0:1], v[0:1], v[2:3]
	v_rcp_f64_e32 v[14:15], v[12:13]
	v_div_scale_f64 v[18:19], vcc, v[2:3], v[0:1], v[2:3]
	v_fma_f64 v[20:21], -v[12:13], v[14:15], 1.0
	v_fmac_f64_e32 v[14:15], v[14:15], v[20:21]
	v_fma_f64 v[20:21], -v[12:13], v[14:15], 1.0
	v_fmac_f64_e32 v[14:15], v[14:15], v[20:21]
	v_mul_f64 v[20:21], v[18:19], v[14:15]
	v_fma_f64 v[12:13], -v[12:13], v[20:21], v[18:19]
	v_div_fmas_f64 v[12:13], v[12:13], v[14:15], v[20:21]
	v_div_fixup_f64 v[14:15], v[12:13], v[0:1], v[2:3]
	v_fmac_f64_e32 v[0:1], v[2:3], v[14:15]
	v_div_scale_f64 v[2:3], s[36:37], v[0:1], v[0:1], 1.0
	v_rcp_f64_e32 v[12:13], v[2:3]
	s_nop 0
	v_fma_f64 v[18:19], -v[2:3], v[12:13], 1.0
	v_fmac_f64_e32 v[12:13], v[12:13], v[18:19]
	v_fma_f64 v[18:19], -v[2:3], v[12:13], 1.0
	v_fmac_f64_e32 v[12:13], v[12:13], v[18:19]
	v_div_scale_f64 v[18:19], vcc, 1.0, v[0:1], 1.0
	v_mul_f64 v[20:21], v[18:19], v[12:13]
	v_fma_f64 v[2:3], -v[2:3], v[20:21], v[18:19]
	s_nop 1
	v_div_fmas_f64 v[2:3], v[2:3], v[12:13], v[20:21]
	v_div_fixup_f64 v[12:13], v[2:3], v[0:1], 1.0
	v_mul_f64 v[14:15], v[14:15], -v[12:13]
	s_branch .LBB249_3
.LBB249_14:
	s_mov_b64 s[12:13], s[30:31]
	s_branch .LBB249_16
.LBB249_15:
	s_mov_b64 s[18:19], src_shared_base
	s_load_dword s18, s[26:27], 0xc
	s_mov_b32 s29, s19
	s_mov_b32 s21, 0
	s_waitcnt lgkmcnt(0)
	s_and_b32 s20, s18, 0xffff
	s_mov_b64 s[18:19], s[28:29]
.LBB249_16:
	s_mul_i32 s3, s3, s2
	v_add_u32_e32 v0, s3, v16
	v_mov_b32_e32 v1, 0
	v_cmp_gt_i64_e32 vcc, s[6:7], v[0:1]
	s_and_saveexec_b64 s[2:3], vcc
	s_cbranch_execz .LBB249_40
; %bb.17:
	v_mov_b32_e32 v9, v1
	v_cmp_gt_i64_e32 vcc, s[4:5], v[8:9]
	s_and_b64 exec, exec, vcc
	s_cbranch_execz .LBB249_40
; %bb.18:
	v_mad_u64_u32 v[2:3], s[6:7], s22, v8, 0
	s_lshl_b64 s[2:3], s[14:15], 4
	v_mov_b32_e32 v4, v3
	s_waitcnt lgkmcnt(0)
	s_add_u32 s2, s24, s2
	v_mad_u64_u32 v[4:5], s[6:7], s23, v8, v[4:5]
	s_addc_u32 s3, s25, s3
	v_mov_b32_e32 v3, v4
	v_lshl_add_u64 v[2:3], v[2:3], 4, s[2:3]
	v_lshl_add_u64 v[10:11], v[0:1], 4, v[2:3]
	flat_load_dwordx4 v[4:7], v[10:11]
	v_cmp_lt_u64_e64 s[2:3], s[4:5], 2
	s_add_u32 s4, s4, -1
	s_addc_u32 s5, s5, -1
	s_and_b64 vcc, exec, s[2:3]
	s_waitcnt vmcnt(0) lgkmcnt(0)
	v_mul_f64 v[0:1], s[10:11], v[6:7]
	v_mul_f64 v[2:3], s[8:9], v[6:7]
	v_fma_f64 v[0:1], s[8:9], v[4:5], -v[0:1]
	v_fmac_f64_e32 v[2:3], s[10:11], v[4:5]
	s_cbranch_vccnz .LBB249_31
; %bb.19:
	s_load_dword s0, s[0:1], 0x0
	s_mov_b32 s7, 0
	v_lshl_add_u32 v16, v16, 4, 0
	s_mov_b64 s[8:9], 0
	s_waitcnt lgkmcnt(0)
	s_cmpk_eq_i32 s0, 0x71
	s_cselect_b64 s[0:1], -1, 0
	s_add_u32 s2, s20, s12
	v_mad_u64_u32 v[4:5], s[2:3], s2, v8, 0
	s_addc_u32 s6, s21, s13
	v_mov_b32_e32 v6, v5
	v_mad_u64_u32 v[6:7], s[2:3], s6, v8, v[6:7]
	v_mov_b32_e32 v5, v6
	v_lshl_add_u64 v[12:13], v[4:5], 4, s[18:19]
	v_mad_u64_u32 v[4:5], s[2:3], s12, v8, 0
	v_mov_b32_e32 v6, v5
	v_mad_u64_u32 v[6:7], s[2:3], s13, v8, v[6:7]
	v_mov_b32_e32 v5, v6
	v_lshl_add_u64 v[14:15], v[4:5], 4, s[18:19]
	v_cndmask_b32_e64 v4, 0, 1, s[16:17]
	s_lshl_b32 s6, s20, 4
	v_cmp_ne_u32_e64 s[2:3], 1, v4
	s_branch .LBB249_21
.LBB249_20:                             ;   in Loop: Header=BB249_21 Depth=1
	s_or_b64 exec, exec, s[10:11]
	s_add_u32 s8, s8, 1
	s_addc_u32 s9, s9, 0
	s_cmp_eq_u64 s[4:5], s[8:9]
	v_lshl_add_u64 v[14:15], v[14:15], 0, s[6:7]
	s_cbranch_scc1 .LBB249_31
.LBB249_21:                             ; =>This Inner Loop Header: Depth=1
	v_cmp_eq_u64_e32 vcc, s[8:9], v[8:9]
	s_barrier
	s_and_saveexec_b64 s[10:11], vcc
	s_cbranch_execz .LBB249_29
; %bb.22:                               ;   in Loop: Header=BB249_21 Depth=1
	flat_load_dwordx4 v[4:7], v[12:13]
	s_and_b64 vcc, exec, s[2:3]
	s_cbranch_vccnz .LBB249_28
; %bb.23:                               ;   in Loop: Header=BB249_21 Depth=1
	s_waitcnt vmcnt(0) lgkmcnt(0)
	v_cmp_ngt_f64_e64 s[14:15], |v[4:5]|, |v[6:7]|
	s_and_saveexec_b64 s[22:23], s[14:15]
	s_xor_b64 s[14:15], exec, s[22:23]
	s_cbranch_execz .LBB249_25
; %bb.24:                               ;   in Loop: Header=BB249_21 Depth=1
	v_div_scale_f64 v[18:19], s[22:23], v[6:7], v[6:7], v[4:5]
	v_rcp_f64_e32 v[20:21], v[18:19]
	v_div_scale_f64 v[22:23], vcc, v[4:5], v[6:7], v[4:5]
	v_fma_f64 v[24:25], -v[18:19], v[20:21], 1.0
	v_fmac_f64_e32 v[20:21], v[20:21], v[24:25]
	v_fma_f64 v[24:25], -v[18:19], v[20:21], 1.0
	v_fmac_f64_e32 v[20:21], v[20:21], v[24:25]
	v_mul_f64 v[24:25], v[22:23], v[20:21]
	v_fma_f64 v[18:19], -v[18:19], v[24:25], v[22:23]
	v_div_fmas_f64 v[18:19], v[18:19], v[20:21], v[24:25]
	v_div_fixup_f64 v[18:19], v[18:19], v[6:7], v[4:5]
	v_fmac_f64_e32 v[6:7], v[4:5], v[18:19]
	v_div_scale_f64 v[4:5], s[22:23], v[6:7], v[6:7], 1.0
	v_rcp_f64_e32 v[20:21], v[4:5]
	s_nop 0
	v_fma_f64 v[22:23], -v[4:5], v[20:21], 1.0
	v_fmac_f64_e32 v[20:21], v[20:21], v[22:23]
	v_fma_f64 v[22:23], -v[4:5], v[20:21], 1.0
	v_fmac_f64_e32 v[20:21], v[20:21], v[22:23]
	v_div_scale_f64 v[22:23], vcc, 1.0, v[6:7], 1.0
	v_mul_f64 v[24:25], v[22:23], v[20:21]
	v_fma_f64 v[4:5], -v[4:5], v[24:25], v[22:23]
	s_nop 1
	v_div_fmas_f64 v[4:5], v[4:5], v[20:21], v[24:25]
	v_div_fixup_f64 v[6:7], v[4:5], v[6:7], 1.0
	v_mul_f64 v[4:5], v[18:19], v[6:7]
	v_xor_b32_e32 v7, 0x80000000, v7
.LBB249_25:                             ;   in Loop: Header=BB249_21 Depth=1
	s_andn2_saveexec_b64 s[14:15], s[14:15]
	s_cbranch_execz .LBB249_27
; %bb.26:                               ;   in Loop: Header=BB249_21 Depth=1
	v_div_scale_f64 v[18:19], s[22:23], v[4:5], v[4:5], v[6:7]
	v_rcp_f64_e32 v[20:21], v[18:19]
	v_div_scale_f64 v[22:23], vcc, v[6:7], v[4:5], v[6:7]
	v_fma_f64 v[24:25], -v[18:19], v[20:21], 1.0
	v_fmac_f64_e32 v[20:21], v[20:21], v[24:25]
	v_fma_f64 v[24:25], -v[18:19], v[20:21], 1.0
	v_fmac_f64_e32 v[20:21], v[20:21], v[24:25]
	v_mul_f64 v[24:25], v[22:23], v[20:21]
	v_fma_f64 v[18:19], -v[18:19], v[24:25], v[22:23]
	v_div_fmas_f64 v[18:19], v[18:19], v[20:21], v[24:25]
	v_div_fixup_f64 v[18:19], v[18:19], v[4:5], v[6:7]
	v_fmac_f64_e32 v[4:5], v[6:7], v[18:19]
	v_div_scale_f64 v[6:7], s[22:23], v[4:5], v[4:5], 1.0
	v_rcp_f64_e32 v[20:21], v[6:7]
	s_nop 0
	v_fma_f64 v[22:23], -v[6:7], v[20:21], 1.0
	v_fmac_f64_e32 v[20:21], v[20:21], v[22:23]
	v_fma_f64 v[22:23], -v[6:7], v[20:21], 1.0
	v_fmac_f64_e32 v[20:21], v[20:21], v[22:23]
	v_div_scale_f64 v[22:23], vcc, 1.0, v[4:5], 1.0
	v_mul_f64 v[24:25], v[22:23], v[20:21]
	v_fma_f64 v[6:7], -v[6:7], v[24:25], v[22:23]
	s_nop 1
	v_div_fmas_f64 v[6:7], v[6:7], v[20:21], v[24:25]
	v_div_fixup_f64 v[4:5], v[6:7], v[4:5], 1.0
	v_mul_f64 v[6:7], v[18:19], -v[4:5]
.LBB249_27:                             ;   in Loop: Header=BB249_21 Depth=1
	s_or_b64 exec, exec, s[14:15]
.LBB249_28:                             ;   in Loop: Header=BB249_21 Depth=1
	s_waitcnt vmcnt(0) lgkmcnt(0)
	v_mul_f64 v[18:19], v[2:3], v[6:7]
	v_fma_f64 v[18:19], v[0:1], v[4:5], -v[18:19]
	v_mul_f64 v[0:1], v[0:1], v[6:7]
	v_fmac_f64_e32 v[0:1], v[2:3], v[4:5]
	ds_write2_b64 v16, v[18:19], v[0:1] offset1:1
	v_mov_b64_e32 v[2:3], v[0:1]
	v_mov_b64_e32 v[0:1], v[18:19]
.LBB249_29:                             ;   in Loop: Header=BB249_21 Depth=1
	s_or_b64 exec, exec, s[10:11]
	v_cmp_lt_u64_e32 vcc, s[8:9], v[8:9]
	s_waitcnt lgkmcnt(0)
	s_barrier
	s_and_saveexec_b64 s[10:11], vcc
	s_cbranch_execz .LBB249_20
; %bb.30:                               ;   in Loop: Header=BB249_21 Depth=1
	flat_load_dwordx4 v[4:7], v[14:15]
	ds_read2_b64 v[18:21], v16 offset1:1
	s_waitcnt vmcnt(0) lgkmcnt(0)
	v_xor_b32_e32 v17, 0x80000000, v7
	v_cndmask_b32_e64 v7, v7, v17, s[0:1]
	v_mul_f64 v[22:23], v[4:5], v[20:21]
	v_mul_f64 v[20:21], v[6:7], v[20:21]
	v_fmac_f64_e32 v[22:23], v[6:7], v[18:19]
	v_fma_f64 v[4:5], v[4:5], v[18:19], -v[20:21]
	v_add_f64 v[0:1], v[0:1], -v[4:5]
	v_add_f64 v[2:3], v[2:3], -v[22:23]
	s_branch .LBB249_20
.LBB249_31:
	v_cmp_eq_u64_e32 vcc, s[4:5], v[8:9]
	s_and_saveexec_b64 s[0:1], vcc
	s_cbranch_execz .LBB249_39
; %bb.32:
	s_add_u32 s2, s20, s12
	v_mad_u64_u32 v[4:5], s[2:3], s2, v8, 0
	s_addc_u32 s4, s21, s13
	v_mov_b32_e32 v6, v5
	v_mad_u64_u32 v[6:7], s[2:3], s4, v8, v[6:7]
	v_mov_b32_e32 v5, v6
	v_lshl_add_u64 v[4:5], v[4:5], 4, s[18:19]
	flat_load_dwordx4 v[4:7], v[4:5]
	s_andn2_b64 vcc, exec, s[16:17]
	s_cbranch_vccnz .LBB249_38
; %bb.33:
	s_waitcnt vmcnt(0) lgkmcnt(0)
	v_cmp_ngt_f64_e64 s[2:3], |v[4:5]|, |v[6:7]|
	s_and_saveexec_b64 s[4:5], s[2:3]
	s_xor_b64 s[2:3], exec, s[4:5]
	s_cbranch_execz .LBB249_35
; %bb.34:
	v_div_scale_f64 v[8:9], s[4:5], v[6:7], v[6:7], v[4:5]
	v_rcp_f64_e32 v[12:13], v[8:9]
	v_div_scale_f64 v[14:15], vcc, v[4:5], v[6:7], v[4:5]
	v_fma_f64 v[16:17], -v[8:9], v[12:13], 1.0
	v_fmac_f64_e32 v[12:13], v[12:13], v[16:17]
	v_fma_f64 v[16:17], -v[8:9], v[12:13], 1.0
	v_fmac_f64_e32 v[12:13], v[12:13], v[16:17]
	v_mul_f64 v[16:17], v[14:15], v[12:13]
	v_fma_f64 v[8:9], -v[8:9], v[16:17], v[14:15]
	v_div_fmas_f64 v[8:9], v[8:9], v[12:13], v[16:17]
	v_div_fixup_f64 v[8:9], v[8:9], v[6:7], v[4:5]
	v_fmac_f64_e32 v[6:7], v[4:5], v[8:9]
	v_div_scale_f64 v[4:5], s[4:5], v[6:7], v[6:7], 1.0
	v_rcp_f64_e32 v[12:13], v[4:5]
	s_nop 0
	v_fma_f64 v[14:15], -v[4:5], v[12:13], 1.0
	v_fmac_f64_e32 v[12:13], v[12:13], v[14:15]
	v_fma_f64 v[14:15], -v[4:5], v[12:13], 1.0
	v_fmac_f64_e32 v[12:13], v[12:13], v[14:15]
	v_div_scale_f64 v[14:15], vcc, 1.0, v[6:7], 1.0
	v_mul_f64 v[16:17], v[14:15], v[12:13]
	v_fma_f64 v[4:5], -v[4:5], v[16:17], v[14:15]
	s_nop 1
	v_div_fmas_f64 v[4:5], v[4:5], v[12:13], v[16:17]
	v_div_fixup_f64 v[6:7], v[4:5], v[6:7], 1.0
	v_mul_f64 v[4:5], v[8:9], v[6:7]
	v_xor_b32_e32 v7, 0x80000000, v7
.LBB249_35:
	s_andn2_saveexec_b64 s[2:3], s[2:3]
	s_cbranch_execz .LBB249_37
; %bb.36:
	v_div_scale_f64 v[8:9], s[4:5], v[4:5], v[4:5], v[6:7]
	v_rcp_f64_e32 v[12:13], v[8:9]
	v_div_scale_f64 v[14:15], vcc, v[6:7], v[4:5], v[6:7]
	v_fma_f64 v[16:17], -v[8:9], v[12:13], 1.0
	v_fmac_f64_e32 v[12:13], v[12:13], v[16:17]
	v_fma_f64 v[16:17], -v[8:9], v[12:13], 1.0
	v_fmac_f64_e32 v[12:13], v[12:13], v[16:17]
	v_mul_f64 v[16:17], v[14:15], v[12:13]
	v_fma_f64 v[8:9], -v[8:9], v[16:17], v[14:15]
	v_div_fmas_f64 v[8:9], v[8:9], v[12:13], v[16:17]
	v_div_fixup_f64 v[8:9], v[8:9], v[4:5], v[6:7]
	v_fmac_f64_e32 v[4:5], v[6:7], v[8:9]
	v_div_scale_f64 v[6:7], s[4:5], v[4:5], v[4:5], 1.0
	v_rcp_f64_e32 v[12:13], v[6:7]
	s_nop 0
	v_fma_f64 v[14:15], -v[6:7], v[12:13], 1.0
	v_fmac_f64_e32 v[12:13], v[12:13], v[14:15]
	v_fma_f64 v[14:15], -v[6:7], v[12:13], 1.0
	v_fmac_f64_e32 v[12:13], v[12:13], v[14:15]
	v_div_scale_f64 v[14:15], vcc, 1.0, v[4:5], 1.0
	v_mul_f64 v[16:17], v[14:15], v[12:13]
	v_fma_f64 v[6:7], -v[6:7], v[16:17], v[14:15]
	s_nop 1
	v_div_fmas_f64 v[6:7], v[6:7], v[12:13], v[16:17]
	v_div_fixup_f64 v[4:5], v[6:7], v[4:5], 1.0
	v_mul_f64 v[6:7], v[8:9], -v[4:5]
.LBB249_37:
	s_or_b64 exec, exec, s[2:3]
.LBB249_38:
	s_waitcnt vmcnt(0) lgkmcnt(0)
	v_mul_f64 v[8:9], v[2:3], v[6:7]
	v_fma_f64 v[8:9], v[0:1], v[4:5], -v[8:9]
	v_mul_f64 v[2:3], v[2:3], v[4:5]
	v_fmac_f64_e32 v[2:3], v[0:1], v[6:7]
	v_mov_b64_e32 v[0:1], v[8:9]
.LBB249_39:
	s_or_b64 exec, exec, s[0:1]
	flat_store_dwordx4 v[10:11], v[0:3]
.LBB249_40:
	s_endpgm
	.section	.rodata,"a",@progbits
	.p2align	6, 0x0
	.amdhsa_kernel _ZL39rocblas_trsm_block_forward_substitutionI19rocblas_complex_numIdES1_PKPKS1_PKPS1_Lb1ELb1ELb0EEv18rocblas_operation_llT0_T1_lllT2_lllib
		.amdhsa_group_segment_fixed_size 0
		.amdhsa_private_segment_fixed_size 0
		.amdhsa_kernarg_size 368
		.amdhsa_user_sgpr_count 2
		.amdhsa_user_sgpr_dispatch_ptr 0
		.amdhsa_user_sgpr_queue_ptr 0
		.amdhsa_user_sgpr_kernarg_segment_ptr 1
		.amdhsa_user_sgpr_dispatch_id 0
		.amdhsa_user_sgpr_kernarg_preload_length 0
		.amdhsa_user_sgpr_kernarg_preload_offset 0
		.amdhsa_user_sgpr_private_segment_size 0
		.amdhsa_uses_dynamic_stack 0
		.amdhsa_enable_private_segment 0
		.amdhsa_system_sgpr_workgroup_id_x 1
		.amdhsa_system_sgpr_workgroup_id_y 1
		.amdhsa_system_sgpr_workgroup_id_z 1
		.amdhsa_system_sgpr_workgroup_info 0
		.amdhsa_system_vgpr_workitem_id 1
		.amdhsa_next_free_vgpr 26
		.amdhsa_next_free_sgpr 38
		.amdhsa_accum_offset 28
		.amdhsa_reserve_vcc 1
		.amdhsa_float_round_mode_32 0
		.amdhsa_float_round_mode_16_64 0
		.amdhsa_float_denorm_mode_32 3
		.amdhsa_float_denorm_mode_16_64 3
		.amdhsa_dx10_clamp 1
		.amdhsa_ieee_mode 1
		.amdhsa_fp16_overflow 0
		.amdhsa_tg_split 0
		.amdhsa_exception_fp_ieee_invalid_op 0
		.amdhsa_exception_fp_denorm_src 0
		.amdhsa_exception_fp_ieee_div_zero 0
		.amdhsa_exception_fp_ieee_overflow 0
		.amdhsa_exception_fp_ieee_underflow 0
		.amdhsa_exception_fp_ieee_inexact 0
		.amdhsa_exception_int_div_zero 0
	.end_amdhsa_kernel
	.section	.text._ZL39rocblas_trsm_block_forward_substitutionI19rocblas_complex_numIdES1_PKPKS1_PKPS1_Lb1ELb1ELb0EEv18rocblas_operation_llT0_T1_lllT2_lllib,"axG",@progbits,_ZL39rocblas_trsm_block_forward_substitutionI19rocblas_complex_numIdES1_PKPKS1_PKPS1_Lb1ELb1ELb0EEv18rocblas_operation_llT0_T1_lllT2_lllib,comdat
.Lfunc_end249:
	.size	_ZL39rocblas_trsm_block_forward_substitutionI19rocblas_complex_numIdES1_PKPKS1_PKPS1_Lb1ELb1ELb0EEv18rocblas_operation_llT0_T1_lllT2_lllib, .Lfunc_end249-_ZL39rocblas_trsm_block_forward_substitutionI19rocblas_complex_numIdES1_PKPKS1_PKPS1_Lb1ELb1ELb0EEv18rocblas_operation_llT0_T1_lllT2_lllib
                                        ; -- End function
	.set _ZL39rocblas_trsm_block_forward_substitutionI19rocblas_complex_numIdES1_PKPKS1_PKPS1_Lb1ELb1ELb0EEv18rocblas_operation_llT0_T1_lllT2_lllib.num_vgpr, 26
	.set _ZL39rocblas_trsm_block_forward_substitutionI19rocblas_complex_numIdES1_PKPKS1_PKPS1_Lb1ELb1ELb0EEv18rocblas_operation_llT0_T1_lllT2_lllib.num_agpr, 0
	.set _ZL39rocblas_trsm_block_forward_substitutionI19rocblas_complex_numIdES1_PKPKS1_PKPS1_Lb1ELb1ELb0EEv18rocblas_operation_llT0_T1_lllT2_lllib.numbered_sgpr, 38
	.set _ZL39rocblas_trsm_block_forward_substitutionI19rocblas_complex_numIdES1_PKPKS1_PKPS1_Lb1ELb1ELb0EEv18rocblas_operation_llT0_T1_lllT2_lllib.num_named_barrier, 0
	.set _ZL39rocblas_trsm_block_forward_substitutionI19rocblas_complex_numIdES1_PKPKS1_PKPS1_Lb1ELb1ELb0EEv18rocblas_operation_llT0_T1_lllT2_lllib.private_seg_size, 0
	.set _ZL39rocblas_trsm_block_forward_substitutionI19rocblas_complex_numIdES1_PKPKS1_PKPS1_Lb1ELb1ELb0EEv18rocblas_operation_llT0_T1_lllT2_lllib.uses_vcc, 1
	.set _ZL39rocblas_trsm_block_forward_substitutionI19rocblas_complex_numIdES1_PKPKS1_PKPS1_Lb1ELb1ELb0EEv18rocblas_operation_llT0_T1_lllT2_lllib.uses_flat_scratch, 0
	.set _ZL39rocblas_trsm_block_forward_substitutionI19rocblas_complex_numIdES1_PKPKS1_PKPS1_Lb1ELb1ELb0EEv18rocblas_operation_llT0_T1_lllT2_lllib.has_dyn_sized_stack, 0
	.set _ZL39rocblas_trsm_block_forward_substitutionI19rocblas_complex_numIdES1_PKPKS1_PKPS1_Lb1ELb1ELb0EEv18rocblas_operation_llT0_T1_lllT2_lllib.has_recursion, 0
	.set _ZL39rocblas_trsm_block_forward_substitutionI19rocblas_complex_numIdES1_PKPKS1_PKPS1_Lb1ELb1ELb0EEv18rocblas_operation_llT0_T1_lllT2_lllib.has_indirect_call, 0
	.section	.AMDGPU.csdata,"",@progbits
; Kernel info:
; codeLenInByte = 2312
; TotalNumSgprs: 44
; NumVgprs: 26
; NumAgprs: 0
; TotalNumVgprs: 26
; ScratchSize: 0
; MemoryBound: 1
; FloatMode: 240
; IeeeMode: 1
; LDSByteSize: 0 bytes/workgroup (compile time only)
; SGPRBlocks: 5
; VGPRBlocks: 3
; NumSGPRsForWavesPerEU: 44
; NumVGPRsForWavesPerEU: 26
; AccumOffset: 28
; Occupancy: 8
; WaveLimiterHint : 1
; COMPUTE_PGM_RSRC2:SCRATCH_EN: 0
; COMPUTE_PGM_RSRC2:USER_SGPR: 2
; COMPUTE_PGM_RSRC2:TRAP_HANDLER: 0
; COMPUTE_PGM_RSRC2:TGID_X_EN: 1
; COMPUTE_PGM_RSRC2:TGID_Y_EN: 1
; COMPUTE_PGM_RSRC2:TGID_Z_EN: 1
; COMPUTE_PGM_RSRC2:TIDIG_COMP_CNT: 1
; COMPUTE_PGM_RSRC3_GFX90A:ACCUM_OFFSET: 6
; COMPUTE_PGM_RSRC3_GFX90A:TG_SPLIT: 0
	.section	.text._ZL40rocblas_trsm_block_backward_substitutionI19rocblas_complex_numIdES1_PKPKS1_PKPS1_Lb1ELb1ELb0EEv18rocblas_operation_llT0_T1_lllT2_lllib,"axG",@progbits,_ZL40rocblas_trsm_block_backward_substitutionI19rocblas_complex_numIdES1_PKPKS1_PKPS1_Lb1ELb1ELb0EEv18rocblas_operation_llT0_T1_lllT2_lllib,comdat
	.globl	_ZL40rocblas_trsm_block_backward_substitutionI19rocblas_complex_numIdES1_PKPKS1_PKPS1_Lb1ELb1ELb0EEv18rocblas_operation_llT0_T1_lllT2_lllib ; -- Begin function _ZL40rocblas_trsm_block_backward_substitutionI19rocblas_complex_numIdES1_PKPKS1_PKPS1_Lb1ELb1ELb0EEv18rocblas_operation_llT0_T1_lllT2_lllib
	.p2align	8
	.type	_ZL40rocblas_trsm_block_backward_substitutionI19rocblas_complex_numIdES1_PKPKS1_PKPS1_Lb1ELb1ELb0EEv18rocblas_operation_llT0_T1_lllT2_lllib,@function
_ZL40rocblas_trsm_block_backward_substitutionI19rocblas_complex_numIdES1_PKPKS1_PKPS1_Lb1ELb1ELb0EEv18rocblas_operation_llT0_T1_lllT2_lllib: ; @_ZL40rocblas_trsm_block_backward_substitutionI19rocblas_complex_numIdES1_PKPKS1_PKPS1_Lb1ELb1ELb0EEv18rocblas_operation_llT0_T1_lllT2_lllib
; %bb.0:
	s_load_dword s2, s[0:1], 0x6c
	s_load_dwordx4 s[24:27], s[0:1], 0x28
	s_load_dwordx2 s[20:21], s[0:1], 0x38
	s_load_dword s30, s[0:1], 0x7c
	s_mov_b32 s5, 0
	s_waitcnt lgkmcnt(0)
	s_bitcmp1_b32 s2, 0
	s_cselect_b64 s[6:7], -1, 0
	s_xor_b64 s[22:23], s[6:7], -1
	s_lshl_b64 s[4:5], s[4:5], 3
	s_add_u32 s6, s24, s4
	s_addc_u32 s7, s25, s5
	s_load_dwordx2 s[28:29], s[6:7], 0x0
	s_load_dwordx2 s[24:25], s[0:1], 0x58
	s_load_dwordx4 s[16:19], s[0:1], 0x48
	s_load_dwordx8 s[8:15], s[0:1], 0x8
	s_lshl_b64 s[6:7], s[26:27], 4
	s_waitcnt lgkmcnt(0)
	s_add_u32 s6, s28, s6
	s_addc_u32 s7, s29, s7
	s_add_u32 s4, s16, s4
	s_addc_u32 s5, s17, s5
	s_load_dwordx2 s[16:17], s[4:5], 0x0
	s_add_u32 s26, s0, 0x70
	v_and_b32_e32 v8, 0x3ff, v0
	v_bfe_u32 v16, v0, 10, 10
	s_addc_u32 s27, s1, 0
	s_lshr_b32 s2, s30, 16
	s_and_b64 vcc, exec, s[22:23]
	s_cbranch_vccnz .LBB250_16
; %bb.1:
	s_lshl_b32 s4, s2, 4
	s_add_i32 s28, s4, 0
	v_cmp_lt_i64_e64 s[4:5], s[8:9], 1
	s_and_b64 vcc, exec, s[4:5]
	s_cbranch_vccnz .LBB250_15
; %bb.2:
	v_mov_b32_e32 v9, 0
	v_lshlrev_b32_e32 v0, 4, v8
	v_mov_b32_e32 v1, v9
	v_add_u32_e32 v17, s28, v0
	v_lshl_add_u64 v[4:5], s[6:7], 0, v[0:1]
	v_mad_u64_u32 v[0:1], s[6:7], s20, v8, 0
	v_mov_b32_e32 v2, v1
	v_mad_u64_u32 v[2:3], s[6:7], s21, v8, v[2:3]
	v_cmp_le_u64_e64 s[30:31], s[8:9], v[8:9]
	v_mov_b32_e32 v1, v2
	v_cmp_gt_u64_e64 s[4:5], s[8:9], v[8:9]
	v_lshl_add_u64 v[6:7], v[0:1], 4, v[4:5]
	s_xor_b64 s[34:35], s[30:31], -1
	s_mov_b32 s29, s2
	v_mov_b32_e32 v10, v16
	s_branch .LBB250_5
.LBB250_3:                              ;   in Loop: Header=BB250_5 Depth=1
	s_or_b64 exec, exec, s[36:37]
	s_load_dword s33, s[26:27], 0xc
	s_waitcnt lgkmcnt(0)
	s_and_b32 s33, s33, 0xffff
	v_mul_u32_u24_e32 v0, s33, v8
	v_lshl_add_u32 v0, v0, 4, v17
	ds_write2_b64 v0, v[12:13], v[14:15] offset1:1
.LBB250_4:                              ;   in Loop: Header=BB250_5 Depth=1
	s_or_b64 exec, exec, s[6:7]
	s_ashr_i32 s6, s29, 31
	v_mov_b32_e32 v0, s29
	v_mov_b32_e32 v1, s6
	v_cmp_le_i64_e32 vcc, s[8:9], v[0:1]
	v_add_u32_e32 v10, s2, v10
	s_add_i32 s29, s29, s2
	s_cbranch_vccnz .LBB250_15
.LBB250_5:                              ; =>This Inner Loop Header: Depth=1
	s_mov_b64 s[38:39], s[30:31]
	s_and_saveexec_b64 s[36:37], s[4:5]
	s_cbranch_execz .LBB250_9
; %bb.6:                                ;   in Loop: Header=BB250_5 Depth=1
	v_ashrrev_i32_e32 v11, 31, v10
	v_cmp_gt_i64_e32 vcc, s[8:9], v[10:11]
	v_cmp_lt_i32_e64 s[6:7], v8, v10
	s_and_b64 s[40:41], s[6:7], vcc
	s_mov_b64 s[38:39], -1
	s_and_saveexec_b64 s[6:7], s[40:41]
	s_cbranch_execz .LBB250_8
; %bb.7:                                ;   in Loop: Header=BB250_5 Depth=1
	v_mul_lo_u32 v2, s21, v10
	v_mul_lo_u32 v3, s20, v11
	v_mad_u64_u32 v[0:1], s[38:39], s20, v10, 0
	v_add3_u32 v1, v1, v3, v2
	v_lshl_add_u64 v[0:1], v[0:1], 4, v[4:5]
	flat_load_dwordx4 v[0:3], v[0:1]
	s_load_dword s33, s[26:27], 0xc
	s_xor_b64 s[38:39], exec, -1
	s_waitcnt lgkmcnt(0)
	s_and_b32 s33, s33, 0xffff
	v_mul_lo_u32 v9, v10, s33
	v_lshl_add_u32 v9, v9, 4, v17
	s_waitcnt vmcnt(0)
	ds_write2_b64 v9, v[0:1], v[2:3] offset1:1
.LBB250_8:                              ;   in Loop: Header=BB250_5 Depth=1
	s_or_b64 exec, exec, s[6:7]
	s_andn2_b64 s[6:7], s[30:31], exec
	s_and_b64 s[38:39], s[38:39], exec
	s_or_b64 s[38:39], s[6:7], s[38:39]
.LBB250_9:                              ;   in Loop: Header=BB250_5 Depth=1
	s_or_b64 exec, exec, s[36:37]
	s_and_saveexec_b64 s[6:7], s[38:39]
	s_cbranch_execz .LBB250_4
; %bb.10:                               ;   in Loop: Header=BB250_5 Depth=1
	v_cmp_eq_u32_e32 vcc, v8, v10
	s_and_b64 s[36:37], s[34:35], vcc
	s_and_b64 exec, exec, s[36:37]
	s_cbranch_execz .LBB250_4
; %bb.11:                               ;   in Loop: Header=BB250_5 Depth=1
	flat_load_dwordx4 v[0:3], v[6:7]
                                        ; implicit-def: $vgpr12_vgpr13
	s_waitcnt vmcnt(0) lgkmcnt(0)
	v_cmp_ngt_f64_e64 s[36:37], |v[0:1]|, |v[2:3]|
	s_and_saveexec_b64 s[38:39], s[36:37]
	s_xor_b64 s[36:37], exec, s[38:39]
                                        ; implicit-def: $vgpr14_vgpr15
	s_cbranch_execz .LBB250_13
; %bb.12:                               ;   in Loop: Header=BB250_5 Depth=1
	v_div_scale_f64 v[12:13], s[38:39], v[2:3], v[2:3], v[0:1]
	v_rcp_f64_e32 v[14:15], v[12:13]
	v_div_scale_f64 v[18:19], vcc, v[0:1], v[2:3], v[0:1]
	v_fma_f64 v[20:21], -v[12:13], v[14:15], 1.0
	v_fmac_f64_e32 v[14:15], v[14:15], v[20:21]
	v_fma_f64 v[20:21], -v[12:13], v[14:15], 1.0
	v_fmac_f64_e32 v[14:15], v[14:15], v[20:21]
	v_mul_f64 v[20:21], v[18:19], v[14:15]
	v_fma_f64 v[12:13], -v[12:13], v[20:21], v[18:19]
	v_div_fmas_f64 v[12:13], v[12:13], v[14:15], v[20:21]
	v_div_fixup_f64 v[12:13], v[12:13], v[2:3], v[0:1]
	v_fmac_f64_e32 v[2:3], v[0:1], v[12:13]
	v_div_scale_f64 v[0:1], s[38:39], v[2:3], v[2:3], 1.0
	v_rcp_f64_e32 v[14:15], v[0:1]
	s_nop 0
	v_fma_f64 v[18:19], -v[0:1], v[14:15], 1.0
	v_fmac_f64_e32 v[14:15], v[14:15], v[18:19]
	v_fma_f64 v[18:19], -v[0:1], v[14:15], 1.0
	v_fmac_f64_e32 v[14:15], v[14:15], v[18:19]
	v_div_scale_f64 v[18:19], vcc, 1.0, v[2:3], 1.0
	v_mul_f64 v[20:21], v[18:19], v[14:15]
	v_fma_f64 v[0:1], -v[0:1], v[20:21], v[18:19]
	s_nop 1
	v_div_fmas_f64 v[0:1], v[0:1], v[14:15], v[20:21]
	v_div_fixup_f64 v[14:15], v[0:1], v[2:3], 1.0
	v_mul_f64 v[12:13], v[12:13], v[14:15]
	v_xor_b32_e32 v15, 0x80000000, v15
                                        ; implicit-def: $vgpr0_vgpr1
.LBB250_13:                             ;   in Loop: Header=BB250_5 Depth=1
	s_andn2_saveexec_b64 s[36:37], s[36:37]
	s_cbranch_execz .LBB250_3
; %bb.14:                               ;   in Loop: Header=BB250_5 Depth=1
	v_div_scale_f64 v[12:13], s[38:39], v[0:1], v[0:1], v[2:3]
	v_rcp_f64_e32 v[14:15], v[12:13]
	v_div_scale_f64 v[18:19], vcc, v[2:3], v[0:1], v[2:3]
	v_fma_f64 v[20:21], -v[12:13], v[14:15], 1.0
	v_fmac_f64_e32 v[14:15], v[14:15], v[20:21]
	v_fma_f64 v[20:21], -v[12:13], v[14:15], 1.0
	v_fmac_f64_e32 v[14:15], v[14:15], v[20:21]
	v_mul_f64 v[20:21], v[18:19], v[14:15]
	v_fma_f64 v[12:13], -v[12:13], v[20:21], v[18:19]
	v_div_fmas_f64 v[12:13], v[12:13], v[14:15], v[20:21]
	v_div_fixup_f64 v[14:15], v[12:13], v[0:1], v[2:3]
	v_fmac_f64_e32 v[0:1], v[2:3], v[14:15]
	v_div_scale_f64 v[2:3], s[38:39], v[0:1], v[0:1], 1.0
	v_rcp_f64_e32 v[12:13], v[2:3]
	s_nop 0
	v_fma_f64 v[18:19], -v[2:3], v[12:13], 1.0
	v_fmac_f64_e32 v[12:13], v[12:13], v[18:19]
	v_fma_f64 v[18:19], -v[2:3], v[12:13], 1.0
	v_fmac_f64_e32 v[12:13], v[12:13], v[18:19]
	v_div_scale_f64 v[18:19], vcc, 1.0, v[0:1], 1.0
	v_mul_f64 v[20:21], v[18:19], v[12:13]
	v_fma_f64 v[2:3], -v[2:3], v[20:21], v[18:19]
	s_nop 1
	v_div_fmas_f64 v[2:3], v[2:3], v[12:13], v[20:21]
	v_div_fixup_f64 v[12:13], v[2:3], v[0:1], 1.0
	v_mul_f64 v[14:15], v[14:15], -v[12:13]
	s_branch .LBB250_3
.LBB250_15:
	s_mov_b64 s[4:5], src_shared_base
	s_load_dword s4, s[26:27], 0xc
	s_mov_b32 s29, s5
	s_mov_b32 s21, 0
	s_mov_b64 s[6:7], s[28:29]
	s_waitcnt lgkmcnt(0)
	s_and_b32 s20, s4, 0xffff
.LBB250_16:
	s_mul_i32 s3, s3, s2
	v_add_u32_e32 v0, s3, v16
	v_mov_b32_e32 v1, 0
	v_cmp_gt_i64_e32 vcc, s[10:11], v[0:1]
	s_and_saveexec_b64 s[2:3], vcc
	s_cbranch_execz .LBB250_41
; %bb.17:
	v_mov_b32_e32 v9, v1
	v_cmp_gt_i64_e32 vcc, s[8:9], v[8:9]
	s_and_b64 exec, exec, vcc
	s_cbranch_execz .LBB250_41
; %bb.18:
	v_mad_u64_u32 v[2:3], s[4:5], s24, v0, 0
	s_lshl_b64 s[2:3], s[18:19], 4
	v_mov_b32_e32 v4, v3
	s_waitcnt lgkmcnt(0)
	s_add_u32 s2, s16, s2
	v_mad_u64_u32 v[0:1], s[4:5], s25, v0, v[4:5]
	s_addc_u32 s3, s17, s3
	v_mov_b32_e32 v3, v0
	v_lshl_add_u64 v[0:1], v[2:3], 4, s[2:3]
	v_lshlrev_b32_e32 v4, 4, v8
	v_mov_b32_e32 v5, 0
	v_lshl_add_u64 v[10:11], v[0:1], 0, v[4:5]
	flat_load_dwordx4 v[12:15], v[10:11]
	v_cmp_lt_u64_e64 s[2:3], s[8:9], 2
	s_and_b64 vcc, exec, s[2:3]
	s_waitcnt vmcnt(0) lgkmcnt(0)
	v_mul_f64 v[0:1], s[14:15], v[14:15]
	v_mul_f64 v[2:3], s[12:13], v[14:15]
	v_fma_f64 v[0:1], s[12:13], v[12:13], -v[0:1]
	v_fmac_f64_e32 v[2:3], s[14:15], v[12:13]
	s_cbranch_vccnz .LBB250_32
; %bb.19:
	s_load_dword s2, s[0:1], 0x0
	v_mad_u64_u32 v[6:7], s[0:1], v8, s20, v[8:9]
	v_mov_b32_e32 v12, v7
	v_lshl_add_u32 v16, v16, 4, 0
	s_waitcnt lgkmcnt(0)
	s_cmpk_eq_i32 s2, 0x71
	s_cselect_b64 s[0:1], -1, 0
	s_add_u32 s4, s8, -1
	v_mad_u64_u32 v[12:13], s[2:3], v8, s21, v[12:13]
	s_addc_u32 s5, s9, -1
	s_mul_i32 s2, s20, s5
	s_mul_hi_u32 s3, s20, s4
	s_add_i32 s2, s3, s2
	s_mul_i32 s3, s21, s4
	s_add_i32 s3, s2, s3
	s_mul_i32 s2, s20, s4
	s_lshl_b64 s[2:3], s[2:3], 4
	s_add_u32 s2, s6, s2
	s_addc_u32 s3, s7, s3
	v_lshl_add_u64 v[14:15], s[2:3], 0, v[4:5]
	s_lshl_b64 s[2:3], s[20:21], 4
	v_mov_b32_e32 v7, v12
	s_sub_u32 s8, 0, s2
	v_cndmask_b32_e64 v4, 0, 1, s[22:23]
	v_lshl_add_u64 v[12:13], v[6:7], 4, s[6:7]
	s_subb_u32 s9, 0, s3
	v_cmp_ne_u32_e64 s[2:3], 1, v4
.LBB250_20:                             ; =>This Inner Loop Header: Depth=1
	v_cmp_eq_u64_e32 vcc, s[4:5], v[8:9]
	s_barrier
	s_and_saveexec_b64 s[10:11], vcc
	s_cbranch_execz .LBB250_28
; %bb.21:                               ;   in Loop: Header=BB250_20 Depth=1
	flat_load_dwordx4 v[4:7], v[12:13]
	s_and_b64 vcc, exec, s[2:3]
	s_cbranch_vccnz .LBB250_27
; %bb.22:                               ;   in Loop: Header=BB250_20 Depth=1
	s_waitcnt vmcnt(0) lgkmcnt(0)
	v_cmp_ngt_f64_e64 s[12:13], |v[4:5]|, |v[6:7]|
	s_and_saveexec_b64 s[14:15], s[12:13]
	s_xor_b64 s[12:13], exec, s[14:15]
	s_cbranch_execz .LBB250_24
; %bb.23:                               ;   in Loop: Header=BB250_20 Depth=1
	v_div_scale_f64 v[18:19], s[14:15], v[6:7], v[6:7], v[4:5]
	v_rcp_f64_e32 v[20:21], v[18:19]
	v_div_scale_f64 v[22:23], vcc, v[4:5], v[6:7], v[4:5]
	v_fma_f64 v[24:25], -v[18:19], v[20:21], 1.0
	v_fmac_f64_e32 v[20:21], v[20:21], v[24:25]
	v_fma_f64 v[24:25], -v[18:19], v[20:21], 1.0
	v_fmac_f64_e32 v[20:21], v[20:21], v[24:25]
	v_mul_f64 v[24:25], v[22:23], v[20:21]
	v_fma_f64 v[18:19], -v[18:19], v[24:25], v[22:23]
	v_div_fmas_f64 v[18:19], v[18:19], v[20:21], v[24:25]
	v_div_fixup_f64 v[18:19], v[18:19], v[6:7], v[4:5]
	v_fmac_f64_e32 v[6:7], v[4:5], v[18:19]
	v_div_scale_f64 v[4:5], s[14:15], v[6:7], v[6:7], 1.0
	v_rcp_f64_e32 v[20:21], v[4:5]
	s_nop 0
	v_fma_f64 v[22:23], -v[4:5], v[20:21], 1.0
	v_fmac_f64_e32 v[20:21], v[20:21], v[22:23]
	v_fma_f64 v[22:23], -v[4:5], v[20:21], 1.0
	v_fmac_f64_e32 v[20:21], v[20:21], v[22:23]
	v_div_scale_f64 v[22:23], vcc, 1.0, v[6:7], 1.0
	v_mul_f64 v[24:25], v[22:23], v[20:21]
	v_fma_f64 v[4:5], -v[4:5], v[24:25], v[22:23]
	s_nop 1
	v_div_fmas_f64 v[4:5], v[4:5], v[20:21], v[24:25]
	v_div_fixup_f64 v[6:7], v[4:5], v[6:7], 1.0
	v_mul_f64 v[4:5], v[18:19], v[6:7]
	v_xor_b32_e32 v7, 0x80000000, v7
.LBB250_24:                             ;   in Loop: Header=BB250_20 Depth=1
	s_andn2_saveexec_b64 s[12:13], s[12:13]
	s_cbranch_execz .LBB250_26
; %bb.25:                               ;   in Loop: Header=BB250_20 Depth=1
	v_div_scale_f64 v[18:19], s[14:15], v[4:5], v[4:5], v[6:7]
	v_rcp_f64_e32 v[20:21], v[18:19]
	v_div_scale_f64 v[22:23], vcc, v[6:7], v[4:5], v[6:7]
	v_fma_f64 v[24:25], -v[18:19], v[20:21], 1.0
	v_fmac_f64_e32 v[20:21], v[20:21], v[24:25]
	v_fma_f64 v[24:25], -v[18:19], v[20:21], 1.0
	v_fmac_f64_e32 v[20:21], v[20:21], v[24:25]
	v_mul_f64 v[24:25], v[22:23], v[20:21]
	v_fma_f64 v[18:19], -v[18:19], v[24:25], v[22:23]
	v_div_fmas_f64 v[18:19], v[18:19], v[20:21], v[24:25]
	v_div_fixup_f64 v[18:19], v[18:19], v[4:5], v[6:7]
	v_fmac_f64_e32 v[4:5], v[6:7], v[18:19]
	v_div_scale_f64 v[6:7], s[14:15], v[4:5], v[4:5], 1.0
	v_rcp_f64_e32 v[20:21], v[6:7]
	s_nop 0
	v_fma_f64 v[22:23], -v[6:7], v[20:21], 1.0
	v_fmac_f64_e32 v[20:21], v[20:21], v[22:23]
	v_fma_f64 v[22:23], -v[6:7], v[20:21], 1.0
	v_fmac_f64_e32 v[20:21], v[20:21], v[22:23]
	v_div_scale_f64 v[22:23], vcc, 1.0, v[4:5], 1.0
	v_mul_f64 v[24:25], v[22:23], v[20:21]
	v_fma_f64 v[6:7], -v[6:7], v[24:25], v[22:23]
	s_nop 1
	v_div_fmas_f64 v[6:7], v[6:7], v[20:21], v[24:25]
	v_div_fixup_f64 v[4:5], v[6:7], v[4:5], 1.0
	v_mul_f64 v[6:7], v[18:19], -v[4:5]
.LBB250_26:                             ;   in Loop: Header=BB250_20 Depth=1
	s_or_b64 exec, exec, s[12:13]
.LBB250_27:                             ;   in Loop: Header=BB250_20 Depth=1
	s_waitcnt vmcnt(0) lgkmcnt(0)
	v_mul_f64 v[18:19], v[2:3], v[6:7]
	v_fma_f64 v[18:19], v[0:1], v[4:5], -v[18:19]
	v_mul_f64 v[0:1], v[0:1], v[6:7]
	v_fmac_f64_e32 v[0:1], v[2:3], v[4:5]
	ds_write2_b64 v16, v[18:19], v[0:1] offset1:1
	v_mov_b64_e32 v[2:3], v[0:1]
	v_mov_b64_e32 v[0:1], v[18:19]
.LBB250_28:                             ;   in Loop: Header=BB250_20 Depth=1
	s_or_b64 exec, exec, s[10:11]
	v_cmp_gt_i64_e32 vcc, s[4:5], v[8:9]
	s_waitcnt lgkmcnt(0)
	s_barrier
	s_and_saveexec_b64 s[10:11], vcc
	s_cbranch_execz .LBB250_30
; %bb.29:                               ;   in Loop: Header=BB250_20 Depth=1
	flat_load_dwordx4 v[4:7], v[14:15]
	ds_read2_b64 v[18:21], v16 offset1:1
	s_waitcnt vmcnt(0) lgkmcnt(0)
	v_xor_b32_e32 v17, 0x80000000, v7
	v_cndmask_b32_e64 v7, v7, v17, s[0:1]
	v_mul_f64 v[22:23], v[4:5], v[20:21]
	v_mul_f64 v[20:21], v[6:7], v[20:21]
	v_fmac_f64_e32 v[22:23], v[6:7], v[18:19]
	v_fma_f64 v[4:5], v[4:5], v[18:19], -v[20:21]
	v_add_f64 v[0:1], v[0:1], -v[4:5]
	v_add_f64 v[2:3], v[2:3], -v[22:23]
.LBB250_30:                             ;   in Loop: Header=BB250_20 Depth=1
	s_or_b64 exec, exec, s[10:11]
	s_add_u32 s10, s4, -1
	s_addc_u32 s11, s5, -1
	s_add_u32 s4, s4, 1
	s_addc_u32 s5, s5, 0
	v_cmp_lt_u64_e64 s[4:5], s[4:5], 3
	v_lshl_add_u64 v[14:15], v[14:15], 0, s[8:9]
	s_and_b64 vcc, exec, s[4:5]
	s_cbranch_vccnz .LBB250_32
; %bb.31:                               ;   in Loop: Header=BB250_20 Depth=1
	s_mov_b64 s[4:5], s[10:11]
	s_branch .LBB250_20
.LBB250_32:
	v_cmp_eq_u32_e32 vcc, 0, v8
	s_and_saveexec_b64 s[0:1], vcc
	s_cbranch_execz .LBB250_40
; %bb.33:
	v_mad_u64_u32 v[4:5], s[2:3], v8, s20, v[8:9]
	v_mov_b32_e32 v6, v5
	v_mad_u64_u32 v[6:7], s[2:3], v8, s21, v[6:7]
	v_mov_b32_e32 v5, v6
	v_lshl_add_u64 v[4:5], v[4:5], 4, s[6:7]
	flat_load_dwordx4 v[4:7], v[4:5]
	s_andn2_b64 vcc, exec, s[22:23]
	s_cbranch_vccnz .LBB250_39
; %bb.34:
	s_waitcnt vmcnt(0) lgkmcnt(0)
	v_cmp_ngt_f64_e64 s[2:3], |v[4:5]|, |v[6:7]|
	s_and_saveexec_b64 s[4:5], s[2:3]
	s_xor_b64 s[2:3], exec, s[4:5]
	s_cbranch_execz .LBB250_36
; %bb.35:
	v_div_scale_f64 v[8:9], s[4:5], v[6:7], v[6:7], v[4:5]
	v_rcp_f64_e32 v[12:13], v[8:9]
	v_div_scale_f64 v[14:15], vcc, v[4:5], v[6:7], v[4:5]
	v_fma_f64 v[16:17], -v[8:9], v[12:13], 1.0
	v_fmac_f64_e32 v[12:13], v[12:13], v[16:17]
	v_fma_f64 v[16:17], -v[8:9], v[12:13], 1.0
	v_fmac_f64_e32 v[12:13], v[12:13], v[16:17]
	v_mul_f64 v[16:17], v[14:15], v[12:13]
	v_fma_f64 v[8:9], -v[8:9], v[16:17], v[14:15]
	v_div_fmas_f64 v[8:9], v[8:9], v[12:13], v[16:17]
	v_div_fixup_f64 v[8:9], v[8:9], v[6:7], v[4:5]
	v_fmac_f64_e32 v[6:7], v[4:5], v[8:9]
	v_div_scale_f64 v[4:5], s[4:5], v[6:7], v[6:7], 1.0
	v_rcp_f64_e32 v[12:13], v[4:5]
	s_nop 0
	v_fma_f64 v[14:15], -v[4:5], v[12:13], 1.0
	v_fmac_f64_e32 v[12:13], v[12:13], v[14:15]
	v_fma_f64 v[14:15], -v[4:5], v[12:13], 1.0
	v_fmac_f64_e32 v[12:13], v[12:13], v[14:15]
	v_div_scale_f64 v[14:15], vcc, 1.0, v[6:7], 1.0
	v_mul_f64 v[16:17], v[14:15], v[12:13]
	v_fma_f64 v[4:5], -v[4:5], v[16:17], v[14:15]
	s_nop 1
	v_div_fmas_f64 v[4:5], v[4:5], v[12:13], v[16:17]
	v_div_fixup_f64 v[6:7], v[4:5], v[6:7], 1.0
	v_mul_f64 v[4:5], v[8:9], v[6:7]
	v_xor_b32_e32 v7, 0x80000000, v7
.LBB250_36:
	s_andn2_saveexec_b64 s[2:3], s[2:3]
	s_cbranch_execz .LBB250_38
; %bb.37:
	v_div_scale_f64 v[8:9], s[4:5], v[4:5], v[4:5], v[6:7]
	v_rcp_f64_e32 v[12:13], v[8:9]
	v_div_scale_f64 v[14:15], vcc, v[6:7], v[4:5], v[6:7]
	v_fma_f64 v[16:17], -v[8:9], v[12:13], 1.0
	v_fmac_f64_e32 v[12:13], v[12:13], v[16:17]
	v_fma_f64 v[16:17], -v[8:9], v[12:13], 1.0
	v_fmac_f64_e32 v[12:13], v[12:13], v[16:17]
	v_mul_f64 v[16:17], v[14:15], v[12:13]
	v_fma_f64 v[8:9], -v[8:9], v[16:17], v[14:15]
	v_div_fmas_f64 v[8:9], v[8:9], v[12:13], v[16:17]
	v_div_fixup_f64 v[8:9], v[8:9], v[4:5], v[6:7]
	v_fmac_f64_e32 v[4:5], v[6:7], v[8:9]
	v_div_scale_f64 v[6:7], s[4:5], v[4:5], v[4:5], 1.0
	v_rcp_f64_e32 v[12:13], v[6:7]
	s_nop 0
	v_fma_f64 v[14:15], -v[6:7], v[12:13], 1.0
	v_fmac_f64_e32 v[12:13], v[12:13], v[14:15]
	v_fma_f64 v[14:15], -v[6:7], v[12:13], 1.0
	v_fmac_f64_e32 v[12:13], v[12:13], v[14:15]
	v_div_scale_f64 v[14:15], vcc, 1.0, v[4:5], 1.0
	v_mul_f64 v[16:17], v[14:15], v[12:13]
	v_fma_f64 v[6:7], -v[6:7], v[16:17], v[14:15]
	s_nop 1
	v_div_fmas_f64 v[6:7], v[6:7], v[12:13], v[16:17]
	v_div_fixup_f64 v[4:5], v[6:7], v[4:5], 1.0
	v_mul_f64 v[6:7], v[8:9], -v[4:5]
.LBB250_38:
	s_or_b64 exec, exec, s[2:3]
.LBB250_39:
	s_waitcnt vmcnt(0) lgkmcnt(0)
	v_mul_f64 v[8:9], v[2:3], v[6:7]
	v_fma_f64 v[8:9], v[0:1], v[4:5], -v[8:9]
	v_mul_f64 v[2:3], v[2:3], v[4:5]
	v_fmac_f64_e32 v[2:3], v[0:1], v[6:7]
	v_mov_b64_e32 v[0:1], v[8:9]
.LBB250_40:
	s_or_b64 exec, exec, s[0:1]
	flat_store_dwordx4 v[10:11], v[0:3]
.LBB250_41:
	s_endpgm
	.section	.rodata,"a",@progbits
	.p2align	6, 0x0
	.amdhsa_kernel _ZL40rocblas_trsm_block_backward_substitutionI19rocblas_complex_numIdES1_PKPKS1_PKPS1_Lb1ELb1ELb0EEv18rocblas_operation_llT0_T1_lllT2_lllib
		.amdhsa_group_segment_fixed_size 0
		.amdhsa_private_segment_fixed_size 0
		.amdhsa_kernarg_size 368
		.amdhsa_user_sgpr_count 2
		.amdhsa_user_sgpr_dispatch_ptr 0
		.amdhsa_user_sgpr_queue_ptr 0
		.amdhsa_user_sgpr_kernarg_segment_ptr 1
		.amdhsa_user_sgpr_dispatch_id 0
		.amdhsa_user_sgpr_kernarg_preload_length 0
		.amdhsa_user_sgpr_kernarg_preload_offset 0
		.amdhsa_user_sgpr_private_segment_size 0
		.amdhsa_uses_dynamic_stack 0
		.amdhsa_enable_private_segment 0
		.amdhsa_system_sgpr_workgroup_id_x 1
		.amdhsa_system_sgpr_workgroup_id_y 1
		.amdhsa_system_sgpr_workgroup_id_z 1
		.amdhsa_system_sgpr_workgroup_info 0
		.amdhsa_system_vgpr_workitem_id 1
		.amdhsa_next_free_vgpr 26
		.amdhsa_next_free_sgpr 42
		.amdhsa_accum_offset 28
		.amdhsa_reserve_vcc 1
		.amdhsa_float_round_mode_32 0
		.amdhsa_float_round_mode_16_64 0
		.amdhsa_float_denorm_mode_32 3
		.amdhsa_float_denorm_mode_16_64 3
		.amdhsa_dx10_clamp 1
		.amdhsa_ieee_mode 1
		.amdhsa_fp16_overflow 0
		.amdhsa_tg_split 0
		.amdhsa_exception_fp_ieee_invalid_op 0
		.amdhsa_exception_fp_denorm_src 0
		.amdhsa_exception_fp_ieee_div_zero 0
		.amdhsa_exception_fp_ieee_overflow 0
		.amdhsa_exception_fp_ieee_underflow 0
		.amdhsa_exception_fp_ieee_inexact 0
		.amdhsa_exception_int_div_zero 0
	.end_amdhsa_kernel
	.section	.text._ZL40rocblas_trsm_block_backward_substitutionI19rocblas_complex_numIdES1_PKPKS1_PKPS1_Lb1ELb1ELb0EEv18rocblas_operation_llT0_T1_lllT2_lllib,"axG",@progbits,_ZL40rocblas_trsm_block_backward_substitutionI19rocblas_complex_numIdES1_PKPKS1_PKPS1_Lb1ELb1ELb0EEv18rocblas_operation_llT0_T1_lllT2_lllib,comdat
.Lfunc_end250:
	.size	_ZL40rocblas_trsm_block_backward_substitutionI19rocblas_complex_numIdES1_PKPKS1_PKPS1_Lb1ELb1ELb0EEv18rocblas_operation_llT0_T1_lllT2_lllib, .Lfunc_end250-_ZL40rocblas_trsm_block_backward_substitutionI19rocblas_complex_numIdES1_PKPKS1_PKPS1_Lb1ELb1ELb0EEv18rocblas_operation_llT0_T1_lllT2_lllib
                                        ; -- End function
	.set _ZL40rocblas_trsm_block_backward_substitutionI19rocblas_complex_numIdES1_PKPKS1_PKPS1_Lb1ELb1ELb0EEv18rocblas_operation_llT0_T1_lllT2_lllib.num_vgpr, 26
	.set _ZL40rocblas_trsm_block_backward_substitutionI19rocblas_complex_numIdES1_PKPKS1_PKPS1_Lb1ELb1ELb0EEv18rocblas_operation_llT0_T1_lllT2_lllib.num_agpr, 0
	.set _ZL40rocblas_trsm_block_backward_substitutionI19rocblas_complex_numIdES1_PKPKS1_PKPS1_Lb1ELb1ELb0EEv18rocblas_operation_llT0_T1_lllT2_lllib.numbered_sgpr, 42
	.set _ZL40rocblas_trsm_block_backward_substitutionI19rocblas_complex_numIdES1_PKPKS1_PKPS1_Lb1ELb1ELb0EEv18rocblas_operation_llT0_T1_lllT2_lllib.num_named_barrier, 0
	.set _ZL40rocblas_trsm_block_backward_substitutionI19rocblas_complex_numIdES1_PKPKS1_PKPS1_Lb1ELb1ELb0EEv18rocblas_operation_llT0_T1_lllT2_lllib.private_seg_size, 0
	.set _ZL40rocblas_trsm_block_backward_substitutionI19rocblas_complex_numIdES1_PKPKS1_PKPS1_Lb1ELb1ELb0EEv18rocblas_operation_llT0_T1_lllT2_lllib.uses_vcc, 1
	.set _ZL40rocblas_trsm_block_backward_substitutionI19rocblas_complex_numIdES1_PKPKS1_PKPS1_Lb1ELb1ELb0EEv18rocblas_operation_llT0_T1_lllT2_lllib.uses_flat_scratch, 0
	.set _ZL40rocblas_trsm_block_backward_substitutionI19rocblas_complex_numIdES1_PKPKS1_PKPS1_Lb1ELb1ELb0EEv18rocblas_operation_llT0_T1_lllT2_lllib.has_dyn_sized_stack, 0
	.set _ZL40rocblas_trsm_block_backward_substitutionI19rocblas_complex_numIdES1_PKPKS1_PKPS1_Lb1ELb1ELb0EEv18rocblas_operation_llT0_T1_lllT2_lllib.has_recursion, 0
	.set _ZL40rocblas_trsm_block_backward_substitutionI19rocblas_complex_numIdES1_PKPKS1_PKPS1_Lb1ELb1ELb0EEv18rocblas_operation_llT0_T1_lllT2_lllib.has_indirect_call, 0
	.section	.AMDGPU.csdata,"",@progbits
; Kernel info:
; codeLenInByte = 2400
; TotalNumSgprs: 48
; NumVgprs: 26
; NumAgprs: 0
; TotalNumVgprs: 26
; ScratchSize: 0
; MemoryBound: 1
; FloatMode: 240
; IeeeMode: 1
; LDSByteSize: 0 bytes/workgroup (compile time only)
; SGPRBlocks: 5
; VGPRBlocks: 3
; NumSGPRsForWavesPerEU: 48
; NumVGPRsForWavesPerEU: 26
; AccumOffset: 28
; Occupancy: 8
; WaveLimiterHint : 1
; COMPUTE_PGM_RSRC2:SCRATCH_EN: 0
; COMPUTE_PGM_RSRC2:USER_SGPR: 2
; COMPUTE_PGM_RSRC2:TRAP_HANDLER: 0
; COMPUTE_PGM_RSRC2:TGID_X_EN: 1
; COMPUTE_PGM_RSRC2:TGID_Y_EN: 1
; COMPUTE_PGM_RSRC2:TGID_Z_EN: 1
; COMPUTE_PGM_RSRC2:TIDIG_COMP_CNT: 1
; COMPUTE_PGM_RSRC3_GFX90A:ACCUM_OFFSET: 6
; COMPUTE_PGM_RSRC3_GFX90A:TG_SPLIT: 0
	.section	.text._ZL39rocblas_trsm_block_forward_substitutionI19rocblas_complex_numIdES1_PKPKS1_PKPS1_Lb1ELb1ELb1EEv18rocblas_operation_llT0_T1_lllT2_lllib,"axG",@progbits,_ZL39rocblas_trsm_block_forward_substitutionI19rocblas_complex_numIdES1_PKPKS1_PKPS1_Lb1ELb1ELb1EEv18rocblas_operation_llT0_T1_lllT2_lllib,comdat
	.globl	_ZL39rocblas_trsm_block_forward_substitutionI19rocblas_complex_numIdES1_PKPKS1_PKPS1_Lb1ELb1ELb1EEv18rocblas_operation_llT0_T1_lllT2_lllib ; -- Begin function _ZL39rocblas_trsm_block_forward_substitutionI19rocblas_complex_numIdES1_PKPKS1_PKPS1_Lb1ELb1ELb1EEv18rocblas_operation_llT0_T1_lllT2_lllib
	.p2align	8
	.type	_ZL39rocblas_trsm_block_forward_substitutionI19rocblas_complex_numIdES1_PKPKS1_PKPS1_Lb1ELb1ELb1EEv18rocblas_operation_llT0_T1_lllT2_lllib,@function
_ZL39rocblas_trsm_block_forward_substitutionI19rocblas_complex_numIdES1_PKPKS1_PKPS1_Lb1ELb1ELb1EEv18rocblas_operation_llT0_T1_lllT2_lllib: ; @_ZL39rocblas_trsm_block_forward_substitutionI19rocblas_complex_numIdES1_PKPKS1_PKPS1_Lb1ELb1ELb1EEv18rocblas_operation_llT0_T1_lllT2_lllib
; %bb.0:
	s_load_dwordx4 s[16:19], s[0:1], 0x28
	s_load_dwordx2 s[28:29], s[0:1], 0x38
	s_mov_b32 s5, 0
	s_lshl_b64 s[20:21], s[4:5], 3
	v_and_b32_e32 v4, 0x3ff, v0
	s_waitcnt lgkmcnt(0)
	s_add_u32 s22, s16, s20
	s_addc_u32 s23, s17, s21
	s_load_dwordx2 s[24:25], s[22:23], 0x0
	s_load_dwordx2 s[16:17], s[0:1], 0x58
	s_load_dwordx4 s[4:7], s[0:1], 0x48
	s_load_dwordx8 s[8:15], s[0:1], 0x8
	s_lshl_b64 s[18:19], s[18:19], 4
	s_waitcnt lgkmcnt(0)
	s_add_u32 s22, s24, s18
	s_addc_u32 s23, s25, s19
	s_add_u32 s4, s4, s20
	s_addc_u32 s5, s5, s21
	s_load_dwordx2 s[20:21], s[4:5], 0x0
	s_load_dword s18, s[0:1], 0x6c
	s_load_dword s2, s[0:1], 0x7c
	s_add_u32 s24, s0, 0x70
	s_addc_u32 s25, s1, 0
	v_bfe_u32 v8, v0, 10, 10
	s_mov_b64 s[4:5], 1
	s_waitcnt lgkmcnt(0)
	s_lshr_b32 s2, s2, 16
	s_bitcmp0_b32 s18, 0
	s_cbranch_scc1 .LBB251_6
; %bb.1:
	s_lshl_b32 s4, s2, 4
	s_add_i32 s26, s4, 0
	v_cmp_lt_i64_e64 s[4:5], s[8:9], 1
	s_mov_b64 s[18:19], 1
	s_and_b64 vcc, exec, s[4:5]
	s_cbranch_vccnz .LBB251_7
; %bb.2:
	v_mad_u64_u32 v[0:1], s[30:31], s28, v4, 0
	v_mov_b32_e32 v2, v1
	v_mad_u64_u32 v[2:3], s[28:29], s29, v4, v[2:3]
	v_mov_b32_e32 v5, 0
	v_mov_b32_e32 v1, v2
	v_lshl_add_u32 v6, v4, 4, s26
	v_cmp_gt_u64_e64 s[4:5], s[8:9], v[4:5]
	v_lshl_add_u64 v[0:1], v[0:1], 4, s[22:23]
	s_mov_b32 s27, 0
	s_branch .LBB251_4
.LBB251_3:                              ;   in Loop: Header=BB251_4 Depth=1
	s_or_b64 exec, exec, s[22:23]
	s_add_i32 s27, s27, s2
	s_ashr_i32 s22, s27, 31
	v_mov_b32_e32 v2, s27
	v_mov_b32_e32 v3, s22
	v_cmp_le_i64_e32 vcc, s[8:9], v[2:3]
	s_cbranch_vccnz .LBB251_7
.LBB251_4:                              ; =>This Inner Loop Header: Depth=1
	v_add_u32_e32 v2, s27, v8
	v_cmp_gt_i32_e32 vcc, v4, v2
	s_and_b64 s[28:29], s[4:5], vcc
	s_and_saveexec_b64 s[22:23], s[28:29]
	s_cbranch_execz .LBB251_3
; %bb.5:                                ;   in Loop: Header=BB251_4 Depth=1
	v_ashrrev_i32_e32 v3, 31, v2
	v_lshl_add_u64 v[10:11], v[2:3], 4, v[0:1]
	flat_load_dwordx4 v[10:13], v[10:11]
	s_load_dword s28, s[24:25], 0xc
	s_waitcnt lgkmcnt(0)
	s_and_b32 s28, s28, 0xffff
	v_mul_lo_u32 v2, v2, s28
	v_lshl_add_u32 v2, v2, 4, v6
	s_waitcnt vmcnt(0)
	ds_write2_b64 v2, v[10:11], v[12:13] offset1:1
	s_branch .LBB251_3
.LBB251_6:
	s_mov_b64 s[18:19], s[28:29]
	s_branch .LBB251_8
.LBB251_7:
	s_mov_b64 s[4:5], src_shared_base
	s_load_dword s4, s[24:25], 0xc
	s_mov_b32 s27, s5
	s_mov_b64 s[22:23], s[26:27]
	s_waitcnt lgkmcnt(0)
	s_and_b32 s4, s4, 0xffff
.LBB251_8:
	s_mul_i32 s3, s3, s2
	v_add_u32_e32 v0, s3, v8
	v_mov_b32_e32 v1, 0
	v_cmp_gt_i64_e32 vcc, s[10:11], v[0:1]
	s_and_saveexec_b64 s[2:3], vcc
	s_cbranch_execz .LBB251_18
; %bb.9:
	v_mov_b32_e32 v5, v1
	v_cmp_gt_i64_e32 vcc, s[8:9], v[4:5]
	s_and_b64 exec, exec, vcc
	s_cbranch_execz .LBB251_18
; %bb.10:
	s_lshl_b64 s[2:3], s[6:7], 4
	v_mad_u64_u32 v[2:3], s[6:7], s16, v4, 0
	v_mov_b32_e32 v6, v3
	s_add_u32 s2, s20, s2
	v_mad_u64_u32 v[6:7], s[6:7], s17, v4, v[6:7]
	s_addc_u32 s3, s21, s3
	v_mov_b32_e32 v3, v6
	v_lshl_add_u64 v[2:3], v[2:3], 4, s[2:3]
	v_lshl_add_u64 v[6:7], v[0:1], 4, v[2:3]
	flat_load_dwordx4 v[10:13], v[6:7]
	v_cmp_lt_u64_e64 s[2:3], s[8:9], 2
	s_and_b64 vcc, exec, s[2:3]
	s_waitcnt vmcnt(0) lgkmcnt(0)
	v_mul_f64 v[0:1], s[14:15], v[12:13]
	v_mul_f64 v[2:3], s[12:13], v[12:13]
	v_fma_f64 v[0:1], s[12:13], v[10:11], -v[0:1]
	v_fmac_f64_e32 v[2:3], s[14:15], v[10:11]
	s_cbranch_vccnz .LBB251_17
; %bb.11:
	s_load_dword s2, s[0:1], 0x0
	v_lshl_add_u32 v10, v8, 4, 0
	v_mad_u64_u32 v[8:9], s[0:1], s18, v4, 0
	v_mov_b32_e32 v12, v9
	s_waitcnt lgkmcnt(0)
	s_cmpk_eq_i32 s2, 0x71
	v_mad_u64_u32 v[12:13], s[0:1], s19, v4, v[12:13]
	s_cselect_b64 vcc, -1, 0
	v_mov_b32_e32 v9, v12
	s_add_u32 s6, s8, -1
	s_mov_b32 s3, 0
	v_lshl_add_u64 v[8:9], v[8:9], 4, s[22:23]
	s_addc_u32 s7, s9, -1
	s_lshl_b32 s2, s4, 4
	s_mov_b64 s[4:5], 0
	s_branch .LBB251_13
.LBB251_12:                             ;   in Loop: Header=BB251_13 Depth=1
	s_or_b64 exec, exec, s[8:9]
	s_add_u32 s4, s4, 1
	s_addc_u32 s5, s5, 0
	s_cmp_eq_u64 s[6:7], s[4:5]
	v_lshl_add_u64 v[8:9], v[8:9], 0, s[2:3]
	s_cbranch_scc1 .LBB251_17
.LBB251_13:                             ; =>This Inner Loop Header: Depth=1
	v_cmp_eq_u64_e64 s[0:1], s[4:5], v[4:5]
	s_barrier
	s_and_saveexec_b64 s[8:9], s[0:1]
; %bb.14:                               ;   in Loop: Header=BB251_13 Depth=1
	ds_write2_b64 v10, v[0:1], v[2:3] offset1:1
; %bb.15:                               ;   in Loop: Header=BB251_13 Depth=1
	s_or_b64 exec, exec, s[8:9]
	v_cmp_lt_u64_e64 s[0:1], s[4:5], v[4:5]
	s_waitcnt lgkmcnt(0)
	s_barrier
	s_and_saveexec_b64 s[8:9], s[0:1]
	s_cbranch_execz .LBB251_12
; %bb.16:                               ;   in Loop: Header=BB251_13 Depth=1
	flat_load_dwordx4 v[12:15], v[8:9]
	ds_read2_b64 v[16:19], v10 offset1:1
	s_waitcnt vmcnt(0) lgkmcnt(0)
	v_xor_b32_e32 v11, 0x80000000, v15
	v_cndmask_b32_e32 v15, v15, v11, vcc
	v_mul_f64 v[20:21], v[12:13], v[18:19]
	v_mul_f64 v[18:19], v[14:15], v[18:19]
	v_fmac_f64_e32 v[20:21], v[14:15], v[16:17]
	v_fma_f64 v[12:13], v[12:13], v[16:17], -v[18:19]
	v_add_f64 v[0:1], v[0:1], -v[12:13]
	v_add_f64 v[2:3], v[2:3], -v[20:21]
	s_branch .LBB251_12
.LBB251_17:
	flat_store_dwordx4 v[6:7], v[0:3]
.LBB251_18:
	s_endpgm
	.section	.rodata,"a",@progbits
	.p2align	6, 0x0
	.amdhsa_kernel _ZL39rocblas_trsm_block_forward_substitutionI19rocblas_complex_numIdES1_PKPKS1_PKPS1_Lb1ELb1ELb1EEv18rocblas_operation_llT0_T1_lllT2_lllib
		.amdhsa_group_segment_fixed_size 0
		.amdhsa_private_segment_fixed_size 0
		.amdhsa_kernarg_size 368
		.amdhsa_user_sgpr_count 2
		.amdhsa_user_sgpr_dispatch_ptr 0
		.amdhsa_user_sgpr_queue_ptr 0
		.amdhsa_user_sgpr_kernarg_segment_ptr 1
		.amdhsa_user_sgpr_dispatch_id 0
		.amdhsa_user_sgpr_kernarg_preload_length 0
		.amdhsa_user_sgpr_kernarg_preload_offset 0
		.amdhsa_user_sgpr_private_segment_size 0
		.amdhsa_uses_dynamic_stack 0
		.amdhsa_enable_private_segment 0
		.amdhsa_system_sgpr_workgroup_id_x 1
		.amdhsa_system_sgpr_workgroup_id_y 1
		.amdhsa_system_sgpr_workgroup_id_z 1
		.amdhsa_system_sgpr_workgroup_info 0
		.amdhsa_system_vgpr_workitem_id 1
		.amdhsa_next_free_vgpr 22
		.amdhsa_next_free_sgpr 32
		.amdhsa_accum_offset 24
		.amdhsa_reserve_vcc 1
		.amdhsa_float_round_mode_32 0
		.amdhsa_float_round_mode_16_64 0
		.amdhsa_float_denorm_mode_32 3
		.amdhsa_float_denorm_mode_16_64 3
		.amdhsa_dx10_clamp 1
		.amdhsa_ieee_mode 1
		.amdhsa_fp16_overflow 0
		.amdhsa_tg_split 0
		.amdhsa_exception_fp_ieee_invalid_op 0
		.amdhsa_exception_fp_denorm_src 0
		.amdhsa_exception_fp_ieee_div_zero 0
		.amdhsa_exception_fp_ieee_overflow 0
		.amdhsa_exception_fp_ieee_underflow 0
		.amdhsa_exception_fp_ieee_inexact 0
		.amdhsa_exception_int_div_zero 0
	.end_amdhsa_kernel
	.section	.text._ZL39rocblas_trsm_block_forward_substitutionI19rocblas_complex_numIdES1_PKPKS1_PKPS1_Lb1ELb1ELb1EEv18rocblas_operation_llT0_T1_lllT2_lllib,"axG",@progbits,_ZL39rocblas_trsm_block_forward_substitutionI19rocblas_complex_numIdES1_PKPKS1_PKPS1_Lb1ELb1ELb1EEv18rocblas_operation_llT0_T1_lllT2_lllib,comdat
.Lfunc_end251:
	.size	_ZL39rocblas_trsm_block_forward_substitutionI19rocblas_complex_numIdES1_PKPKS1_PKPS1_Lb1ELb1ELb1EEv18rocblas_operation_llT0_T1_lllT2_lllib, .Lfunc_end251-_ZL39rocblas_trsm_block_forward_substitutionI19rocblas_complex_numIdES1_PKPKS1_PKPS1_Lb1ELb1ELb1EEv18rocblas_operation_llT0_T1_lllT2_lllib
                                        ; -- End function
	.set _ZL39rocblas_trsm_block_forward_substitutionI19rocblas_complex_numIdES1_PKPKS1_PKPS1_Lb1ELb1ELb1EEv18rocblas_operation_llT0_T1_lllT2_lllib.num_vgpr, 22
	.set _ZL39rocblas_trsm_block_forward_substitutionI19rocblas_complex_numIdES1_PKPKS1_PKPS1_Lb1ELb1ELb1EEv18rocblas_operation_llT0_T1_lllT2_lllib.num_agpr, 0
	.set _ZL39rocblas_trsm_block_forward_substitutionI19rocblas_complex_numIdES1_PKPKS1_PKPS1_Lb1ELb1ELb1EEv18rocblas_operation_llT0_T1_lllT2_lllib.numbered_sgpr, 32
	.set _ZL39rocblas_trsm_block_forward_substitutionI19rocblas_complex_numIdES1_PKPKS1_PKPS1_Lb1ELb1ELb1EEv18rocblas_operation_llT0_T1_lllT2_lllib.num_named_barrier, 0
	.set _ZL39rocblas_trsm_block_forward_substitutionI19rocblas_complex_numIdES1_PKPKS1_PKPS1_Lb1ELb1ELb1EEv18rocblas_operation_llT0_T1_lllT2_lllib.private_seg_size, 0
	.set _ZL39rocblas_trsm_block_forward_substitutionI19rocblas_complex_numIdES1_PKPKS1_PKPS1_Lb1ELb1ELb1EEv18rocblas_operation_llT0_T1_lllT2_lllib.uses_vcc, 1
	.set _ZL39rocblas_trsm_block_forward_substitutionI19rocblas_complex_numIdES1_PKPKS1_PKPS1_Lb1ELb1ELb1EEv18rocblas_operation_llT0_T1_lllT2_lllib.uses_flat_scratch, 0
	.set _ZL39rocblas_trsm_block_forward_substitutionI19rocblas_complex_numIdES1_PKPKS1_PKPS1_Lb1ELb1ELb1EEv18rocblas_operation_llT0_T1_lllT2_lllib.has_dyn_sized_stack, 0
	.set _ZL39rocblas_trsm_block_forward_substitutionI19rocblas_complex_numIdES1_PKPKS1_PKPS1_Lb1ELb1ELb1EEv18rocblas_operation_llT0_T1_lllT2_lllib.has_recursion, 0
	.set _ZL39rocblas_trsm_block_forward_substitutionI19rocblas_complex_numIdES1_PKPKS1_PKPS1_Lb1ELb1ELb1EEv18rocblas_operation_llT0_T1_lllT2_lllib.has_indirect_call, 0
	.section	.AMDGPU.csdata,"",@progbits
; Kernel info:
; codeLenInByte = 816
; TotalNumSgprs: 38
; NumVgprs: 22
; NumAgprs: 0
; TotalNumVgprs: 22
; ScratchSize: 0
; MemoryBound: 0
; FloatMode: 240
; IeeeMode: 1
; LDSByteSize: 0 bytes/workgroup (compile time only)
; SGPRBlocks: 4
; VGPRBlocks: 2
; NumSGPRsForWavesPerEU: 38
; NumVGPRsForWavesPerEU: 22
; AccumOffset: 24
; Occupancy: 8
; WaveLimiterHint : 1
; COMPUTE_PGM_RSRC2:SCRATCH_EN: 0
; COMPUTE_PGM_RSRC2:USER_SGPR: 2
; COMPUTE_PGM_RSRC2:TRAP_HANDLER: 0
; COMPUTE_PGM_RSRC2:TGID_X_EN: 1
; COMPUTE_PGM_RSRC2:TGID_Y_EN: 1
; COMPUTE_PGM_RSRC2:TGID_Z_EN: 1
; COMPUTE_PGM_RSRC2:TIDIG_COMP_CNT: 1
; COMPUTE_PGM_RSRC3_GFX90A:ACCUM_OFFSET: 5
; COMPUTE_PGM_RSRC3_GFX90A:TG_SPLIT: 0
	.section	.text._ZL40rocblas_trsm_block_backward_substitutionI19rocblas_complex_numIdES1_PKPKS1_PKPS1_Lb1ELb1ELb1EEv18rocblas_operation_llT0_T1_lllT2_lllib,"axG",@progbits,_ZL40rocblas_trsm_block_backward_substitutionI19rocblas_complex_numIdES1_PKPKS1_PKPS1_Lb1ELb1ELb1EEv18rocblas_operation_llT0_T1_lllT2_lllib,comdat
	.globl	_ZL40rocblas_trsm_block_backward_substitutionI19rocblas_complex_numIdES1_PKPKS1_PKPS1_Lb1ELb1ELb1EEv18rocblas_operation_llT0_T1_lllT2_lllib ; -- Begin function _ZL40rocblas_trsm_block_backward_substitutionI19rocblas_complex_numIdES1_PKPKS1_PKPS1_Lb1ELb1ELb1EEv18rocblas_operation_llT0_T1_lllT2_lllib
	.p2align	8
	.type	_ZL40rocblas_trsm_block_backward_substitutionI19rocblas_complex_numIdES1_PKPKS1_PKPS1_Lb1ELb1ELb1EEv18rocblas_operation_llT0_T1_lllT2_lllib,@function
_ZL40rocblas_trsm_block_backward_substitutionI19rocblas_complex_numIdES1_PKPKS1_PKPS1_Lb1ELb1ELb1EEv18rocblas_operation_llT0_T1_lllT2_lllib: ; @_ZL40rocblas_trsm_block_backward_substitutionI19rocblas_complex_numIdES1_PKPKS1_PKPS1_Lb1ELb1ELb1EEv18rocblas_operation_llT0_T1_lllT2_lllib
; %bb.0:
	s_load_dwordx4 s[24:27], s[0:1], 0x28
	s_load_dwordx2 s[20:21], s[0:1], 0x38
	s_mov_b32 s5, 0
	s_lshl_b64 s[4:5], s[4:5], 3
	v_and_b32_e32 v4, 0x3ff, v0
	s_waitcnt lgkmcnt(0)
	s_add_u32 s6, s24, s4
	s_addc_u32 s7, s25, s5
	s_load_dwordx2 s[24:25], s[6:7], 0x0
	s_load_dwordx2 s[22:23], s[0:1], 0x58
	s_load_dwordx4 s[16:19], s[0:1], 0x48
	s_load_dwordx8 s[8:15], s[0:1], 0x8
	s_lshl_b64 s[6:7], s[26:27], 4
	s_waitcnt lgkmcnt(0)
	s_add_u32 s6, s24, s6
	s_addc_u32 s7, s25, s7
	s_add_u32 s4, s16, s4
	s_addc_u32 s5, s17, s5
	s_load_dword s26, s[0:1], 0x6c
	s_load_dword s2, s[0:1], 0x7c
	s_load_dwordx2 s[16:17], s[4:5], 0x0
	s_add_u32 s24, s0, 0x70
	s_addc_u32 s25, s1, 0
	v_bfe_u32 v10, v0, 10, 10
	s_waitcnt lgkmcnt(0)
	s_lshr_b32 s2, s2, 16
	s_bitcmp0_b32 s26, 0
	s_cbranch_scc1 .LBB252_7
; %bb.1:
	s_lshl_b32 s4, s2, 4
	s_add_i32 s26, s4, 0
	v_cmp_lt_i64_e64 s[4:5], s[8:9], 1
	s_and_b64 vcc, exec, s[4:5]
	s_cbranch_vccnz .LBB252_6
; %bb.2:
	v_mov_b32_e32 v5, 0
	v_lshlrev_b32_e32 v0, 4, v4
	v_mov_b32_e32 v1, v5
	v_add_u32_e32 v6, s26, v0
	v_cmp_gt_u64_e64 s[4:5], s[8:9], v[4:5]
	v_lshl_add_u64 v[0:1], s[6:7], 0, v[0:1]
	s_mov_b32 s27, 0
	s_branch .LBB252_4
.LBB252_3:                              ;   in Loop: Header=BB252_4 Depth=1
	s_or_b64 exec, exec, s[6:7]
	s_add_i32 s27, s27, s2
	s_ashr_i32 s6, s27, 31
	v_mov_b32_e32 v2, s27
	v_mov_b32_e32 v3, s6
	v_cmp_le_i64_e32 vcc, s[8:9], v[2:3]
	s_cbranch_vccnz .LBB252_6
.LBB252_4:                              ; =>This Inner Loop Header: Depth=1
	v_add_u32_e32 v2, s27, v10
	v_ashrrev_i32_e32 v3, 31, v2
	v_cmp_gt_i64_e32 vcc, s[8:9], v[2:3]
	v_cmp_lt_i32_e64 s[6:7], v4, v2
	s_and_b64 s[6:7], s[6:7], vcc
	s_and_b64 s[28:29], s[4:5], s[6:7]
	s_and_saveexec_b64 s[6:7], s[28:29]
	s_cbranch_execz .LBB252_3
; %bb.5:                                ;   in Loop: Header=BB252_4 Depth=1
	v_mul_lo_u32 v5, s21, v2
	v_mul_lo_u32 v3, s20, v3
	v_mad_u64_u32 v[8:9], s[28:29], s20, v2, 0
	v_add3_u32 v9, v9, v3, v5
	v_lshl_add_u64 v[8:9], v[8:9], 4, v[0:1]
	flat_load_dwordx4 v[12:15], v[8:9]
	s_load_dword s28, s[24:25], 0xc
	s_waitcnt lgkmcnt(0)
	s_and_b32 s28, s28, 0xffff
	v_mul_lo_u32 v2, v2, s28
	v_lshl_add_u32 v2, v2, 4, v6
	s_waitcnt vmcnt(0)
	ds_write2_b64 v2, v[12:13], v[14:15] offset1:1
	s_branch .LBB252_3
.LBB252_6:
	s_mov_b64 s[4:5], src_shared_base
	s_load_dword s4, s[24:25], 0xc
	s_mov_b32 s27, s5
	s_mov_b32 s21, 0
	s_mov_b64 s[6:7], s[26:27]
	s_waitcnt lgkmcnt(0)
	s_and_b32 s20, s4, 0xffff
.LBB252_7:
	s_mul_i32 s3, s3, s2
	v_add_u32_e32 v0, s3, v10
	v_mov_b32_e32 v1, 0
	v_cmp_gt_i64_e32 vcc, s[10:11], v[0:1]
	s_and_saveexec_b64 s[2:3], vcc
	s_cbranch_execz .LBB252_18
; %bb.8:
	v_mov_b32_e32 v5, v1
	v_cmp_gt_i64_e32 vcc, s[8:9], v[4:5]
	s_and_b64 exec, exec, vcc
	s_cbranch_execz .LBB252_18
; %bb.9:
	v_mad_u64_u32 v[2:3], s[4:5], s22, v0, 0
	s_lshl_b64 s[2:3], s[18:19], 4
	v_mov_b32_e32 v6, v3
	s_add_u32 s2, s16, s2
	v_mad_u64_u32 v[0:1], s[4:5], s23, v0, v[6:7]
	s_addc_u32 s3, s17, s3
	v_mov_b32_e32 v3, v0
	v_lshl_add_u64 v[0:1], v[2:3], 4, s[2:3]
	v_lshlrev_b32_e32 v8, 4, v4
	v_mov_b32_e32 v9, 0
	v_lshl_add_u64 v[6:7], v[0:1], 0, v[8:9]
	flat_load_dwordx4 v[12:15], v[6:7]
	v_cmp_lt_u64_e64 s[2:3], s[8:9], 2
	s_and_b64 vcc, exec, s[2:3]
	s_waitcnt vmcnt(0) lgkmcnt(0)
	v_mul_f64 v[0:1], s[14:15], v[14:15]
	v_mul_f64 v[2:3], s[12:13], v[14:15]
	v_fma_f64 v[0:1], s[12:13], v[12:13], -v[0:1]
	v_fmac_f64_e32 v[2:3], s[14:15], v[12:13]
	s_cbranch_vccnz .LBB252_17
; %bb.10:
	s_load_dword s0, s[0:1], 0x0
	v_lshl_add_u32 v10, v10, 4, 0
	s_waitcnt lgkmcnt(0)
	s_cmpk_eq_i32 s0, 0x71
	s_cselect_b64 s[0:1], -1, 0
	s_add_u32 s2, s8, -1
	s_addc_u32 s3, s9, -1
	s_mul_hi_u32 s4, s20, s2
	s_mul_i32 s8, s20, s3
	s_mul_i32 s5, s21, s2
	s_add_i32 s4, s4, s8
	s_add_i32 s5, s4, s5
	s_mul_i32 s4, s20, s2
	s_lshl_b64 s[4:5], s[4:5], 4
	s_add_u32 s4, s6, s4
	s_addc_u32 s5, s7, s5
	v_lshl_add_u64 v[8:9], s[4:5], 0, v[8:9]
	s_lshl_b64 s[4:5], s[20:21], 4
	s_sub_u32 s4, 0, s4
	s_subb_u32 s5, 0, s5
.LBB252_11:                             ; =>This Inner Loop Header: Depth=1
	v_cmp_eq_u64_e32 vcc, s[2:3], v[4:5]
	s_barrier
	s_and_saveexec_b64 s[6:7], vcc
; %bb.12:                               ;   in Loop: Header=BB252_11 Depth=1
	ds_write2_b64 v10, v[0:1], v[2:3] offset1:1
; %bb.13:                               ;   in Loop: Header=BB252_11 Depth=1
	s_or_b64 exec, exec, s[6:7]
	v_cmp_gt_i64_e32 vcc, s[2:3], v[4:5]
	s_waitcnt lgkmcnt(0)
	s_barrier
	s_and_saveexec_b64 s[6:7], vcc
	s_cbranch_execz .LBB252_15
; %bb.14:                               ;   in Loop: Header=BB252_11 Depth=1
	flat_load_dwordx4 v[12:15], v[8:9]
	ds_read2_b64 v[16:19], v10 offset1:1
	s_waitcnt vmcnt(0) lgkmcnt(0)
	v_xor_b32_e32 v11, 0x80000000, v15
	v_cndmask_b32_e64 v15, v15, v11, s[0:1]
	v_mul_f64 v[20:21], v[12:13], v[18:19]
	v_mul_f64 v[18:19], v[14:15], v[18:19]
	v_fmac_f64_e32 v[20:21], v[14:15], v[16:17]
	v_fma_f64 v[12:13], v[12:13], v[16:17], -v[18:19]
	v_add_f64 v[0:1], v[0:1], -v[12:13]
	v_add_f64 v[2:3], v[2:3], -v[20:21]
.LBB252_15:                             ;   in Loop: Header=BB252_11 Depth=1
	s_or_b64 exec, exec, s[6:7]
	s_add_u32 s6, s2, -1
	s_addc_u32 s7, s3, -1
	s_add_u32 s2, s2, 1
	s_addc_u32 s3, s3, 0
	v_cmp_lt_u64_e64 s[2:3], s[2:3], 3
	v_lshl_add_u64 v[8:9], v[8:9], 0, s[4:5]
	s_and_b64 vcc, exec, s[2:3]
	s_cbranch_vccnz .LBB252_17
; %bb.16:                               ;   in Loop: Header=BB252_11 Depth=1
	s_mov_b64 s[2:3], s[6:7]
	s_branch .LBB252_11
.LBB252_17:
	flat_store_dwordx4 v[6:7], v[0:3]
.LBB252_18:
	s_endpgm
	.section	.rodata,"a",@progbits
	.p2align	6, 0x0
	.amdhsa_kernel _ZL40rocblas_trsm_block_backward_substitutionI19rocblas_complex_numIdES1_PKPKS1_PKPS1_Lb1ELb1ELb1EEv18rocblas_operation_llT0_T1_lllT2_lllib
		.amdhsa_group_segment_fixed_size 0
		.amdhsa_private_segment_fixed_size 0
		.amdhsa_kernarg_size 368
		.amdhsa_user_sgpr_count 2
		.amdhsa_user_sgpr_dispatch_ptr 0
		.amdhsa_user_sgpr_queue_ptr 0
		.amdhsa_user_sgpr_kernarg_segment_ptr 1
		.amdhsa_user_sgpr_dispatch_id 0
		.amdhsa_user_sgpr_kernarg_preload_length 0
		.amdhsa_user_sgpr_kernarg_preload_offset 0
		.amdhsa_user_sgpr_private_segment_size 0
		.amdhsa_uses_dynamic_stack 0
		.amdhsa_enable_private_segment 0
		.amdhsa_system_sgpr_workgroup_id_x 1
		.amdhsa_system_sgpr_workgroup_id_y 1
		.amdhsa_system_sgpr_workgroup_id_z 1
		.amdhsa_system_sgpr_workgroup_info 0
		.amdhsa_system_vgpr_workitem_id 1
		.amdhsa_next_free_vgpr 22
		.amdhsa_next_free_sgpr 30
		.amdhsa_accum_offset 24
		.amdhsa_reserve_vcc 1
		.amdhsa_float_round_mode_32 0
		.amdhsa_float_round_mode_16_64 0
		.amdhsa_float_denorm_mode_32 3
		.amdhsa_float_denorm_mode_16_64 3
		.amdhsa_dx10_clamp 1
		.amdhsa_ieee_mode 1
		.amdhsa_fp16_overflow 0
		.amdhsa_tg_split 0
		.amdhsa_exception_fp_ieee_invalid_op 0
		.amdhsa_exception_fp_denorm_src 0
		.amdhsa_exception_fp_ieee_div_zero 0
		.amdhsa_exception_fp_ieee_overflow 0
		.amdhsa_exception_fp_ieee_underflow 0
		.amdhsa_exception_fp_ieee_inexact 0
		.amdhsa_exception_int_div_zero 0
	.end_amdhsa_kernel
	.section	.text._ZL40rocblas_trsm_block_backward_substitutionI19rocblas_complex_numIdES1_PKPKS1_PKPS1_Lb1ELb1ELb1EEv18rocblas_operation_llT0_T1_lllT2_lllib,"axG",@progbits,_ZL40rocblas_trsm_block_backward_substitutionI19rocblas_complex_numIdES1_PKPKS1_PKPS1_Lb1ELb1ELb1EEv18rocblas_operation_llT0_T1_lllT2_lllib,comdat
.Lfunc_end252:
	.size	_ZL40rocblas_trsm_block_backward_substitutionI19rocblas_complex_numIdES1_PKPKS1_PKPS1_Lb1ELb1ELb1EEv18rocblas_operation_llT0_T1_lllT2_lllib, .Lfunc_end252-_ZL40rocblas_trsm_block_backward_substitutionI19rocblas_complex_numIdES1_PKPKS1_PKPS1_Lb1ELb1ELb1EEv18rocblas_operation_llT0_T1_lllT2_lllib
                                        ; -- End function
	.set _ZL40rocblas_trsm_block_backward_substitutionI19rocblas_complex_numIdES1_PKPKS1_PKPS1_Lb1ELb1ELb1EEv18rocblas_operation_llT0_T1_lllT2_lllib.num_vgpr, 22
	.set _ZL40rocblas_trsm_block_backward_substitutionI19rocblas_complex_numIdES1_PKPKS1_PKPS1_Lb1ELb1ELb1EEv18rocblas_operation_llT0_T1_lllT2_lllib.num_agpr, 0
	.set _ZL40rocblas_trsm_block_backward_substitutionI19rocblas_complex_numIdES1_PKPKS1_PKPS1_Lb1ELb1ELb1EEv18rocblas_operation_llT0_T1_lllT2_lllib.numbered_sgpr, 30
	.set _ZL40rocblas_trsm_block_backward_substitutionI19rocblas_complex_numIdES1_PKPKS1_PKPS1_Lb1ELb1ELb1EEv18rocblas_operation_llT0_T1_lllT2_lllib.num_named_barrier, 0
	.set _ZL40rocblas_trsm_block_backward_substitutionI19rocblas_complex_numIdES1_PKPKS1_PKPS1_Lb1ELb1ELb1EEv18rocblas_operation_llT0_T1_lllT2_lllib.private_seg_size, 0
	.set _ZL40rocblas_trsm_block_backward_substitutionI19rocblas_complex_numIdES1_PKPKS1_PKPS1_Lb1ELb1ELb1EEv18rocblas_operation_llT0_T1_lllT2_lllib.uses_vcc, 1
	.set _ZL40rocblas_trsm_block_backward_substitutionI19rocblas_complex_numIdES1_PKPKS1_PKPS1_Lb1ELb1ELb1EEv18rocblas_operation_llT0_T1_lllT2_lllib.uses_flat_scratch, 0
	.set _ZL40rocblas_trsm_block_backward_substitutionI19rocblas_complex_numIdES1_PKPKS1_PKPS1_Lb1ELb1ELb1EEv18rocblas_operation_llT0_T1_lllT2_lllib.has_dyn_sized_stack, 0
	.set _ZL40rocblas_trsm_block_backward_substitutionI19rocblas_complex_numIdES1_PKPKS1_PKPS1_Lb1ELb1ELb1EEv18rocblas_operation_llT0_T1_lllT2_lllib.has_recursion, 0
	.set _ZL40rocblas_trsm_block_backward_substitutionI19rocblas_complex_numIdES1_PKPKS1_PKPS1_Lb1ELb1ELb1EEv18rocblas_operation_llT0_T1_lllT2_lllib.has_indirect_call, 0
	.section	.AMDGPU.csdata,"",@progbits
; Kernel info:
; codeLenInByte = 860
; TotalNumSgprs: 36
; NumVgprs: 22
; NumAgprs: 0
; TotalNumVgprs: 22
; ScratchSize: 0
; MemoryBound: 0
; FloatMode: 240
; IeeeMode: 1
; LDSByteSize: 0 bytes/workgroup (compile time only)
; SGPRBlocks: 4
; VGPRBlocks: 2
; NumSGPRsForWavesPerEU: 36
; NumVGPRsForWavesPerEU: 22
; AccumOffset: 24
; Occupancy: 8
; WaveLimiterHint : 1
; COMPUTE_PGM_RSRC2:SCRATCH_EN: 0
; COMPUTE_PGM_RSRC2:USER_SGPR: 2
; COMPUTE_PGM_RSRC2:TRAP_HANDLER: 0
; COMPUTE_PGM_RSRC2:TGID_X_EN: 1
; COMPUTE_PGM_RSRC2:TGID_Y_EN: 1
; COMPUTE_PGM_RSRC2:TGID_Z_EN: 1
; COMPUTE_PGM_RSRC2:TIDIG_COMP_CNT: 1
; COMPUTE_PGM_RSRC3_GFX90A:ACCUM_OFFSET: 5
; COMPUTE_PGM_RSRC3_GFX90A:TG_SPLIT: 0
	.section	.text._ZL39rocblas_trsm_block_forward_substitutionI19rocblas_complex_numIdES1_PKPKS1_PKPS1_Lb1ELb0ELb0EEv18rocblas_operation_llT0_T1_lllT2_lllib,"axG",@progbits,_ZL39rocblas_trsm_block_forward_substitutionI19rocblas_complex_numIdES1_PKPKS1_PKPS1_Lb1ELb0ELb0EEv18rocblas_operation_llT0_T1_lllT2_lllib,comdat
	.globl	_ZL39rocblas_trsm_block_forward_substitutionI19rocblas_complex_numIdES1_PKPKS1_PKPS1_Lb1ELb0ELb0EEv18rocblas_operation_llT0_T1_lllT2_lllib ; -- Begin function _ZL39rocblas_trsm_block_forward_substitutionI19rocblas_complex_numIdES1_PKPKS1_PKPS1_Lb1ELb0ELb0EEv18rocblas_operation_llT0_T1_lllT2_lllib
	.p2align	8
	.type	_ZL39rocblas_trsm_block_forward_substitutionI19rocblas_complex_numIdES1_PKPKS1_PKPS1_Lb1ELb0ELb0EEv18rocblas_operation_llT0_T1_lllT2_lllib,@function
_ZL39rocblas_trsm_block_forward_substitutionI19rocblas_complex_numIdES1_PKPKS1_PKPS1_Lb1ELb0ELb0EEv18rocblas_operation_llT0_T1_lllT2_lllib: ; @_ZL39rocblas_trsm_block_forward_substitutionI19rocblas_complex_numIdES1_PKPKS1_PKPS1_Lb1ELb0ELb0EEv18rocblas_operation_llT0_T1_lllT2_lllib
; %bb.0:
	s_load_dword s2, s[0:1], 0x6c
	s_load_dwordx4 s[24:27], s[0:1], 0x28
	s_load_dwordx2 s[30:31], s[0:1], 0x38
	s_load_dword s28, s[0:1], 0x7c
	s_mov_b32 s5, 0
	s_waitcnt lgkmcnt(0)
	s_bitcmp1_b32 s2, 0
	s_cselect_b64 s[6:7], -1, 0
	s_xor_b64 s[16:17], s[6:7], -1
	s_lshl_b64 s[20:21], s[4:5], 3
	s_add_u32 s18, s24, s20
	s_addc_u32 s19, s25, s21
	s_load_dwordx2 s[24:25], s[18:19], 0x0
	s_load_dwordx2 s[22:23], s[0:1], 0x58
	s_load_dwordx4 s[12:15], s[0:1], 0x48
	s_load_dwordx8 s[4:11], s[0:1], 0x8
	s_lshl_b64 s[18:19], s[26:27], 4
	s_waitcnt lgkmcnt(0)
	s_add_u32 s18, s24, s18
	s_addc_u32 s19, s25, s19
	s_add_u32 s12, s12, s20
	s_addc_u32 s13, s13, s21
	s_load_dwordx2 s[24:25], s[12:13], 0x0
	s_add_u32 s26, s0, 0x70
	v_and_b32_e32 v8, 0x3ff, v0
	v_bfe_u32 v16, v0, 10, 10
	s_addc_u32 s27, s1, 0
	s_lshr_b32 s2, s28, 16
	s_mov_b64 s[20:21], 1
	s_and_b64 vcc, exec, s[16:17]
	s_cbranch_vccnz .LBB253_14
; %bb.1:
	s_lshl_b32 s12, s2, 4
	v_cmp_lt_i64_e64 s[20:21], s[4:5], 1
	s_add_i32 s28, s12, 0
	s_mov_b64 s[12:13], 1
	s_and_b64 vcc, exec, s[20:21]
	s_cbranch_vccnz .LBB253_15
; %bb.2:
	v_mad_u64_u32 v[2:3], s[20:21], s30, v8, 0
	v_mov_b32_e32 v4, v3
	v_mad_u64_u32 v[4:5], s[20:21], s31, v8, v[4:5]
	v_mov_b32_e32 v9, 0
	v_mov_b32_e32 v3, v4
	v_lshlrev_b32_e32 v0, 4, v8
	v_cmp_le_u64_e32 vcc, s[4:5], v[8:9]
	v_lshl_add_u64 v[4:5], v[2:3], 4, s[18:19]
	v_mov_b32_e32 v1, v9
	v_add_u32_e32 v17, s28, v0
	v_lshl_add_u64 v[6:7], v[4:5], 0, v[0:1]
	s_xor_b64 s[18:19], vcc, -1
	s_mov_b32 s29, s2
	v_mov_b32_e32 v10, v16
	s_branch .LBB253_6
.LBB253_3:                              ;   in Loop: Header=BB253_6 Depth=1
	s_or_b64 exec, exec, s[34:35]
	s_load_dword s33, s[26:27], 0xc
	s_waitcnt lgkmcnt(0)
	s_and_b32 s33, s33, 0xffff
	v_mul_u32_u24_e32 v0, s33, v8
	v_lshl_add_u32 v0, v0, 4, v17
	ds_write2_b64 v0, v[12:13], v[14:15] offset1:1
.LBB253_4:                              ;   in Loop: Header=BB253_6 Depth=1
	s_or_b64 exec, exec, s[30:31]
.LBB253_5:                              ;   in Loop: Header=BB253_6 Depth=1
	s_or_b64 exec, exec, s[20:21]
	s_ashr_i32 s20, s29, 31
	v_mov_b32_e32 v0, s29
	v_mov_b32_e32 v1, s20
	v_cmp_le_i64_e32 vcc, s[4:5], v[0:1]
	v_add_u32_e32 v10, s2, v10
	s_add_i32 s29, s29, s2
	s_cbranch_vccnz .LBB253_15
.LBB253_6:                              ; =>This Inner Loop Header: Depth=1
	v_cmp_gt_i32_e32 vcc, v8, v10
	s_and_b64 s[20:21], s[18:19], vcc
	s_and_saveexec_b64 s[30:31], s[20:21]
	s_xor_b64 s[20:21], exec, s[30:31]
	s_cbranch_execz .LBB253_8
; %bb.7:                                ;   in Loop: Header=BB253_6 Depth=1
	v_ashrrev_i32_e32 v11, 31, v10
	v_lshl_add_u64 v[0:1], v[10:11], 4, v[4:5]
	flat_load_dwordx4 v[0:3], v[0:1]
	s_load_dword s30, s[26:27], 0xc
	s_waitcnt lgkmcnt(0)
	s_and_b32 s30, s30, 0xffff
	v_mul_lo_u32 v9, v10, s30
	v_lshl_add_u32 v9, v9, 4, v17
	s_waitcnt vmcnt(0)
	ds_write2_b64 v9, v[0:1], v[2:3] offset1:1
.LBB253_8:                              ;   in Loop: Header=BB253_6 Depth=1
	s_andn2_saveexec_b64 s[20:21], s[20:21]
	s_cbranch_execz .LBB253_5
; %bb.9:                                ;   in Loop: Header=BB253_6 Depth=1
	v_cmp_eq_u32_e32 vcc, v8, v10
	s_and_b64 s[34:35], s[18:19], vcc
	s_and_saveexec_b64 s[30:31], s[34:35]
	s_cbranch_execz .LBB253_4
; %bb.10:                               ;   in Loop: Header=BB253_6 Depth=1
	flat_load_dwordx4 v[0:3], v[6:7]
                                        ; implicit-def: $vgpr12_vgpr13
	s_waitcnt vmcnt(0) lgkmcnt(0)
	v_cmp_ngt_f64_e64 s[34:35], |v[0:1]|, |v[2:3]|
	s_and_saveexec_b64 s[36:37], s[34:35]
	s_xor_b64 s[34:35], exec, s[36:37]
                                        ; implicit-def: $vgpr14_vgpr15
	s_cbranch_execz .LBB253_12
; %bb.11:                               ;   in Loop: Header=BB253_6 Depth=1
	v_div_scale_f64 v[12:13], s[36:37], v[2:3], v[2:3], v[0:1]
	v_rcp_f64_e32 v[14:15], v[12:13]
	v_div_scale_f64 v[18:19], vcc, v[0:1], v[2:3], v[0:1]
	v_fma_f64 v[20:21], -v[12:13], v[14:15], 1.0
	v_fmac_f64_e32 v[14:15], v[14:15], v[20:21]
	v_fma_f64 v[20:21], -v[12:13], v[14:15], 1.0
	v_fmac_f64_e32 v[14:15], v[14:15], v[20:21]
	v_mul_f64 v[20:21], v[18:19], v[14:15]
	v_fma_f64 v[12:13], -v[12:13], v[20:21], v[18:19]
	v_div_fmas_f64 v[12:13], v[12:13], v[14:15], v[20:21]
	v_div_fixup_f64 v[12:13], v[12:13], v[2:3], v[0:1]
	v_fmac_f64_e32 v[2:3], v[0:1], v[12:13]
	v_div_scale_f64 v[0:1], s[36:37], v[2:3], v[2:3], 1.0
	v_rcp_f64_e32 v[14:15], v[0:1]
	s_nop 0
	v_fma_f64 v[18:19], -v[0:1], v[14:15], 1.0
	v_fmac_f64_e32 v[14:15], v[14:15], v[18:19]
	v_fma_f64 v[18:19], -v[0:1], v[14:15], 1.0
	v_fmac_f64_e32 v[14:15], v[14:15], v[18:19]
	v_div_scale_f64 v[18:19], vcc, 1.0, v[2:3], 1.0
	v_mul_f64 v[20:21], v[18:19], v[14:15]
	v_fma_f64 v[0:1], -v[0:1], v[20:21], v[18:19]
	s_nop 1
	v_div_fmas_f64 v[0:1], v[0:1], v[14:15], v[20:21]
	v_div_fixup_f64 v[14:15], v[0:1], v[2:3], 1.0
	v_mul_f64 v[12:13], v[12:13], v[14:15]
	v_xor_b32_e32 v15, 0x80000000, v15
                                        ; implicit-def: $vgpr0_vgpr1
.LBB253_12:                             ;   in Loop: Header=BB253_6 Depth=1
	s_andn2_saveexec_b64 s[34:35], s[34:35]
	s_cbranch_execz .LBB253_3
; %bb.13:                               ;   in Loop: Header=BB253_6 Depth=1
	v_div_scale_f64 v[12:13], s[36:37], v[0:1], v[0:1], v[2:3]
	v_rcp_f64_e32 v[14:15], v[12:13]
	v_div_scale_f64 v[18:19], vcc, v[2:3], v[0:1], v[2:3]
	v_fma_f64 v[20:21], -v[12:13], v[14:15], 1.0
	v_fmac_f64_e32 v[14:15], v[14:15], v[20:21]
	v_fma_f64 v[20:21], -v[12:13], v[14:15], 1.0
	v_fmac_f64_e32 v[14:15], v[14:15], v[20:21]
	v_mul_f64 v[20:21], v[18:19], v[14:15]
	v_fma_f64 v[12:13], -v[12:13], v[20:21], v[18:19]
	v_div_fmas_f64 v[12:13], v[12:13], v[14:15], v[20:21]
	v_div_fixup_f64 v[14:15], v[12:13], v[0:1], v[2:3]
	v_fmac_f64_e32 v[0:1], v[2:3], v[14:15]
	v_div_scale_f64 v[2:3], s[36:37], v[0:1], v[0:1], 1.0
	v_rcp_f64_e32 v[12:13], v[2:3]
	s_nop 0
	v_fma_f64 v[18:19], -v[2:3], v[12:13], 1.0
	v_fmac_f64_e32 v[12:13], v[12:13], v[18:19]
	v_fma_f64 v[18:19], -v[2:3], v[12:13], 1.0
	v_fmac_f64_e32 v[12:13], v[12:13], v[18:19]
	v_div_scale_f64 v[18:19], vcc, 1.0, v[0:1], 1.0
	v_mul_f64 v[20:21], v[18:19], v[12:13]
	v_fma_f64 v[2:3], -v[2:3], v[20:21], v[18:19]
	s_nop 1
	v_div_fmas_f64 v[2:3], v[2:3], v[12:13], v[20:21]
	v_div_fixup_f64 v[12:13], v[2:3], v[0:1], 1.0
	v_mul_f64 v[14:15], v[14:15], -v[12:13]
	s_branch .LBB253_3
.LBB253_14:
	s_mov_b64 s[12:13], s[30:31]
	s_branch .LBB253_16
.LBB253_15:
	s_mov_b64 s[18:19], src_shared_base
	s_load_dword s18, s[26:27], 0xc
	s_mov_b32 s29, s19
	s_mov_b32 s21, 0
	s_waitcnt lgkmcnt(0)
	s_and_b32 s20, s18, 0xffff
	s_mov_b64 s[18:19], s[28:29]
.LBB253_16:
	s_mul_i32 s3, s3, s2
	v_add_u32_e32 v0, s3, v16
	v_mov_b32_e32 v1, 0
	v_cmp_gt_i64_e32 vcc, s[6:7], v[0:1]
	s_and_saveexec_b64 s[2:3], vcc
	s_cbranch_execz .LBB253_40
; %bb.17:
	v_mov_b32_e32 v9, v1
	v_cmp_gt_i64_e32 vcc, s[4:5], v[8:9]
	s_and_b64 exec, exec, vcc
	s_cbranch_execz .LBB253_40
; %bb.18:
	v_mad_u64_u32 v[2:3], s[6:7], s22, v0, 0
	s_lshl_b64 s[2:3], s[14:15], 4
	v_mov_b32_e32 v4, v3
	s_waitcnt lgkmcnt(0)
	s_add_u32 s2, s24, s2
	v_mad_u64_u32 v[0:1], s[6:7], s23, v0, v[4:5]
	s_addc_u32 s3, s25, s3
	v_mov_b32_e32 v3, v0
	v_lshl_add_u64 v[0:1], v[2:3], 4, s[2:3]
	v_lshlrev_b32_e32 v2, 4, v8
	v_mov_b32_e32 v3, 0
	v_lshl_add_u64 v[10:11], v[0:1], 0, v[2:3]
	flat_load_dwordx4 v[4:7], v[10:11]
	v_cmp_lt_u64_e64 s[2:3], s[4:5], 2
	s_add_u32 s4, s4, -1
	s_addc_u32 s5, s5, -1
	s_and_b64 vcc, exec, s[2:3]
	s_waitcnt vmcnt(0) lgkmcnt(0)
	v_mul_f64 v[0:1], s[10:11], v[6:7]
	v_mul_f64 v[2:3], s[8:9], v[6:7]
	v_fma_f64 v[0:1], s[8:9], v[4:5], -v[0:1]
	v_fmac_f64_e32 v[2:3], s[10:11], v[4:5]
	s_cbranch_vccnz .LBB253_31
; %bb.19:
	s_load_dword s0, s[0:1], 0x0
	s_mov_b32 s7, 0
	v_lshl_add_u32 v16, v16, 4, 0
	s_mov_b64 s[8:9], 0
	s_waitcnt lgkmcnt(0)
	s_cmpk_eq_i32 s0, 0x71
	s_cselect_b64 s[0:1], -1, 0
	s_add_u32 s2, s20, s12
	v_mad_u64_u32 v[4:5], s[2:3], s2, v8, 0
	s_addc_u32 s6, s21, s13
	v_mov_b32_e32 v6, v5
	v_mad_u64_u32 v[6:7], s[2:3], s6, v8, v[6:7]
	v_mov_b32_e32 v5, v6
	v_lshl_add_u64 v[12:13], v[4:5], 4, s[18:19]
	v_mad_u64_u32 v[4:5], s[2:3], s12, v8, 0
	v_mov_b32_e32 v6, v5
	v_mad_u64_u32 v[6:7], s[2:3], s13, v8, v[6:7]
	v_mov_b32_e32 v5, v6
	v_lshl_add_u64 v[14:15], v[4:5], 4, s[18:19]
	v_cndmask_b32_e64 v4, 0, 1, s[16:17]
	s_lshl_b32 s6, s20, 4
	v_cmp_ne_u32_e64 s[2:3], 1, v4
	s_branch .LBB253_21
.LBB253_20:                             ;   in Loop: Header=BB253_21 Depth=1
	s_or_b64 exec, exec, s[10:11]
	s_add_u32 s8, s8, 1
	s_addc_u32 s9, s9, 0
	s_cmp_eq_u64 s[4:5], s[8:9]
	v_lshl_add_u64 v[14:15], v[14:15], 0, s[6:7]
	s_cbranch_scc1 .LBB253_31
.LBB253_21:                             ; =>This Inner Loop Header: Depth=1
	v_cmp_eq_u64_e32 vcc, s[8:9], v[8:9]
	s_barrier
	s_and_saveexec_b64 s[10:11], vcc
	s_cbranch_execz .LBB253_29
; %bb.22:                               ;   in Loop: Header=BB253_21 Depth=1
	flat_load_dwordx4 v[4:7], v[12:13]
	s_and_b64 vcc, exec, s[2:3]
	s_cbranch_vccnz .LBB253_28
; %bb.23:                               ;   in Loop: Header=BB253_21 Depth=1
	s_waitcnt vmcnt(0) lgkmcnt(0)
	v_cmp_ngt_f64_e64 s[14:15], |v[4:5]|, |v[6:7]|
	s_and_saveexec_b64 s[22:23], s[14:15]
	s_xor_b64 s[14:15], exec, s[22:23]
	s_cbranch_execz .LBB253_25
; %bb.24:                               ;   in Loop: Header=BB253_21 Depth=1
	v_div_scale_f64 v[18:19], s[22:23], v[6:7], v[6:7], v[4:5]
	v_rcp_f64_e32 v[20:21], v[18:19]
	v_div_scale_f64 v[22:23], vcc, v[4:5], v[6:7], v[4:5]
	v_fma_f64 v[24:25], -v[18:19], v[20:21], 1.0
	v_fmac_f64_e32 v[20:21], v[20:21], v[24:25]
	v_fma_f64 v[24:25], -v[18:19], v[20:21], 1.0
	v_fmac_f64_e32 v[20:21], v[20:21], v[24:25]
	v_mul_f64 v[24:25], v[22:23], v[20:21]
	v_fma_f64 v[18:19], -v[18:19], v[24:25], v[22:23]
	v_div_fmas_f64 v[18:19], v[18:19], v[20:21], v[24:25]
	v_div_fixup_f64 v[18:19], v[18:19], v[6:7], v[4:5]
	v_fmac_f64_e32 v[6:7], v[4:5], v[18:19]
	v_div_scale_f64 v[4:5], s[22:23], v[6:7], v[6:7], 1.0
	v_rcp_f64_e32 v[20:21], v[4:5]
	s_nop 0
	v_fma_f64 v[22:23], -v[4:5], v[20:21], 1.0
	v_fmac_f64_e32 v[20:21], v[20:21], v[22:23]
	v_fma_f64 v[22:23], -v[4:5], v[20:21], 1.0
	v_fmac_f64_e32 v[20:21], v[20:21], v[22:23]
	v_div_scale_f64 v[22:23], vcc, 1.0, v[6:7], 1.0
	v_mul_f64 v[24:25], v[22:23], v[20:21]
	v_fma_f64 v[4:5], -v[4:5], v[24:25], v[22:23]
	s_nop 1
	v_div_fmas_f64 v[4:5], v[4:5], v[20:21], v[24:25]
	v_div_fixup_f64 v[6:7], v[4:5], v[6:7], 1.0
	v_mul_f64 v[4:5], v[18:19], v[6:7]
	v_xor_b32_e32 v7, 0x80000000, v7
.LBB253_25:                             ;   in Loop: Header=BB253_21 Depth=1
	s_andn2_saveexec_b64 s[14:15], s[14:15]
	s_cbranch_execz .LBB253_27
; %bb.26:                               ;   in Loop: Header=BB253_21 Depth=1
	v_div_scale_f64 v[18:19], s[22:23], v[4:5], v[4:5], v[6:7]
	v_rcp_f64_e32 v[20:21], v[18:19]
	v_div_scale_f64 v[22:23], vcc, v[6:7], v[4:5], v[6:7]
	v_fma_f64 v[24:25], -v[18:19], v[20:21], 1.0
	v_fmac_f64_e32 v[20:21], v[20:21], v[24:25]
	v_fma_f64 v[24:25], -v[18:19], v[20:21], 1.0
	v_fmac_f64_e32 v[20:21], v[20:21], v[24:25]
	v_mul_f64 v[24:25], v[22:23], v[20:21]
	v_fma_f64 v[18:19], -v[18:19], v[24:25], v[22:23]
	v_div_fmas_f64 v[18:19], v[18:19], v[20:21], v[24:25]
	v_div_fixup_f64 v[18:19], v[18:19], v[4:5], v[6:7]
	v_fmac_f64_e32 v[4:5], v[6:7], v[18:19]
	v_div_scale_f64 v[6:7], s[22:23], v[4:5], v[4:5], 1.0
	v_rcp_f64_e32 v[20:21], v[6:7]
	s_nop 0
	v_fma_f64 v[22:23], -v[6:7], v[20:21], 1.0
	v_fmac_f64_e32 v[20:21], v[20:21], v[22:23]
	v_fma_f64 v[22:23], -v[6:7], v[20:21], 1.0
	v_fmac_f64_e32 v[20:21], v[20:21], v[22:23]
	v_div_scale_f64 v[22:23], vcc, 1.0, v[4:5], 1.0
	v_mul_f64 v[24:25], v[22:23], v[20:21]
	v_fma_f64 v[6:7], -v[6:7], v[24:25], v[22:23]
	s_nop 1
	v_div_fmas_f64 v[6:7], v[6:7], v[20:21], v[24:25]
	v_div_fixup_f64 v[4:5], v[6:7], v[4:5], 1.0
	v_mul_f64 v[6:7], v[18:19], -v[4:5]
.LBB253_27:                             ;   in Loop: Header=BB253_21 Depth=1
	s_or_b64 exec, exec, s[14:15]
.LBB253_28:                             ;   in Loop: Header=BB253_21 Depth=1
	s_waitcnt vmcnt(0) lgkmcnt(0)
	v_mul_f64 v[18:19], v[2:3], v[6:7]
	v_fma_f64 v[18:19], v[0:1], v[4:5], -v[18:19]
	v_mul_f64 v[0:1], v[0:1], v[6:7]
	v_fmac_f64_e32 v[0:1], v[2:3], v[4:5]
	ds_write2_b64 v16, v[18:19], v[0:1] offset1:1
	v_mov_b64_e32 v[2:3], v[0:1]
	v_mov_b64_e32 v[0:1], v[18:19]
.LBB253_29:                             ;   in Loop: Header=BB253_21 Depth=1
	s_or_b64 exec, exec, s[10:11]
	v_cmp_lt_u64_e32 vcc, s[8:9], v[8:9]
	s_waitcnt lgkmcnt(0)
	s_barrier
	s_and_saveexec_b64 s[10:11], vcc
	s_cbranch_execz .LBB253_20
; %bb.30:                               ;   in Loop: Header=BB253_21 Depth=1
	flat_load_dwordx4 v[4:7], v[14:15]
	ds_read2_b64 v[18:21], v16 offset1:1
	s_waitcnt vmcnt(0) lgkmcnt(0)
	v_xor_b32_e32 v17, 0x80000000, v7
	v_cndmask_b32_e64 v7, v7, v17, s[0:1]
	v_mul_f64 v[22:23], v[4:5], v[20:21]
	v_mul_f64 v[20:21], v[6:7], v[20:21]
	v_fmac_f64_e32 v[22:23], v[6:7], v[18:19]
	v_fma_f64 v[4:5], v[4:5], v[18:19], -v[20:21]
	v_add_f64 v[0:1], v[0:1], -v[4:5]
	v_add_f64 v[2:3], v[2:3], -v[22:23]
	s_branch .LBB253_20
.LBB253_31:
	v_cmp_eq_u64_e32 vcc, s[4:5], v[8:9]
	s_and_saveexec_b64 s[0:1], vcc
	s_cbranch_execz .LBB253_39
; %bb.32:
	s_add_u32 s2, s20, s12
	v_mad_u64_u32 v[4:5], s[2:3], s2, v8, 0
	s_addc_u32 s4, s21, s13
	v_mov_b32_e32 v6, v5
	v_mad_u64_u32 v[6:7], s[2:3], s4, v8, v[6:7]
	v_mov_b32_e32 v5, v6
	v_lshl_add_u64 v[4:5], v[4:5], 4, s[18:19]
	flat_load_dwordx4 v[4:7], v[4:5]
	s_andn2_b64 vcc, exec, s[16:17]
	s_cbranch_vccnz .LBB253_38
; %bb.33:
	s_waitcnt vmcnt(0) lgkmcnt(0)
	v_cmp_ngt_f64_e64 s[2:3], |v[4:5]|, |v[6:7]|
	s_and_saveexec_b64 s[4:5], s[2:3]
	s_xor_b64 s[2:3], exec, s[4:5]
	s_cbranch_execz .LBB253_35
; %bb.34:
	v_div_scale_f64 v[8:9], s[4:5], v[6:7], v[6:7], v[4:5]
	v_rcp_f64_e32 v[12:13], v[8:9]
	v_div_scale_f64 v[14:15], vcc, v[4:5], v[6:7], v[4:5]
	v_fma_f64 v[16:17], -v[8:9], v[12:13], 1.0
	v_fmac_f64_e32 v[12:13], v[12:13], v[16:17]
	v_fma_f64 v[16:17], -v[8:9], v[12:13], 1.0
	v_fmac_f64_e32 v[12:13], v[12:13], v[16:17]
	v_mul_f64 v[16:17], v[14:15], v[12:13]
	v_fma_f64 v[8:9], -v[8:9], v[16:17], v[14:15]
	v_div_fmas_f64 v[8:9], v[8:9], v[12:13], v[16:17]
	v_div_fixup_f64 v[8:9], v[8:9], v[6:7], v[4:5]
	v_fmac_f64_e32 v[6:7], v[4:5], v[8:9]
	v_div_scale_f64 v[4:5], s[4:5], v[6:7], v[6:7], 1.0
	v_rcp_f64_e32 v[12:13], v[4:5]
	s_nop 0
	v_fma_f64 v[14:15], -v[4:5], v[12:13], 1.0
	v_fmac_f64_e32 v[12:13], v[12:13], v[14:15]
	v_fma_f64 v[14:15], -v[4:5], v[12:13], 1.0
	v_fmac_f64_e32 v[12:13], v[12:13], v[14:15]
	v_div_scale_f64 v[14:15], vcc, 1.0, v[6:7], 1.0
	v_mul_f64 v[16:17], v[14:15], v[12:13]
	v_fma_f64 v[4:5], -v[4:5], v[16:17], v[14:15]
	s_nop 1
	v_div_fmas_f64 v[4:5], v[4:5], v[12:13], v[16:17]
	v_div_fixup_f64 v[6:7], v[4:5], v[6:7], 1.0
	v_mul_f64 v[4:5], v[8:9], v[6:7]
	v_xor_b32_e32 v7, 0x80000000, v7
.LBB253_35:
	s_andn2_saveexec_b64 s[2:3], s[2:3]
	s_cbranch_execz .LBB253_37
; %bb.36:
	v_div_scale_f64 v[8:9], s[4:5], v[4:5], v[4:5], v[6:7]
	v_rcp_f64_e32 v[12:13], v[8:9]
	v_div_scale_f64 v[14:15], vcc, v[6:7], v[4:5], v[6:7]
	v_fma_f64 v[16:17], -v[8:9], v[12:13], 1.0
	v_fmac_f64_e32 v[12:13], v[12:13], v[16:17]
	v_fma_f64 v[16:17], -v[8:9], v[12:13], 1.0
	v_fmac_f64_e32 v[12:13], v[12:13], v[16:17]
	v_mul_f64 v[16:17], v[14:15], v[12:13]
	v_fma_f64 v[8:9], -v[8:9], v[16:17], v[14:15]
	v_div_fmas_f64 v[8:9], v[8:9], v[12:13], v[16:17]
	v_div_fixup_f64 v[8:9], v[8:9], v[4:5], v[6:7]
	v_fmac_f64_e32 v[4:5], v[6:7], v[8:9]
	v_div_scale_f64 v[6:7], s[4:5], v[4:5], v[4:5], 1.0
	v_rcp_f64_e32 v[12:13], v[6:7]
	s_nop 0
	v_fma_f64 v[14:15], -v[6:7], v[12:13], 1.0
	v_fmac_f64_e32 v[12:13], v[12:13], v[14:15]
	v_fma_f64 v[14:15], -v[6:7], v[12:13], 1.0
	v_fmac_f64_e32 v[12:13], v[12:13], v[14:15]
	v_div_scale_f64 v[14:15], vcc, 1.0, v[4:5], 1.0
	v_mul_f64 v[16:17], v[14:15], v[12:13]
	v_fma_f64 v[6:7], -v[6:7], v[16:17], v[14:15]
	s_nop 1
	v_div_fmas_f64 v[6:7], v[6:7], v[12:13], v[16:17]
	v_div_fixup_f64 v[4:5], v[6:7], v[4:5], 1.0
	v_mul_f64 v[6:7], v[8:9], -v[4:5]
.LBB253_37:
	s_or_b64 exec, exec, s[2:3]
.LBB253_38:
	s_waitcnt vmcnt(0) lgkmcnt(0)
	v_mul_f64 v[8:9], v[2:3], v[6:7]
	v_fma_f64 v[8:9], v[0:1], v[4:5], -v[8:9]
	v_mul_f64 v[2:3], v[2:3], v[4:5]
	v_fmac_f64_e32 v[2:3], v[0:1], v[6:7]
	v_mov_b64_e32 v[0:1], v[8:9]
.LBB253_39:
	s_or_b64 exec, exec, s[0:1]
	flat_store_dwordx4 v[10:11], v[0:3]
.LBB253_40:
	s_endpgm
	.section	.rodata,"a",@progbits
	.p2align	6, 0x0
	.amdhsa_kernel _ZL39rocblas_trsm_block_forward_substitutionI19rocblas_complex_numIdES1_PKPKS1_PKPS1_Lb1ELb0ELb0EEv18rocblas_operation_llT0_T1_lllT2_lllib
		.amdhsa_group_segment_fixed_size 0
		.amdhsa_private_segment_fixed_size 0
		.amdhsa_kernarg_size 368
		.amdhsa_user_sgpr_count 2
		.amdhsa_user_sgpr_dispatch_ptr 0
		.amdhsa_user_sgpr_queue_ptr 0
		.amdhsa_user_sgpr_kernarg_segment_ptr 1
		.amdhsa_user_sgpr_dispatch_id 0
		.amdhsa_user_sgpr_kernarg_preload_length 0
		.amdhsa_user_sgpr_kernarg_preload_offset 0
		.amdhsa_user_sgpr_private_segment_size 0
		.amdhsa_uses_dynamic_stack 0
		.amdhsa_enable_private_segment 0
		.amdhsa_system_sgpr_workgroup_id_x 1
		.amdhsa_system_sgpr_workgroup_id_y 1
		.amdhsa_system_sgpr_workgroup_id_z 1
		.amdhsa_system_sgpr_workgroup_info 0
		.amdhsa_system_vgpr_workitem_id 1
		.amdhsa_next_free_vgpr 26
		.amdhsa_next_free_sgpr 38
		.amdhsa_accum_offset 28
		.amdhsa_reserve_vcc 1
		.amdhsa_float_round_mode_32 0
		.amdhsa_float_round_mode_16_64 0
		.amdhsa_float_denorm_mode_32 3
		.amdhsa_float_denorm_mode_16_64 3
		.amdhsa_dx10_clamp 1
		.amdhsa_ieee_mode 1
		.amdhsa_fp16_overflow 0
		.amdhsa_tg_split 0
		.amdhsa_exception_fp_ieee_invalid_op 0
		.amdhsa_exception_fp_denorm_src 0
		.amdhsa_exception_fp_ieee_div_zero 0
		.amdhsa_exception_fp_ieee_overflow 0
		.amdhsa_exception_fp_ieee_underflow 0
		.amdhsa_exception_fp_ieee_inexact 0
		.amdhsa_exception_int_div_zero 0
	.end_amdhsa_kernel
	.section	.text._ZL39rocblas_trsm_block_forward_substitutionI19rocblas_complex_numIdES1_PKPKS1_PKPS1_Lb1ELb0ELb0EEv18rocblas_operation_llT0_T1_lllT2_lllib,"axG",@progbits,_ZL39rocblas_trsm_block_forward_substitutionI19rocblas_complex_numIdES1_PKPKS1_PKPS1_Lb1ELb0ELb0EEv18rocblas_operation_llT0_T1_lllT2_lllib,comdat
.Lfunc_end253:
	.size	_ZL39rocblas_trsm_block_forward_substitutionI19rocblas_complex_numIdES1_PKPKS1_PKPS1_Lb1ELb0ELb0EEv18rocblas_operation_llT0_T1_lllT2_lllib, .Lfunc_end253-_ZL39rocblas_trsm_block_forward_substitutionI19rocblas_complex_numIdES1_PKPKS1_PKPS1_Lb1ELb0ELb0EEv18rocblas_operation_llT0_T1_lllT2_lllib
                                        ; -- End function
	.set _ZL39rocblas_trsm_block_forward_substitutionI19rocblas_complex_numIdES1_PKPKS1_PKPS1_Lb1ELb0ELb0EEv18rocblas_operation_llT0_T1_lllT2_lllib.num_vgpr, 26
	.set _ZL39rocblas_trsm_block_forward_substitutionI19rocblas_complex_numIdES1_PKPKS1_PKPS1_Lb1ELb0ELb0EEv18rocblas_operation_llT0_T1_lllT2_lllib.num_agpr, 0
	.set _ZL39rocblas_trsm_block_forward_substitutionI19rocblas_complex_numIdES1_PKPKS1_PKPS1_Lb1ELb0ELb0EEv18rocblas_operation_llT0_T1_lllT2_lllib.numbered_sgpr, 38
	.set _ZL39rocblas_trsm_block_forward_substitutionI19rocblas_complex_numIdES1_PKPKS1_PKPS1_Lb1ELb0ELb0EEv18rocblas_operation_llT0_T1_lllT2_lllib.num_named_barrier, 0
	.set _ZL39rocblas_trsm_block_forward_substitutionI19rocblas_complex_numIdES1_PKPKS1_PKPS1_Lb1ELb0ELb0EEv18rocblas_operation_llT0_T1_lllT2_lllib.private_seg_size, 0
	.set _ZL39rocblas_trsm_block_forward_substitutionI19rocblas_complex_numIdES1_PKPKS1_PKPS1_Lb1ELb0ELb0EEv18rocblas_operation_llT0_T1_lllT2_lllib.uses_vcc, 1
	.set _ZL39rocblas_trsm_block_forward_substitutionI19rocblas_complex_numIdES1_PKPKS1_PKPS1_Lb1ELb0ELb0EEv18rocblas_operation_llT0_T1_lllT2_lllib.uses_flat_scratch, 0
	.set _ZL39rocblas_trsm_block_forward_substitutionI19rocblas_complex_numIdES1_PKPKS1_PKPS1_Lb1ELb0ELb0EEv18rocblas_operation_llT0_T1_lllT2_lllib.has_dyn_sized_stack, 0
	.set _ZL39rocblas_trsm_block_forward_substitutionI19rocblas_complex_numIdES1_PKPKS1_PKPS1_Lb1ELb0ELb0EEv18rocblas_operation_llT0_T1_lllT2_lllib.has_recursion, 0
	.set _ZL39rocblas_trsm_block_forward_substitutionI19rocblas_complex_numIdES1_PKPKS1_PKPS1_Lb1ELb0ELb0EEv18rocblas_operation_llT0_T1_lllT2_lllib.has_indirect_call, 0
	.section	.AMDGPU.csdata,"",@progbits
; Kernel info:
; codeLenInByte = 2320
; TotalNumSgprs: 44
; NumVgprs: 26
; NumAgprs: 0
; TotalNumVgprs: 26
; ScratchSize: 0
; MemoryBound: 1
; FloatMode: 240
; IeeeMode: 1
; LDSByteSize: 0 bytes/workgroup (compile time only)
; SGPRBlocks: 5
; VGPRBlocks: 3
; NumSGPRsForWavesPerEU: 44
; NumVGPRsForWavesPerEU: 26
; AccumOffset: 28
; Occupancy: 8
; WaveLimiterHint : 1
; COMPUTE_PGM_RSRC2:SCRATCH_EN: 0
; COMPUTE_PGM_RSRC2:USER_SGPR: 2
; COMPUTE_PGM_RSRC2:TRAP_HANDLER: 0
; COMPUTE_PGM_RSRC2:TGID_X_EN: 1
; COMPUTE_PGM_RSRC2:TGID_Y_EN: 1
; COMPUTE_PGM_RSRC2:TGID_Z_EN: 1
; COMPUTE_PGM_RSRC2:TIDIG_COMP_CNT: 1
; COMPUTE_PGM_RSRC3_GFX90A:ACCUM_OFFSET: 6
; COMPUTE_PGM_RSRC3_GFX90A:TG_SPLIT: 0
	.section	.text._ZL40rocblas_trsm_block_backward_substitutionI19rocblas_complex_numIdES1_PKPKS1_PKPS1_Lb1ELb0ELb0EEv18rocblas_operation_llT0_T1_lllT2_lllib,"axG",@progbits,_ZL40rocblas_trsm_block_backward_substitutionI19rocblas_complex_numIdES1_PKPKS1_PKPS1_Lb1ELb0ELb0EEv18rocblas_operation_llT0_T1_lllT2_lllib,comdat
	.globl	_ZL40rocblas_trsm_block_backward_substitutionI19rocblas_complex_numIdES1_PKPKS1_PKPS1_Lb1ELb0ELb0EEv18rocblas_operation_llT0_T1_lllT2_lllib ; -- Begin function _ZL40rocblas_trsm_block_backward_substitutionI19rocblas_complex_numIdES1_PKPKS1_PKPS1_Lb1ELb0ELb0EEv18rocblas_operation_llT0_T1_lllT2_lllib
	.p2align	8
	.type	_ZL40rocblas_trsm_block_backward_substitutionI19rocblas_complex_numIdES1_PKPKS1_PKPS1_Lb1ELb0ELb0EEv18rocblas_operation_llT0_T1_lllT2_lllib,@function
_ZL40rocblas_trsm_block_backward_substitutionI19rocblas_complex_numIdES1_PKPKS1_PKPS1_Lb1ELb0ELb0EEv18rocblas_operation_llT0_T1_lllT2_lllib: ; @_ZL40rocblas_trsm_block_backward_substitutionI19rocblas_complex_numIdES1_PKPKS1_PKPS1_Lb1ELb0ELb0EEv18rocblas_operation_llT0_T1_lllT2_lllib
; %bb.0:
	s_load_dword s2, s[0:1], 0x6c
	s_load_dwordx4 s[24:27], s[0:1], 0x28
	s_load_dwordx2 s[20:21], s[0:1], 0x38
	s_load_dword s30, s[0:1], 0x7c
	s_mov_b32 s5, 0
	s_waitcnt lgkmcnt(0)
	s_bitcmp1_b32 s2, 0
	s_cselect_b64 s[6:7], -1, 0
	s_xor_b64 s[22:23], s[6:7], -1
	s_lshl_b64 s[4:5], s[4:5], 3
	s_add_u32 s6, s24, s4
	s_addc_u32 s7, s25, s5
	s_load_dwordx2 s[28:29], s[6:7], 0x0
	s_load_dwordx2 s[24:25], s[0:1], 0x58
	s_load_dwordx4 s[16:19], s[0:1], 0x48
	s_load_dwordx8 s[8:15], s[0:1], 0x8
	s_lshl_b64 s[6:7], s[26:27], 4
	s_waitcnt lgkmcnt(0)
	s_add_u32 s6, s28, s6
	s_addc_u32 s7, s29, s7
	s_add_u32 s4, s16, s4
	s_addc_u32 s5, s17, s5
	s_load_dwordx2 s[16:17], s[4:5], 0x0
	s_add_u32 s26, s0, 0x70
	v_and_b32_e32 v8, 0x3ff, v0
	v_bfe_u32 v16, v0, 10, 10
	s_addc_u32 s27, s1, 0
	s_lshr_b32 s2, s30, 16
	s_and_b64 vcc, exec, s[22:23]
	s_cbranch_vccnz .LBB254_16
; %bb.1:
	s_lshl_b32 s4, s2, 4
	s_add_i32 s28, s4, 0
	v_cmp_lt_i64_e64 s[4:5], s[8:9], 1
	s_and_b64 vcc, exec, s[4:5]
	s_cbranch_vccnz .LBB254_15
; %bb.2:
	v_mov_b32_e32 v9, 0
	v_lshlrev_b32_e32 v0, 4, v8
	v_mov_b32_e32 v1, v9
	v_add_u32_e32 v17, s28, v0
	v_lshl_add_u64 v[4:5], s[6:7], 0, v[0:1]
	v_mad_u64_u32 v[0:1], s[6:7], s20, v8, 0
	v_mov_b32_e32 v2, v1
	v_mad_u64_u32 v[2:3], s[6:7], s21, v8, v[2:3]
	v_cmp_le_u64_e64 s[30:31], s[8:9], v[8:9]
	v_mov_b32_e32 v1, v2
	v_cmp_gt_u64_e64 s[4:5], s[8:9], v[8:9]
	v_lshl_add_u64 v[6:7], v[0:1], 4, v[4:5]
	s_xor_b64 s[34:35], s[30:31], -1
	s_mov_b32 s29, s2
	v_mov_b32_e32 v10, v16
	s_branch .LBB254_5
.LBB254_3:                              ;   in Loop: Header=BB254_5 Depth=1
	s_or_b64 exec, exec, s[36:37]
	s_load_dword s33, s[26:27], 0xc
	s_waitcnt lgkmcnt(0)
	s_and_b32 s33, s33, 0xffff
	v_mul_u32_u24_e32 v0, s33, v8
	v_lshl_add_u32 v0, v0, 4, v17
	ds_write2_b64 v0, v[12:13], v[14:15] offset1:1
.LBB254_4:                              ;   in Loop: Header=BB254_5 Depth=1
	s_or_b64 exec, exec, s[6:7]
	s_ashr_i32 s6, s29, 31
	v_mov_b32_e32 v0, s29
	v_mov_b32_e32 v1, s6
	v_cmp_le_i64_e32 vcc, s[8:9], v[0:1]
	v_add_u32_e32 v10, s2, v10
	s_add_i32 s29, s29, s2
	s_cbranch_vccnz .LBB254_15
.LBB254_5:                              ; =>This Inner Loop Header: Depth=1
	s_mov_b64 s[38:39], s[30:31]
	s_and_saveexec_b64 s[36:37], s[4:5]
	s_cbranch_execz .LBB254_9
; %bb.6:                                ;   in Loop: Header=BB254_5 Depth=1
	v_ashrrev_i32_e32 v11, 31, v10
	v_cmp_gt_i64_e32 vcc, s[8:9], v[10:11]
	v_cmp_lt_i32_e64 s[6:7], v8, v10
	s_and_b64 s[40:41], s[6:7], vcc
	s_mov_b64 s[38:39], -1
	s_and_saveexec_b64 s[6:7], s[40:41]
	s_cbranch_execz .LBB254_8
; %bb.7:                                ;   in Loop: Header=BB254_5 Depth=1
	v_mul_lo_u32 v2, s21, v10
	v_mul_lo_u32 v3, s20, v11
	v_mad_u64_u32 v[0:1], s[38:39], s20, v10, 0
	v_add3_u32 v1, v1, v3, v2
	v_lshl_add_u64 v[0:1], v[0:1], 4, v[4:5]
	flat_load_dwordx4 v[0:3], v[0:1]
	s_load_dword s33, s[26:27], 0xc
	s_xor_b64 s[38:39], exec, -1
	s_waitcnt lgkmcnt(0)
	s_and_b32 s33, s33, 0xffff
	v_mul_lo_u32 v9, v10, s33
	v_lshl_add_u32 v9, v9, 4, v17
	s_waitcnt vmcnt(0)
	ds_write2_b64 v9, v[0:1], v[2:3] offset1:1
.LBB254_8:                              ;   in Loop: Header=BB254_5 Depth=1
	s_or_b64 exec, exec, s[6:7]
	s_andn2_b64 s[6:7], s[30:31], exec
	s_and_b64 s[38:39], s[38:39], exec
	s_or_b64 s[38:39], s[6:7], s[38:39]
.LBB254_9:                              ;   in Loop: Header=BB254_5 Depth=1
	s_or_b64 exec, exec, s[36:37]
	s_and_saveexec_b64 s[6:7], s[38:39]
	s_cbranch_execz .LBB254_4
; %bb.10:                               ;   in Loop: Header=BB254_5 Depth=1
	v_cmp_eq_u32_e32 vcc, v8, v10
	s_and_b64 s[36:37], s[34:35], vcc
	s_and_b64 exec, exec, s[36:37]
	s_cbranch_execz .LBB254_4
; %bb.11:                               ;   in Loop: Header=BB254_5 Depth=1
	flat_load_dwordx4 v[0:3], v[6:7]
                                        ; implicit-def: $vgpr12_vgpr13
	s_waitcnt vmcnt(0) lgkmcnt(0)
	v_cmp_ngt_f64_e64 s[36:37], |v[0:1]|, |v[2:3]|
	s_and_saveexec_b64 s[38:39], s[36:37]
	s_xor_b64 s[36:37], exec, s[38:39]
                                        ; implicit-def: $vgpr14_vgpr15
	s_cbranch_execz .LBB254_13
; %bb.12:                               ;   in Loop: Header=BB254_5 Depth=1
	v_div_scale_f64 v[12:13], s[38:39], v[2:3], v[2:3], v[0:1]
	v_rcp_f64_e32 v[14:15], v[12:13]
	v_div_scale_f64 v[18:19], vcc, v[0:1], v[2:3], v[0:1]
	v_fma_f64 v[20:21], -v[12:13], v[14:15], 1.0
	v_fmac_f64_e32 v[14:15], v[14:15], v[20:21]
	v_fma_f64 v[20:21], -v[12:13], v[14:15], 1.0
	v_fmac_f64_e32 v[14:15], v[14:15], v[20:21]
	v_mul_f64 v[20:21], v[18:19], v[14:15]
	v_fma_f64 v[12:13], -v[12:13], v[20:21], v[18:19]
	v_div_fmas_f64 v[12:13], v[12:13], v[14:15], v[20:21]
	v_div_fixup_f64 v[12:13], v[12:13], v[2:3], v[0:1]
	v_fmac_f64_e32 v[2:3], v[0:1], v[12:13]
	v_div_scale_f64 v[0:1], s[38:39], v[2:3], v[2:3], 1.0
	v_rcp_f64_e32 v[14:15], v[0:1]
	s_nop 0
	v_fma_f64 v[18:19], -v[0:1], v[14:15], 1.0
	v_fmac_f64_e32 v[14:15], v[14:15], v[18:19]
	v_fma_f64 v[18:19], -v[0:1], v[14:15], 1.0
	v_fmac_f64_e32 v[14:15], v[14:15], v[18:19]
	v_div_scale_f64 v[18:19], vcc, 1.0, v[2:3], 1.0
	v_mul_f64 v[20:21], v[18:19], v[14:15]
	v_fma_f64 v[0:1], -v[0:1], v[20:21], v[18:19]
	s_nop 1
	v_div_fmas_f64 v[0:1], v[0:1], v[14:15], v[20:21]
	v_div_fixup_f64 v[14:15], v[0:1], v[2:3], 1.0
	v_mul_f64 v[12:13], v[12:13], v[14:15]
	v_xor_b32_e32 v15, 0x80000000, v15
                                        ; implicit-def: $vgpr0_vgpr1
.LBB254_13:                             ;   in Loop: Header=BB254_5 Depth=1
	s_andn2_saveexec_b64 s[36:37], s[36:37]
	s_cbranch_execz .LBB254_3
; %bb.14:                               ;   in Loop: Header=BB254_5 Depth=1
	v_div_scale_f64 v[12:13], s[38:39], v[0:1], v[0:1], v[2:3]
	v_rcp_f64_e32 v[14:15], v[12:13]
	v_div_scale_f64 v[18:19], vcc, v[2:3], v[0:1], v[2:3]
	v_fma_f64 v[20:21], -v[12:13], v[14:15], 1.0
	v_fmac_f64_e32 v[14:15], v[14:15], v[20:21]
	v_fma_f64 v[20:21], -v[12:13], v[14:15], 1.0
	v_fmac_f64_e32 v[14:15], v[14:15], v[20:21]
	v_mul_f64 v[20:21], v[18:19], v[14:15]
	v_fma_f64 v[12:13], -v[12:13], v[20:21], v[18:19]
	v_div_fmas_f64 v[12:13], v[12:13], v[14:15], v[20:21]
	v_div_fixup_f64 v[14:15], v[12:13], v[0:1], v[2:3]
	v_fmac_f64_e32 v[0:1], v[2:3], v[14:15]
	v_div_scale_f64 v[2:3], s[38:39], v[0:1], v[0:1], 1.0
	v_rcp_f64_e32 v[12:13], v[2:3]
	s_nop 0
	v_fma_f64 v[18:19], -v[2:3], v[12:13], 1.0
	v_fmac_f64_e32 v[12:13], v[12:13], v[18:19]
	v_fma_f64 v[18:19], -v[2:3], v[12:13], 1.0
	v_fmac_f64_e32 v[12:13], v[12:13], v[18:19]
	v_div_scale_f64 v[18:19], vcc, 1.0, v[0:1], 1.0
	v_mul_f64 v[20:21], v[18:19], v[12:13]
	v_fma_f64 v[2:3], -v[2:3], v[20:21], v[18:19]
	s_nop 1
	v_div_fmas_f64 v[2:3], v[2:3], v[12:13], v[20:21]
	v_div_fixup_f64 v[12:13], v[2:3], v[0:1], 1.0
	v_mul_f64 v[14:15], v[14:15], -v[12:13]
	s_branch .LBB254_3
.LBB254_15:
	s_mov_b64 s[4:5], src_shared_base
	s_load_dword s4, s[26:27], 0xc
	s_mov_b32 s29, s5
	s_mov_b32 s21, 0
	s_mov_b64 s[6:7], s[28:29]
	s_waitcnt lgkmcnt(0)
	s_and_b32 s20, s4, 0xffff
.LBB254_16:
	s_mul_i32 s3, s3, s2
	v_add_u32_e32 v0, s3, v16
	v_mov_b32_e32 v1, 0
	v_cmp_gt_i64_e32 vcc, s[10:11], v[0:1]
	s_and_saveexec_b64 s[2:3], vcc
	s_cbranch_execz .LBB254_41
; %bb.17:
	v_mov_b32_e32 v9, v1
	v_cmp_gt_i64_e32 vcc, s[8:9], v[8:9]
	s_and_b64 exec, exec, vcc
	s_cbranch_execz .LBB254_41
; %bb.18:
	v_mad_u64_u32 v[2:3], s[4:5], s24, v8, 0
	s_lshl_b64 s[2:3], s[18:19], 4
	v_mov_b32_e32 v4, v3
	s_waitcnt lgkmcnt(0)
	s_add_u32 s2, s16, s2
	v_mad_u64_u32 v[4:5], s[4:5], s25, v8, v[4:5]
	s_addc_u32 s3, s17, s3
	v_mov_b32_e32 v3, v4
	v_lshl_add_u64 v[2:3], v[2:3], 4, s[2:3]
	v_lshl_add_u64 v[10:11], v[0:1], 4, v[2:3]
	flat_load_dwordx4 v[4:7], v[10:11]
	v_cmp_lt_u64_e64 s[2:3], s[8:9], 2
	s_and_b64 vcc, exec, s[2:3]
	s_waitcnt vmcnt(0) lgkmcnt(0)
	v_mul_f64 v[0:1], s[14:15], v[6:7]
	v_mul_f64 v[2:3], s[12:13], v[6:7]
	v_fma_f64 v[0:1], s[12:13], v[4:5], -v[0:1]
	v_fmac_f64_e32 v[2:3], s[14:15], v[4:5]
	s_cbranch_vccnz .LBB254_32
; %bb.19:
	s_load_dword s2, s[0:1], 0x0
	v_mad_u64_u32 v[4:5], s[0:1], v8, s20, v[8:9]
	v_mov_b32_e32 v6, v5
	v_lshl_add_u32 v16, v16, 4, 0
	s_waitcnt lgkmcnt(0)
	s_cmpk_eq_i32 s2, 0x71
	s_cselect_b64 s[0:1], -1, 0
	s_add_u32 s4, s8, -1
	v_mad_u64_u32 v[6:7], s[2:3], v8, s21, v[6:7]
	s_addc_u32 s5, s9, -1
	s_mul_i32 s2, s20, s5
	s_mul_hi_u32 s3, s20, s4
	s_add_i32 s2, s3, s2
	s_mul_i32 s3, s21, s4
	s_add_i32 s3, s2, s3
	s_mul_i32 s2, s20, s4
	s_lshl_b64 s[2:3], s[2:3], 4
	v_mov_b32_e32 v5, v6
	s_add_u32 s2, s6, s2
	v_lshl_add_u64 v[12:13], v[4:5], 4, s[6:7]
	v_lshlrev_b32_e32 v4, 4, v8
	v_mov_b32_e32 v5, 0
	s_addc_u32 s3, s7, s3
	v_lshl_add_u64 v[14:15], s[2:3], 0, v[4:5]
	s_lshl_b64 s[2:3], s[20:21], 4
	s_sub_u32 s8, 0, s2
	v_cndmask_b32_e64 v4, 0, 1, s[22:23]
	s_subb_u32 s9, 0, s3
	v_cmp_ne_u32_e64 s[2:3], 1, v4
.LBB254_20:                             ; =>This Inner Loop Header: Depth=1
	v_cmp_eq_u64_e32 vcc, s[4:5], v[8:9]
	s_barrier
	s_and_saveexec_b64 s[10:11], vcc
	s_cbranch_execz .LBB254_28
; %bb.21:                               ;   in Loop: Header=BB254_20 Depth=1
	flat_load_dwordx4 v[4:7], v[12:13]
	s_and_b64 vcc, exec, s[2:3]
	s_cbranch_vccnz .LBB254_27
; %bb.22:                               ;   in Loop: Header=BB254_20 Depth=1
	s_waitcnt vmcnt(0) lgkmcnt(0)
	v_cmp_ngt_f64_e64 s[12:13], |v[4:5]|, |v[6:7]|
	s_and_saveexec_b64 s[14:15], s[12:13]
	s_xor_b64 s[12:13], exec, s[14:15]
	s_cbranch_execz .LBB254_24
; %bb.23:                               ;   in Loop: Header=BB254_20 Depth=1
	v_div_scale_f64 v[18:19], s[14:15], v[6:7], v[6:7], v[4:5]
	v_rcp_f64_e32 v[20:21], v[18:19]
	v_div_scale_f64 v[22:23], vcc, v[4:5], v[6:7], v[4:5]
	v_fma_f64 v[24:25], -v[18:19], v[20:21], 1.0
	v_fmac_f64_e32 v[20:21], v[20:21], v[24:25]
	v_fma_f64 v[24:25], -v[18:19], v[20:21], 1.0
	v_fmac_f64_e32 v[20:21], v[20:21], v[24:25]
	v_mul_f64 v[24:25], v[22:23], v[20:21]
	v_fma_f64 v[18:19], -v[18:19], v[24:25], v[22:23]
	v_div_fmas_f64 v[18:19], v[18:19], v[20:21], v[24:25]
	v_div_fixup_f64 v[18:19], v[18:19], v[6:7], v[4:5]
	v_fmac_f64_e32 v[6:7], v[4:5], v[18:19]
	v_div_scale_f64 v[4:5], s[14:15], v[6:7], v[6:7], 1.0
	v_rcp_f64_e32 v[20:21], v[4:5]
	s_nop 0
	v_fma_f64 v[22:23], -v[4:5], v[20:21], 1.0
	v_fmac_f64_e32 v[20:21], v[20:21], v[22:23]
	v_fma_f64 v[22:23], -v[4:5], v[20:21], 1.0
	v_fmac_f64_e32 v[20:21], v[20:21], v[22:23]
	v_div_scale_f64 v[22:23], vcc, 1.0, v[6:7], 1.0
	v_mul_f64 v[24:25], v[22:23], v[20:21]
	v_fma_f64 v[4:5], -v[4:5], v[24:25], v[22:23]
	s_nop 1
	v_div_fmas_f64 v[4:5], v[4:5], v[20:21], v[24:25]
	v_div_fixup_f64 v[6:7], v[4:5], v[6:7], 1.0
	v_mul_f64 v[4:5], v[18:19], v[6:7]
	v_xor_b32_e32 v7, 0x80000000, v7
.LBB254_24:                             ;   in Loop: Header=BB254_20 Depth=1
	s_andn2_saveexec_b64 s[12:13], s[12:13]
	s_cbranch_execz .LBB254_26
; %bb.25:                               ;   in Loop: Header=BB254_20 Depth=1
	v_div_scale_f64 v[18:19], s[14:15], v[4:5], v[4:5], v[6:7]
	v_rcp_f64_e32 v[20:21], v[18:19]
	v_div_scale_f64 v[22:23], vcc, v[6:7], v[4:5], v[6:7]
	v_fma_f64 v[24:25], -v[18:19], v[20:21], 1.0
	v_fmac_f64_e32 v[20:21], v[20:21], v[24:25]
	v_fma_f64 v[24:25], -v[18:19], v[20:21], 1.0
	v_fmac_f64_e32 v[20:21], v[20:21], v[24:25]
	v_mul_f64 v[24:25], v[22:23], v[20:21]
	v_fma_f64 v[18:19], -v[18:19], v[24:25], v[22:23]
	v_div_fmas_f64 v[18:19], v[18:19], v[20:21], v[24:25]
	v_div_fixup_f64 v[18:19], v[18:19], v[4:5], v[6:7]
	v_fmac_f64_e32 v[4:5], v[6:7], v[18:19]
	v_div_scale_f64 v[6:7], s[14:15], v[4:5], v[4:5], 1.0
	v_rcp_f64_e32 v[20:21], v[6:7]
	s_nop 0
	v_fma_f64 v[22:23], -v[6:7], v[20:21], 1.0
	v_fmac_f64_e32 v[20:21], v[20:21], v[22:23]
	v_fma_f64 v[22:23], -v[6:7], v[20:21], 1.0
	v_fmac_f64_e32 v[20:21], v[20:21], v[22:23]
	v_div_scale_f64 v[22:23], vcc, 1.0, v[4:5], 1.0
	v_mul_f64 v[24:25], v[22:23], v[20:21]
	v_fma_f64 v[6:7], -v[6:7], v[24:25], v[22:23]
	s_nop 1
	v_div_fmas_f64 v[6:7], v[6:7], v[20:21], v[24:25]
	v_div_fixup_f64 v[4:5], v[6:7], v[4:5], 1.0
	v_mul_f64 v[6:7], v[18:19], -v[4:5]
.LBB254_26:                             ;   in Loop: Header=BB254_20 Depth=1
	s_or_b64 exec, exec, s[12:13]
.LBB254_27:                             ;   in Loop: Header=BB254_20 Depth=1
	s_waitcnt vmcnt(0) lgkmcnt(0)
	v_mul_f64 v[18:19], v[2:3], v[6:7]
	v_fma_f64 v[18:19], v[0:1], v[4:5], -v[18:19]
	v_mul_f64 v[0:1], v[0:1], v[6:7]
	v_fmac_f64_e32 v[0:1], v[2:3], v[4:5]
	ds_write2_b64 v16, v[18:19], v[0:1] offset1:1
	v_mov_b64_e32 v[2:3], v[0:1]
	v_mov_b64_e32 v[0:1], v[18:19]
.LBB254_28:                             ;   in Loop: Header=BB254_20 Depth=1
	s_or_b64 exec, exec, s[10:11]
	v_cmp_gt_i64_e32 vcc, s[4:5], v[8:9]
	s_waitcnt lgkmcnt(0)
	s_barrier
	s_and_saveexec_b64 s[10:11], vcc
	s_cbranch_execz .LBB254_30
; %bb.29:                               ;   in Loop: Header=BB254_20 Depth=1
	flat_load_dwordx4 v[4:7], v[14:15]
	ds_read2_b64 v[18:21], v16 offset1:1
	s_waitcnt vmcnt(0) lgkmcnt(0)
	v_xor_b32_e32 v17, 0x80000000, v7
	v_cndmask_b32_e64 v7, v7, v17, s[0:1]
	v_mul_f64 v[22:23], v[4:5], v[20:21]
	v_mul_f64 v[20:21], v[6:7], v[20:21]
	v_fmac_f64_e32 v[22:23], v[6:7], v[18:19]
	v_fma_f64 v[4:5], v[4:5], v[18:19], -v[20:21]
	v_add_f64 v[0:1], v[0:1], -v[4:5]
	v_add_f64 v[2:3], v[2:3], -v[22:23]
.LBB254_30:                             ;   in Loop: Header=BB254_20 Depth=1
	s_or_b64 exec, exec, s[10:11]
	s_add_u32 s10, s4, -1
	s_addc_u32 s11, s5, -1
	s_add_u32 s4, s4, 1
	s_addc_u32 s5, s5, 0
	v_cmp_lt_u64_e64 s[4:5], s[4:5], 3
	v_lshl_add_u64 v[14:15], v[14:15], 0, s[8:9]
	s_and_b64 vcc, exec, s[4:5]
	s_cbranch_vccnz .LBB254_32
; %bb.31:                               ;   in Loop: Header=BB254_20 Depth=1
	s_mov_b64 s[4:5], s[10:11]
	s_branch .LBB254_20
.LBB254_32:
	v_cmp_eq_u32_e32 vcc, 0, v8
	s_and_saveexec_b64 s[0:1], vcc
	s_cbranch_execz .LBB254_40
; %bb.33:
	v_mad_u64_u32 v[4:5], s[2:3], v8, s20, v[8:9]
	v_mov_b32_e32 v6, v5
	v_mad_u64_u32 v[6:7], s[2:3], v8, s21, v[6:7]
	v_mov_b32_e32 v5, v6
	v_lshl_add_u64 v[4:5], v[4:5], 4, s[6:7]
	flat_load_dwordx4 v[4:7], v[4:5]
	s_andn2_b64 vcc, exec, s[22:23]
	s_cbranch_vccnz .LBB254_39
; %bb.34:
	s_waitcnt vmcnt(0) lgkmcnt(0)
	v_cmp_ngt_f64_e64 s[2:3], |v[4:5]|, |v[6:7]|
	s_and_saveexec_b64 s[4:5], s[2:3]
	s_xor_b64 s[2:3], exec, s[4:5]
	s_cbranch_execz .LBB254_36
; %bb.35:
	v_div_scale_f64 v[8:9], s[4:5], v[6:7], v[6:7], v[4:5]
	v_rcp_f64_e32 v[12:13], v[8:9]
	v_div_scale_f64 v[14:15], vcc, v[4:5], v[6:7], v[4:5]
	v_fma_f64 v[16:17], -v[8:9], v[12:13], 1.0
	v_fmac_f64_e32 v[12:13], v[12:13], v[16:17]
	v_fma_f64 v[16:17], -v[8:9], v[12:13], 1.0
	v_fmac_f64_e32 v[12:13], v[12:13], v[16:17]
	v_mul_f64 v[16:17], v[14:15], v[12:13]
	v_fma_f64 v[8:9], -v[8:9], v[16:17], v[14:15]
	v_div_fmas_f64 v[8:9], v[8:9], v[12:13], v[16:17]
	v_div_fixup_f64 v[8:9], v[8:9], v[6:7], v[4:5]
	v_fmac_f64_e32 v[6:7], v[4:5], v[8:9]
	v_div_scale_f64 v[4:5], s[4:5], v[6:7], v[6:7], 1.0
	v_rcp_f64_e32 v[12:13], v[4:5]
	s_nop 0
	v_fma_f64 v[14:15], -v[4:5], v[12:13], 1.0
	v_fmac_f64_e32 v[12:13], v[12:13], v[14:15]
	v_fma_f64 v[14:15], -v[4:5], v[12:13], 1.0
	v_fmac_f64_e32 v[12:13], v[12:13], v[14:15]
	v_div_scale_f64 v[14:15], vcc, 1.0, v[6:7], 1.0
	v_mul_f64 v[16:17], v[14:15], v[12:13]
	v_fma_f64 v[4:5], -v[4:5], v[16:17], v[14:15]
	s_nop 1
	v_div_fmas_f64 v[4:5], v[4:5], v[12:13], v[16:17]
	v_div_fixup_f64 v[6:7], v[4:5], v[6:7], 1.0
	v_mul_f64 v[4:5], v[8:9], v[6:7]
	v_xor_b32_e32 v7, 0x80000000, v7
.LBB254_36:
	s_andn2_saveexec_b64 s[2:3], s[2:3]
	s_cbranch_execz .LBB254_38
; %bb.37:
	v_div_scale_f64 v[8:9], s[4:5], v[4:5], v[4:5], v[6:7]
	v_rcp_f64_e32 v[12:13], v[8:9]
	v_div_scale_f64 v[14:15], vcc, v[6:7], v[4:5], v[6:7]
	v_fma_f64 v[16:17], -v[8:9], v[12:13], 1.0
	v_fmac_f64_e32 v[12:13], v[12:13], v[16:17]
	v_fma_f64 v[16:17], -v[8:9], v[12:13], 1.0
	v_fmac_f64_e32 v[12:13], v[12:13], v[16:17]
	v_mul_f64 v[16:17], v[14:15], v[12:13]
	v_fma_f64 v[8:9], -v[8:9], v[16:17], v[14:15]
	v_div_fmas_f64 v[8:9], v[8:9], v[12:13], v[16:17]
	v_div_fixup_f64 v[8:9], v[8:9], v[4:5], v[6:7]
	v_fmac_f64_e32 v[4:5], v[6:7], v[8:9]
	v_div_scale_f64 v[6:7], s[4:5], v[4:5], v[4:5], 1.0
	v_rcp_f64_e32 v[12:13], v[6:7]
	s_nop 0
	v_fma_f64 v[14:15], -v[6:7], v[12:13], 1.0
	v_fmac_f64_e32 v[12:13], v[12:13], v[14:15]
	v_fma_f64 v[14:15], -v[6:7], v[12:13], 1.0
	v_fmac_f64_e32 v[12:13], v[12:13], v[14:15]
	v_div_scale_f64 v[14:15], vcc, 1.0, v[4:5], 1.0
	v_mul_f64 v[16:17], v[14:15], v[12:13]
	v_fma_f64 v[6:7], -v[6:7], v[16:17], v[14:15]
	s_nop 1
	v_div_fmas_f64 v[6:7], v[6:7], v[12:13], v[16:17]
	v_div_fixup_f64 v[4:5], v[6:7], v[4:5], 1.0
	v_mul_f64 v[6:7], v[8:9], -v[4:5]
.LBB254_38:
	s_or_b64 exec, exec, s[2:3]
.LBB254_39:
	s_waitcnt vmcnt(0) lgkmcnt(0)
	v_mul_f64 v[8:9], v[2:3], v[6:7]
	v_fma_f64 v[8:9], v[0:1], v[4:5], -v[8:9]
	v_mul_f64 v[2:3], v[2:3], v[4:5]
	v_fmac_f64_e32 v[2:3], v[0:1], v[6:7]
	v_mov_b64_e32 v[0:1], v[8:9]
.LBB254_40:
	s_or_b64 exec, exec, s[0:1]
	flat_store_dwordx4 v[10:11], v[0:3]
.LBB254_41:
	s_endpgm
	.section	.rodata,"a",@progbits
	.p2align	6, 0x0
	.amdhsa_kernel _ZL40rocblas_trsm_block_backward_substitutionI19rocblas_complex_numIdES1_PKPKS1_PKPS1_Lb1ELb0ELb0EEv18rocblas_operation_llT0_T1_lllT2_lllib
		.amdhsa_group_segment_fixed_size 0
		.amdhsa_private_segment_fixed_size 0
		.amdhsa_kernarg_size 368
		.amdhsa_user_sgpr_count 2
		.amdhsa_user_sgpr_dispatch_ptr 0
		.amdhsa_user_sgpr_queue_ptr 0
		.amdhsa_user_sgpr_kernarg_segment_ptr 1
		.amdhsa_user_sgpr_dispatch_id 0
		.amdhsa_user_sgpr_kernarg_preload_length 0
		.amdhsa_user_sgpr_kernarg_preload_offset 0
		.amdhsa_user_sgpr_private_segment_size 0
		.amdhsa_uses_dynamic_stack 0
		.amdhsa_enable_private_segment 0
		.amdhsa_system_sgpr_workgroup_id_x 1
		.amdhsa_system_sgpr_workgroup_id_y 1
		.amdhsa_system_sgpr_workgroup_id_z 1
		.amdhsa_system_sgpr_workgroup_info 0
		.amdhsa_system_vgpr_workitem_id 1
		.amdhsa_next_free_vgpr 26
		.amdhsa_next_free_sgpr 42
		.amdhsa_accum_offset 28
		.amdhsa_reserve_vcc 1
		.amdhsa_float_round_mode_32 0
		.amdhsa_float_round_mode_16_64 0
		.amdhsa_float_denorm_mode_32 3
		.amdhsa_float_denorm_mode_16_64 3
		.amdhsa_dx10_clamp 1
		.amdhsa_ieee_mode 1
		.amdhsa_fp16_overflow 0
		.amdhsa_tg_split 0
		.amdhsa_exception_fp_ieee_invalid_op 0
		.amdhsa_exception_fp_denorm_src 0
		.amdhsa_exception_fp_ieee_div_zero 0
		.amdhsa_exception_fp_ieee_overflow 0
		.amdhsa_exception_fp_ieee_underflow 0
		.amdhsa_exception_fp_ieee_inexact 0
		.amdhsa_exception_int_div_zero 0
	.end_amdhsa_kernel
	.section	.text._ZL40rocblas_trsm_block_backward_substitutionI19rocblas_complex_numIdES1_PKPKS1_PKPS1_Lb1ELb0ELb0EEv18rocblas_operation_llT0_T1_lllT2_lllib,"axG",@progbits,_ZL40rocblas_trsm_block_backward_substitutionI19rocblas_complex_numIdES1_PKPKS1_PKPS1_Lb1ELb0ELb0EEv18rocblas_operation_llT0_T1_lllT2_lllib,comdat
.Lfunc_end254:
	.size	_ZL40rocblas_trsm_block_backward_substitutionI19rocblas_complex_numIdES1_PKPKS1_PKPS1_Lb1ELb0ELb0EEv18rocblas_operation_llT0_T1_lllT2_lllib, .Lfunc_end254-_ZL40rocblas_trsm_block_backward_substitutionI19rocblas_complex_numIdES1_PKPKS1_PKPS1_Lb1ELb0ELb0EEv18rocblas_operation_llT0_T1_lllT2_lllib
                                        ; -- End function
	.set _ZL40rocblas_trsm_block_backward_substitutionI19rocblas_complex_numIdES1_PKPKS1_PKPS1_Lb1ELb0ELb0EEv18rocblas_operation_llT0_T1_lllT2_lllib.num_vgpr, 26
	.set _ZL40rocblas_trsm_block_backward_substitutionI19rocblas_complex_numIdES1_PKPKS1_PKPS1_Lb1ELb0ELb0EEv18rocblas_operation_llT0_T1_lllT2_lllib.num_agpr, 0
	.set _ZL40rocblas_trsm_block_backward_substitutionI19rocblas_complex_numIdES1_PKPKS1_PKPS1_Lb1ELb0ELb0EEv18rocblas_operation_llT0_T1_lllT2_lllib.numbered_sgpr, 42
	.set _ZL40rocblas_trsm_block_backward_substitutionI19rocblas_complex_numIdES1_PKPKS1_PKPS1_Lb1ELb0ELb0EEv18rocblas_operation_llT0_T1_lllT2_lllib.num_named_barrier, 0
	.set _ZL40rocblas_trsm_block_backward_substitutionI19rocblas_complex_numIdES1_PKPKS1_PKPS1_Lb1ELb0ELb0EEv18rocblas_operation_llT0_T1_lllT2_lllib.private_seg_size, 0
	.set _ZL40rocblas_trsm_block_backward_substitutionI19rocblas_complex_numIdES1_PKPKS1_PKPS1_Lb1ELb0ELb0EEv18rocblas_operation_llT0_T1_lllT2_lllib.uses_vcc, 1
	.set _ZL40rocblas_trsm_block_backward_substitutionI19rocblas_complex_numIdES1_PKPKS1_PKPS1_Lb1ELb0ELb0EEv18rocblas_operation_llT0_T1_lllT2_lllib.uses_flat_scratch, 0
	.set _ZL40rocblas_trsm_block_backward_substitutionI19rocblas_complex_numIdES1_PKPKS1_PKPS1_Lb1ELb0ELb0EEv18rocblas_operation_llT0_T1_lllT2_lllib.has_dyn_sized_stack, 0
	.set _ZL40rocblas_trsm_block_backward_substitutionI19rocblas_complex_numIdES1_PKPKS1_PKPS1_Lb1ELb0ELb0EEv18rocblas_operation_llT0_T1_lllT2_lllib.has_recursion, 0
	.set _ZL40rocblas_trsm_block_backward_substitutionI19rocblas_complex_numIdES1_PKPKS1_PKPS1_Lb1ELb0ELb0EEv18rocblas_operation_llT0_T1_lllT2_lllib.has_indirect_call, 0
	.section	.AMDGPU.csdata,"",@progbits
; Kernel info:
; codeLenInByte = 2400
; TotalNumSgprs: 48
; NumVgprs: 26
; NumAgprs: 0
; TotalNumVgprs: 26
; ScratchSize: 0
; MemoryBound: 1
; FloatMode: 240
; IeeeMode: 1
; LDSByteSize: 0 bytes/workgroup (compile time only)
; SGPRBlocks: 5
; VGPRBlocks: 3
; NumSGPRsForWavesPerEU: 48
; NumVGPRsForWavesPerEU: 26
; AccumOffset: 28
; Occupancy: 8
; WaveLimiterHint : 1
; COMPUTE_PGM_RSRC2:SCRATCH_EN: 0
; COMPUTE_PGM_RSRC2:USER_SGPR: 2
; COMPUTE_PGM_RSRC2:TRAP_HANDLER: 0
; COMPUTE_PGM_RSRC2:TGID_X_EN: 1
; COMPUTE_PGM_RSRC2:TGID_Y_EN: 1
; COMPUTE_PGM_RSRC2:TGID_Z_EN: 1
; COMPUTE_PGM_RSRC2:TIDIG_COMP_CNT: 1
; COMPUTE_PGM_RSRC3_GFX90A:ACCUM_OFFSET: 6
; COMPUTE_PGM_RSRC3_GFX90A:TG_SPLIT: 0
	.section	.text._ZL39rocblas_trsm_block_forward_substitutionI19rocblas_complex_numIdES1_PKPKS1_PKPS1_Lb1ELb0ELb1EEv18rocblas_operation_llT0_T1_lllT2_lllib,"axG",@progbits,_ZL39rocblas_trsm_block_forward_substitutionI19rocblas_complex_numIdES1_PKPKS1_PKPS1_Lb1ELb0ELb1EEv18rocblas_operation_llT0_T1_lllT2_lllib,comdat
	.globl	_ZL39rocblas_trsm_block_forward_substitutionI19rocblas_complex_numIdES1_PKPKS1_PKPS1_Lb1ELb0ELb1EEv18rocblas_operation_llT0_T1_lllT2_lllib ; -- Begin function _ZL39rocblas_trsm_block_forward_substitutionI19rocblas_complex_numIdES1_PKPKS1_PKPS1_Lb1ELb0ELb1EEv18rocblas_operation_llT0_T1_lllT2_lllib
	.p2align	8
	.type	_ZL39rocblas_trsm_block_forward_substitutionI19rocblas_complex_numIdES1_PKPKS1_PKPS1_Lb1ELb0ELb1EEv18rocblas_operation_llT0_T1_lllT2_lllib,@function
_ZL39rocblas_trsm_block_forward_substitutionI19rocblas_complex_numIdES1_PKPKS1_PKPS1_Lb1ELb0ELb1EEv18rocblas_operation_llT0_T1_lllT2_lllib: ; @_ZL39rocblas_trsm_block_forward_substitutionI19rocblas_complex_numIdES1_PKPKS1_PKPS1_Lb1ELb0ELb1EEv18rocblas_operation_llT0_T1_lllT2_lllib
; %bb.0:
	s_load_dwordx4 s[20:23], s[0:1], 0x28
	s_load_dwordx2 s[28:29], s[0:1], 0x38
	s_mov_b32 s5, 0
	s_lshl_b64 s[16:17], s[4:5], 3
	v_and_b32_e32 v4, 0x3ff, v0
	s_waitcnt lgkmcnt(0)
	s_add_u32 s20, s20, s16
	s_addc_u32 s21, s21, s17
	s_load_dwordx2 s[24:25], s[20:21], 0x0
	s_load_dwordx2 s[18:19], s[0:1], 0x58
	s_load_dwordx4 s[4:7], s[0:1], 0x48
	s_load_dwordx8 s[8:15], s[0:1], 0x8
	s_lshl_b64 s[20:21], s[22:23], 4
	s_waitcnt lgkmcnt(0)
	s_add_u32 s20, s24, s20
	s_addc_u32 s21, s25, s21
	s_add_u32 s4, s4, s16
	s_addc_u32 s5, s5, s17
	s_load_dwordx2 s[22:23], s[4:5], 0x0
	s_load_dword s16, s[0:1], 0x6c
	s_load_dword s2, s[0:1], 0x7c
	s_add_u32 s24, s0, 0x70
	s_addc_u32 s25, s1, 0
	v_bfe_u32 v8, v0, 10, 10
	s_mov_b64 s[4:5], 1
	s_waitcnt lgkmcnt(0)
	s_lshr_b32 s2, s2, 16
	s_bitcmp0_b32 s16, 0
	s_cbranch_scc1 .LBB255_6
; %bb.1:
	s_lshl_b32 s4, s2, 4
	s_add_i32 s26, s4, 0
	v_cmp_lt_i64_e64 s[4:5], s[8:9], 1
	s_mov_b64 s[16:17], 1
	s_and_b64 vcc, exec, s[4:5]
	s_cbranch_vccnz .LBB255_7
; %bb.2:
	v_mad_u64_u32 v[0:1], s[30:31], s28, v4, 0
	v_mov_b32_e32 v2, v1
	v_mad_u64_u32 v[2:3], s[28:29], s29, v4, v[2:3]
	v_mov_b32_e32 v5, 0
	v_mov_b32_e32 v1, v2
	v_lshl_add_u32 v6, v4, 4, s26
	v_cmp_gt_u64_e64 s[4:5], s[8:9], v[4:5]
	v_lshl_add_u64 v[0:1], v[0:1], 4, s[20:21]
	s_mov_b32 s27, 0
	s_branch .LBB255_4
.LBB255_3:                              ;   in Loop: Header=BB255_4 Depth=1
	s_or_b64 exec, exec, s[20:21]
	s_add_i32 s27, s27, s2
	s_ashr_i32 s20, s27, 31
	v_mov_b32_e32 v2, s27
	v_mov_b32_e32 v3, s20
	v_cmp_le_i64_e32 vcc, s[8:9], v[2:3]
	s_cbranch_vccnz .LBB255_7
.LBB255_4:                              ; =>This Inner Loop Header: Depth=1
	v_add_u32_e32 v2, s27, v8
	v_cmp_gt_i32_e32 vcc, v4, v2
	s_and_b64 s[28:29], s[4:5], vcc
	s_and_saveexec_b64 s[20:21], s[28:29]
	s_cbranch_execz .LBB255_3
; %bb.5:                                ;   in Loop: Header=BB255_4 Depth=1
	v_ashrrev_i32_e32 v3, 31, v2
	v_lshl_add_u64 v[10:11], v[2:3], 4, v[0:1]
	flat_load_dwordx4 v[10:13], v[10:11]
	s_load_dword s28, s[24:25], 0xc
	s_waitcnt lgkmcnt(0)
	s_and_b32 s28, s28, 0xffff
	v_mul_lo_u32 v2, v2, s28
	v_lshl_add_u32 v2, v2, 4, v6
	s_waitcnt vmcnt(0)
	ds_write2_b64 v2, v[10:11], v[12:13] offset1:1
	s_branch .LBB255_3
.LBB255_6:
	s_mov_b64 s[16:17], s[28:29]
	s_branch .LBB255_8
.LBB255_7:
	s_mov_b64 s[4:5], src_shared_base
	s_load_dword s4, s[24:25], 0xc
	s_mov_b32 s27, s5
	s_mov_b64 s[20:21], s[26:27]
	s_waitcnt lgkmcnt(0)
	s_and_b32 s4, s4, 0xffff
.LBB255_8:
	s_mul_i32 s3, s3, s2
	v_add_u32_e32 v0, s3, v8
	v_mov_b32_e32 v1, 0
	v_cmp_gt_i64_e32 vcc, s[10:11], v[0:1]
	s_and_saveexec_b64 s[2:3], vcc
	s_cbranch_execz .LBB255_18
; %bb.9:
	v_mov_b32_e32 v5, v1
	v_cmp_gt_i64_e32 vcc, s[8:9], v[4:5]
	s_and_b64 exec, exec, vcc
	s_cbranch_execz .LBB255_18
; %bb.10:
	s_lshl_b64 s[2:3], s[6:7], 4
	v_mad_u64_u32 v[2:3], s[6:7], s18, v0, 0
	v_mov_b32_e32 v6, v3
	s_add_u32 s2, s22, s2
	v_mad_u64_u32 v[0:1], s[6:7], s19, v0, v[6:7]
	s_addc_u32 s3, s23, s3
	v_mov_b32_e32 v3, v0
	v_lshl_add_u64 v[0:1], v[2:3], 4, s[2:3]
	v_lshlrev_b32_e32 v2, 4, v4
	v_mov_b32_e32 v3, 0
	v_lshl_add_u64 v[6:7], v[0:1], 0, v[2:3]
	flat_load_dwordx4 v[10:13], v[6:7]
	v_cmp_lt_u64_e64 s[2:3], s[8:9], 2
	s_and_b64 vcc, exec, s[2:3]
	s_waitcnt vmcnt(0) lgkmcnt(0)
	v_mul_f64 v[0:1], s[14:15], v[12:13]
	v_mul_f64 v[2:3], s[12:13], v[12:13]
	v_fma_f64 v[0:1], s[12:13], v[10:11], -v[0:1]
	v_fmac_f64_e32 v[2:3], s[14:15], v[10:11]
	s_cbranch_vccnz .LBB255_17
; %bb.11:
	s_load_dword s2, s[0:1], 0x0
	v_lshl_add_u32 v10, v8, 4, 0
	v_mad_u64_u32 v[8:9], s[0:1], s16, v4, 0
	v_mov_b32_e32 v12, v9
	s_waitcnt lgkmcnt(0)
	s_cmpk_eq_i32 s2, 0x71
	v_mad_u64_u32 v[12:13], s[0:1], s17, v4, v[12:13]
	s_cselect_b64 vcc, -1, 0
	v_mov_b32_e32 v9, v12
	s_add_u32 s6, s8, -1
	s_mov_b32 s3, 0
	v_lshl_add_u64 v[8:9], v[8:9], 4, s[20:21]
	s_addc_u32 s7, s9, -1
	s_lshl_b32 s2, s4, 4
	s_mov_b64 s[4:5], 0
	s_branch .LBB255_13
.LBB255_12:                             ;   in Loop: Header=BB255_13 Depth=1
	s_or_b64 exec, exec, s[8:9]
	s_add_u32 s4, s4, 1
	s_addc_u32 s5, s5, 0
	s_cmp_eq_u64 s[6:7], s[4:5]
	v_lshl_add_u64 v[8:9], v[8:9], 0, s[2:3]
	s_cbranch_scc1 .LBB255_17
.LBB255_13:                             ; =>This Inner Loop Header: Depth=1
	v_cmp_eq_u64_e64 s[0:1], s[4:5], v[4:5]
	s_barrier
	s_and_saveexec_b64 s[8:9], s[0:1]
; %bb.14:                               ;   in Loop: Header=BB255_13 Depth=1
	ds_write2_b64 v10, v[0:1], v[2:3] offset1:1
; %bb.15:                               ;   in Loop: Header=BB255_13 Depth=1
	s_or_b64 exec, exec, s[8:9]
	v_cmp_lt_u64_e64 s[0:1], s[4:5], v[4:5]
	s_waitcnt lgkmcnt(0)
	s_barrier
	s_and_saveexec_b64 s[8:9], s[0:1]
	s_cbranch_execz .LBB255_12
; %bb.16:                               ;   in Loop: Header=BB255_13 Depth=1
	flat_load_dwordx4 v[12:15], v[8:9]
	ds_read2_b64 v[16:19], v10 offset1:1
	s_waitcnt vmcnt(0) lgkmcnt(0)
	v_xor_b32_e32 v11, 0x80000000, v15
	v_cndmask_b32_e32 v15, v15, v11, vcc
	v_mul_f64 v[20:21], v[12:13], v[18:19]
	v_mul_f64 v[18:19], v[14:15], v[18:19]
	v_fmac_f64_e32 v[20:21], v[14:15], v[16:17]
	v_fma_f64 v[12:13], v[12:13], v[16:17], -v[18:19]
	v_add_f64 v[0:1], v[0:1], -v[12:13]
	v_add_f64 v[2:3], v[2:3], -v[20:21]
	s_branch .LBB255_12
.LBB255_17:
	flat_store_dwordx4 v[6:7], v[0:3]
.LBB255_18:
	s_endpgm
	.section	.rodata,"a",@progbits
	.p2align	6, 0x0
	.amdhsa_kernel _ZL39rocblas_trsm_block_forward_substitutionI19rocblas_complex_numIdES1_PKPKS1_PKPS1_Lb1ELb0ELb1EEv18rocblas_operation_llT0_T1_lllT2_lllib
		.amdhsa_group_segment_fixed_size 0
		.amdhsa_private_segment_fixed_size 0
		.amdhsa_kernarg_size 368
		.amdhsa_user_sgpr_count 2
		.amdhsa_user_sgpr_dispatch_ptr 0
		.amdhsa_user_sgpr_queue_ptr 0
		.amdhsa_user_sgpr_kernarg_segment_ptr 1
		.amdhsa_user_sgpr_dispatch_id 0
		.amdhsa_user_sgpr_kernarg_preload_length 0
		.amdhsa_user_sgpr_kernarg_preload_offset 0
		.amdhsa_user_sgpr_private_segment_size 0
		.amdhsa_uses_dynamic_stack 0
		.amdhsa_enable_private_segment 0
		.amdhsa_system_sgpr_workgroup_id_x 1
		.amdhsa_system_sgpr_workgroup_id_y 1
		.amdhsa_system_sgpr_workgroup_id_z 1
		.amdhsa_system_sgpr_workgroup_info 0
		.amdhsa_system_vgpr_workitem_id 1
		.amdhsa_next_free_vgpr 22
		.amdhsa_next_free_sgpr 32
		.amdhsa_accum_offset 24
		.amdhsa_reserve_vcc 1
		.amdhsa_float_round_mode_32 0
		.amdhsa_float_round_mode_16_64 0
		.amdhsa_float_denorm_mode_32 3
		.amdhsa_float_denorm_mode_16_64 3
		.amdhsa_dx10_clamp 1
		.amdhsa_ieee_mode 1
		.amdhsa_fp16_overflow 0
		.amdhsa_tg_split 0
		.amdhsa_exception_fp_ieee_invalid_op 0
		.amdhsa_exception_fp_denorm_src 0
		.amdhsa_exception_fp_ieee_div_zero 0
		.amdhsa_exception_fp_ieee_overflow 0
		.amdhsa_exception_fp_ieee_underflow 0
		.amdhsa_exception_fp_ieee_inexact 0
		.amdhsa_exception_int_div_zero 0
	.end_amdhsa_kernel
	.section	.text._ZL39rocblas_trsm_block_forward_substitutionI19rocblas_complex_numIdES1_PKPKS1_PKPS1_Lb1ELb0ELb1EEv18rocblas_operation_llT0_T1_lllT2_lllib,"axG",@progbits,_ZL39rocblas_trsm_block_forward_substitutionI19rocblas_complex_numIdES1_PKPKS1_PKPS1_Lb1ELb0ELb1EEv18rocblas_operation_llT0_T1_lllT2_lllib,comdat
.Lfunc_end255:
	.size	_ZL39rocblas_trsm_block_forward_substitutionI19rocblas_complex_numIdES1_PKPKS1_PKPS1_Lb1ELb0ELb1EEv18rocblas_operation_llT0_T1_lllT2_lllib, .Lfunc_end255-_ZL39rocblas_trsm_block_forward_substitutionI19rocblas_complex_numIdES1_PKPKS1_PKPS1_Lb1ELb0ELb1EEv18rocblas_operation_llT0_T1_lllT2_lllib
                                        ; -- End function
	.set _ZL39rocblas_trsm_block_forward_substitutionI19rocblas_complex_numIdES1_PKPKS1_PKPS1_Lb1ELb0ELb1EEv18rocblas_operation_llT0_T1_lllT2_lllib.num_vgpr, 22
	.set _ZL39rocblas_trsm_block_forward_substitutionI19rocblas_complex_numIdES1_PKPKS1_PKPS1_Lb1ELb0ELb1EEv18rocblas_operation_llT0_T1_lllT2_lllib.num_agpr, 0
	.set _ZL39rocblas_trsm_block_forward_substitutionI19rocblas_complex_numIdES1_PKPKS1_PKPS1_Lb1ELb0ELb1EEv18rocblas_operation_llT0_T1_lllT2_lllib.numbered_sgpr, 32
	.set _ZL39rocblas_trsm_block_forward_substitutionI19rocblas_complex_numIdES1_PKPKS1_PKPS1_Lb1ELb0ELb1EEv18rocblas_operation_llT0_T1_lllT2_lllib.num_named_barrier, 0
	.set _ZL39rocblas_trsm_block_forward_substitutionI19rocblas_complex_numIdES1_PKPKS1_PKPS1_Lb1ELb0ELb1EEv18rocblas_operation_llT0_T1_lllT2_lllib.private_seg_size, 0
	.set _ZL39rocblas_trsm_block_forward_substitutionI19rocblas_complex_numIdES1_PKPKS1_PKPS1_Lb1ELb0ELb1EEv18rocblas_operation_llT0_T1_lllT2_lllib.uses_vcc, 1
	.set _ZL39rocblas_trsm_block_forward_substitutionI19rocblas_complex_numIdES1_PKPKS1_PKPS1_Lb1ELb0ELb1EEv18rocblas_operation_llT0_T1_lllT2_lllib.uses_flat_scratch, 0
	.set _ZL39rocblas_trsm_block_forward_substitutionI19rocblas_complex_numIdES1_PKPKS1_PKPS1_Lb1ELb0ELb1EEv18rocblas_operation_llT0_T1_lllT2_lllib.has_dyn_sized_stack, 0
	.set _ZL39rocblas_trsm_block_forward_substitutionI19rocblas_complex_numIdES1_PKPKS1_PKPS1_Lb1ELb0ELb1EEv18rocblas_operation_llT0_T1_lllT2_lllib.has_recursion, 0
	.set _ZL39rocblas_trsm_block_forward_substitutionI19rocblas_complex_numIdES1_PKPKS1_PKPS1_Lb1ELb0ELb1EEv18rocblas_operation_llT0_T1_lllT2_lllib.has_indirect_call, 0
	.section	.AMDGPU.csdata,"",@progbits
; Kernel info:
; codeLenInByte = 824
; TotalNumSgprs: 38
; NumVgprs: 22
; NumAgprs: 0
; TotalNumVgprs: 22
; ScratchSize: 0
; MemoryBound: 0
; FloatMode: 240
; IeeeMode: 1
; LDSByteSize: 0 bytes/workgroup (compile time only)
; SGPRBlocks: 4
; VGPRBlocks: 2
; NumSGPRsForWavesPerEU: 38
; NumVGPRsForWavesPerEU: 22
; AccumOffset: 24
; Occupancy: 8
; WaveLimiterHint : 1
; COMPUTE_PGM_RSRC2:SCRATCH_EN: 0
; COMPUTE_PGM_RSRC2:USER_SGPR: 2
; COMPUTE_PGM_RSRC2:TRAP_HANDLER: 0
; COMPUTE_PGM_RSRC2:TGID_X_EN: 1
; COMPUTE_PGM_RSRC2:TGID_Y_EN: 1
; COMPUTE_PGM_RSRC2:TGID_Z_EN: 1
; COMPUTE_PGM_RSRC2:TIDIG_COMP_CNT: 1
; COMPUTE_PGM_RSRC3_GFX90A:ACCUM_OFFSET: 5
; COMPUTE_PGM_RSRC3_GFX90A:TG_SPLIT: 0
	.section	.text._ZL40rocblas_trsm_block_backward_substitutionI19rocblas_complex_numIdES1_PKPKS1_PKPS1_Lb1ELb0ELb1EEv18rocblas_operation_llT0_T1_lllT2_lllib,"axG",@progbits,_ZL40rocblas_trsm_block_backward_substitutionI19rocblas_complex_numIdES1_PKPKS1_PKPS1_Lb1ELb0ELb1EEv18rocblas_operation_llT0_T1_lllT2_lllib,comdat
	.globl	_ZL40rocblas_trsm_block_backward_substitutionI19rocblas_complex_numIdES1_PKPKS1_PKPS1_Lb1ELb0ELb1EEv18rocblas_operation_llT0_T1_lllT2_lllib ; -- Begin function _ZL40rocblas_trsm_block_backward_substitutionI19rocblas_complex_numIdES1_PKPKS1_PKPS1_Lb1ELb0ELb1EEv18rocblas_operation_llT0_T1_lllT2_lllib
	.p2align	8
	.type	_ZL40rocblas_trsm_block_backward_substitutionI19rocblas_complex_numIdES1_PKPKS1_PKPS1_Lb1ELb0ELb1EEv18rocblas_operation_llT0_T1_lllT2_lllib,@function
_ZL40rocblas_trsm_block_backward_substitutionI19rocblas_complex_numIdES1_PKPKS1_PKPS1_Lb1ELb0ELb1EEv18rocblas_operation_llT0_T1_lllT2_lllib: ; @_ZL40rocblas_trsm_block_backward_substitutionI19rocblas_complex_numIdES1_PKPKS1_PKPS1_Lb1ELb0ELb1EEv18rocblas_operation_llT0_T1_lllT2_lllib
; %bb.0:
	s_load_dwordx4 s[24:27], s[0:1], 0x28
	s_load_dwordx2 s[20:21], s[0:1], 0x38
	s_mov_b32 s5, 0
	s_lshl_b64 s[4:5], s[4:5], 3
	v_and_b32_e32 v4, 0x3ff, v0
	s_waitcnt lgkmcnt(0)
	s_add_u32 s6, s24, s4
	s_addc_u32 s7, s25, s5
	s_load_dwordx2 s[24:25], s[6:7], 0x0
	s_load_dwordx2 s[22:23], s[0:1], 0x58
	s_load_dwordx4 s[16:19], s[0:1], 0x48
	s_load_dwordx8 s[8:15], s[0:1], 0x8
	s_lshl_b64 s[6:7], s[26:27], 4
	s_waitcnt lgkmcnt(0)
	s_add_u32 s6, s24, s6
	s_addc_u32 s7, s25, s7
	s_add_u32 s4, s16, s4
	s_addc_u32 s5, s17, s5
	s_load_dword s26, s[0:1], 0x6c
	s_load_dword s2, s[0:1], 0x7c
	s_load_dwordx2 s[16:17], s[4:5], 0x0
	s_add_u32 s24, s0, 0x70
	s_addc_u32 s25, s1, 0
	v_bfe_u32 v8, v0, 10, 10
	s_waitcnt lgkmcnt(0)
	s_lshr_b32 s2, s2, 16
	s_bitcmp0_b32 s26, 0
	s_cbranch_scc1 .LBB256_7
; %bb.1:
	s_lshl_b32 s4, s2, 4
	s_add_i32 s26, s4, 0
	v_cmp_lt_i64_e64 s[4:5], s[8:9], 1
	s_and_b64 vcc, exec, s[4:5]
	s_cbranch_vccnz .LBB256_6
; %bb.2:
	v_mov_b32_e32 v5, 0
	v_lshlrev_b32_e32 v0, 4, v4
	v_mov_b32_e32 v1, v5
	v_add_u32_e32 v6, s26, v0
	v_cmp_gt_u64_e64 s[4:5], s[8:9], v[4:5]
	v_lshl_add_u64 v[0:1], s[6:7], 0, v[0:1]
	s_mov_b32 s27, 0
	s_branch .LBB256_4
.LBB256_3:                              ;   in Loop: Header=BB256_4 Depth=1
	s_or_b64 exec, exec, s[6:7]
	s_add_i32 s27, s27, s2
	s_ashr_i32 s6, s27, 31
	v_mov_b32_e32 v2, s27
	v_mov_b32_e32 v3, s6
	v_cmp_le_i64_e32 vcc, s[8:9], v[2:3]
	s_cbranch_vccnz .LBB256_6
.LBB256_4:                              ; =>This Inner Loop Header: Depth=1
	v_add_u32_e32 v2, s27, v8
	v_ashrrev_i32_e32 v3, 31, v2
	v_cmp_gt_i64_e32 vcc, s[8:9], v[2:3]
	v_cmp_lt_i32_e64 s[6:7], v4, v2
	s_and_b64 s[6:7], s[6:7], vcc
	s_and_b64 s[28:29], s[4:5], s[6:7]
	s_and_saveexec_b64 s[6:7], s[28:29]
	s_cbranch_execz .LBB256_3
; %bb.5:                                ;   in Loop: Header=BB256_4 Depth=1
	v_mul_lo_u32 v5, s21, v2
	v_mul_lo_u32 v3, s20, v3
	v_mad_u64_u32 v[10:11], s[28:29], s20, v2, 0
	v_add3_u32 v11, v11, v3, v5
	v_lshl_add_u64 v[10:11], v[10:11], 4, v[0:1]
	flat_load_dwordx4 v[10:13], v[10:11]
	s_load_dword s28, s[24:25], 0xc
	s_waitcnt lgkmcnt(0)
	s_and_b32 s28, s28, 0xffff
	v_mul_lo_u32 v2, v2, s28
	v_lshl_add_u32 v2, v2, 4, v6
	s_waitcnt vmcnt(0)
	ds_write2_b64 v2, v[10:11], v[12:13] offset1:1
	s_branch .LBB256_3
.LBB256_6:
	s_mov_b64 s[4:5], src_shared_base
	s_load_dword s4, s[24:25], 0xc
	s_mov_b32 s27, s5
	s_mov_b32 s21, 0
	s_mov_b64 s[6:7], s[26:27]
	s_waitcnt lgkmcnt(0)
	s_and_b32 s20, s4, 0xffff
.LBB256_7:
	s_mul_i32 s3, s3, s2
	v_add_u32_e32 v0, s3, v8
	v_mov_b32_e32 v1, 0
	v_cmp_gt_i64_e32 vcc, s[10:11], v[0:1]
	s_and_saveexec_b64 s[2:3], vcc
	s_cbranch_execz .LBB256_18
; %bb.8:
	v_mov_b32_e32 v5, v1
	v_cmp_gt_i64_e32 vcc, s[8:9], v[4:5]
	s_and_b64 exec, exec, vcc
	s_cbranch_execz .LBB256_18
; %bb.9:
	v_mad_u64_u32 v[2:3], s[4:5], s22, v4, 0
	s_lshl_b64 s[2:3], s[18:19], 4
	v_mov_b32_e32 v6, v3
	s_add_u32 s2, s16, s2
	v_mad_u64_u32 v[6:7], s[4:5], s23, v4, v[6:7]
	s_addc_u32 s3, s17, s3
	v_mov_b32_e32 v3, v6
	v_lshl_add_u64 v[2:3], v[2:3], 4, s[2:3]
	v_lshl_add_u64 v[6:7], v[0:1], 4, v[2:3]
	flat_load_dwordx4 v[10:13], v[6:7]
	v_cmp_lt_u64_e64 s[2:3], s[8:9], 2
	s_and_b64 vcc, exec, s[2:3]
	s_waitcnt vmcnt(0) lgkmcnt(0)
	v_mul_f64 v[0:1], s[14:15], v[12:13]
	v_mul_f64 v[2:3], s[12:13], v[12:13]
	v_fma_f64 v[0:1], s[12:13], v[10:11], -v[0:1]
	v_fmac_f64_e32 v[2:3], s[14:15], v[10:11]
	s_cbranch_vccnz .LBB256_17
; %bb.10:
	s_load_dword s0, s[0:1], 0x0
	v_lshl_add_u32 v10, v8, 4, 0
	v_lshlrev_b32_e32 v8, 4, v4
	v_mov_b32_e32 v9, 0
	s_waitcnt lgkmcnt(0)
	s_cmpk_eq_i32 s0, 0x71
	s_cselect_b64 s[0:1], -1, 0
	s_add_u32 s2, s8, -1
	s_addc_u32 s3, s9, -1
	s_mul_hi_u32 s4, s20, s2
	s_mul_i32 s8, s20, s3
	s_mul_i32 s5, s21, s2
	s_add_i32 s4, s4, s8
	s_add_i32 s5, s4, s5
	s_mul_i32 s4, s20, s2
	s_lshl_b64 s[4:5], s[4:5], 4
	s_add_u32 s4, s6, s4
	s_addc_u32 s5, s7, s5
	v_lshl_add_u64 v[8:9], s[4:5], 0, v[8:9]
	s_lshl_b64 s[4:5], s[20:21], 4
	s_sub_u32 s4, 0, s4
	s_subb_u32 s5, 0, s5
.LBB256_11:                             ; =>This Inner Loop Header: Depth=1
	v_cmp_eq_u64_e32 vcc, s[2:3], v[4:5]
	s_barrier
	s_and_saveexec_b64 s[6:7], vcc
; %bb.12:                               ;   in Loop: Header=BB256_11 Depth=1
	ds_write2_b64 v10, v[0:1], v[2:3] offset1:1
; %bb.13:                               ;   in Loop: Header=BB256_11 Depth=1
	s_or_b64 exec, exec, s[6:7]
	v_cmp_gt_i64_e32 vcc, s[2:3], v[4:5]
	s_waitcnt lgkmcnt(0)
	s_barrier
	s_and_saveexec_b64 s[6:7], vcc
	s_cbranch_execz .LBB256_15
; %bb.14:                               ;   in Loop: Header=BB256_11 Depth=1
	flat_load_dwordx4 v[12:15], v[8:9]
	ds_read2_b64 v[16:19], v10 offset1:1
	s_waitcnt vmcnt(0) lgkmcnt(0)
	v_xor_b32_e32 v11, 0x80000000, v15
	v_cndmask_b32_e64 v15, v15, v11, s[0:1]
	v_mul_f64 v[20:21], v[12:13], v[18:19]
	v_mul_f64 v[18:19], v[14:15], v[18:19]
	v_fmac_f64_e32 v[20:21], v[14:15], v[16:17]
	v_fma_f64 v[12:13], v[12:13], v[16:17], -v[18:19]
	v_add_f64 v[0:1], v[0:1], -v[12:13]
	v_add_f64 v[2:3], v[2:3], -v[20:21]
.LBB256_15:                             ;   in Loop: Header=BB256_11 Depth=1
	s_or_b64 exec, exec, s[6:7]
	s_add_u32 s6, s2, -1
	s_addc_u32 s7, s3, -1
	s_add_u32 s2, s2, 1
	s_addc_u32 s3, s3, 0
	v_cmp_lt_u64_e64 s[2:3], s[2:3], 3
	v_lshl_add_u64 v[8:9], v[8:9], 0, s[4:5]
	s_and_b64 vcc, exec, s[2:3]
	s_cbranch_vccnz .LBB256_17
; %bb.16:                               ;   in Loop: Header=BB256_11 Depth=1
	s_mov_b64 s[2:3], s[6:7]
	s_branch .LBB256_11
.LBB256_17:
	flat_store_dwordx4 v[6:7], v[0:3]
.LBB256_18:
	s_endpgm
	.section	.rodata,"a",@progbits
	.p2align	6, 0x0
	.amdhsa_kernel _ZL40rocblas_trsm_block_backward_substitutionI19rocblas_complex_numIdES1_PKPKS1_PKPS1_Lb1ELb0ELb1EEv18rocblas_operation_llT0_T1_lllT2_lllib
		.amdhsa_group_segment_fixed_size 0
		.amdhsa_private_segment_fixed_size 0
		.amdhsa_kernarg_size 368
		.amdhsa_user_sgpr_count 2
		.amdhsa_user_sgpr_dispatch_ptr 0
		.amdhsa_user_sgpr_queue_ptr 0
		.amdhsa_user_sgpr_kernarg_segment_ptr 1
		.amdhsa_user_sgpr_dispatch_id 0
		.amdhsa_user_sgpr_kernarg_preload_length 0
		.amdhsa_user_sgpr_kernarg_preload_offset 0
		.amdhsa_user_sgpr_private_segment_size 0
		.amdhsa_uses_dynamic_stack 0
		.amdhsa_enable_private_segment 0
		.amdhsa_system_sgpr_workgroup_id_x 1
		.amdhsa_system_sgpr_workgroup_id_y 1
		.amdhsa_system_sgpr_workgroup_id_z 1
		.amdhsa_system_sgpr_workgroup_info 0
		.amdhsa_system_vgpr_workitem_id 1
		.amdhsa_next_free_vgpr 22
		.amdhsa_next_free_sgpr 30
		.amdhsa_accum_offset 24
		.amdhsa_reserve_vcc 1
		.amdhsa_float_round_mode_32 0
		.amdhsa_float_round_mode_16_64 0
		.amdhsa_float_denorm_mode_32 3
		.amdhsa_float_denorm_mode_16_64 3
		.amdhsa_dx10_clamp 1
		.amdhsa_ieee_mode 1
		.amdhsa_fp16_overflow 0
		.amdhsa_tg_split 0
		.amdhsa_exception_fp_ieee_invalid_op 0
		.amdhsa_exception_fp_denorm_src 0
		.amdhsa_exception_fp_ieee_div_zero 0
		.amdhsa_exception_fp_ieee_overflow 0
		.amdhsa_exception_fp_ieee_underflow 0
		.amdhsa_exception_fp_ieee_inexact 0
		.amdhsa_exception_int_div_zero 0
	.end_amdhsa_kernel
	.section	.text._ZL40rocblas_trsm_block_backward_substitutionI19rocblas_complex_numIdES1_PKPKS1_PKPS1_Lb1ELb0ELb1EEv18rocblas_operation_llT0_T1_lllT2_lllib,"axG",@progbits,_ZL40rocblas_trsm_block_backward_substitutionI19rocblas_complex_numIdES1_PKPKS1_PKPS1_Lb1ELb0ELb1EEv18rocblas_operation_llT0_T1_lllT2_lllib,comdat
.Lfunc_end256:
	.size	_ZL40rocblas_trsm_block_backward_substitutionI19rocblas_complex_numIdES1_PKPKS1_PKPS1_Lb1ELb0ELb1EEv18rocblas_operation_llT0_T1_lllT2_lllib, .Lfunc_end256-_ZL40rocblas_trsm_block_backward_substitutionI19rocblas_complex_numIdES1_PKPKS1_PKPS1_Lb1ELb0ELb1EEv18rocblas_operation_llT0_T1_lllT2_lllib
                                        ; -- End function
	.set _ZL40rocblas_trsm_block_backward_substitutionI19rocblas_complex_numIdES1_PKPKS1_PKPS1_Lb1ELb0ELb1EEv18rocblas_operation_llT0_T1_lllT2_lllib.num_vgpr, 22
	.set _ZL40rocblas_trsm_block_backward_substitutionI19rocblas_complex_numIdES1_PKPKS1_PKPS1_Lb1ELb0ELb1EEv18rocblas_operation_llT0_T1_lllT2_lllib.num_agpr, 0
	.set _ZL40rocblas_trsm_block_backward_substitutionI19rocblas_complex_numIdES1_PKPKS1_PKPS1_Lb1ELb0ELb1EEv18rocblas_operation_llT0_T1_lllT2_lllib.numbered_sgpr, 30
	.set _ZL40rocblas_trsm_block_backward_substitutionI19rocblas_complex_numIdES1_PKPKS1_PKPS1_Lb1ELb0ELb1EEv18rocblas_operation_llT0_T1_lllT2_lllib.num_named_barrier, 0
	.set _ZL40rocblas_trsm_block_backward_substitutionI19rocblas_complex_numIdES1_PKPKS1_PKPS1_Lb1ELb0ELb1EEv18rocblas_operation_llT0_T1_lllT2_lllib.private_seg_size, 0
	.set _ZL40rocblas_trsm_block_backward_substitutionI19rocblas_complex_numIdES1_PKPKS1_PKPS1_Lb1ELb0ELb1EEv18rocblas_operation_llT0_T1_lllT2_lllib.uses_vcc, 1
	.set _ZL40rocblas_trsm_block_backward_substitutionI19rocblas_complex_numIdES1_PKPKS1_PKPS1_Lb1ELb0ELb1EEv18rocblas_operation_llT0_T1_lllT2_lllib.uses_flat_scratch, 0
	.set _ZL40rocblas_trsm_block_backward_substitutionI19rocblas_complex_numIdES1_PKPKS1_PKPS1_Lb1ELb0ELb1EEv18rocblas_operation_llT0_T1_lllT2_lllib.has_dyn_sized_stack, 0
	.set _ZL40rocblas_trsm_block_backward_substitutionI19rocblas_complex_numIdES1_PKPKS1_PKPS1_Lb1ELb0ELb1EEv18rocblas_operation_llT0_T1_lllT2_lllib.has_recursion, 0
	.set _ZL40rocblas_trsm_block_backward_substitutionI19rocblas_complex_numIdES1_PKPKS1_PKPS1_Lb1ELb0ELb1EEv18rocblas_operation_llT0_T1_lllT2_lllib.has_indirect_call, 0
	.section	.AMDGPU.csdata,"",@progbits
; Kernel info:
; codeLenInByte = 860
; TotalNumSgprs: 36
; NumVgprs: 22
; NumAgprs: 0
; TotalNumVgprs: 22
; ScratchSize: 0
; MemoryBound: 0
; FloatMode: 240
; IeeeMode: 1
; LDSByteSize: 0 bytes/workgroup (compile time only)
; SGPRBlocks: 4
; VGPRBlocks: 2
; NumSGPRsForWavesPerEU: 36
; NumVGPRsForWavesPerEU: 22
; AccumOffset: 24
; Occupancy: 8
; WaveLimiterHint : 1
; COMPUTE_PGM_RSRC2:SCRATCH_EN: 0
; COMPUTE_PGM_RSRC2:USER_SGPR: 2
; COMPUTE_PGM_RSRC2:TRAP_HANDLER: 0
; COMPUTE_PGM_RSRC2:TGID_X_EN: 1
; COMPUTE_PGM_RSRC2:TGID_Y_EN: 1
; COMPUTE_PGM_RSRC2:TGID_Z_EN: 1
; COMPUTE_PGM_RSRC2:TIDIG_COMP_CNT: 1
; COMPUTE_PGM_RSRC3_GFX90A:ACCUM_OFFSET: 5
; COMPUTE_PGM_RSRC3_GFX90A:TG_SPLIT: 0
	.section	.text._ZL26setup_batched_array_kernelILi128E19rocblas_complex_numIdEEvPT0_lPS3_,"axG",@progbits,_ZL26setup_batched_array_kernelILi128E19rocblas_complex_numIdEEvPT0_lPS3_,comdat
	.globl	_ZL26setup_batched_array_kernelILi128E19rocblas_complex_numIdEEvPT0_lPS3_ ; -- Begin function _ZL26setup_batched_array_kernelILi128E19rocblas_complex_numIdEEvPT0_lPS3_
	.p2align	8
	.type	_ZL26setup_batched_array_kernelILi128E19rocblas_complex_numIdEEvPT0_lPS3_,@function
_ZL26setup_batched_array_kernelILi128E19rocblas_complex_numIdEEvPT0_lPS3_: ; @_ZL26setup_batched_array_kernelILi128E19rocblas_complex_numIdEEvPT0_lPS3_
; %bb.0:
	s_load_dwordx4 s[4:7], s[0:1], 0x0
	s_mov_b32 s3, 0
	s_load_dwordx2 s[0:1], s[0:1], 0x10
	v_mov_b32_e32 v0, 0
	s_waitcnt lgkmcnt(0)
	s_mul_i32 s7, s7, s2
	s_mul_hi_u32 s8, s6, s2
	s_add_i32 s7, s8, s7
	s_mul_i32 s6, s6, s2
	s_lshl_b64 s[6:7], s[6:7], 4
	s_add_u32 s4, s4, s6
	s_addc_u32 s5, s5, s7
	s_lshl_b64 s[2:3], s[2:3], 3
	s_add_u32 s0, s0, s2
	s_addc_u32 s1, s1, s3
	v_mov_b64_e32 v[2:3], s[4:5]
	global_store_dwordx2 v0, v[2:3], s[0:1]
	s_endpgm
	.section	.rodata,"a",@progbits
	.p2align	6, 0x0
	.amdhsa_kernel _ZL26setup_batched_array_kernelILi128E19rocblas_complex_numIdEEvPT0_lPS3_
		.amdhsa_group_segment_fixed_size 0
		.amdhsa_private_segment_fixed_size 0
		.amdhsa_kernarg_size 24
		.amdhsa_user_sgpr_count 2
		.amdhsa_user_sgpr_dispatch_ptr 0
		.amdhsa_user_sgpr_queue_ptr 0
		.amdhsa_user_sgpr_kernarg_segment_ptr 1
		.amdhsa_user_sgpr_dispatch_id 0
		.amdhsa_user_sgpr_kernarg_preload_length 0
		.amdhsa_user_sgpr_kernarg_preload_offset 0
		.amdhsa_user_sgpr_private_segment_size 0
		.amdhsa_uses_dynamic_stack 0
		.amdhsa_enable_private_segment 0
		.amdhsa_system_sgpr_workgroup_id_x 1
		.amdhsa_system_sgpr_workgroup_id_y 0
		.amdhsa_system_sgpr_workgroup_id_z 0
		.amdhsa_system_sgpr_workgroup_info 0
		.amdhsa_system_vgpr_workitem_id 0
		.amdhsa_next_free_vgpr 4
		.amdhsa_next_free_sgpr 9
		.amdhsa_accum_offset 4
		.amdhsa_reserve_vcc 0
		.amdhsa_float_round_mode_32 0
		.amdhsa_float_round_mode_16_64 0
		.amdhsa_float_denorm_mode_32 3
		.amdhsa_float_denorm_mode_16_64 3
		.amdhsa_dx10_clamp 1
		.amdhsa_ieee_mode 1
		.amdhsa_fp16_overflow 0
		.amdhsa_tg_split 0
		.amdhsa_exception_fp_ieee_invalid_op 0
		.amdhsa_exception_fp_denorm_src 0
		.amdhsa_exception_fp_ieee_div_zero 0
		.amdhsa_exception_fp_ieee_overflow 0
		.amdhsa_exception_fp_ieee_underflow 0
		.amdhsa_exception_fp_ieee_inexact 0
		.amdhsa_exception_int_div_zero 0
	.end_amdhsa_kernel
	.section	.text._ZL26setup_batched_array_kernelILi128E19rocblas_complex_numIdEEvPT0_lPS3_,"axG",@progbits,_ZL26setup_batched_array_kernelILi128E19rocblas_complex_numIdEEvPT0_lPS3_,comdat
.Lfunc_end257:
	.size	_ZL26setup_batched_array_kernelILi128E19rocblas_complex_numIdEEvPT0_lPS3_, .Lfunc_end257-_ZL26setup_batched_array_kernelILi128E19rocblas_complex_numIdEEvPT0_lPS3_
                                        ; -- End function
	.set _ZL26setup_batched_array_kernelILi128E19rocblas_complex_numIdEEvPT0_lPS3_.num_vgpr, 4
	.set _ZL26setup_batched_array_kernelILi128E19rocblas_complex_numIdEEvPT0_lPS3_.num_agpr, 0
	.set _ZL26setup_batched_array_kernelILi128E19rocblas_complex_numIdEEvPT0_lPS3_.numbered_sgpr, 9
	.set _ZL26setup_batched_array_kernelILi128E19rocblas_complex_numIdEEvPT0_lPS3_.num_named_barrier, 0
	.set _ZL26setup_batched_array_kernelILi128E19rocblas_complex_numIdEEvPT0_lPS3_.private_seg_size, 0
	.set _ZL26setup_batched_array_kernelILi128E19rocblas_complex_numIdEEvPT0_lPS3_.uses_vcc, 0
	.set _ZL26setup_batched_array_kernelILi128E19rocblas_complex_numIdEEvPT0_lPS3_.uses_flat_scratch, 0
	.set _ZL26setup_batched_array_kernelILi128E19rocblas_complex_numIdEEvPT0_lPS3_.has_dyn_sized_stack, 0
	.set _ZL26setup_batched_array_kernelILi128E19rocblas_complex_numIdEEvPT0_lPS3_.has_recursion, 0
	.set _ZL26setup_batched_array_kernelILi128E19rocblas_complex_numIdEEvPT0_lPS3_.has_indirect_call, 0
	.section	.AMDGPU.csdata,"",@progbits
; Kernel info:
; codeLenInByte = 84
; TotalNumSgprs: 15
; NumVgprs: 4
; NumAgprs: 0
; TotalNumVgprs: 4
; ScratchSize: 0
; MemoryBound: 0
; FloatMode: 240
; IeeeMode: 1
; LDSByteSize: 0 bytes/workgroup (compile time only)
; SGPRBlocks: 1
; VGPRBlocks: 0
; NumSGPRsForWavesPerEU: 15
; NumVGPRsForWavesPerEU: 4
; AccumOffset: 4
; Occupancy: 8
; WaveLimiterHint : 0
; COMPUTE_PGM_RSRC2:SCRATCH_EN: 0
; COMPUTE_PGM_RSRC2:USER_SGPR: 2
; COMPUTE_PGM_RSRC2:TRAP_HANDLER: 0
; COMPUTE_PGM_RSRC2:TGID_X_EN: 1
; COMPUTE_PGM_RSRC2:TGID_Y_EN: 0
; COMPUTE_PGM_RSRC2:TGID_Z_EN: 0
; COMPUTE_PGM_RSRC2:TIDIG_COMP_CNT: 0
; COMPUTE_PGM_RSRC3_GFX90A:ACCUM_OFFSET: 0
; COMPUTE_PGM_RSRC3_GFX90A:TG_SPLIT: 0
	.section	.text._ZL25rocblas_trtri_trsm_kernelILi128ELi16ELi8E19rocblas_complex_numIdEPKPKS1_PKPS1_Ev13rocblas_fill_17rocblas_diagonal_T3_lilT4_lli,"axG",@progbits,_ZL25rocblas_trtri_trsm_kernelILi128ELi16ELi8E19rocblas_complex_numIdEPKPKS1_PKPS1_Ev13rocblas_fill_17rocblas_diagonal_T3_lilT4_lli,comdat
	.globl	_ZL25rocblas_trtri_trsm_kernelILi128ELi16ELi8E19rocblas_complex_numIdEPKPKS1_PKPS1_Ev13rocblas_fill_17rocblas_diagonal_T3_lilT4_lli ; -- Begin function _ZL25rocblas_trtri_trsm_kernelILi128ELi16ELi8E19rocblas_complex_numIdEPKPKS1_PKPS1_Ev13rocblas_fill_17rocblas_diagonal_T3_lilT4_lli
	.p2align	8
	.type	_ZL25rocblas_trtri_trsm_kernelILi128ELi16ELi8E19rocblas_complex_numIdEPKPKS1_PKPS1_Ev13rocblas_fill_17rocblas_diagonal_T3_lilT4_lli,@function
_ZL25rocblas_trtri_trsm_kernelILi128ELi16ELi8E19rocblas_complex_numIdEPKPKS1_PKPS1_Ev13rocblas_fill_17rocblas_diagonal_T3_lilT4_lli: ; @_ZL25rocblas_trtri_trsm_kernelILi128ELi16ELi8E19rocblas_complex_numIdEPKPKS1_PKPS1_Ev13rocblas_fill_17rocblas_diagonal_T3_lilT4_lli
; %bb.0:
	s_load_dwordx4 s[12:15], s[0:1], 0x8
	s_load_dwordx4 s[8:11], s[0:1], 0x28
	s_mov_b32 s4, s3
	s_mov_b32 s5, 0
	s_lshl_b64 s[4:5], s[4:5], 3
	s_waitcnt lgkmcnt(0)
	s_add_u32 s6, s12, s4
	s_addc_u32 s7, s13, s5
	s_add_u32 s4, s8, s4
	s_addc_u32 s5, s9, s5
	s_load_dwordx2 s[18:19], s[6:7], 0x0
	s_load_dwordx2 s[12:13], s[4:5], 0x0
	v_cmp_gt_u32_e64 s[6:7], 16, v0
	v_cmp_lt_u32_e64 s[4:5], 15, v0
	v_cmp_gt_u32_e64 s[8:9], 32, v0
	v_cmp_lt_u32_e32 vcc, 31, v0
	v_mov_b32_e32 v10, v0
	s_and_saveexec_b64 s[16:17], s[4:5]
	s_cbranch_execz .LBB258_6
; %bb.1:
                                        ; implicit-def: $vgpr10
	s_and_saveexec_b64 s[4:5], vcc
	s_xor_b64 s[4:5], exec, s[4:5]
; %bb.2:
	v_subrev_u32_e32 v10, 32, v0
; %bb.3:
	s_andn2_saveexec_b64 s[4:5], s[4:5]
; %bb.4:
	v_add_u32_e32 v10, -16, v0
; %bb.5:
	s_or_b64 exec, exec, s[4:5]
.LBB258_6:
	s_or_b64 exec, exec, s[16:17]
	s_load_dword s16, s[0:1], 0x18
	s_load_dwordx2 s[4:5], s[0:1], 0x0
	s_lshl_b32 s3, s2, 1
	v_mov_b32_e32 v1, 0x3000
	v_cndmask_b32_e64 v1, 0, v1, s[8:9]
	s_waitcnt lgkmcnt(0)
	s_ashr_i32 s17, s16, 31
	s_lshl_b64 s[0:1], s[16:17], 4
	s_add_u32 s24, s0, 16
	s_addc_u32 s25, s1, 0
	s_mul_hi_u32 s21, s24, s3
	s_mul_i32 s22, s25, s3
	s_mul_i32 s20, s24, s3
	s_add_i32 s21, s21, s22
	s_lshl_b64 s[20:21], s[20:21], 4
	s_add_u32 s18, s18, s20
	s_addc_u32 s19, s19, s21
	s_lshl_b64 s[14:15], s[14:15], 4
	s_add_u32 s14, s18, s14
	s_addc_u32 s15, s19, s15
	v_mov_b32_e32 v2, 0x2000
	s_and_saveexec_b64 s[18:19], vcc
	s_xor_b64 s[18:19], exec, s[18:19]
	s_cbranch_execz .LBB258_13
; %bb.7:
	v_cmp_gt_u32_e32 vcc, 48, v0
	s_and_saveexec_b64 s[20:21], vcc
	s_cbranch_execz .LBB258_12
; %bb.8:
	s_cmpk_eq_i32 s4, 0x7a
	v_mov_b32_e32 v11, 0
	s_mov_b64 s[22:23], -1
	s_cbranch_scc1 .LBB258_10
; %bb.9:
	s_lshl_b64 s[22:23], s[16:17], 8
	s_add_u32 s22, s14, s22
	s_addc_u32 s23, s15, s23
	v_lshl_add_u64 v[8:9], v[10:11], 4, s[22:23]
	v_mov_b32_e32 v3, 0xf0
	v_mad_i64_i32 v[12:13], s[22:23], s16, v3, v[8:9]
	flat_load_dwordx4 v[4:7], v[12:13]
	v_lshlrev_b32_e32 v3, 4, v10
	s_sub_u32 s22, 0, s0
	v_add_u32_e32 v14, 0xf00, v3
	s_subb_u32 s23, 0, s1
	v_lshl_add_u64 v[12:13], v[12:13], 0, s[22:23]
	s_waitcnt vmcnt(0) lgkmcnt(0)
	ds_write2_b64 v14, v[4:5], v[6:7] offset1:1
	flat_load_dwordx4 v[4:7], v[12:13]
	v_add_u32_e32 v14, 0xe00, v3
	v_lshl_add_u64 v[12:13], v[12:13], 0, s[22:23]
	s_waitcnt vmcnt(0) lgkmcnt(0)
	ds_write2_b64 v14, v[4:5], v[6:7] offset1:1
	flat_load_dwordx4 v[4:7], v[12:13]
	v_add_u32_e32 v14, 0xd00, v3
	;; [unrolled: 5-line block ×7, first 2 shown]
	v_lshl_add_u64 v[12:13], v[12:13], 0, s[22:23]
	s_waitcnt vmcnt(0) lgkmcnt(0)
	ds_write2_b64 v14, v[4:5], v[6:7] offset1:1
	flat_load_dwordx4 v[4:7], v[12:13]
	v_lshl_add_u64 v[12:13], v[12:13], 0, s[22:23]
	s_waitcnt vmcnt(0) lgkmcnt(0)
	ds_write2_b64 v3, v[4:5], v[6:7] offset0:224 offset1:225
	flat_load_dwordx4 v[4:7], v[12:13]
	v_lshl_add_u64 v[12:13], v[12:13], 0, s[22:23]
	s_waitcnt vmcnt(0) lgkmcnt(0)
	ds_write2_b64 v3, v[4:5], v[6:7] offset0:192 offset1:193
	;; [unrolled: 4-line block ×5, first 2 shown]
	flat_load_dwordx4 v[4:7], v[12:13]
	s_waitcnt vmcnt(0) lgkmcnt(0)
	ds_write2_b64 v3, v[4:5], v[6:7] offset0:64 offset1:65
	v_lshl_add_u64 v[4:5], v[12:13], 0, s[22:23]
	flat_load_dwordx4 v[4:7], v[4:5]
	s_mov_b64 s[22:23], 0
	s_waitcnt vmcnt(0) lgkmcnt(0)
	ds_write2_b64 v3, v[4:5], v[6:7] offset0:32 offset1:33
	flat_load_dwordx4 v[4:7], v[8:9]
	s_waitcnt vmcnt(0) lgkmcnt(0)
	ds_write2_b64 v3, v[4:5], v[6:7] offset1:1
.LBB258_10:
	s_andn2_b64 vcc, exec, s[22:23]
	s_cbranch_vccnz .LBB258_12
; %bb.11:
	v_lshl_add_u64 v[8:9], v[10:11], 4, s[14:15]
	flat_load_dwordx4 v[4:7], v[8:9] offset:256
	v_lshlrev_b32_e32 v3, 4, v10
	v_lshl_add_u64 v[8:9], s[16:17], 4, v[8:9]
	v_add_u32_e32 v11, 0x800, v3
	s_waitcnt vmcnt(0) lgkmcnt(0)
	ds_write2_b64 v3, v[4:5], v[6:7] offset1:1
	flat_load_dwordx4 v[4:7], v[8:9] offset:256
	v_lshl_add_u64 v[8:9], v[8:9], 0, s[0:1]
	s_waitcnt vmcnt(0) lgkmcnt(0)
	ds_write2_b64 v3, v[4:5], v[6:7] offset0:32 offset1:33
	flat_load_dwordx4 v[4:7], v[8:9] offset:256
	v_lshl_add_u64 v[8:9], v[8:9], 0, s[0:1]
	s_waitcnt vmcnt(0) lgkmcnt(0)
	ds_write2_b64 v3, v[4:5], v[6:7] offset0:64 offset1:65
	;; [unrolled: 4-line block ×7, first 2 shown]
	flat_load_dwordx4 v[4:7], v[8:9] offset:256
	v_lshl_add_u64 v[8:9], v[8:9], 0, s[0:1]
	s_waitcnt vmcnt(0) lgkmcnt(0)
	ds_write2_b64 v11, v[4:5], v[6:7] offset1:1
	flat_load_dwordx4 v[4:7], v[8:9] offset:256
	v_add_u32_e32 v11, 0x900, v3
	v_lshl_add_u64 v[8:9], v[8:9], 0, s[0:1]
	s_waitcnt vmcnt(0) lgkmcnt(0)
	ds_write2_b64 v11, v[4:5], v[6:7] offset1:1
	flat_load_dwordx4 v[4:7], v[8:9] offset:256
	v_add_u32_e32 v11, 0xa00, v3
	;; [unrolled: 5-line block ×6, first 2 shown]
	v_add_u32_e32 v3, 0xf00, v3
	s_waitcnt vmcnt(0) lgkmcnt(0)
	ds_write2_b64 v11, v[4:5], v[6:7] offset1:1
	v_lshl_add_u64 v[4:5], v[8:9], 0, s[0:1]
	flat_load_dwordx4 v[4:7], v[4:5] offset:256
	s_waitcnt vmcnt(0) lgkmcnt(0)
	ds_write2_b64 v3, v[4:5], v[6:7] offset1:1
.LBB258_12:
	s_or_b64 exec, exec, s[20:21]
.LBB258_13:
	s_or_saveexec_b64 s[0:1], s[18:19]
	v_cndmask_b32_e64 v12, v1, v2, s[6:7]
	s_xor_b64 exec, exec, s[0:1]
	s_cbranch_execz .LBB258_80
; %bb.14:
	v_mov_b32_e32 v1, s25
	v_cndmask_b32_e64 v3, v1, 0, s[6:7]
	v_mov_b32_e32 v1, s24
	v_cndmask_b32_e64 v2, v1, 0, s[6:7]
	s_mov_b64 s[18:19], -1
	s_cmpk_eq_i32 s4, 0x7a
	v_lshl_add_u64 v[2:3], v[2:3], 4, s[14:15]
	s_cbranch_scc1 .LBB258_48
; %bb.15:
	v_mov_b32_e32 v11, 0
	v_lshl_add_u64 v[4:5], v[10:11], 4, v[2:3]
	v_cmp_gt_u32_e32 vcc, 16, v10
	v_mov_b64_e32 v[6:7], 0
	v_mov_b64_e32 v[14:15], 0
	v_mov_b64_e32 v[16:17], 0
	s_and_saveexec_b64 s[14:15], vcc
	s_cbranch_execz .LBB258_17
; %bb.16:
	v_mov_b32_e32 v1, 0xf0
	v_mad_i64_i32 v[8:9], s[18:19], s16, v1, v[4:5]
	flat_load_dwordx4 v[14:17], v[8:9]
.LBB258_17:
	s_or_b64 exec, exec, s[14:15]
	v_sub_u32_e32 v1, 0xffffff10, v10
	v_lshl_add_u32 v1, v1, 4, v12
	v_cmp_gt_u32_e32 vcc, 15, v10
	v_mov_b64_e32 v[8:9], 0
	s_waitcnt vmcnt(0) lgkmcnt(0)
	ds_write_b128 v1, v[14:17] offset:4080
	s_and_saveexec_b64 s[14:15], vcc
	s_cbranch_execz .LBB258_19
; %bb.18:
	v_mov_b32_e32 v1, 0xe0
	v_mad_i64_i32 v[6:7], s[18:19], s16, v1, v[4:5]
	flat_load_dwordx4 v[6:9], v[6:7]
.LBB258_19:
	s_or_b64 exec, exec, s[14:15]
	v_sub_u32_e32 v1, 0xffffff20, v10
	v_lshl_add_u32 v1, v1, 4, v12
	s_waitcnt vmcnt(0) lgkmcnt(0)
	ds_write_b128 v1, v[6:9] offset:4080
	v_cmp_gt_u32_e32 vcc, 14, v10
	v_mov_b64_e32 v[6:7], 0
	v_mov_b64_e32 v[14:15], 0
	v_mov_b64_e32 v[16:17], 0
	s_and_saveexec_b64 s[14:15], vcc
	s_cbranch_execz .LBB258_21
; %bb.20:
	v_mov_b32_e32 v1, 0xd0
	v_mad_i64_i32 v[8:9], s[18:19], s16, v1, v[4:5]
	flat_load_dwordx4 v[14:17], v[8:9]
.LBB258_21:
	s_or_b64 exec, exec, s[14:15]
	v_sub_u32_e32 v1, 0xffffff30, v10
	v_lshl_add_u32 v1, v1, 4, v12
	v_cmp_gt_u32_e32 vcc, 13, v10
	v_mov_b64_e32 v[8:9], 0
	s_waitcnt vmcnt(0) lgkmcnt(0)
	ds_write_b128 v1, v[14:17] offset:4080
	s_and_saveexec_b64 s[14:15], vcc
	s_cbranch_execz .LBB258_23
; %bb.22:
	v_mov_b32_e32 v1, 0xc0
	v_mad_i64_i32 v[6:7], s[18:19], s16, v1, v[4:5]
	flat_load_dwordx4 v[6:9], v[6:7]
.LBB258_23:
	s_or_b64 exec, exec, s[14:15]
	v_sub_u32_e32 v1, 0xffffff40, v10
	v_lshl_add_u32 v1, v1, 4, v12
	s_waitcnt vmcnt(0) lgkmcnt(0)
	ds_write_b128 v1, v[6:9] offset:4080
	v_cmp_gt_u32_e32 vcc, 12, v10
	v_mov_b64_e32 v[6:7], 0
	v_mov_b64_e32 v[14:15], 0
	v_mov_b64_e32 v[16:17], 0
	s_and_saveexec_b64 s[14:15], vcc
	s_cbranch_execz .LBB258_25
; %bb.24:
	v_mov_b32_e32 v1, 0xb0
	v_mad_i64_i32 v[8:9], s[18:19], s16, v1, v[4:5]
	flat_load_dwordx4 v[14:17], v[8:9]
.LBB258_25:
	s_or_b64 exec, exec, s[14:15]
	v_sub_u32_e32 v1, 0xffffff50, v10
	v_lshl_add_u32 v1, v1, 4, v12
	v_cmp_gt_u32_e32 vcc, 11, v10
	v_mov_b64_e32 v[8:9], 0
	s_waitcnt vmcnt(0) lgkmcnt(0)
	ds_write_b128 v1, v[14:17] offset:4080
	s_and_saveexec_b64 s[14:15], vcc
	s_cbranch_execz .LBB258_27
; %bb.26:
	v_mov_b32_e32 v1, 0xa0
	v_mad_i64_i32 v[6:7], s[18:19], s16, v1, v[4:5]
	flat_load_dwordx4 v[6:9], v[6:7]
.LBB258_27:
	s_or_b64 exec, exec, s[14:15]
	v_sub_u32_e32 v1, 0xffffff60, v10
	v_lshl_add_u32 v1, v1, 4, v12
	s_waitcnt vmcnt(0) lgkmcnt(0)
	ds_write_b128 v1, v[6:9] offset:4080
	v_cmp_gt_u32_e32 vcc, 10, v10
	v_mov_b64_e32 v[6:7], 0
	v_mov_b64_e32 v[14:15], 0
	;; [unrolled: 1-line block ×3, first 2 shown]
	s_and_saveexec_b64 s[14:15], vcc
	s_cbranch_execz .LBB258_29
; %bb.28:
	v_mov_b32_e32 v1, 0x90
	v_mad_i64_i32 v[8:9], s[18:19], s16, v1, v[4:5]
	flat_load_dwordx4 v[14:17], v[8:9]
.LBB258_29:
	s_or_b64 exec, exec, s[14:15]
	v_sub_u32_e32 v1, 0xffffff70, v10
	v_lshl_add_u32 v1, v1, 4, v12
	v_cmp_gt_u32_e32 vcc, 9, v10
	v_mov_b64_e32 v[8:9], 0
	s_waitcnt vmcnt(0) lgkmcnt(0)
	ds_write_b128 v1, v[14:17] offset:4080
	s_and_saveexec_b64 s[14:15], vcc
	s_cbranch_execz .LBB258_31
; %bb.30:
	s_lshl_b64 s[18:19], s[16:17], 7
	v_lshl_add_u64 v[6:7], v[4:5], 0, s[18:19]
	flat_load_dwordx4 v[6:9], v[6:7]
.LBB258_31:
	s_or_b64 exec, exec, s[14:15]
	v_sub_u32_e32 v1, 0xffffff80, v10
	v_lshl_add_u32 v1, v1, 4, v12
	s_waitcnt vmcnt(0) lgkmcnt(0)
	ds_write_b128 v1, v[6:9] offset:4080
	v_cmp_gt_u32_e32 vcc, 8, v10
	v_mov_b64_e32 v[6:7], 0
	v_mov_b64_e32 v[14:15], 0
	;; [unrolled: 1-line block ×3, first 2 shown]
	s_and_saveexec_b64 s[14:15], vcc
	s_cbranch_execz .LBB258_33
; %bb.32:
	v_mov_b32_e32 v1, 0x70
	v_mad_i64_i32 v[8:9], s[18:19], s16, v1, v[4:5]
	flat_load_dwordx4 v[14:17], v[8:9]
.LBB258_33:
	s_or_b64 exec, exec, s[14:15]
	v_sub_u32_e32 v1, 0xffffff90, v10
	v_lshl_add_u32 v1, v1, 4, v12
	v_cmp_gt_u32_e32 vcc, 7, v10
	v_mov_b64_e32 v[8:9], 0
	s_waitcnt vmcnt(0) lgkmcnt(0)
	ds_write_b128 v1, v[14:17] offset:4080
	s_and_saveexec_b64 s[14:15], vcc
	s_cbranch_execz .LBB258_35
; %bb.34:
	v_mov_b32_e32 v1, 0x60
	v_mad_i64_i32 v[6:7], s[18:19], s16, v1, v[4:5]
	flat_load_dwordx4 v[6:9], v[6:7]
.LBB258_35:
	s_or_b64 exec, exec, s[14:15]
	v_sub_u32_e32 v1, 0xffffffa0, v10
	v_lshl_add_u32 v1, v1, 4, v12
	s_waitcnt vmcnt(0) lgkmcnt(0)
	ds_write_b128 v1, v[6:9] offset:4080
	v_cmp_gt_u32_e32 vcc, 6, v10
	v_mov_b64_e32 v[6:7], 0
	v_mov_b64_e32 v[14:15], 0
	;; [unrolled: 1-line block ×3, first 2 shown]
	s_and_saveexec_b64 s[14:15], vcc
	s_cbranch_execz .LBB258_37
; %bb.36:
	v_mov_b32_e32 v1, 0x50
	v_mad_i64_i32 v[8:9], s[18:19], s16, v1, v[4:5]
	flat_load_dwordx4 v[14:17], v[8:9]
.LBB258_37:
	s_or_b64 exec, exec, s[14:15]
	v_sub_u32_e32 v1, 0xffffffb0, v10
	v_lshl_add_u32 v1, v1, 4, v12
	v_cmp_gt_u32_e32 vcc, 5, v10
	v_mov_b64_e32 v[8:9], 0
	s_waitcnt vmcnt(0) lgkmcnt(0)
	ds_write_b128 v1, v[14:17] offset:4080
	s_and_saveexec_b64 s[14:15], vcc
	s_cbranch_execz .LBB258_39
; %bb.38:
	s_lshl_b64 s[18:19], s[16:17], 6
	v_lshl_add_u64 v[6:7], v[4:5], 0, s[18:19]
	flat_load_dwordx4 v[6:9], v[6:7]
.LBB258_39:
	s_or_b64 exec, exec, s[14:15]
	v_sub_u32_e32 v1, 0xffffffc0, v10
	v_lshl_add_u32 v1, v1, 4, v12
	s_waitcnt vmcnt(0) lgkmcnt(0)
	ds_write_b128 v1, v[6:9] offset:4080
	v_cmp_gt_u32_e32 vcc, 4, v10
	v_mov_b64_e32 v[6:7], 0
	v_mov_b64_e32 v[14:15], 0
	;; [unrolled: 1-line block ×3, first 2 shown]
	s_and_saveexec_b64 s[14:15], vcc
	s_cbranch_execz .LBB258_41
; %bb.40:
	v_mad_i64_i32 v[8:9], s[18:19], s16, 48, v[4:5]
	flat_load_dwordx4 v[14:17], v[8:9]
.LBB258_41:
	s_or_b64 exec, exec, s[14:15]
	v_sub_u32_e32 v1, 0xffffffd0, v10
	v_lshl_add_u32 v1, v1, 4, v12
	v_cmp_gt_u32_e32 vcc, 3, v10
	v_mov_b64_e32 v[8:9], 0
	s_waitcnt vmcnt(0) lgkmcnt(0)
	ds_write_b128 v1, v[14:17] offset:4080
	s_and_saveexec_b64 s[14:15], vcc
	s_cbranch_execz .LBB258_43
; %bb.42:
	s_lshl_b64 s[18:19], s[16:17], 5
	v_lshl_add_u64 v[6:7], v[4:5], 0, s[18:19]
	flat_load_dwordx4 v[6:9], v[6:7]
.LBB258_43:
	s_or_b64 exec, exec, s[14:15]
	v_sub_u32_e32 v1, 0xffffffe0, v10
	v_lshl_add_u32 v1, v1, 4, v12
	s_waitcnt vmcnt(0) lgkmcnt(0)
	ds_write_b128 v1, v[6:9] offset:4080
	v_cmp_gt_u32_e32 vcc, 2, v10
	v_mov_b64_e32 v[6:7], 0
	v_mov_b64_e32 v[14:15], 0
	;; [unrolled: 1-line block ×3, first 2 shown]
	s_and_saveexec_b64 s[14:15], vcc
	s_cbranch_execz .LBB258_45
; %bb.44:
	v_lshl_add_u64 v[8:9], s[16:17], 4, v[4:5]
	flat_load_dwordx4 v[14:17], v[8:9]
.LBB258_45:
	s_or_b64 exec, exec, s[14:15]
	v_sub_u32_e32 v1, -16, v10
	v_lshl_add_u32 v1, v1, 4, v12
	v_cmp_eq_u32_e32 vcc, 0, v10
	v_mov_b64_e32 v[8:9], 0
	s_waitcnt vmcnt(0) lgkmcnt(0)
	ds_write_b128 v1, v[14:17] offset:4080
	s_and_saveexec_b64 s[14:15], vcc
	s_cbranch_execz .LBB258_47
; %bb.46:
	flat_load_dwordx4 v[6:9], v[4:5]
.LBB258_47:
	s_or_b64 exec, exec, s[14:15]
	v_lshlrev_b32_e32 v1, 4, v10
	v_sub_u32_e32 v1, v12, v1
	s_mov_b64 s[18:19], 0
	s_waitcnt vmcnt(0) lgkmcnt(0)
	ds_write_b128 v1, v[6:9] offset:4080
.LBB258_48:
	s_and_b64 vcc, exec, s[18:19]
	s_cbranch_vccz .LBB258_80
; %bb.49:
	v_mov_b32_e32 v11, 0
	v_lshl_add_u64 v[2:3], v[10:11], 4, v[2:3]
	flat_load_dwordx4 v[14:17], v[2:3]
	v_lshl_add_u32 v1, v10, 4, v12
	v_cmp_ne_u32_e32 vcc, 0, v10
	v_mov_b64_e32 v[4:5], 0
	v_mov_b64_e32 v[6:7], 0
	;; [unrolled: 1-line block ×3, first 2 shown]
	s_waitcnt vmcnt(0) lgkmcnt(0)
	ds_write_b128 v1, v[14:17]
	s_and_saveexec_b64 s[14:15], vcc
	s_cbranch_execz .LBB258_51
; %bb.50:
	v_lshl_add_u64 v[6:7], s[16:17], 4, v[2:3]
	flat_load_dwordx4 v[6:9], v[6:7]
.LBB258_51:
	s_or_b64 exec, exec, s[14:15]
	s_waitcnt vmcnt(0) lgkmcnt(0)
	ds_write_b128 v1, v[6:9] offset:256
	v_cmp_lt_u32_e32 vcc, 1, v10
	v_mov_b64_e32 v[6:7], 0
	s_and_saveexec_b64 s[14:15], vcc
	s_cbranch_execz .LBB258_53
; %bb.52:
	s_lshl_b64 s[18:19], s[16:17], 5
	v_lshl_add_u64 v[4:5], v[2:3], 0, s[18:19]
	flat_load_dwordx4 v[4:7], v[4:5]
.LBB258_53:
	s_or_b64 exec, exec, s[14:15]
	s_waitcnt vmcnt(0) lgkmcnt(0)
	ds_write_b128 v1, v[4:7] offset:512
	v_cmp_lt_u32_e32 vcc, 2, v10
	v_mov_b64_e32 v[4:5], 0
	v_mov_b64_e32 v[6:7], 0
	;; [unrolled: 1-line block ×3, first 2 shown]
	s_and_saveexec_b64 s[14:15], vcc
	s_cbranch_execz .LBB258_55
; %bb.54:
	v_mad_i64_i32 v[6:7], s[18:19], s16, 48, v[2:3]
	flat_load_dwordx4 v[6:9], v[6:7]
.LBB258_55:
	s_or_b64 exec, exec, s[14:15]
	s_waitcnt vmcnt(0) lgkmcnt(0)
	ds_write_b128 v1, v[6:9] offset:768
	v_cmp_lt_u32_e32 vcc, 3, v10
	v_mov_b64_e32 v[6:7], 0
	s_and_saveexec_b64 s[14:15], vcc
	s_cbranch_execz .LBB258_57
; %bb.56:
	s_lshl_b64 s[18:19], s[16:17], 6
	v_lshl_add_u64 v[4:5], v[2:3], 0, s[18:19]
	flat_load_dwordx4 v[4:7], v[4:5]
.LBB258_57:
	s_or_b64 exec, exec, s[14:15]
	s_waitcnt vmcnt(0) lgkmcnt(0)
	ds_write_b128 v1, v[4:7] offset:1024
	v_cmp_lt_u32_e32 vcc, 4, v10
	v_mov_b64_e32 v[4:5], 0
	v_mov_b64_e32 v[6:7], 0
	;; [unrolled: 1-line block ×3, first 2 shown]
	s_and_saveexec_b64 s[14:15], vcc
	s_cbranch_execz .LBB258_59
; %bb.58:
	v_mov_b32_e32 v6, 0x50
	v_mad_i64_i32 v[6:7], s[18:19], s16, v6, v[2:3]
	flat_load_dwordx4 v[6:9], v[6:7]
.LBB258_59:
	s_or_b64 exec, exec, s[14:15]
	s_waitcnt vmcnt(0) lgkmcnt(0)
	ds_write_b128 v1, v[6:9] offset:1280
	v_cmp_lt_u32_e32 vcc, 5, v10
	v_mov_b64_e32 v[6:7], 0
	s_and_saveexec_b64 s[14:15], vcc
	s_cbranch_execz .LBB258_61
; %bb.60:
	v_mov_b32_e32 v4, 0x60
	v_mad_i64_i32 v[4:5], s[18:19], s16, v4, v[2:3]
	flat_load_dwordx4 v[4:7], v[4:5]
.LBB258_61:
	s_or_b64 exec, exec, s[14:15]
	s_waitcnt vmcnt(0) lgkmcnt(0)
	ds_write_b128 v1, v[4:7] offset:1536
	v_cmp_lt_u32_e32 vcc, 6, v10
	v_mov_b64_e32 v[4:5], 0
	v_mov_b64_e32 v[6:7], 0
	;; [unrolled: 1-line block ×3, first 2 shown]
	s_and_saveexec_b64 s[14:15], vcc
	s_cbranch_execz .LBB258_63
; %bb.62:
	v_mov_b32_e32 v6, 0x70
	v_mad_i64_i32 v[6:7], s[18:19], s16, v6, v[2:3]
	flat_load_dwordx4 v[6:9], v[6:7]
.LBB258_63:
	s_or_b64 exec, exec, s[14:15]
	s_waitcnt vmcnt(0) lgkmcnt(0)
	ds_write_b128 v1, v[6:9] offset:1792
	v_cmp_lt_u32_e32 vcc, 7, v10
	v_mov_b64_e32 v[6:7], 0
	s_and_saveexec_b64 s[14:15], vcc
	s_cbranch_execz .LBB258_65
; %bb.64:
	s_lshl_b64 s[18:19], s[16:17], 7
	v_lshl_add_u64 v[4:5], v[2:3], 0, s[18:19]
	flat_load_dwordx4 v[4:7], v[4:5]
.LBB258_65:
	s_or_b64 exec, exec, s[14:15]
	s_waitcnt vmcnt(0) lgkmcnt(0)
	ds_write_b128 v1, v[4:7] offset:2048
	v_cmp_lt_u32_e32 vcc, 8, v10
	v_mov_b64_e32 v[4:5], 0
	v_mov_b64_e32 v[6:7], 0
	v_mov_b64_e32 v[8:9], 0
	s_and_saveexec_b64 s[14:15], vcc
	s_cbranch_execz .LBB258_67
; %bb.66:
	v_mov_b32_e32 v6, 0x90
	v_mad_i64_i32 v[6:7], s[18:19], s16, v6, v[2:3]
	flat_load_dwordx4 v[6:9], v[6:7]
.LBB258_67:
	s_or_b64 exec, exec, s[14:15]
	s_waitcnt vmcnt(0) lgkmcnt(0)
	ds_write_b128 v1, v[6:9] offset:2304
	v_cmp_lt_u32_e32 vcc, 9, v10
	v_mov_b64_e32 v[6:7], 0
	s_and_saveexec_b64 s[14:15], vcc
	s_cbranch_execz .LBB258_69
; %bb.68:
	v_mov_b32_e32 v4, 0xa0
	v_mad_i64_i32 v[4:5], s[18:19], s16, v4, v[2:3]
	flat_load_dwordx4 v[4:7], v[4:5]
.LBB258_69:
	s_or_b64 exec, exec, s[14:15]
	s_waitcnt vmcnt(0) lgkmcnt(0)
	ds_write_b128 v1, v[4:7] offset:2560
	v_cmp_lt_u32_e32 vcc, 10, v10
	v_mov_b64_e32 v[4:5], 0
	v_mov_b64_e32 v[6:7], 0
	v_mov_b64_e32 v[8:9], 0
	s_and_saveexec_b64 s[14:15], vcc
	s_cbranch_execz .LBB258_71
; %bb.70:
	v_mov_b32_e32 v6, 0xb0
	v_mad_i64_i32 v[6:7], s[18:19], s16, v6, v[2:3]
	flat_load_dwordx4 v[6:9], v[6:7]
.LBB258_71:
	s_or_b64 exec, exec, s[14:15]
	s_waitcnt vmcnt(0) lgkmcnt(0)
	ds_write_b128 v1, v[6:9] offset:2816
	v_cmp_lt_u32_e32 vcc, 11, v10
	v_mov_b64_e32 v[6:7], 0
	s_and_saveexec_b64 s[14:15], vcc
	s_cbranch_execz .LBB258_73
; %bb.72:
	v_mov_b32_e32 v4, 0xc0
	v_mad_i64_i32 v[4:5], s[18:19], s16, v4, v[2:3]
	flat_load_dwordx4 v[4:7], v[4:5]
.LBB258_73:
	;; [unrolled: 26-line block ×3, first 2 shown]
	s_or_b64 exec, exec, s[14:15]
	s_waitcnt vmcnt(0) lgkmcnt(0)
	ds_write_b128 v1, v[4:7] offset:3584
	v_cmp_lt_u32_e32 vcc, 14, v10
	v_mov_b64_e32 v[4:5], 0
	v_mov_b64_e32 v[6:7], 0
	s_and_saveexec_b64 s[14:15], vcc
	s_cbranch_execz .LBB258_79
; %bb.78:
	v_mov_b32_e32 v4, 0xf0
	v_mad_i64_i32 v[2:3], s[16:17], s16, v4, v[2:3]
	flat_load_dwordx4 v[4:7], v[2:3]
.LBB258_79:
	s_or_b64 exec, exec, s[14:15]
	s_waitcnt vmcnt(0) lgkmcnt(0)
	ds_write_b128 v1, v[4:7] offset:3840
.LBB258_80:
	s_or_b64 exec, exec, s[0:1]
	s_waitcnt lgkmcnt(0)
	s_barrier
	s_and_saveexec_b64 s[14:15], s[8:9]
	s_cbranch_execz .LBB258_91
; %bb.81:
	v_mul_i32_i24_e32 v1, 0x110, v10
	s_cmpk_eq_i32 s5, 0x84
	v_add_u32_e32 v1, v12, v1
	s_cbranch_scc1 .LBB258_89
; %bb.82:
	ds_read_b128 v[2:5], v1
	v_mov_b64_e32 v[8:9], 0
	v_mov_b64_e32 v[6:7], 1.0
	s_waitcnt lgkmcnt(0)
	v_cmp_neq_f64_e32 vcc, 0, v[2:3]
	v_cmp_neq_f64_e64 s[0:1], 0, v[4:5]
	s_or_b64 s[16:17], vcc, s[0:1]
	s_and_saveexec_b64 s[0:1], s[16:17]
	s_cbranch_execz .LBB258_88
; %bb.83:
	v_cmp_ngt_f64_e64 s[16:17], |v[2:3]|, |v[4:5]|
                                        ; implicit-def: $vgpr8_vgpr9
	s_and_saveexec_b64 s[18:19], s[16:17]
	s_xor_b64 s[16:17], exec, s[18:19]
	s_cbranch_execz .LBB258_85
; %bb.84:
	v_div_scale_f64 v[6:7], s[18:19], v[4:5], v[4:5], v[2:3]
	v_rcp_f64_e32 v[8:9], v[6:7]
	v_div_scale_f64 v[14:15], vcc, v[2:3], v[4:5], v[2:3]
	v_fma_f64 v[16:17], -v[6:7], v[8:9], 1.0
	v_fmac_f64_e32 v[8:9], v[8:9], v[16:17]
	v_fma_f64 v[16:17], -v[6:7], v[8:9], 1.0
	v_fmac_f64_e32 v[8:9], v[8:9], v[16:17]
	v_mul_f64 v[16:17], v[14:15], v[8:9]
	v_fma_f64 v[6:7], -v[6:7], v[16:17], v[14:15]
	v_div_fmas_f64 v[6:7], v[6:7], v[8:9], v[16:17]
	v_div_fixup_f64 v[6:7], v[6:7], v[4:5], v[2:3]
	v_fmac_f64_e32 v[4:5], v[2:3], v[6:7]
	v_div_scale_f64 v[2:3], s[18:19], v[4:5], v[4:5], 1.0
	v_rcp_f64_e32 v[8:9], v[2:3]
	s_nop 0
	v_fma_f64 v[14:15], -v[2:3], v[8:9], 1.0
	v_fmac_f64_e32 v[8:9], v[8:9], v[14:15]
	v_fma_f64 v[14:15], -v[2:3], v[8:9], 1.0
	v_fmac_f64_e32 v[8:9], v[8:9], v[14:15]
	v_div_scale_f64 v[14:15], vcc, 1.0, v[4:5], 1.0
	v_mul_f64 v[16:17], v[14:15], v[8:9]
	v_fma_f64 v[2:3], -v[2:3], v[16:17], v[14:15]
	s_nop 1
	v_div_fmas_f64 v[2:3], v[2:3], v[8:9], v[16:17]
	v_div_fixup_f64 v[8:9], v[2:3], v[4:5], 1.0
	v_mul_f64 v[6:7], v[6:7], v[8:9]
	v_xor_b32_e32 v9, 0x80000000, v9
                                        ; implicit-def: $vgpr2_vgpr3
.LBB258_85:
	s_andn2_saveexec_b64 s[16:17], s[16:17]
	s_cbranch_execz .LBB258_87
; %bb.86:
	v_div_scale_f64 v[6:7], s[18:19], v[2:3], v[2:3], v[4:5]
	v_rcp_f64_e32 v[8:9], v[6:7]
	v_div_scale_f64 v[14:15], vcc, v[4:5], v[2:3], v[4:5]
	v_fma_f64 v[16:17], -v[6:7], v[8:9], 1.0
	v_fmac_f64_e32 v[8:9], v[8:9], v[16:17]
	v_fma_f64 v[16:17], -v[6:7], v[8:9], 1.0
	v_fmac_f64_e32 v[8:9], v[8:9], v[16:17]
	v_mul_f64 v[16:17], v[14:15], v[8:9]
	v_fma_f64 v[6:7], -v[6:7], v[16:17], v[14:15]
	v_div_fmas_f64 v[6:7], v[6:7], v[8:9], v[16:17]
	v_div_fixup_f64 v[8:9], v[6:7], v[2:3], v[4:5]
	v_fmac_f64_e32 v[2:3], v[4:5], v[8:9]
	v_div_scale_f64 v[4:5], s[18:19], v[2:3], v[2:3], 1.0
	v_rcp_f64_e32 v[6:7], v[4:5]
	s_nop 0
	v_fma_f64 v[14:15], -v[4:5], v[6:7], 1.0
	v_fmac_f64_e32 v[6:7], v[6:7], v[14:15]
	v_fma_f64 v[14:15], -v[4:5], v[6:7], 1.0
	v_fmac_f64_e32 v[6:7], v[6:7], v[14:15]
	v_div_scale_f64 v[14:15], vcc, 1.0, v[2:3], 1.0
	v_mul_f64 v[16:17], v[14:15], v[6:7]
	v_fma_f64 v[4:5], -v[4:5], v[16:17], v[14:15]
	s_nop 1
	v_div_fmas_f64 v[4:5], v[4:5], v[6:7], v[16:17]
	v_div_fixup_f64 v[6:7], v[4:5], v[2:3], 1.0
	v_mul_f64 v[8:9], v[8:9], -v[6:7]
.LBB258_87:
	s_or_b64 exec, exec, s[16:17]
.LBB258_88:
	s_or_b64 exec, exec, s[0:1]
	s_branch .LBB258_90
.LBB258_89:
	v_mov_b64_e32 v[8:9], 0
	v_mov_b64_e32 v[6:7], 1.0
.LBB258_90:
	ds_write_b128 v1, v[6:9]
.LBB258_91:
	s_or_b64 exec, exec, s[14:15]
	s_waitcnt lgkmcnt(0)
	s_barrier
	s_and_saveexec_b64 s[0:1], s[8:9]
	s_cbranch_execz .LBB258_113
; %bb.92:
	v_lshl_add_u32 v1, v10, 4, v12
	v_mul_i32_i24_e32 v2, 0x110, v10
	v_add_u32_e32 v6, 0x100, v1
	v_add_u32_e32 v7, 16, v12
	;; [unrolled: 1-line block ×4, first 2 shown]
	s_mov_b32 s5, 0
	v_add_u32_e32 v11, v12, v2
	s_branch .LBB258_94
.LBB258_93:                             ;   in Loop: Header=BB258_94 Depth=1
	v_add_u32_e32 v6, 0x200, v6
	v_add_u32_e32 v7, 0x220, v7
	;; [unrolled: 1-line block ×3, first 2 shown]
	s_cmp_eq_u32 s5, 16
	v_add_u32_e32 v9, 0x200, v9
	s_cbranch_scc1 .LBB258_113
.LBB258_94:                             ; =>This Loop Header: Depth=1
                                        ;     Child Loop BB258_100 Depth 2
                                        ;     Child Loop BB258_109 Depth 2
	v_cmp_ge_i32_e32 vcc, s5, v10
                                        ; implicit-def: $sgpr16
	s_and_saveexec_b64 s[14:15], vcc
	s_xor_b64 s[14:15], exec, s[14:15]
; %bb.95:                               ;   in Loop: Header=BB258_94 Depth=1
	s_lshl_b32 s16, s5, 8
; %bb.96:                               ;   in Loop: Header=BB258_94 Depth=1
	s_or_saveexec_b64 s[14:15], s[14:15]
	v_mov_b64_e32 v[2:3], 0
	v_mov_b32_e32 v13, s16
	v_mov_b64_e32 v[4:5], 0
	s_xor_b64 exec, exec, s[14:15]
	s_cbranch_execz .LBB258_98
; %bb.97:                               ;   in Loop: Header=BB258_94 Depth=1
	s_mul_i32 s17, s5, 0x110
	s_lshl_b32 s16, s5, 8
	v_add_u32_e32 v2, s17, v12
	v_add_u32_e32 v13, s16, v1
	ds_read_b128 v[2:5], v2
	ds_read_b128 v[14:17], v13
	v_mov_b32_e32 v13, s16
	s_waitcnt lgkmcnt(0)
	v_mul_f64 v[18:19], v[4:5], v[16:17]
	v_mul_f64 v[16:17], v[2:3], v[16:17]
	v_fma_f64 v[2:3], v[2:3], v[14:15], -v[18:19]
	v_fmac_f64_e32 v[16:17], v[4:5], v[14:15]
	v_add_f64 v[2:3], v[2:3], 0
	v_add_f64 v[4:5], v[16:17], 0
.LBB258_98:                             ;   in Loop: Header=BB258_94 Depth=1
	s_or_b64 exec, exec, s[14:15]
	s_or_b32 s16, s5, 1
	v_add_u32_e32 v13, v1, v13
	v_mov_b32_e32 v14, v7
	v_mov_b32_e32 v15, v6
	s_mov_b32 s17, s16
	s_branch .LBB258_100
.LBB258_99:                             ;   in Loop: Header=BB258_100 Depth=2
	s_or_b64 exec, exec, s[14:15]
	s_add_i32 s17, s17, 1
	v_add_u32_e32 v15, 0x100, v15
	s_cmp_eq_u32 s17, 16
	v_add_u32_e32 v14, 16, v14
	s_cbranch_scc1 .LBB258_104
.LBB258_100:                            ;   Parent Loop BB258_94 Depth=1
                                        ; =>  This Inner Loop Header: Depth=2
	v_cmp_eq_u32_e32 vcc, s17, v10
	s_and_saveexec_b64 s[14:15], vcc
	s_cbranch_execz .LBB258_102
; %bb.101:                              ;   in Loop: Header=BB258_100 Depth=2
	ds_read_b128 v[16:19], v11
	v_add_f64 v[22:23], -v[2:3], 0
	s_waitcnt lgkmcnt(0)
	v_mul_f64 v[20:21], v[4:5], v[18:19]
	v_mul_f64 v[24:25], v[4:5], v[16:17]
	v_fmac_f64_e32 v[20:21], v[22:23], v[16:17]
	v_fma_f64 v[22:23], v[22:23], v[18:19], -v[24:25]
	ds_write_b128 v13, v[20:23]
.LBB258_102:                            ;   in Loop: Header=BB258_100 Depth=2
	s_or_b64 exec, exec, s[14:15]
	v_cmp_lt_i32_e32 vcc, s17, v10
	s_and_saveexec_b64 s[14:15], vcc
	s_cbranch_execz .LBB258_99
; %bb.103:                              ;   in Loop: Header=BB258_100 Depth=2
	ds_read_b128 v[16:19], v14
	ds_read_b128 v[20:23], v15
	s_waitcnt lgkmcnt(0)
	v_mul_f64 v[24:25], v[18:19], v[22:23]
	v_mul_f64 v[22:23], v[16:17], v[22:23]
	v_fma_f64 v[16:17], v[16:17], v[20:21], -v[24:25]
	v_fmac_f64_e32 v[22:23], v[18:19], v[20:21]
	v_add_f64 v[2:3], v[2:3], v[16:17]
	v_add_f64 v[4:5], v[4:5], v[22:23]
	s_branch .LBB258_99
.LBB258_104:                            ;   in Loop: Header=BB258_94 Depth=1
	v_cmp_lt_i32_e32 vcc, s16, v10
	v_mov_b64_e32 v[2:3], 0
	v_mov_b64_e32 v[4:5], 0
	s_and_saveexec_b64 s[14:15], vcc
	s_cbranch_execz .LBB258_106
; %bb.105:                              ;   in Loop: Header=BB258_94 Depth=1
	s_mul_i32 s17, s16, 0x110
	v_add_u32_e32 v2, s17, v12
	v_lshl_add_u32 v13, s16, 8, v1
	ds_read_b128 v[2:5], v2
	ds_read_b128 v[14:17], v13
	s_waitcnt lgkmcnt(0)
	v_mul_f64 v[18:19], v[4:5], v[16:17]
	v_mul_f64 v[16:17], v[2:3], v[16:17]
	v_fma_f64 v[2:3], v[2:3], v[14:15], -v[18:19]
	v_fmac_f64_e32 v[16:17], v[4:5], v[14:15]
	v_add_f64 v[2:3], v[2:3], 0
	v_add_f64 v[4:5], v[16:17], 0
.LBB258_106:                            ;   in Loop: Header=BB258_94 Depth=1
	s_or_b64 exec, exec, s[14:15]
	s_add_i32 s5, s5, 2
	s_cmp_gt_u32 s16, 14
	s_cbranch_scc1 .LBB258_93
; %bb.107:                              ;   in Loop: Header=BB258_94 Depth=1
	s_lshl_b32 s14, s16, 8
	v_add_u32_e32 v13, s14, v1
	v_mov_b32_e32 v14, v9
	v_mov_b32_e32 v15, v8
	s_mov_b32 s16, s5
	s_branch .LBB258_109
.LBB258_108:                            ;   in Loop: Header=BB258_109 Depth=2
	s_or_b64 exec, exec, s[14:15]
	s_add_i32 s16, s16, 1
	v_add_u32_e32 v15, 16, v15
	s_cmp_lg_u32 s16, 16
	v_add_u32_e32 v14, 0x100, v14
	s_cbranch_scc0 .LBB258_93
.LBB258_109:                            ;   Parent Loop BB258_94 Depth=1
                                        ; =>  This Inner Loop Header: Depth=2
	v_cmp_eq_u32_e32 vcc, s16, v10
	s_and_saveexec_b64 s[14:15], vcc
	s_cbranch_execz .LBB258_111
; %bb.110:                              ;   in Loop: Header=BB258_109 Depth=2
	ds_read_b128 v[16:19], v11
	v_add_f64 v[22:23], -v[2:3], 0
	s_waitcnt lgkmcnt(0)
	v_mul_f64 v[20:21], v[4:5], v[18:19]
	v_mul_f64 v[24:25], v[4:5], v[16:17]
	v_fmac_f64_e32 v[20:21], v[22:23], v[16:17]
	v_fma_f64 v[22:23], v[22:23], v[18:19], -v[24:25]
	ds_write_b128 v13, v[20:23]
.LBB258_111:                            ;   in Loop: Header=BB258_109 Depth=2
	s_or_b64 exec, exec, s[14:15]
	v_cmp_lt_i32_e32 vcc, s16, v10
	s_and_saveexec_b64 s[14:15], vcc
	s_cbranch_execz .LBB258_108
; %bb.112:                              ;   in Loop: Header=BB258_109 Depth=2
	ds_read_b128 v[16:19], v15
	ds_read_b128 v[20:23], v14
	s_waitcnt lgkmcnt(0)
	v_mul_f64 v[24:25], v[18:19], v[22:23]
	v_mul_f64 v[22:23], v[16:17], v[22:23]
	v_fma_f64 v[16:17], v[16:17], v[20:21], -v[24:25]
	v_fmac_f64_e32 v[22:23], v[18:19], v[20:21]
	v_add_f64 v[2:3], v[2:3], v[16:17]
	v_add_f64 v[4:5], v[4:5], v[22:23]
	s_branch .LBB258_108
.LBB258_113:
	s_or_b64 exec, exec, s[0:1]
	s_cmpk_lg_i32 s4, 0x7a
	s_cselect_b64 s[0:1], -1, 0
	s_movk_i32 s4, 0x100
	v_and_b32_e32 v1, 15, v0
	v_lshrrev_b32_e32 v6, 4, v0
	v_cmp_gt_u32_e64 s[4:5], s4, v0
	s_and_b64 vcc, exec, s[0:1]
	s_waitcnt lgkmcnt(0)
	s_barrier
	s_cbranch_vccz .LBB258_118
; %bb.114:
	s_mov_b64 s[16:17], 0
	s_mov_b64 s[14:15], 0
                                        ; implicit-def: $vgpr4_vgpr5
	s_and_saveexec_b64 s[18:19], s[4:5]
	s_cbranch_execz .LBB258_119
; %bb.115:
	s_movk_i32 s14, 0xf0
	v_bitop3_b32 v2, v0, s14, v0 bitop3:0xc
	v_mov_b32_e32 v3, 0x30f0
	v_lshlrev_b32_e32 v7, 4, v1
	v_add_u32_e32 v8, 1, v6
	v_lshl_or_b32 v9, v2, 4, v3
	v_mov_b64_e32 v[4:5], 0
	s_mov_b64 s[14:15], 0
	v_mov_b64_e32 v[2:3], 0
.LBB258_116:                            ; =>This Inner Loop Header: Depth=1
	ds_read_b128 v[14:17], v9
	ds_read_b128 v[18:21], v7
	v_add_u32_e32 v8, -1, v8
	v_cmp_eq_u32_e32 vcc, 0, v8
	v_add_u32_e32 v9, -16, v9
	v_add_u32_e32 v7, 0x100, v7
	s_waitcnt lgkmcnt(0)
	v_mul_f64 v[22:23], v[16:17], v[20:21]
	v_mul_f64 v[20:21], v[14:15], v[20:21]
	v_fma_f64 v[14:15], v[14:15], v[18:19], -v[22:23]
	v_fmac_f64_e32 v[20:21], v[16:17], v[18:19]
	s_or_b64 s[14:15], vcc, s[14:15]
	v_add_f64 v[2:3], v[2:3], v[14:15]
	v_add_f64 v[4:5], v[4:5], v[20:21]
	s_andn2_b64 exec, exec, s[14:15]
	s_cbranch_execnz .LBB258_116
; %bb.117:
	s_or_b64 exec, exec, s[14:15]
	s_mov_b64 s[14:15], exec
	s_or_b64 exec, exec, s[18:19]
	s_and_b64 vcc, exec, s[16:17]
	s_cbranch_vccnz .LBB258_120
	s_branch .LBB258_125
.LBB258_118:
	s_mov_b64 s[14:15], 0
                                        ; implicit-def: $vgpr4_vgpr5
	s_cbranch_execnz .LBB258_120
	s_branch .LBB258_125
.LBB258_119:
	s_or_b64 exec, exec, s[18:19]
	s_and_b64 vcc, exec, s[16:17]
	s_cbranch_vccz .LBB258_125
.LBB258_120:
                                        ; implicit-def: $vgpr4_vgpr5
	s_and_saveexec_b64 s[16:17], s[4:5]
	s_cbranch_execz .LBB258_124
; %bb.121:
	v_lshlrev_b32_e32 v2, 4, v0
	v_and_b32_e32 v2, 0xf00, v2
	v_lshlrev_b32_e32 v3, 4, v6
	s_movk_i32 s18, 0x2000
	v_or3_b32 v8, v2, v3, s18
	v_lshlrev_b32_e32 v2, 4, v1
	v_add_u32_e32 v7, -1, v6
	v_lshl_or_b32 v9, v6, 8, v2
	v_mov_b64_e32 v[4:5], 0
	s_mov_b64 s[18:19], 0
	v_mov_b64_e32 v[2:3], 0
.LBB258_122:                            ; =>This Inner Loop Header: Depth=1
	ds_read_b128 v[14:17], v8
	ds_read_b128 v[18:21], v9
	v_add_u32_e32 v7, 1, v7
	v_cmp_lt_u32_e32 vcc, 14, v7
	v_add_u32_e32 v8, 16, v8
	v_add_u32_e32 v9, 0x100, v9
	s_waitcnt lgkmcnt(0)
	v_mul_f64 v[22:23], v[16:17], v[20:21]
	v_mul_f64 v[20:21], v[14:15], v[20:21]
	v_fma_f64 v[14:15], v[14:15], v[18:19], -v[22:23]
	v_fmac_f64_e32 v[20:21], v[16:17], v[18:19]
	s_or_b64 s[18:19], vcc, s[18:19]
	v_add_f64 v[2:3], v[2:3], v[14:15]
	v_add_f64 v[4:5], v[4:5], v[20:21]
	s_andn2_b64 exec, exec, s[18:19]
	s_cbranch_execnz .LBB258_122
; %bb.123:
	s_or_b64 exec, exec, s[18:19]
	s_or_b64 s[14:15], s[14:15], exec
.LBB258_124:
	s_or_b64 exec, exec, s[16:17]
.LBB258_125:
	s_and_saveexec_b64 s[16:17], s[14:15]
; %bb.126:
	v_lshlrev_b32_e32 v7, 4, v0
	ds_write_b128 v7, v[2:5] offset:4096
; %bb.127:
	s_or_b64 exec, exec, s[16:17]
	s_bfe_u32 s14, s2, 0x1d0002
	s_mov_b32 s15, 0
	s_and_b32 s16, s3, 6
	s_lshl_b64 s[2:3], s[14:15], 18
	s_add_u32 s2, s12, s2
	s_addc_u32 s3, s13, s3
	s_mul_i32 s16, s16, 0x8100
	s_add_u32 s12, s2, s16
	s_addc_u32 s13, s3, 0
	s_lshl_b64 s[2:3], s[10:11], 4
	s_add_u32 s2, s12, s2
	s_addc_u32 s3, s13, s3
	s_and_b64 vcc, exec, s[0:1]
	s_waitcnt lgkmcnt(0)
	s_barrier
	s_cbranch_vccz .LBB258_132
; %bb.128:
	s_mov_b64 s[12:13], 0
	s_mov_b64 s[10:11], 0
                                        ; implicit-def: $vgpr4_vgpr5
                                        ; implicit-def: $vgpr2_vgpr3
	s_and_saveexec_b64 s[14:15], s[4:5]
	s_cbranch_execz .LBB258_138
; %bb.129:
	v_lshlrev_b32_e32 v3, 4, v0
	v_xor_b32_e32 v2, 15, v1
	v_and_b32_e32 v3, 0xf00, v3
	v_lshlrev_b32_e32 v4, 4, v1
	s_movk_i32 s10, 0x1000
	v_or3_b32 v8, v3, v4, s10
	v_lshlrev_b32_e32 v2, 4, v2
	v_lshlrev_b32_e32 v3, 8, v1
	v_sub_u32_e32 v2, v2, v3
	v_add_u32_e32 v7, -1, v1
	v_add_u32_e32 v9, 0x2f00, v2
	v_mov_b64_e32 v[2:3], 0
	s_mov_b64 s[10:11], 0
	v_mov_b64_e32 v[4:5], 0
.LBB258_130:                            ; =>This Inner Loop Header: Depth=1
	ds_read_b128 v[14:17], v9
	ds_read_b128 v[18:21], v8
	v_add_u32_e32 v7, 1, v7
	v_cmp_lt_u32_e32 vcc, 14, v7
	v_add_u32_e32 v8, 16, v8
	v_add_u32_e32 v9, 0xffffff00, v9
	s_waitcnt lgkmcnt(0)
	v_mul_f64 v[22:23], v[14:15], v[18:19]
	v_mul_f64 v[14:15], v[14:15], v[20:21]
	v_fma_f64 v[20:21], v[16:17], v[20:21], -v[22:23]
	v_fma_f64 v[14:15], v[18:19], -v[16:17], -v[14:15]
	s_or_b64 s[10:11], vcc, s[10:11]
	v_add_f64 v[2:3], v[2:3], v[20:21]
	v_add_f64 v[4:5], v[4:5], v[14:15]
	s_andn2_b64 exec, exec, s[10:11]
	s_cbranch_execnz .LBB258_130
; %bb.131:
	s_or_b64 exec, exec, s[10:11]
	s_mov_b64 s[10:11], exec
	s_or_b64 exec, exec, s[14:15]
	s_and_b64 vcc, exec, s[12:13]
	s_cbranch_vccnz .LBB258_133
	s_branch .LBB258_139
.LBB258_132:
	s_mov_b64 s[10:11], 0
                                        ; implicit-def: $vgpr4_vgpr5
                                        ; implicit-def: $vgpr2_vgpr3
	s_cbranch_execz .LBB258_139
.LBB258_133:
                                        ; implicit-def: $vgpr4_vgpr5
                                        ; implicit-def: $vgpr2_vgpr3
	s_and_saveexec_b64 s[12:13], s[4:5]
	s_cbranch_execz .LBB258_137
; %bb.134:
	v_mov_b32_e32 v2, 0x3000
	v_lshl_or_b32 v7, v1, 4, v2
	v_and_b32_e32 v0, 0xf0, v0
	v_mov_b32_e32 v2, 0x1000
	v_lshl_or_b32 v0, v0, 4, v2
	v_add_u32_e32 v8, 1, v1
	v_mov_b64_e32 v[2:3], 0
	s_mov_b64 s[4:5], 0
	v_mov_b64_e32 v[4:5], 0
.LBB258_135:                            ; =>This Inner Loop Header: Depth=1
	ds_read_b128 v[14:17], v7
	ds_read_b128 v[18:21], v0
	v_add_u32_e32 v8, -1, v8
	v_cmp_eq_u32_e32 vcc, 0, v8
	v_add_u32_e32 v0, 16, v0
	v_add_u32_e32 v7, 0x100, v7
	s_waitcnt lgkmcnt(0)
	v_mul_f64 v[22:23], v[14:15], v[18:19]
	v_mul_f64 v[14:15], v[14:15], v[20:21]
	v_fma_f64 v[20:21], v[16:17], v[20:21], -v[22:23]
	v_fma_f64 v[14:15], v[18:19], -v[16:17], -v[14:15]
	s_or_b64 s[4:5], vcc, s[4:5]
	v_add_f64 v[2:3], v[2:3], v[20:21]
	v_add_f64 v[4:5], v[4:5], v[14:15]
	s_andn2_b64 exec, exec, s[4:5]
	s_cbranch_execnz .LBB258_135
; %bb.136:
	s_or_b64 exec, exec, s[4:5]
	s_or_b64 s[10:11], s[10:11], exec
.LBB258_137:
	s_or_b64 exec, exec, s[12:13]
	s_mov_b64 s[12:13], 0x100
	s_mov_b64 s[4:5], 0x108
	s_and_saveexec_b64 s[14:15], s[10:11]
	s_cbranch_execnz .LBB258_140
	s_branch .LBB258_141
.LBB258_138:
	s_or_b64 exec, exec, s[14:15]
	s_and_b64 vcc, exec, s[12:13]
	s_cbranch_vccnz .LBB258_133
.LBB258_139:
	s_mov_b64 s[12:13], 0x8000
	s_mov_b64 s[4:5], 0x8008
	s_and_saveexec_b64 s[14:15], s[10:11]
	s_cbranch_execz .LBB258_141
.LBB258_140:
	v_lshlrev_b32_e32 v0, 4, v1
	v_lshl_or_b32 v0, v6, 11, v0
	v_mov_b32_e32 v1, 0
	v_lshl_add_u64 v[0:1], s[2:3], 0, v[0:1]
	v_lshl_add_u64 v[6:7], v[0:1], 0, s[12:13]
	;; [unrolled: 1-line block ×3, first 2 shown]
	flat_store_dwordx2 v[6:7], v[2:3]
	flat_store_dwordx2 v[0:1], v[4:5]
.LBB258_141:
	s_or_b64 exec, exec, s[14:15]
	s_and_saveexec_b64 s[4:5], s[8:9]
	s_cbranch_execz .LBB258_151
; %bb.142:
	v_mov_b32_e32 v0, 0x810
	v_cndmask_b32_e64 v2, v0, 0, s[6:7]
	s_andn2_b64 vcc, exec, s[0:1]
	s_mov_b64 s[0:1], -1
	s_cbranch_vccnz .LBB258_147
; %bb.143:
	s_mov_b32 s0, 16
	v_cmp_gt_i32_e32 vcc, 16, v10
	s_and_saveexec_b64 s[4:5], vcc
	s_cbranch_execz .LBB258_146
; %bb.144:
	v_mov_b32_e32 v11, 0
	v_lshlrev_b32_e32 v0, 4, v2
	v_mov_b32_e32 v1, v11
	v_lshlrev_b32_e32 v3, 4, v10
	v_lshl_add_u64 v[0:1], s[2:3], 0, v[0:1]
	v_sub_u32_e32 v3, v12, v3
	v_lshl_add_u64 v[0:1], v[10:11], 4, v[0:1]
	v_add_u32_e32 v3, 0xf0, v3
	s_mov_b64 s[6:7], 0
	s_mov_b32 s1, 0
.LBB258_145:                            ; =>This Inner Loop Header: Depth=1
	ds_read2_b64 v[4:7], v3 offset1:1
	s_add_i32 s0, s0, -1
	s_lshl_b64 s[8:9], s[0:1], 11
	v_cmp_le_i32_e32 vcc, s0, v10
	v_add_u32_e32 v3, 0x100, v3
	v_lshl_add_u64 v[8:9], v[0:1], 0, s[8:9]
	s_or_b64 s[6:7], vcc, s[6:7]
	s_waitcnt lgkmcnt(0)
	flat_store_dwordx4 v[8:9], v[4:7]
	s_andn2_b64 exec, exec, s[6:7]
	s_cbranch_execnz .LBB258_145
.LBB258_146:
	s_or_b64 exec, exec, s[4:5]
	s_mov_b64 s[0:1], 0
.LBB258_147:
	s_andn2_b64 vcc, exec, s[0:1]
	s_cbranch_vccnz .LBB258_151
; %bb.148:
	v_cmp_lt_i32_e32 vcc, -1, v10
	s_and_b64 exec, exec, vcc
	s_cbranch_execz .LBB258_151
; %bb.149:
	v_mov_b32_e32 v11, 0
	v_lshlrev_b32_e32 v0, 4, v2
	v_mov_b32_e32 v1, v11
	v_lshl_add_u64 v[0:1], s[2:3], 0, v[0:1]
	v_lshl_add_u32 v3, v10, 4, v12
	v_lshl_add_u64 v[0:1], v[10:11], 4, v[0:1]
	v_add_u32_e32 v2, 1, v10
	s_mov_b64 s[0:1], 0
	s_mov_b64 s[2:3], 0x800
.LBB258_150:                            ; =>This Inner Loop Header: Depth=1
	ds_read2_b64 v[4:7], v3 offset1:1
	v_add_u32_e32 v2, -1, v2
	v_cmp_eq_u32_e32 vcc, 0, v2
	v_add_u32_e32 v3, 0x100, v3
	s_or_b64 s[0:1], vcc, s[0:1]
	s_waitcnt lgkmcnt(0)
	flat_store_dwordx4 v[0:1], v[4:7]
	v_lshl_add_u64 v[0:1], v[0:1], 0, s[2:3]
	s_andn2_b64 exec, exec, s[0:1]
	s_cbranch_execnz .LBB258_150
.LBB258_151:
	s_endpgm
	.section	.rodata,"a",@progbits
	.p2align	6, 0x0
	.amdhsa_kernel _ZL25rocblas_trtri_trsm_kernelILi128ELi16ELi8E19rocblas_complex_numIdEPKPKS1_PKPS1_Ev13rocblas_fill_17rocblas_diagonal_T3_lilT4_lli
		.amdhsa_group_segment_fixed_size 16384
		.amdhsa_private_segment_fixed_size 0
		.amdhsa_kernarg_size 68
		.amdhsa_user_sgpr_count 2
		.amdhsa_user_sgpr_dispatch_ptr 0
		.amdhsa_user_sgpr_queue_ptr 0
		.amdhsa_user_sgpr_kernarg_segment_ptr 1
		.amdhsa_user_sgpr_dispatch_id 0
		.amdhsa_user_sgpr_kernarg_preload_length 0
		.amdhsa_user_sgpr_kernarg_preload_offset 0
		.amdhsa_user_sgpr_private_segment_size 0
		.amdhsa_uses_dynamic_stack 0
		.amdhsa_enable_private_segment 0
		.amdhsa_system_sgpr_workgroup_id_x 1
		.amdhsa_system_sgpr_workgroup_id_y 0
		.amdhsa_system_sgpr_workgroup_id_z 1
		.amdhsa_system_sgpr_workgroup_info 0
		.amdhsa_system_vgpr_workitem_id 0
		.amdhsa_next_free_vgpr 26
		.amdhsa_next_free_sgpr 26
		.amdhsa_accum_offset 28
		.amdhsa_reserve_vcc 1
		.amdhsa_float_round_mode_32 0
		.amdhsa_float_round_mode_16_64 0
		.amdhsa_float_denorm_mode_32 3
		.amdhsa_float_denorm_mode_16_64 3
		.amdhsa_dx10_clamp 1
		.amdhsa_ieee_mode 1
		.amdhsa_fp16_overflow 0
		.amdhsa_tg_split 0
		.amdhsa_exception_fp_ieee_invalid_op 0
		.amdhsa_exception_fp_denorm_src 0
		.amdhsa_exception_fp_ieee_div_zero 0
		.amdhsa_exception_fp_ieee_overflow 0
		.amdhsa_exception_fp_ieee_underflow 0
		.amdhsa_exception_fp_ieee_inexact 0
		.amdhsa_exception_int_div_zero 0
	.end_amdhsa_kernel
	.section	.text._ZL25rocblas_trtri_trsm_kernelILi128ELi16ELi8E19rocblas_complex_numIdEPKPKS1_PKPS1_Ev13rocblas_fill_17rocblas_diagonal_T3_lilT4_lli,"axG",@progbits,_ZL25rocblas_trtri_trsm_kernelILi128ELi16ELi8E19rocblas_complex_numIdEPKPKS1_PKPS1_Ev13rocblas_fill_17rocblas_diagonal_T3_lilT4_lli,comdat
.Lfunc_end258:
	.size	_ZL25rocblas_trtri_trsm_kernelILi128ELi16ELi8E19rocblas_complex_numIdEPKPKS1_PKPS1_Ev13rocblas_fill_17rocblas_diagonal_T3_lilT4_lli, .Lfunc_end258-_ZL25rocblas_trtri_trsm_kernelILi128ELi16ELi8E19rocblas_complex_numIdEPKPKS1_PKPS1_Ev13rocblas_fill_17rocblas_diagonal_T3_lilT4_lli
                                        ; -- End function
	.set _ZL25rocblas_trtri_trsm_kernelILi128ELi16ELi8E19rocblas_complex_numIdEPKPKS1_PKPS1_Ev13rocblas_fill_17rocblas_diagonal_T3_lilT4_lli.num_vgpr, 26
	.set _ZL25rocblas_trtri_trsm_kernelILi128ELi16ELi8E19rocblas_complex_numIdEPKPKS1_PKPS1_Ev13rocblas_fill_17rocblas_diagonal_T3_lilT4_lli.num_agpr, 0
	.set _ZL25rocblas_trtri_trsm_kernelILi128ELi16ELi8E19rocblas_complex_numIdEPKPKS1_PKPS1_Ev13rocblas_fill_17rocblas_diagonal_T3_lilT4_lli.numbered_sgpr, 26
	.set _ZL25rocblas_trtri_trsm_kernelILi128ELi16ELi8E19rocblas_complex_numIdEPKPKS1_PKPS1_Ev13rocblas_fill_17rocblas_diagonal_T3_lilT4_lli.num_named_barrier, 0
	.set _ZL25rocblas_trtri_trsm_kernelILi128ELi16ELi8E19rocblas_complex_numIdEPKPKS1_PKPS1_Ev13rocblas_fill_17rocblas_diagonal_T3_lilT4_lli.private_seg_size, 0
	.set _ZL25rocblas_trtri_trsm_kernelILi128ELi16ELi8E19rocblas_complex_numIdEPKPKS1_PKPS1_Ev13rocblas_fill_17rocblas_diagonal_T3_lilT4_lli.uses_vcc, 1
	.set _ZL25rocblas_trtri_trsm_kernelILi128ELi16ELi8E19rocblas_complex_numIdEPKPKS1_PKPS1_Ev13rocblas_fill_17rocblas_diagonal_T3_lilT4_lli.uses_flat_scratch, 0
	.set _ZL25rocblas_trtri_trsm_kernelILi128ELi16ELi8E19rocblas_complex_numIdEPKPKS1_PKPS1_Ev13rocblas_fill_17rocblas_diagonal_T3_lilT4_lli.has_dyn_sized_stack, 0
	.set _ZL25rocblas_trtri_trsm_kernelILi128ELi16ELi8E19rocblas_complex_numIdEPKPKS1_PKPS1_Ev13rocblas_fill_17rocblas_diagonal_T3_lilT4_lli.has_recursion, 0
	.set _ZL25rocblas_trtri_trsm_kernelILi128ELi16ELi8E19rocblas_complex_numIdEPKPKS1_PKPS1_Ev13rocblas_fill_17rocblas_diagonal_T3_lilT4_lli.has_indirect_call, 0
	.section	.AMDGPU.csdata,"",@progbits
; Kernel info:
; codeLenInByte = 6120
; TotalNumSgprs: 32
; NumVgprs: 26
; NumAgprs: 0
; TotalNumVgprs: 26
; ScratchSize: 0
; MemoryBound: 1
; FloatMode: 240
; IeeeMode: 1
; LDSByteSize: 16384 bytes/workgroup (compile time only)
; SGPRBlocks: 3
; VGPRBlocks: 3
; NumSGPRsForWavesPerEU: 32
; NumVGPRsForWavesPerEU: 26
; AccumOffset: 28
; Occupancy: 8
; WaveLimiterHint : 1
; COMPUTE_PGM_RSRC2:SCRATCH_EN: 0
; COMPUTE_PGM_RSRC2:USER_SGPR: 2
; COMPUTE_PGM_RSRC2:TRAP_HANDLER: 0
; COMPUTE_PGM_RSRC2:TGID_X_EN: 1
; COMPUTE_PGM_RSRC2:TGID_Y_EN: 0
; COMPUTE_PGM_RSRC2:TGID_Z_EN: 1
; COMPUTE_PGM_RSRC2:TIDIG_COMP_CNT: 0
; COMPUTE_PGM_RSRC3_GFX90A:ACCUM_OFFSET: 6
; COMPUTE_PGM_RSRC3_GFX90A:TG_SPLIT: 0
	.section	.text._ZL18rocblas_trtri_fillILi128E19rocblas_complex_numIdEPKPS1_EvP15_rocblas_handle13rocblas_fill_ililT1_llii,"axG",@progbits,_ZL18rocblas_trtri_fillILi128E19rocblas_complex_numIdEPKPS1_EvP15_rocblas_handle13rocblas_fill_ililT1_llii,comdat
	.globl	_ZL18rocblas_trtri_fillILi128E19rocblas_complex_numIdEPKPS1_EvP15_rocblas_handle13rocblas_fill_ililT1_llii ; -- Begin function _ZL18rocblas_trtri_fillILi128E19rocblas_complex_numIdEPKPS1_EvP15_rocblas_handle13rocblas_fill_ililT1_llii
	.p2align	8
	.type	_ZL18rocblas_trtri_fillILi128E19rocblas_complex_numIdEPKPS1_EvP15_rocblas_handle13rocblas_fill_ililT1_llii,@function
_ZL18rocblas_trtri_fillILi128E19rocblas_complex_numIdEPKPS1_EvP15_rocblas_handle13rocblas_fill_ililT1_llii: ; @_ZL18rocblas_trtri_fillILi128E19rocblas_complex_numIdEPKPS1_EvP15_rocblas_handle13rocblas_fill_ililT1_llii
; %bb.0:
	s_mov_b32 s12, s3
	s_load_dword s3, s[0:1], 0x40
	s_load_dwordx2 s[8:9], s[0:1], 0x10
	s_waitcnt lgkmcnt(0)
	s_ashr_i32 s4, s3, 31
	s_mul_hi_u32 s5, s8, s3
	s_mul_i32 s4, s8, s4
	s_add_i32 s4, s5, s4
	s_mul_i32 s5, s9, s3
	s_mul_i32 s10, s8, s3
	s_mov_b32 s3, 0
	s_add_i32 s11, s4, s5
	s_lshl_b64 s[4:5], s[2:3], 7
	v_or_b32_e32 v0, s4, v0
	v_mov_b32_e32 v1, s5
	v_cmp_gt_u64_e32 vcc, s[10:11], v[0:1]
	s_and_saveexec_b64 s[4:5], vcc
	s_cbranch_execz .LBB259_16
; %bb.1:
	s_load_dword s2, s[0:1], 0x18
	s_load_dwordx4 s[4:7], s[0:1], 0x20
	s_load_dwordx2 s[14:15], s[0:1], 0x30
	s_mov_b32 s13, s3
	s_lshl_b64 s[12:13], s[12:13], 3
	s_waitcnt lgkmcnt(0)
	s_ashr_i32 s3, s2, 31
	s_add_u32 s12, s6, s12
	v_cvt_f32_u32_e32 v4, s8
	v_cvt_f32_u32_e32 v5, s9
	s_addc_u32 s13, s7, s13
	s_load_dwordx2 s[16:17], s[12:13], 0x0
	s_load_dwordx2 s[6:7], s[0:1], 0x8
	s_lshl_b64 s[12:13], s[14:15], 4
	v_fmamk_f32 v4, v5, 0x4f800000, v4
	v_rcp_f32_e32 v5, v4
	v_cvt_f32_u32_e32 v6, s8
	s_waitcnt lgkmcnt(0)
	s_add_u32 s12, s16, s12
	s_addc_u32 s13, s17, s13
	s_add_i32 s14, s7, -2
	v_cvt_f64_i32_e32 v[2:3], s14
	s_add_i32 s14, s7, -1
	s_mul_hi_i32 s15, s14, s7
	s_mul_i32 s14, s14, s7
	v_mul_f32_e32 v5, 0x5f7ffffc, v5
	v_rcp_iflag_f32_e32 v6, v6
	s_ashr_i32 s24, s7, 31
	s_lshl_b64 s[16:17], s[14:15], 2
	v_mul_f32_e32 v7, 0x2f800000, v5
	s_mov_b32 s25, s7
	s_add_u32 s7, s16, -7
	s_load_dword s16, s[0:1], 0x48
	s_load_dword s18, s[0:1], 0x54
	v_trunc_f32_e32 v7, v7
	v_fmamk_f32 v5, v7, 0xcf800000, v5
	v_cvt_u32_f32_e32 v14, v5
	v_mul_f32_e32 v5, 0x4f7ffffe, v6
	v_cvt_u32_f32_e32 v15, v7
	v_cvt_u32_f32_e32 v16, v5
	s_addc_u32 s26, s17, -1
	s_waitcnt lgkmcnt(0)
	s_and_b32 s0, s18, 0xffff
	v_mov_b32_e32 v4, 0
	s_mov_b32 s20, 0
	s_lshr_b64 s[14:15], s[14:15], 1
	s_mul_hi_u32 s17, s0, s16
	s_mul_i32 s16, s0, s16
	s_mov_b64 s[18:19], 0
	s_brev_b32 s21, 8
	v_mov_b32_e32 v17, 0x260
	s_movk_i32 s27, 0xffe0
	v_mov_b32_e32 v18, 0x100
	v_mov_b32_e32 v19, 0xffffff80
	;; [unrolled: 1-line block ×4, first 2 shown]
	s_branch .LBB259_3
.LBB259_2:                              ;   in Loop: Header=BB259_3 Depth=1
	v_lshl_add_u64 v[0:1], v[0:1], 0, s[16:17]
	v_cmp_le_u64_e32 vcc, s[10:11], v[0:1]
	s_or_b64 s[18:19], vcc, s[18:19]
	s_andn2_b64 exec, exec, s[18:19]
	s_cbranch_execz .LBB259_16
.LBB259_3:                              ; =>This Inner Loop Header: Depth=1
	v_or_b32_e32 v5, s9, v1
	v_cmp_ne_u64_e32 vcc, 0, v[4:5]
                                        ; implicit-def: $vgpr8_vgpr9
	s_and_saveexec_b64 s[0:1], vcc
	s_xor_b64 s[22:23], exec, s[0:1]
	s_cbranch_execz .LBB259_5
; %bb.4:                                ;   in Loop: Header=BB259_3 Depth=1
	s_sub_u32 s28, 0, s8
	v_readfirstlane_b32 s0, v14
	v_readfirstlane_b32 s31, v15
	s_subb_u32 s29, 0, s9
	s_mul_hi_u32 s30, s28, s0
	s_mul_i32 s33, s28, s31
	s_mul_i32 s1, s29, s0
	s_add_i32 s30, s30, s33
	s_add_i32 s30, s30, s1
	s_mul_i32 s34, s28, s0
	s_mul_i32 s33, s0, s30
	s_mul_hi_u32 s35, s0, s34
	s_mul_hi_u32 s1, s0, s30
	s_add_u32 s33, s35, s33
	s_addc_u32 s1, 0, s1
	s_mul_hi_u32 s36, s31, s34
	s_mul_i32 s34, s31, s34
	s_add_u32 s33, s33, s34
	s_mul_hi_u32 s35, s31, s30
	s_addc_u32 s1, s1, s36
	s_addc_u32 s33, s35, 0
	s_mul_i32 s30, s31, s30
	s_add_u32 s1, s1, s30
	s_addc_u32 s30, 0, s33
	s_add_u32 s33, s0, s1
	s_cselect_b64 s[0:1], -1, 0
	s_cmp_lg_u64 s[0:1], 0
	s_addc_u32 s30, s31, s30
	s_mul_i32 s0, s28, s30
	s_mul_hi_u32 s1, s28, s33
	s_add_i32 s0, s1, s0
	s_mul_i32 s29, s29, s33
	s_add_i32 s0, s0, s29
	s_mul_i32 s28, s28, s33
	s_mul_hi_u32 s29, s30, s28
	s_mul_i32 s31, s30, s28
	s_mul_i32 s35, s33, s0
	s_mul_hi_u32 s28, s33, s28
	s_mul_hi_u32 s34, s33, s0
	s_add_u32 s28, s28, s35
	s_addc_u32 s34, 0, s34
	s_add_u32 s28, s28, s31
	s_mul_hi_u32 s1, s30, s0
	s_addc_u32 s28, s34, s29
	s_addc_u32 s1, s1, 0
	s_mul_i32 s0, s30, s0
	s_add_u32 s0, s28, s0
	s_addc_u32 s28, 0, s1
	s_add_u32 s29, s33, s0
	s_cselect_b64 s[0:1], -1, 0
	s_cmp_lg_u64 s[0:1], 0
	s_addc_u32 s28, s30, s28
	v_mad_u64_u32 v[8:9], s[0:1], v0, s28, 0
	v_mul_hi_u32 v10, v0, s29
	v_mov_b32_e32 v11, v4
	v_lshl_add_u64 v[8:9], v[10:11], 0, v[8:9]
	v_mad_u64_u32 v[12:13], s[0:1], v1, s29, 0
	v_add_co_u32_e32 v5, vcc, v8, v12
	v_mad_u64_u32 v[10:11], s[0:1], v1, s28, 0
	s_nop 0
	v_addc_co_u32_e32 v8, vcc, v9, v13, vcc
	v_mov_b32_e32 v9, v4
	s_nop 0
	v_addc_co_u32_e32 v11, vcc, 0, v11, vcc
	v_lshl_add_u64 v[8:9], v[8:9], 0, v[10:11]
	v_mul_lo_u32 v5, s9, v8
	v_mul_lo_u32 v12, s8, v9
	v_mad_u64_u32 v[10:11], s[0:1], s8, v8, 0
	v_add3_u32 v5, v11, v12, v5
	v_sub_u32_e32 v11, v1, v5
	v_mov_b32_e32 v12, s9
	v_sub_co_u32_e32 v20, vcc, v0, v10
	s_nop 1
	v_subb_co_u32_e64 v10, s[0:1], v11, v12, vcc
	v_subrev_co_u32_e64 v11, s[0:1], s8, v20
	v_subb_co_u32_e32 v5, vcc, v1, v5, vcc
	s_nop 0
	v_subbrev_co_u32_e64 v10, s[0:1], 0, v10, s[0:1]
	v_cmp_le_u32_e64 s[0:1], s9, v10
	v_cmp_le_u32_e32 vcc, s9, v5
	s_nop 0
	v_cndmask_b32_e64 v12, 0, -1, s[0:1]
	v_cmp_le_u32_e64 s[0:1], s8, v11
	s_nop 1
	v_cndmask_b32_e64 v11, 0, -1, s[0:1]
	v_cmp_eq_u32_e64 s[0:1], s9, v10
	s_nop 1
	v_cndmask_b32_e64 v21, v12, v11, s[0:1]
	v_lshl_add_u64 v[10:11], v[8:9], 0, 2
	v_lshl_add_u64 v[12:13], v[8:9], 0, 1
	v_cmp_ne_u32_e64 s[0:1], 0, v21
	s_nop 1
	v_cndmask_b32_e64 v11, v13, v11, s[0:1]
	v_cndmask_b32_e64 v13, 0, -1, vcc
	v_cmp_le_u32_e32 vcc, s8, v20
	s_nop 1
	v_cndmask_b32_e64 v20, 0, -1, vcc
	v_cmp_eq_u32_e32 vcc, s9, v5
	s_nop 1
	v_cndmask_b32_e32 v5, v13, v20, vcc
	v_cmp_ne_u32_e32 vcc, 0, v5
	v_cndmask_b32_e64 v5, v12, v10, s[0:1]
	s_nop 0
	v_cndmask_b32_e32 v9, v9, v11, vcc
	v_cndmask_b32_e32 v8, v8, v5, vcc
.LBB259_5:                              ;   in Loop: Header=BB259_3 Depth=1
	s_andn2_saveexec_b64 s[0:1], s[22:23]
	s_cbranch_execz .LBB259_7
; %bb.6:                                ;   in Loop: Header=BB259_3 Depth=1
	s_sub_i32 s22, 0, s8
	v_mul_lo_u32 v5, s22, v16
	v_mul_hi_u32 v5, v16, v5
	v_add_u32_e32 v5, v16, v5
	v_mul_hi_u32 v5, v0, v5
	v_mul_lo_u32 v8, v5, s8
	v_sub_u32_e32 v8, v0, v8
	v_subrev_u32_e32 v9, s8, v8
	v_cmp_le_u32_e32 vcc, s8, v8
	s_nop 1
	v_cndmask_b32_e32 v8, v8, v9, vcc
	v_add_u32_e32 v9, 1, v5
	v_cndmask_b32_e32 v5, v5, v9, vcc
	v_add_u32_e32 v9, 1, v5
	v_cmp_le_u32_e32 vcc, s8, v8
	s_nop 1
	v_cndmask_b32_e32 v8, v5, v9, vcc
	v_mov_b32_e32 v9, v4
.LBB259_7:                              ;   in Loop: Header=BB259_3 Depth=1
	s_or_b64 exec, exec, s[0:1]
	v_mul_lo_u32 v5, v9, s8
	v_mul_lo_u32 v12, v8, s9
	v_mad_u64_u32 v[10:11], s[0:1], v8, s8, 0
	v_add3_u32 v5, v11, v12, v5
	v_sub_co_u32_e32 v10, vcc, v0, v10
	s_cmpk_lt_i32 s6, 0x7a
	s_nop 0
	v_subb_co_u32_e32 v11, vcc, v1, v5, vcc
	s_cbranch_scc1 .LBB259_10
; %bb.8:                                ;   in Loop: Header=BB259_3 Depth=1
	s_mov_b64 s[0:1], 0
	s_cmpk_eq_i32 s6, 0x7a
	s_mov_b64 s[22:23], 0
                                        ; implicit-def: $vgpr12_vgpr13
	s_cbranch_scc0 .LBB259_11
; %bb.9:                                ;   in Loop: Header=BB259_3 Depth=1
	v_lshlrev_b64 v[12:13], 3, v[10:11]
	v_mov_b32_e32 v5, s26
	v_sub_co_u32_e32 v20, vcc, s7, v12
	v_cvt_f64_u32_e32 v[20:21], v20
	s_nop 0
	v_subb_co_u32_e32 v5, vcc, v5, v13, vcc
	v_cvt_f64_u32_e32 v[12:13], v5
	v_ldexp_f64 v[12:13], v[12:13], 32
	v_add_f64 v[12:13], v[12:13], v[20:21]
	v_cmp_gt_f64_e32 vcc, s[20:21], v[12:13]
	s_nop 1
	v_cndmask_b32_e32 v5, 0, v18, vcc
	v_ldexp_f64 v[12:13], v[12:13], v5
	v_rsq_f64_e32 v[20:21], v[12:13]
	v_cndmask_b32_e32 v5, 0, v19, vcc
	v_cmp_class_f64_e32 vcc, v[12:13], v17
	v_mul_f64 v[22:23], v[12:13], v[20:21]
	v_mul_f64 v[20:21], v[20:21], 0.5
	v_fma_f64 v[24:25], -v[20:21], v[22:23], 0.5
	v_fmac_f64_e32 v[22:23], v[22:23], v[24:25]
	v_fma_f64 v[26:27], -v[22:23], v[22:23], v[12:13]
	v_fmac_f64_e32 v[20:21], v[20:21], v[24:25]
	v_fmac_f64_e32 v[22:23], v[26:27], v[20:21]
	v_fma_f64 v[24:25], -v[22:23], v[22:23], v[12:13]
	v_fmac_f64_e32 v[22:23], v[24:25], v[20:21]
	v_ldexp_f64 v[20:21], v[22:23], v5
	v_cndmask_b32_e32 v13, v21, v13, vcc
	v_cndmask_b32_e32 v12, v20, v12, vcc
	v_fma_f64 v[12:13], v[12:13], 0.5, -0.5
	v_floor_f64_e32 v[12:13], v[12:13]
	v_add_f64 v[12:13], v[2:3], -v[12:13]
	v_trunc_f64_e32 v[12:13], v[12:13]
	v_ldexp_f64 v[20:21], v[12:13], s27
	v_floor_f64_e32 v[20:21], v[20:21]
	v_fmac_f64_e32 v[12:13], 0xc1f00000, v[20:21]
	v_cvt_u32_f64_e32 v12, v[12:13]
	v_cvt_u32_f64_e32 v13, v[20:21]
	v_mov_b32_e32 v5, s15
	v_subrev_co_u32_e32 v20, vcc, s14, v10
	v_mul_lo_u32 v26, v8, s5
	s_nop 0
	v_subb_co_u32_e32 v21, vcc, v11, v5, vcc
	v_mov_b32_e32 v5, s24
	v_sub_co_u32_e32 v22, vcc, s25, v12
	v_mul_lo_u32 v28, v13, s2
	s_nop 0
	v_subb_co_u32_e32 v23, vcc, v5, v13, vcc
	v_lshl_add_u64 v[24:25], v[22:23], 0, -1
	v_mul_lo_u32 v5, v25, v22
	v_mul_lo_u32 v25, v24, v23
	v_mad_u64_u32 v[22:23], s[22:23], v24, v22, 0
	v_add3_u32 v23, v23, v25, v5
	v_mul_lo_u32 v5, v9, s4
	v_mad_u64_u32 v[24:25], s[22:23], v8, s4, 0
	v_add3_u32 v25, v25, v26, v5
	;; [unrolled: 3-line block ×3, first 2 shown]
	v_lshl_add_u64 v[24:25], v[24:25], 4, s[12:13]
	v_lshl_add_u64 v[24:25], v[26:27], 4, v[24:25]
	;; [unrolled: 1-line block ×4, first 2 shown]
	v_lshlrev_b64 v[20:21], 3, v[22:23]
	v_and_b32_e32 v20, -16, v20
	v_lshl_add_u64 v[20:21], v[12:13], 0, v[20:21]
	v_lshl_add_u64 v[12:13], v[20:21], 0, 16
	flat_store_dwordx2 v[20:21], v[6:7] offset:16
	s_mov_b64 s[22:23], -1
	s_branch .LBB259_11
.LBB259_10:                             ;   in Loop: Header=BB259_3 Depth=1
	s_mov_b64 s[0:1], -1
	s_mov_b64 s[22:23], 0
                                        ; implicit-def: $vgpr12_vgpr13
.LBB259_11:                             ;   in Loop: Header=BB259_3 Depth=1
	s_and_b64 vcc, exec, s[0:1]
	s_cbranch_vccz .LBB259_14
; %bb.12:                               ;   in Loop: Header=BB259_3 Depth=1
	s_cmpk_eq_i32 s6, 0x79
                                        ; implicit-def: $vgpr12_vgpr13
	s_cbranch_scc0 .LBB259_14
; %bb.13:                               ;   in Loop: Header=BB259_3 Depth=1
	v_lshlrev_b64 v[12:13], 3, v[10:11]
	v_or_b32_e32 v5, 1, v12
	v_cvt_f64_u32_e32 v[12:13], v13
	v_ldexp_f64 v[12:13], v[12:13], 32
	v_cvt_f64_u32_e32 v[20:21], v5
	v_add_f64 v[12:13], v[12:13], v[20:21]
	v_cmp_gt_f64_e32 vcc, s[20:21], v[12:13]
	s_mov_b64 s[22:23], -1
	s_nop 0
	v_cndmask_b32_e32 v5, 0, v18, vcc
	v_ldexp_f64 v[12:13], v[12:13], v5
	v_rsq_f64_e32 v[20:21], v[12:13]
	v_cndmask_b32_e32 v5, 0, v19, vcc
	v_cmp_class_f64_e32 vcc, v[12:13], v17
	v_mul_f64 v[22:23], v[12:13], v[20:21]
	v_mul_f64 v[20:21], v[20:21], 0.5
	v_fma_f64 v[24:25], -v[20:21], v[22:23], 0.5
	v_fmac_f64_e32 v[22:23], v[22:23], v[24:25]
	v_fma_f64 v[26:27], -v[22:23], v[22:23], v[12:13]
	v_fmac_f64_e32 v[20:21], v[20:21], v[24:25]
	v_fmac_f64_e32 v[22:23], v[26:27], v[20:21]
	v_fma_f64 v[24:25], -v[22:23], v[22:23], v[12:13]
	v_fmac_f64_e32 v[22:23], v[24:25], v[20:21]
	v_ldexp_f64 v[20:21], v[22:23], v5
	v_cndmask_b32_e32 v13, v21, v13, vcc
	v_cndmask_b32_e32 v12, v20, v12, vcc
	v_add_f64 v[12:13], v[12:13], -1.0
	v_mul_f64 v[12:13], v[12:13], 0.5
	v_trunc_f64_e32 v[12:13], v[12:13]
	v_ldexp_f64 v[20:21], v[12:13], s27
	v_floor_f64_e32 v[20:21], v[20:21]
	v_fmac_f64_e32 v[12:13], 0xc1f00000, v[20:21]
	v_cvt_u32_f64_e32 v12, v[12:13]
	v_cvt_u32_f64_e32 v13, v[20:21]
	v_mad_u64_u32 v[20:21], s[0:1], v12, v12, v[12:13]
	v_mul_lo_u32 v5, v12, v13
	v_add3_u32 v21, v5, v21, v5
	v_lshrrev_b64 v[20:21], 1, v[20:21]
	v_sub_co_u32_e32 v10, vcc, v10, v20
	v_mul_lo_u32 v5, v9, s4
	v_mul_lo_u32 v20, v8, s5
	v_mad_u64_u32 v[8:9], s[0:1], v8, s4, 0
	v_subb_co_u32_e32 v11, vcc, v11, v21, vcc
	v_add3_u32 v9, v9, v20, v5
	v_mov_b64_e32 v[20:21], s[2:3]
	v_mul_lo_u32 v5, s3, v12
	v_mad_u64_u32 v[20:21], s[0:1], s2, v12, v[20:21]
	v_mul_lo_u32 v12, s2, v13
	v_add3_u32 v21, v5, v21, v12
	v_lshl_add_u64 v[8:9], v[8:9], 4, s[12:13]
	v_lshl_add_u64 v[8:9], v[20:21], 4, v[8:9]
	v_lshl_add_u64 v[12:13], v[10:11], 4, v[8:9]
	flat_store_dwordx2 v[12:13], v[6:7]
.LBB259_14:                             ;   in Loop: Header=BB259_3 Depth=1
	s_and_b64 vcc, exec, s[22:23]
	s_cbranch_vccz .LBB259_2
; %bb.15:                               ;   in Loop: Header=BB259_3 Depth=1
	flat_store_dwordx2 v[12:13], v[6:7] offset:8
	s_branch .LBB259_2
.LBB259_16:
	s_endpgm
	.section	.rodata,"a",@progbits
	.p2align	6, 0x0
	.amdhsa_kernel _ZL18rocblas_trtri_fillILi128E19rocblas_complex_numIdEPKPS1_EvP15_rocblas_handle13rocblas_fill_ililT1_llii
		.amdhsa_group_segment_fixed_size 0
		.amdhsa_private_segment_fixed_size 0
		.amdhsa_kernarg_size 328
		.amdhsa_user_sgpr_count 2
		.amdhsa_user_sgpr_dispatch_ptr 0
		.amdhsa_user_sgpr_queue_ptr 0
		.amdhsa_user_sgpr_kernarg_segment_ptr 1
		.amdhsa_user_sgpr_dispatch_id 0
		.amdhsa_user_sgpr_kernarg_preload_length 0
		.amdhsa_user_sgpr_kernarg_preload_offset 0
		.amdhsa_user_sgpr_private_segment_size 0
		.amdhsa_uses_dynamic_stack 0
		.amdhsa_enable_private_segment 0
		.amdhsa_system_sgpr_workgroup_id_x 1
		.amdhsa_system_sgpr_workgroup_id_y 0
		.amdhsa_system_sgpr_workgroup_id_z 1
		.amdhsa_system_sgpr_workgroup_info 0
		.amdhsa_system_vgpr_workitem_id 0
		.amdhsa_next_free_vgpr 29
		.amdhsa_next_free_sgpr 37
		.amdhsa_accum_offset 32
		.amdhsa_reserve_vcc 1
		.amdhsa_float_round_mode_32 0
		.amdhsa_float_round_mode_16_64 0
		.amdhsa_float_denorm_mode_32 3
		.amdhsa_float_denorm_mode_16_64 3
		.amdhsa_dx10_clamp 1
		.amdhsa_ieee_mode 1
		.amdhsa_fp16_overflow 0
		.amdhsa_tg_split 0
		.amdhsa_exception_fp_ieee_invalid_op 0
		.amdhsa_exception_fp_denorm_src 0
		.amdhsa_exception_fp_ieee_div_zero 0
		.amdhsa_exception_fp_ieee_overflow 0
		.amdhsa_exception_fp_ieee_underflow 0
		.amdhsa_exception_fp_ieee_inexact 0
		.amdhsa_exception_int_div_zero 0
	.end_amdhsa_kernel
	.section	.text._ZL18rocblas_trtri_fillILi128E19rocblas_complex_numIdEPKPS1_EvP15_rocblas_handle13rocblas_fill_ililT1_llii,"axG",@progbits,_ZL18rocblas_trtri_fillILi128E19rocblas_complex_numIdEPKPS1_EvP15_rocblas_handle13rocblas_fill_ililT1_llii,comdat
.Lfunc_end259:
	.size	_ZL18rocblas_trtri_fillILi128E19rocblas_complex_numIdEPKPS1_EvP15_rocblas_handle13rocblas_fill_ililT1_llii, .Lfunc_end259-_ZL18rocblas_trtri_fillILi128E19rocblas_complex_numIdEPKPS1_EvP15_rocblas_handle13rocblas_fill_ililT1_llii
                                        ; -- End function
	.set _ZL18rocblas_trtri_fillILi128E19rocblas_complex_numIdEPKPS1_EvP15_rocblas_handle13rocblas_fill_ililT1_llii.num_vgpr, 29
	.set _ZL18rocblas_trtri_fillILi128E19rocblas_complex_numIdEPKPS1_EvP15_rocblas_handle13rocblas_fill_ililT1_llii.num_agpr, 0
	.set _ZL18rocblas_trtri_fillILi128E19rocblas_complex_numIdEPKPS1_EvP15_rocblas_handle13rocblas_fill_ililT1_llii.numbered_sgpr, 37
	.set _ZL18rocblas_trtri_fillILi128E19rocblas_complex_numIdEPKPS1_EvP15_rocblas_handle13rocblas_fill_ililT1_llii.num_named_barrier, 0
	.set _ZL18rocblas_trtri_fillILi128E19rocblas_complex_numIdEPKPS1_EvP15_rocblas_handle13rocblas_fill_ililT1_llii.private_seg_size, 0
	.set _ZL18rocblas_trtri_fillILi128E19rocblas_complex_numIdEPKPS1_EvP15_rocblas_handle13rocblas_fill_ililT1_llii.uses_vcc, 1
	.set _ZL18rocblas_trtri_fillILi128E19rocblas_complex_numIdEPKPS1_EvP15_rocblas_handle13rocblas_fill_ililT1_llii.uses_flat_scratch, 0
	.set _ZL18rocblas_trtri_fillILi128E19rocblas_complex_numIdEPKPS1_EvP15_rocblas_handle13rocblas_fill_ililT1_llii.has_dyn_sized_stack, 0
	.set _ZL18rocblas_trtri_fillILi128E19rocblas_complex_numIdEPKPS1_EvP15_rocblas_handle13rocblas_fill_ililT1_llii.has_recursion, 0
	.set _ZL18rocblas_trtri_fillILi128E19rocblas_complex_numIdEPKPS1_EvP15_rocblas_handle13rocblas_fill_ililT1_llii.has_indirect_call, 0
	.section	.AMDGPU.csdata,"",@progbits
; Kernel info:
; codeLenInByte = 1904
; TotalNumSgprs: 43
; NumVgprs: 29
; NumAgprs: 0
; TotalNumVgprs: 29
; ScratchSize: 0
; MemoryBound: 0
; FloatMode: 240
; IeeeMode: 1
; LDSByteSize: 0 bytes/workgroup (compile time only)
; SGPRBlocks: 5
; VGPRBlocks: 3
; NumSGPRsForWavesPerEU: 43
; NumVGPRsForWavesPerEU: 29
; AccumOffset: 32
; Occupancy: 8
; WaveLimiterHint : 1
; COMPUTE_PGM_RSRC2:SCRATCH_EN: 0
; COMPUTE_PGM_RSRC2:USER_SGPR: 2
; COMPUTE_PGM_RSRC2:TRAP_HANDLER: 0
; COMPUTE_PGM_RSRC2:TGID_X_EN: 1
; COMPUTE_PGM_RSRC2:TGID_Y_EN: 0
; COMPUTE_PGM_RSRC2:TGID_Z_EN: 1
; COMPUTE_PGM_RSRC2:TIDIG_COMP_CNT: 0
; COMPUTE_PGM_RSRC3_GFX90A:ACCUM_OFFSET: 7
; COMPUTE_PGM_RSRC3_GFX90A:TG_SPLIT: 0
	.section	.text._ZL24rocblas_copy_matrix_trsmILi128ELi8E19rocblas_complex_numIdEPKPKS1_PKPS1_EviiiT2_ilT3_illli,"axG",@progbits,_ZL24rocblas_copy_matrix_trsmILi128ELi8E19rocblas_complex_numIdEPKPKS1_PKPS1_EviiiT2_ilT3_illli,comdat
	.globl	_ZL24rocblas_copy_matrix_trsmILi128ELi8E19rocblas_complex_numIdEPKPKS1_PKPS1_EviiiT2_ilT3_illli ; -- Begin function _ZL24rocblas_copy_matrix_trsmILi128ELi8E19rocblas_complex_numIdEPKPKS1_PKPS1_EviiiT2_ilT3_illli
	.p2align	8
	.type	_ZL24rocblas_copy_matrix_trsmILi128ELi8E19rocblas_complex_numIdEPKPKS1_PKPS1_EviiiT2_ilT3_illli,@function
_ZL24rocblas_copy_matrix_trsmILi128ELi8E19rocblas_complex_numIdEPKPKS1_PKPS1_EviiiT2_ilT3_illli: ; @_ZL24rocblas_copy_matrix_trsmILi128ELi8E19rocblas_complex_numIdEPKPKS1_PKPS1_EviiiT2_ilT3_illli
; %bb.0:
	s_load_dwordx2 s[8:9], s[0:1], 0x0
	v_and_b32_e32 v1, 0x3ff, v0
	v_mov_b32_e32 v3, 0
	v_bfe_u32 v0, v0, 10, 10
	v_lshl_add_u32 v2, s2, 7, v1
	v_lshl_add_u32 v0, s3, 3, v0
	v_mov_b32_e32 v1, v3
	s_waitcnt lgkmcnt(0)
	s_ashr_i32 s7, s9, 31
	s_mov_b32 s6, s9
	s_ashr_i32 s9, s8, 31
	v_cmp_gt_u64_e32 vcc, s[8:9], v[2:3]
	v_cmp_gt_u64_e64 s[2:3], s[6:7], v[0:1]
	s_and_b64 s[2:3], vcc, s[2:3]
	s_and_saveexec_b64 s[8:9], s[2:3]
	s_cbranch_execz .LBB260_3
; %bb.1:
	s_load_dword s18, s[0:1], 0x18
	s_load_dword s19, s[0:1], 0x30
	s_load_dwordx2 s[2:3], s[0:1], 0x10
	s_load_dwordx2 s[12:13], s[0:1], 0x28
	s_mov_b32 s5, 0
	s_waitcnt lgkmcnt(0)
	s_ashr_i32 s20, s18, 31
	s_ashr_i32 s21, s19, 31
	s_lshl_b64 s[14:15], s[4:5], 3
	s_add_u32 s2, s2, s14
	s_addc_u32 s3, s3, s15
	s_load_dwordx4 s[8:11], s[0:1], 0x40
	s_load_dword s4, s[0:1], 0x5c
	s_load_dwordx2 s[16:17], s[2:3], 0x0
	v_mad_u64_u32 v[4:5], s[2:3], s19, v0, 0
	v_mov_b32_e32 v6, v5
	s_add_u32 s0, s12, s14
	v_mad_u64_u32 v[6:7], s[2:3], s21, v0, v[6:7]
	s_addc_u32 s1, s13, s15
	v_mov_b32_e32 v5, v6
	s_waitcnt lgkmcnt(0)
	s_lshl_b64 s[2:3], s[10:11], 4
	s_load_dwordx2 s[0:1], s[0:1], 0x0
	v_lshl_add_u64 v[4:5], v[4:5], 4, s[2:3]
	v_lshlrev_b64 v[6:7], 4, v[2:3]
	v_lshl_add_u64 v[2:3], v[4:5], 0, v[6:7]
	v_mad_u64_u32 v[4:5], s[2:3], s18, v0, 0
	v_mov_b32_e32 v8, v5
	v_mad_u64_u32 v[8:9], s[2:3], s20, v0, v[8:9]
	s_lshl_b32 s4, s4, 3
	v_mov_b32_e32 v5, v8
	s_lshl_b64 s[2:3], s[8:9], 4
	s_waitcnt lgkmcnt(0)
	v_lshl_add_u64 v[2:3], s[0:1], 0, v[2:3]
	s_mul_i32 s21, s21, s4
	s_mul_hi_u32 s0, s19, s4
	v_lshl_add_u64 v[4:5], v[4:5], 4, s[2:3]
	s_mul_i32 s20, s20, s4
	s_mul_hi_u32 s2, s18, s4
	s_add_i32 s1, s0, s21
	s_mul_i32 s0, s19, s4
	v_lshl_add_u64 v[4:5], v[4:5], 0, v[6:7]
	s_add_i32 s3, s2, s20
	s_mul_i32 s2, s18, s4
	s_lshl_b64 s[0:1], s[0:1], 4
	v_lshl_add_u64 v[4:5], s[16:17], 0, v[4:5]
	s_lshl_b64 s[2:3], s[2:3], 4
	s_mov_b64 s[8:9], 0
.LBB260_2:                              ; =>This Inner Loop Header: Depth=1
	flat_load_dwordx4 v[6:9], v[4:5]
	v_lshl_add_u64 v[0:1], v[0:1], 0, s[4:5]
	v_cmp_le_u64_e32 vcc, s[6:7], v[0:1]
	v_lshl_add_u64 v[4:5], v[4:5], 0, s[2:3]
	s_or_b64 s[8:9], vcc, s[8:9]
	s_waitcnt vmcnt(0) lgkmcnt(0)
	flat_store_dwordx4 v[2:3], v[6:9]
	v_lshl_add_u64 v[2:3], v[2:3], 0, s[0:1]
	s_andn2_b64 exec, exec, s[8:9]
	s_cbranch_execnz .LBB260_2
.LBB260_3:
	s_endpgm
	.section	.rodata,"a",@progbits
	.p2align	6, 0x0
	.amdhsa_kernel _ZL24rocblas_copy_matrix_trsmILi128ELi8E19rocblas_complex_numIdEPKPKS1_PKPS1_EviiiT2_ilT3_illli
		.amdhsa_group_segment_fixed_size 0
		.amdhsa_private_segment_fixed_size 0
		.amdhsa_kernarg_size 344
		.amdhsa_user_sgpr_count 2
		.amdhsa_user_sgpr_dispatch_ptr 0
		.amdhsa_user_sgpr_queue_ptr 0
		.amdhsa_user_sgpr_kernarg_segment_ptr 1
		.amdhsa_user_sgpr_dispatch_id 0
		.amdhsa_user_sgpr_kernarg_preload_length 0
		.amdhsa_user_sgpr_kernarg_preload_offset 0
		.amdhsa_user_sgpr_private_segment_size 0
		.amdhsa_uses_dynamic_stack 0
		.amdhsa_enable_private_segment 0
		.amdhsa_system_sgpr_workgroup_id_x 1
		.amdhsa_system_sgpr_workgroup_id_y 1
		.amdhsa_system_sgpr_workgroup_id_z 1
		.amdhsa_system_sgpr_workgroup_info 0
		.amdhsa_system_vgpr_workitem_id 1
		.amdhsa_next_free_vgpr 10
		.amdhsa_next_free_sgpr 22
		.amdhsa_accum_offset 12
		.amdhsa_reserve_vcc 1
		.amdhsa_float_round_mode_32 0
		.amdhsa_float_round_mode_16_64 0
		.amdhsa_float_denorm_mode_32 3
		.amdhsa_float_denorm_mode_16_64 3
		.amdhsa_dx10_clamp 1
		.amdhsa_ieee_mode 1
		.amdhsa_fp16_overflow 0
		.amdhsa_tg_split 0
		.amdhsa_exception_fp_ieee_invalid_op 0
		.amdhsa_exception_fp_denorm_src 0
		.amdhsa_exception_fp_ieee_div_zero 0
		.amdhsa_exception_fp_ieee_overflow 0
		.amdhsa_exception_fp_ieee_underflow 0
		.amdhsa_exception_fp_ieee_inexact 0
		.amdhsa_exception_int_div_zero 0
	.end_amdhsa_kernel
	.section	.text._ZL24rocblas_copy_matrix_trsmILi128ELi8E19rocblas_complex_numIdEPKPKS1_PKPS1_EviiiT2_ilT3_illli,"axG",@progbits,_ZL24rocblas_copy_matrix_trsmILi128ELi8E19rocblas_complex_numIdEPKPKS1_PKPS1_EviiiT2_ilT3_illli,comdat
.Lfunc_end260:
	.size	_ZL24rocblas_copy_matrix_trsmILi128ELi8E19rocblas_complex_numIdEPKPKS1_PKPS1_EviiiT2_ilT3_illli, .Lfunc_end260-_ZL24rocblas_copy_matrix_trsmILi128ELi8E19rocblas_complex_numIdEPKPKS1_PKPS1_EviiiT2_ilT3_illli
                                        ; -- End function
	.set _ZL24rocblas_copy_matrix_trsmILi128ELi8E19rocblas_complex_numIdEPKPKS1_PKPS1_EviiiT2_ilT3_illli.num_vgpr, 10
	.set _ZL24rocblas_copy_matrix_trsmILi128ELi8E19rocblas_complex_numIdEPKPKS1_PKPS1_EviiiT2_ilT3_illli.num_agpr, 0
	.set _ZL24rocblas_copy_matrix_trsmILi128ELi8E19rocblas_complex_numIdEPKPKS1_PKPS1_EviiiT2_ilT3_illli.numbered_sgpr, 22
	.set _ZL24rocblas_copy_matrix_trsmILi128ELi8E19rocblas_complex_numIdEPKPKS1_PKPS1_EviiiT2_ilT3_illli.num_named_barrier, 0
	.set _ZL24rocblas_copy_matrix_trsmILi128ELi8E19rocblas_complex_numIdEPKPKS1_PKPS1_EviiiT2_ilT3_illli.private_seg_size, 0
	.set _ZL24rocblas_copy_matrix_trsmILi128ELi8E19rocblas_complex_numIdEPKPKS1_PKPS1_EviiiT2_ilT3_illli.uses_vcc, 1
	.set _ZL24rocblas_copy_matrix_trsmILi128ELi8E19rocblas_complex_numIdEPKPKS1_PKPS1_EviiiT2_ilT3_illli.uses_flat_scratch, 0
	.set _ZL24rocblas_copy_matrix_trsmILi128ELi8E19rocblas_complex_numIdEPKPKS1_PKPS1_EviiiT2_ilT3_illli.has_dyn_sized_stack, 0
	.set _ZL24rocblas_copy_matrix_trsmILi128ELi8E19rocblas_complex_numIdEPKPKS1_PKPS1_EviiiT2_ilT3_illli.has_recursion, 0
	.set _ZL24rocblas_copy_matrix_trsmILi128ELi8E19rocblas_complex_numIdEPKPKS1_PKPS1_EviiiT2_ilT3_illli.has_indirect_call, 0
	.section	.AMDGPU.csdata,"",@progbits
; Kernel info:
; codeLenInByte = 420
; TotalNumSgprs: 28
; NumVgprs: 10
; NumAgprs: 0
; TotalNumVgprs: 10
; ScratchSize: 0
; MemoryBound: 0
; FloatMode: 240
; IeeeMode: 1
; LDSByteSize: 0 bytes/workgroup (compile time only)
; SGPRBlocks: 3
; VGPRBlocks: 1
; NumSGPRsForWavesPerEU: 28
; NumVGPRsForWavesPerEU: 10
; AccumOffset: 12
; Occupancy: 8
; WaveLimiterHint : 0
; COMPUTE_PGM_RSRC2:SCRATCH_EN: 0
; COMPUTE_PGM_RSRC2:USER_SGPR: 2
; COMPUTE_PGM_RSRC2:TRAP_HANDLER: 0
; COMPUTE_PGM_RSRC2:TGID_X_EN: 1
; COMPUTE_PGM_RSRC2:TGID_Y_EN: 1
; COMPUTE_PGM_RSRC2:TGID_Z_EN: 1
; COMPUTE_PGM_RSRC2:TIDIG_COMP_CNT: 1
; COMPUTE_PGM_RSRC3_GFX90A:ACCUM_OFFSET: 2
; COMPUTE_PGM_RSRC3_GFX90A:TG_SPLIT: 0
	.section	.AMDGPU.gpr_maximums,"",@progbits
	.set amdgpu.max_num_vgpr, 0
	.set amdgpu.max_num_agpr, 0
	.set amdgpu.max_num_sgpr, 0
	.section	.AMDGPU.csdata,"",@progbits
	.type	__const._ZL30rocblas_trsm_small_left_deviceILi4ELi4ELb0E19rocblas_complex_numIfES1_PKPKS1_PKPS1_Ev13rocblas_fill_18rocblas_operation_17rocblas_diagonal_iiT3_T4_lilT5_lili.step_sizes,@object ; @__const._ZL30rocblas_trsm_small_left_deviceILi4ELi4ELb0E19rocblas_complex_numIfES1_PKPKS1_PKPS1_Ev13rocblas_fill_18rocblas_operation_17rocblas_diagonal_iiT3_T4_lilT5_lili.step_sizes
	.section	.rodata,"a",@progbits
	.p2align	2, 0x0
__const._ZL30rocblas_trsm_small_left_deviceILi4ELi4ELb0E19rocblas_complex_numIfES1_PKPKS1_PKPS1_Ev13rocblas_fill_18rocblas_operation_17rocblas_diagonal_iiT3_T4_lilT5_lili.step_sizes:
	.long	4                               ; 0x4
	.long	1                               ; 0x1
	;; [unrolled: 1-line block ×3, first 2 shown]
	.size	__const._ZL30rocblas_trsm_small_left_deviceILi4ELi4ELb0E19rocblas_complex_numIfES1_PKPKS1_PKPS1_Ev13rocblas_fill_18rocblas_operation_17rocblas_diagonal_iiT3_T4_lilT5_lili.step_sizes, 12

	.type	__const._ZL30rocblas_trsm_small_left_deviceILi4ELi4ELb1E19rocblas_complex_numIfES1_PKPKS1_PKPS1_Ev13rocblas_fill_18rocblas_operation_17rocblas_diagonal_iiT3_T4_lilT5_lili.step_sizes,@object ; @__const._ZL30rocblas_trsm_small_left_deviceILi4ELi4ELb1E19rocblas_complex_numIfES1_PKPKS1_PKPS1_Ev13rocblas_fill_18rocblas_operation_17rocblas_diagonal_iiT3_T4_lilT5_lili.step_sizes
	.p2align	2, 0x0
__const._ZL30rocblas_trsm_small_left_deviceILi4ELi4ELb1E19rocblas_complex_numIfES1_PKPKS1_PKPS1_Ev13rocblas_fill_18rocblas_operation_17rocblas_diagonal_iiT3_T4_lilT5_lili.step_sizes:
	.long	4                               ; 0x4
	.long	1                               ; 0x1
	.long	1                               ; 0x1
	.size	__const._ZL30rocblas_trsm_small_left_deviceILi4ELi4ELb1E19rocblas_complex_numIfES1_PKPKS1_PKPS1_Ev13rocblas_fill_18rocblas_operation_17rocblas_diagonal_iiT3_T4_lilT5_lili.step_sizes, 12

	.type	__const._ZL30rocblas_trsm_small_left_deviceILi8ELi8ELb0E19rocblas_complex_numIfES1_PKPKS1_PKPS1_Ev13rocblas_fill_18rocblas_operation_17rocblas_diagonal_iiT3_T4_lilT5_lili.step_sizes,@object ; @__const._ZL30rocblas_trsm_small_left_deviceILi8ELi8ELb0E19rocblas_complex_numIfES1_PKPKS1_PKPS1_Ev13rocblas_fill_18rocblas_operation_17rocblas_diagonal_iiT3_T4_lilT5_lili.step_sizes
	.p2align	2, 0x0
__const._ZL30rocblas_trsm_small_left_deviceILi8ELi8ELb0E19rocblas_complex_numIfES1_PKPKS1_PKPS1_Ev13rocblas_fill_18rocblas_operation_17rocblas_diagonal_iiT3_T4_lilT5_lili.step_sizes:
	.long	8                               ; 0x8
	.long	4                               ; 0x4
	;; [unrolled: 1-line block ×3, first 2 shown]
	.size	__const._ZL30rocblas_trsm_small_left_deviceILi8ELi8ELb0E19rocblas_complex_numIfES1_PKPKS1_PKPS1_Ev13rocblas_fill_18rocblas_operation_17rocblas_diagonal_iiT3_T4_lilT5_lili.step_sizes, 12

	.type	__const._ZL30rocblas_trsm_small_left_deviceILi8ELi8ELb1E19rocblas_complex_numIfES1_PKPKS1_PKPS1_Ev13rocblas_fill_18rocblas_operation_17rocblas_diagonal_iiT3_T4_lilT5_lili.step_sizes,@object ; @__const._ZL30rocblas_trsm_small_left_deviceILi8ELi8ELb1E19rocblas_complex_numIfES1_PKPKS1_PKPS1_Ev13rocblas_fill_18rocblas_operation_17rocblas_diagonal_iiT3_T4_lilT5_lili.step_sizes
	.p2align	2, 0x0
__const._ZL30rocblas_trsm_small_left_deviceILi8ELi8ELb1E19rocblas_complex_numIfES1_PKPKS1_PKPS1_Ev13rocblas_fill_18rocblas_operation_17rocblas_diagonal_iiT3_T4_lilT5_lili.step_sizes:
	.long	8                               ; 0x8
	.long	4                               ; 0x4
	;; [unrolled: 1-line block ×3, first 2 shown]
	.size	__const._ZL30rocblas_trsm_small_left_deviceILi8ELi8ELb1E19rocblas_complex_numIfES1_PKPKS1_PKPS1_Ev13rocblas_fill_18rocblas_operation_17rocblas_diagonal_iiT3_T4_lilT5_lili.step_sizes, 12

	.type	__const._ZL38rocblas_trsm_small_left_device_sharedBILi12ELi12ELb0E19rocblas_complex_numIfES1_PKPKS1_PKPS1_Ev13rocblas_fill_18rocblas_operation_17rocblas_diagonal_iiT3_T4_lilT5_lili.step_sizes,@object ; @__const._ZL38rocblas_trsm_small_left_device_sharedBILi12ELi12ELb0E19rocblas_complex_numIfES1_PKPKS1_PKPS1_Ev13rocblas_fill_18rocblas_operation_17rocblas_diagonal_iiT3_T4_lilT5_lili.step_sizes
	.p2align	2, 0x0
__const._ZL38rocblas_trsm_small_left_device_sharedBILi12ELi12ELb0E19rocblas_complex_numIfES1_PKPKS1_PKPS1_Ev13rocblas_fill_18rocblas_operation_17rocblas_diagonal_iiT3_T4_lilT5_lili.step_sizes:
	.long	12                              ; 0xc
	.long	8                               ; 0x8
	.long	1                               ; 0x1
	.size	__const._ZL38rocblas_trsm_small_left_device_sharedBILi12ELi12ELb0E19rocblas_complex_numIfES1_PKPKS1_PKPS1_Ev13rocblas_fill_18rocblas_operation_17rocblas_diagonal_iiT3_T4_lilT5_lili.step_sizes, 12

	.type	__const._ZL30rocblas_trsm_small_left_deviceILi12ELi12ELb0E19rocblas_complex_numIfES1_PKPKS1_PKPS1_Ev13rocblas_fill_18rocblas_operation_17rocblas_diagonal_iiT3_T4_lilT5_lili.step_sizes,@object ; @__const._ZL30rocblas_trsm_small_left_deviceILi12ELi12ELb0E19rocblas_complex_numIfES1_PKPKS1_PKPS1_Ev13rocblas_fill_18rocblas_operation_17rocblas_diagonal_iiT3_T4_lilT5_lili.step_sizes
	.p2align	2, 0x0
__const._ZL30rocblas_trsm_small_left_deviceILi12ELi12ELb0E19rocblas_complex_numIfES1_PKPKS1_PKPS1_Ev13rocblas_fill_18rocblas_operation_17rocblas_diagonal_iiT3_T4_lilT5_lili.step_sizes:
	.long	12                              ; 0xc
	.long	8                               ; 0x8
	.long	1                               ; 0x1
	.size	__const._ZL30rocblas_trsm_small_left_deviceILi12ELi12ELb0E19rocblas_complex_numIfES1_PKPKS1_PKPS1_Ev13rocblas_fill_18rocblas_operation_17rocblas_diagonal_iiT3_T4_lilT5_lili.step_sizes, 12

	.type	__const._ZL38rocblas_trsm_small_left_device_sharedBILi12ELi12ELb1E19rocblas_complex_numIfES1_PKPKS1_PKPS1_Ev13rocblas_fill_18rocblas_operation_17rocblas_diagonal_iiT3_T4_lilT5_lili.step_sizes,@object ; @__const._ZL38rocblas_trsm_small_left_device_sharedBILi12ELi12ELb1E19rocblas_complex_numIfES1_PKPKS1_PKPS1_Ev13rocblas_fill_18rocblas_operation_17rocblas_diagonal_iiT3_T4_lilT5_lili.step_sizes
	.p2align	2, 0x0
__const._ZL38rocblas_trsm_small_left_device_sharedBILi12ELi12ELb1E19rocblas_complex_numIfES1_PKPKS1_PKPS1_Ev13rocblas_fill_18rocblas_operation_17rocblas_diagonal_iiT3_T4_lilT5_lili.step_sizes:
	.long	12                              ; 0xc
	.long	8                               ; 0x8
	.long	1                               ; 0x1
	.size	__const._ZL38rocblas_trsm_small_left_device_sharedBILi12ELi12ELb1E19rocblas_complex_numIfES1_PKPKS1_PKPS1_Ev13rocblas_fill_18rocblas_operation_17rocblas_diagonal_iiT3_T4_lilT5_lili.step_sizes, 12

	.type	__const._ZL30rocblas_trsm_small_left_deviceILi12ELi12ELb1E19rocblas_complex_numIfES1_PKPKS1_PKPS1_Ev13rocblas_fill_18rocblas_operation_17rocblas_diagonal_iiT3_T4_lilT5_lili.step_sizes,@object ; @__const._ZL30rocblas_trsm_small_left_deviceILi12ELi12ELb1E19rocblas_complex_numIfES1_PKPKS1_PKPS1_Ev13rocblas_fill_18rocblas_operation_17rocblas_diagonal_iiT3_T4_lilT5_lili.step_sizes
	.p2align	2, 0x0
__const._ZL30rocblas_trsm_small_left_deviceILi12ELi12ELb1E19rocblas_complex_numIfES1_PKPKS1_PKPS1_Ev13rocblas_fill_18rocblas_operation_17rocblas_diagonal_iiT3_T4_lilT5_lili.step_sizes:
	.long	12                              ; 0xc
	.long	8                               ; 0x8
	.long	1                               ; 0x1
	.size	__const._ZL30rocblas_trsm_small_left_deviceILi12ELi12ELb1E19rocblas_complex_numIfES1_PKPKS1_PKPS1_Ev13rocblas_fill_18rocblas_operation_17rocblas_diagonal_iiT3_T4_lilT5_lili.step_sizes, 12

	.type	__const._ZL30rocblas_trsm_small_left_deviceILi16ELi16ELb0E19rocblas_complex_numIfES1_PKPKS1_PKPS1_Ev13rocblas_fill_18rocblas_operation_17rocblas_diagonal_iiT3_T4_lilT5_lili.step_sizes,@object ; @__const._ZL30rocblas_trsm_small_left_deviceILi16ELi16ELb0E19rocblas_complex_numIfES1_PKPKS1_PKPS1_Ev13rocblas_fill_18rocblas_operation_17rocblas_diagonal_iiT3_T4_lilT5_lili.step_sizes
	.p2align	2, 0x0
__const._ZL30rocblas_trsm_small_left_deviceILi16ELi16ELb0E19rocblas_complex_numIfES1_PKPKS1_PKPS1_Ev13rocblas_fill_18rocblas_operation_17rocblas_diagonal_iiT3_T4_lilT5_lili.step_sizes:
	.long	16                              ; 0x10
	.long	12                              ; 0xc
	.long	1                               ; 0x1
	.size	__const._ZL30rocblas_trsm_small_left_deviceILi16ELi16ELb0E19rocblas_complex_numIfES1_PKPKS1_PKPS1_Ev13rocblas_fill_18rocblas_operation_17rocblas_diagonal_iiT3_T4_lilT5_lili.step_sizes, 12

	.type	__const._ZL30rocblas_trsm_small_left_deviceILi16ELi16ELb1E19rocblas_complex_numIfES1_PKPKS1_PKPS1_Ev13rocblas_fill_18rocblas_operation_17rocblas_diagonal_iiT3_T4_lilT5_lili.step_sizes,@object ; @__const._ZL30rocblas_trsm_small_left_deviceILi16ELi16ELb1E19rocblas_complex_numIfES1_PKPKS1_PKPS1_Ev13rocblas_fill_18rocblas_operation_17rocblas_diagonal_iiT3_T4_lilT5_lili.step_sizes
	.p2align	2, 0x0
__const._ZL30rocblas_trsm_small_left_deviceILi16ELi16ELb1E19rocblas_complex_numIfES1_PKPKS1_PKPS1_Ev13rocblas_fill_18rocblas_operation_17rocblas_diagonal_iiT3_T4_lilT5_lili.step_sizes:
	.long	16                              ; 0x10
	.long	12                              ; 0xc
	.long	1                               ; 0x1
	.size	__const._ZL30rocblas_trsm_small_left_deviceILi16ELi16ELb1E19rocblas_complex_numIfES1_PKPKS1_PKPS1_Ev13rocblas_fill_18rocblas_operation_17rocblas_diagonal_iiT3_T4_lilT5_lili.step_sizes, 12

	.type	__const._ZL38rocblas_trsm_small_left_device_sharedBILi20ELi20ELb0E19rocblas_complex_numIfES1_PKPKS1_PKPS1_Ev13rocblas_fill_18rocblas_operation_17rocblas_diagonal_iiT3_T4_lilT5_lili.step_sizes,@object ; @__const._ZL38rocblas_trsm_small_left_device_sharedBILi20ELi20ELb0E19rocblas_complex_numIfES1_PKPKS1_PKPS1_Ev13rocblas_fill_18rocblas_operation_17rocblas_diagonal_iiT3_T4_lilT5_lili.step_sizes
	.p2align	2, 0x0
__const._ZL38rocblas_trsm_small_left_device_sharedBILi20ELi20ELb0E19rocblas_complex_numIfES1_PKPKS1_PKPS1_Ev13rocblas_fill_18rocblas_operation_17rocblas_diagonal_iiT3_T4_lilT5_lili.step_sizes:
	.long	20                              ; 0x14
	.long	16                              ; 0x10
	.long	1                               ; 0x1
	.size	__const._ZL38rocblas_trsm_small_left_device_sharedBILi20ELi20ELb0E19rocblas_complex_numIfES1_PKPKS1_PKPS1_Ev13rocblas_fill_18rocblas_operation_17rocblas_diagonal_iiT3_T4_lilT5_lili.step_sizes, 12

	.type	__const._ZL30rocblas_trsm_small_left_deviceILi20ELi20ELb0E19rocblas_complex_numIfES1_PKPKS1_PKPS1_Ev13rocblas_fill_18rocblas_operation_17rocblas_diagonal_iiT3_T4_lilT5_lili.step_sizes,@object ; @__const._ZL30rocblas_trsm_small_left_deviceILi20ELi20ELb0E19rocblas_complex_numIfES1_PKPKS1_PKPS1_Ev13rocblas_fill_18rocblas_operation_17rocblas_diagonal_iiT3_T4_lilT5_lili.step_sizes
	.p2align	2, 0x0
__const._ZL30rocblas_trsm_small_left_deviceILi20ELi20ELb0E19rocblas_complex_numIfES1_PKPKS1_PKPS1_Ev13rocblas_fill_18rocblas_operation_17rocblas_diagonal_iiT3_T4_lilT5_lili.step_sizes:
	.long	20                              ; 0x14
	.long	16                              ; 0x10
	.long	1                               ; 0x1
	.size	__const._ZL30rocblas_trsm_small_left_deviceILi20ELi20ELb0E19rocblas_complex_numIfES1_PKPKS1_PKPS1_Ev13rocblas_fill_18rocblas_operation_17rocblas_diagonal_iiT3_T4_lilT5_lili.step_sizes, 12

	.type	__const._ZL38rocblas_trsm_small_left_device_sharedBILi20ELi20ELb1E19rocblas_complex_numIfES1_PKPKS1_PKPS1_Ev13rocblas_fill_18rocblas_operation_17rocblas_diagonal_iiT3_T4_lilT5_lili.step_sizes,@object ; @__const._ZL38rocblas_trsm_small_left_device_sharedBILi20ELi20ELb1E19rocblas_complex_numIfES1_PKPKS1_PKPS1_Ev13rocblas_fill_18rocblas_operation_17rocblas_diagonal_iiT3_T4_lilT5_lili.step_sizes
	.p2align	2, 0x0
__const._ZL38rocblas_trsm_small_left_device_sharedBILi20ELi20ELb1E19rocblas_complex_numIfES1_PKPKS1_PKPS1_Ev13rocblas_fill_18rocblas_operation_17rocblas_diagonal_iiT3_T4_lilT5_lili.step_sizes:
	.long	20                              ; 0x14
	.long	16                              ; 0x10
	.long	1                               ; 0x1
	.size	__const._ZL38rocblas_trsm_small_left_device_sharedBILi20ELi20ELb1E19rocblas_complex_numIfES1_PKPKS1_PKPS1_Ev13rocblas_fill_18rocblas_operation_17rocblas_diagonal_iiT3_T4_lilT5_lili.step_sizes, 12

	.type	__const._ZL30rocblas_trsm_small_left_deviceILi20ELi20ELb1E19rocblas_complex_numIfES1_PKPKS1_PKPS1_Ev13rocblas_fill_18rocblas_operation_17rocblas_diagonal_iiT3_T4_lilT5_lili.step_sizes,@object ; @__const._ZL30rocblas_trsm_small_left_deviceILi20ELi20ELb1E19rocblas_complex_numIfES1_PKPKS1_PKPS1_Ev13rocblas_fill_18rocblas_operation_17rocblas_diagonal_iiT3_T4_lilT5_lili.step_sizes
	.p2align	2, 0x0
__const._ZL30rocblas_trsm_small_left_deviceILi20ELi20ELb1E19rocblas_complex_numIfES1_PKPKS1_PKPS1_Ev13rocblas_fill_18rocblas_operation_17rocblas_diagonal_iiT3_T4_lilT5_lili.step_sizes:
	.long	20                              ; 0x14
	.long	16                              ; 0x10
	.long	1                               ; 0x1
	.size	__const._ZL30rocblas_trsm_small_left_deviceILi20ELi20ELb1E19rocblas_complex_numIfES1_PKPKS1_PKPS1_Ev13rocblas_fill_18rocblas_operation_17rocblas_diagonal_iiT3_T4_lilT5_lili.step_sizes, 12

	.type	__const._ZL38rocblas_trsm_small_left_device_sharedBILi24ELi24ELb0E19rocblas_complex_numIfES1_PKPKS1_PKPS1_Ev13rocblas_fill_18rocblas_operation_17rocblas_diagonal_iiT3_T4_lilT5_lili.step_sizes,@object ; @__const._ZL38rocblas_trsm_small_left_device_sharedBILi24ELi24ELb0E19rocblas_complex_numIfES1_PKPKS1_PKPS1_Ev13rocblas_fill_18rocblas_operation_17rocblas_diagonal_iiT3_T4_lilT5_lili.step_sizes
	.p2align	2, 0x0
__const._ZL38rocblas_trsm_small_left_device_sharedBILi24ELi24ELb0E19rocblas_complex_numIfES1_PKPKS1_PKPS1_Ev13rocblas_fill_18rocblas_operation_17rocblas_diagonal_iiT3_T4_lilT5_lili.step_sizes:
	.long	24                              ; 0x18
	.long	20                              ; 0x14
	.long	1                               ; 0x1
	.size	__const._ZL38rocblas_trsm_small_left_device_sharedBILi24ELi24ELb0E19rocblas_complex_numIfES1_PKPKS1_PKPS1_Ev13rocblas_fill_18rocblas_operation_17rocblas_diagonal_iiT3_T4_lilT5_lili.step_sizes, 12

	.type	__const._ZL30rocblas_trsm_small_left_deviceILi24ELi24ELb0E19rocblas_complex_numIfES1_PKPKS1_PKPS1_Ev13rocblas_fill_18rocblas_operation_17rocblas_diagonal_iiT3_T4_lilT5_lili.step_sizes,@object ; @__const._ZL30rocblas_trsm_small_left_deviceILi24ELi24ELb0E19rocblas_complex_numIfES1_PKPKS1_PKPS1_Ev13rocblas_fill_18rocblas_operation_17rocblas_diagonal_iiT3_T4_lilT5_lili.step_sizes
	.p2align	2, 0x0
__const._ZL30rocblas_trsm_small_left_deviceILi24ELi24ELb0E19rocblas_complex_numIfES1_PKPKS1_PKPS1_Ev13rocblas_fill_18rocblas_operation_17rocblas_diagonal_iiT3_T4_lilT5_lili.step_sizes:
	.long	24                              ; 0x18
	.long	20                              ; 0x14
	.long	1                               ; 0x1
	.size	__const._ZL30rocblas_trsm_small_left_deviceILi24ELi24ELb0E19rocblas_complex_numIfES1_PKPKS1_PKPS1_Ev13rocblas_fill_18rocblas_operation_17rocblas_diagonal_iiT3_T4_lilT5_lili.step_sizes, 12

	.type	__const._ZL38rocblas_trsm_small_left_device_sharedBILi24ELi24ELb1E19rocblas_complex_numIfES1_PKPKS1_PKPS1_Ev13rocblas_fill_18rocblas_operation_17rocblas_diagonal_iiT3_T4_lilT5_lili.step_sizes,@object ; @__const._ZL38rocblas_trsm_small_left_device_sharedBILi24ELi24ELb1E19rocblas_complex_numIfES1_PKPKS1_PKPS1_Ev13rocblas_fill_18rocblas_operation_17rocblas_diagonal_iiT3_T4_lilT5_lili.step_sizes
	.p2align	2, 0x0
__const._ZL38rocblas_trsm_small_left_device_sharedBILi24ELi24ELb1E19rocblas_complex_numIfES1_PKPKS1_PKPS1_Ev13rocblas_fill_18rocblas_operation_17rocblas_diagonal_iiT3_T4_lilT5_lili.step_sizes:
	.long	24                              ; 0x18
	.long	20                              ; 0x14
	.long	1                               ; 0x1
	.size	__const._ZL38rocblas_trsm_small_left_device_sharedBILi24ELi24ELb1E19rocblas_complex_numIfES1_PKPKS1_PKPS1_Ev13rocblas_fill_18rocblas_operation_17rocblas_diagonal_iiT3_T4_lilT5_lili.step_sizes, 12

	.type	__const._ZL30rocblas_trsm_small_left_deviceILi24ELi24ELb1E19rocblas_complex_numIfES1_PKPKS1_PKPS1_Ev13rocblas_fill_18rocblas_operation_17rocblas_diagonal_iiT3_T4_lilT5_lili.step_sizes,@object ; @__const._ZL30rocblas_trsm_small_left_deviceILi24ELi24ELb1E19rocblas_complex_numIfES1_PKPKS1_PKPS1_Ev13rocblas_fill_18rocblas_operation_17rocblas_diagonal_iiT3_T4_lilT5_lili.step_sizes
	.p2align	2, 0x0
__const._ZL30rocblas_trsm_small_left_deviceILi24ELi24ELb1E19rocblas_complex_numIfES1_PKPKS1_PKPS1_Ev13rocblas_fill_18rocblas_operation_17rocblas_diagonal_iiT3_T4_lilT5_lili.step_sizes:
	.long	24                              ; 0x18
	.long	20                              ; 0x14
	.long	1                               ; 0x1
	.size	__const._ZL30rocblas_trsm_small_left_deviceILi24ELi24ELb1E19rocblas_complex_numIfES1_PKPKS1_PKPS1_Ev13rocblas_fill_18rocblas_operation_17rocblas_diagonal_iiT3_T4_lilT5_lili.step_sizes, 12

	.type	__const._ZL38rocblas_trsm_small_left_device_sharedBILi28ELi28ELb0E19rocblas_complex_numIfES1_PKPKS1_PKPS1_Ev13rocblas_fill_18rocblas_operation_17rocblas_diagonal_iiT3_T4_lilT5_lili.step_sizes,@object ; @__const._ZL38rocblas_trsm_small_left_device_sharedBILi28ELi28ELb0E19rocblas_complex_numIfES1_PKPKS1_PKPS1_Ev13rocblas_fill_18rocblas_operation_17rocblas_diagonal_iiT3_T4_lilT5_lili.step_sizes
	.p2align	2, 0x0
__const._ZL38rocblas_trsm_small_left_device_sharedBILi28ELi28ELb0E19rocblas_complex_numIfES1_PKPKS1_PKPS1_Ev13rocblas_fill_18rocblas_operation_17rocblas_diagonal_iiT3_T4_lilT5_lili.step_sizes:
	.long	28                              ; 0x1c
	.long	24                              ; 0x18
	.long	1                               ; 0x1
	.size	__const._ZL38rocblas_trsm_small_left_device_sharedBILi28ELi28ELb0E19rocblas_complex_numIfES1_PKPKS1_PKPS1_Ev13rocblas_fill_18rocblas_operation_17rocblas_diagonal_iiT3_T4_lilT5_lili.step_sizes, 12

	.type	__const._ZL30rocblas_trsm_small_left_deviceILi28ELi28ELb0E19rocblas_complex_numIfES1_PKPKS1_PKPS1_Ev13rocblas_fill_18rocblas_operation_17rocblas_diagonal_iiT3_T4_lilT5_lili.step_sizes,@object ; @__const._ZL30rocblas_trsm_small_left_deviceILi28ELi28ELb0E19rocblas_complex_numIfES1_PKPKS1_PKPS1_Ev13rocblas_fill_18rocblas_operation_17rocblas_diagonal_iiT3_T4_lilT5_lili.step_sizes
	.p2align	2, 0x0
__const._ZL30rocblas_trsm_small_left_deviceILi28ELi28ELb0E19rocblas_complex_numIfES1_PKPKS1_PKPS1_Ev13rocblas_fill_18rocblas_operation_17rocblas_diagonal_iiT3_T4_lilT5_lili.step_sizes:
	.long	28                              ; 0x1c
	.long	24                              ; 0x18
	.long	1                               ; 0x1
	.size	__const._ZL30rocblas_trsm_small_left_deviceILi28ELi28ELb0E19rocblas_complex_numIfES1_PKPKS1_PKPS1_Ev13rocblas_fill_18rocblas_operation_17rocblas_diagonal_iiT3_T4_lilT5_lili.step_sizes, 12

	.type	__const._ZL38rocblas_trsm_small_left_device_sharedBILi28ELi28ELb1E19rocblas_complex_numIfES1_PKPKS1_PKPS1_Ev13rocblas_fill_18rocblas_operation_17rocblas_diagonal_iiT3_T4_lilT5_lili.step_sizes,@object ; @__const._ZL38rocblas_trsm_small_left_device_sharedBILi28ELi28ELb1E19rocblas_complex_numIfES1_PKPKS1_PKPS1_Ev13rocblas_fill_18rocblas_operation_17rocblas_diagonal_iiT3_T4_lilT5_lili.step_sizes
	.p2align	2, 0x0
__const._ZL38rocblas_trsm_small_left_device_sharedBILi28ELi28ELb1E19rocblas_complex_numIfES1_PKPKS1_PKPS1_Ev13rocblas_fill_18rocblas_operation_17rocblas_diagonal_iiT3_T4_lilT5_lili.step_sizes:
	.long	28                              ; 0x1c
	.long	24                              ; 0x18
	.long	1                               ; 0x1
	.size	__const._ZL38rocblas_trsm_small_left_device_sharedBILi28ELi28ELb1E19rocblas_complex_numIfES1_PKPKS1_PKPS1_Ev13rocblas_fill_18rocblas_operation_17rocblas_diagonal_iiT3_T4_lilT5_lili.step_sizes, 12

	.type	__const._ZL30rocblas_trsm_small_left_deviceILi28ELi28ELb1E19rocblas_complex_numIfES1_PKPKS1_PKPS1_Ev13rocblas_fill_18rocblas_operation_17rocblas_diagonal_iiT3_T4_lilT5_lili.step_sizes,@object ; @__const._ZL30rocblas_trsm_small_left_deviceILi28ELi28ELb1E19rocblas_complex_numIfES1_PKPKS1_PKPS1_Ev13rocblas_fill_18rocblas_operation_17rocblas_diagonal_iiT3_T4_lilT5_lili.step_sizes
	.p2align	2, 0x0
__const._ZL30rocblas_trsm_small_left_deviceILi28ELi28ELb1E19rocblas_complex_numIfES1_PKPKS1_PKPS1_Ev13rocblas_fill_18rocblas_operation_17rocblas_diagonal_iiT3_T4_lilT5_lili.step_sizes:
	.long	28                              ; 0x1c
	.long	24                              ; 0x18
	.long	1                               ; 0x1
	.size	__const._ZL30rocblas_trsm_small_left_deviceILi28ELi28ELb1E19rocblas_complex_numIfES1_PKPKS1_PKPS1_Ev13rocblas_fill_18rocblas_operation_17rocblas_diagonal_iiT3_T4_lilT5_lili.step_sizes, 12

	.type	__const._ZL30rocblas_trsm_small_left_deviceILi32ELi32ELb0E19rocblas_complex_numIfES1_PKPKS1_PKPS1_Ev13rocblas_fill_18rocblas_operation_17rocblas_diagonal_iiT3_T4_lilT5_lili.step_sizes,@object ; @__const._ZL30rocblas_trsm_small_left_deviceILi32ELi32ELb0E19rocblas_complex_numIfES1_PKPKS1_PKPS1_Ev13rocblas_fill_18rocblas_operation_17rocblas_diagonal_iiT3_T4_lilT5_lili.step_sizes
	.p2align	2, 0x0
__const._ZL30rocblas_trsm_small_left_deviceILi32ELi32ELb0E19rocblas_complex_numIfES1_PKPKS1_PKPS1_Ev13rocblas_fill_18rocblas_operation_17rocblas_diagonal_iiT3_T4_lilT5_lili.step_sizes:
	.long	32                              ; 0x20
	.long	28                              ; 0x1c
	.long	1                               ; 0x1
	.size	__const._ZL30rocblas_trsm_small_left_deviceILi32ELi32ELb0E19rocblas_complex_numIfES1_PKPKS1_PKPS1_Ev13rocblas_fill_18rocblas_operation_17rocblas_diagonal_iiT3_T4_lilT5_lili.step_sizes, 12

	.type	__const._ZL30rocblas_trsm_small_left_deviceILi32ELi32ELb1E19rocblas_complex_numIfES1_PKPKS1_PKPS1_Ev13rocblas_fill_18rocblas_operation_17rocblas_diagonal_iiT3_T4_lilT5_lili.step_sizes,@object ; @__const._ZL30rocblas_trsm_small_left_deviceILi32ELi32ELb1E19rocblas_complex_numIfES1_PKPKS1_PKPS1_Ev13rocblas_fill_18rocblas_operation_17rocblas_diagonal_iiT3_T4_lilT5_lili.step_sizes
	.p2align	2, 0x0
__const._ZL30rocblas_trsm_small_left_deviceILi32ELi32ELb1E19rocblas_complex_numIfES1_PKPKS1_PKPS1_Ev13rocblas_fill_18rocblas_operation_17rocblas_diagonal_iiT3_T4_lilT5_lili.step_sizes:
	.long	32                              ; 0x20
	.long	28                              ; 0x1c
	.long	1                               ; 0x1
	.size	__const._ZL30rocblas_trsm_small_left_deviceILi32ELi32ELb1E19rocblas_complex_numIfES1_PKPKS1_PKPS1_Ev13rocblas_fill_18rocblas_operation_17rocblas_diagonal_iiT3_T4_lilT5_lili.step_sizes, 12

	.type	__const._ZL30rocblas_trsm_small_left_deviceILi64ELi32ELb0E19rocblas_complex_numIfES1_PKPKS1_PKPS1_Ev13rocblas_fill_18rocblas_operation_17rocblas_diagonal_iiT3_T4_lilT5_lili.step_sizes,@object ; @__const._ZL30rocblas_trsm_small_left_deviceILi64ELi32ELb0E19rocblas_complex_numIfES1_PKPKS1_PKPS1_Ev13rocblas_fill_18rocblas_operation_17rocblas_diagonal_iiT3_T4_lilT5_lili.step_sizes
	.p2align	2, 0x0
__const._ZL30rocblas_trsm_small_left_deviceILi64ELi32ELb0E19rocblas_complex_numIfES1_PKPKS1_PKPS1_Ev13rocblas_fill_18rocblas_operation_17rocblas_diagonal_iiT3_T4_lilT5_lili.step_sizes:
	.long	32                              ; 0x20
	.long	4                               ; 0x4
	.long	1                               ; 0x1
	.size	__const._ZL30rocblas_trsm_small_left_deviceILi64ELi32ELb0E19rocblas_complex_numIfES1_PKPKS1_PKPS1_Ev13rocblas_fill_18rocblas_operation_17rocblas_diagonal_iiT3_T4_lilT5_lili.step_sizes, 12

	.type	__const._ZL30rocblas_trsm_small_left_deviceILi64ELi32ELb1E19rocblas_complex_numIfES1_PKPKS1_PKPS1_Ev13rocblas_fill_18rocblas_operation_17rocblas_diagonal_iiT3_T4_lilT5_lili.step_sizes,@object ; @__const._ZL30rocblas_trsm_small_left_deviceILi64ELi32ELb1E19rocblas_complex_numIfES1_PKPKS1_PKPS1_Ev13rocblas_fill_18rocblas_operation_17rocblas_diagonal_iiT3_T4_lilT5_lili.step_sizes
	.p2align	2, 0x0
__const._ZL30rocblas_trsm_small_left_deviceILi64ELi32ELb1E19rocblas_complex_numIfES1_PKPKS1_PKPS1_Ev13rocblas_fill_18rocblas_operation_17rocblas_diagonal_iiT3_T4_lilT5_lili.step_sizes:
	.long	32                              ; 0x20
	.long	4                               ; 0x4
	.long	1                               ; 0x1
	.size	__const._ZL30rocblas_trsm_small_left_deviceILi64ELi32ELb1E19rocblas_complex_numIfES1_PKPKS1_PKPS1_Ev13rocblas_fill_18rocblas_operation_17rocblas_diagonal_iiT3_T4_lilT5_lili.step_sizes, 12

	.type	__const._ZL30rocblas_trsm_small_left_deviceILi4ELi4ELb0E19rocblas_complex_numIdES1_PKPKS1_PKPS1_Ev13rocblas_fill_18rocblas_operation_17rocblas_diagonal_iiT3_T4_lilT5_lili.step_sizes,@object ; @__const._ZL30rocblas_trsm_small_left_deviceILi4ELi4ELb0E19rocblas_complex_numIdES1_PKPKS1_PKPS1_Ev13rocblas_fill_18rocblas_operation_17rocblas_diagonal_iiT3_T4_lilT5_lili.step_sizes
	.p2align	2, 0x0
__const._ZL30rocblas_trsm_small_left_deviceILi4ELi4ELb0E19rocblas_complex_numIdES1_PKPKS1_PKPS1_Ev13rocblas_fill_18rocblas_operation_17rocblas_diagonal_iiT3_T4_lilT5_lili.step_sizes:
	.long	4                               ; 0x4
	.long	1                               ; 0x1
	;; [unrolled: 1-line block ×3, first 2 shown]
	.size	__const._ZL30rocblas_trsm_small_left_deviceILi4ELi4ELb0E19rocblas_complex_numIdES1_PKPKS1_PKPS1_Ev13rocblas_fill_18rocblas_operation_17rocblas_diagonal_iiT3_T4_lilT5_lili.step_sizes, 12

	.type	__const._ZL30rocblas_trsm_small_left_deviceILi4ELi4ELb1E19rocblas_complex_numIdES1_PKPKS1_PKPS1_Ev13rocblas_fill_18rocblas_operation_17rocblas_diagonal_iiT3_T4_lilT5_lili.step_sizes,@object ; @__const._ZL30rocblas_trsm_small_left_deviceILi4ELi4ELb1E19rocblas_complex_numIdES1_PKPKS1_PKPS1_Ev13rocblas_fill_18rocblas_operation_17rocblas_diagonal_iiT3_T4_lilT5_lili.step_sizes
	.p2align	2, 0x0
__const._ZL30rocblas_trsm_small_left_deviceILi4ELi4ELb1E19rocblas_complex_numIdES1_PKPKS1_PKPS1_Ev13rocblas_fill_18rocblas_operation_17rocblas_diagonal_iiT3_T4_lilT5_lili.step_sizes:
	.long	4                               ; 0x4
	.long	1                               ; 0x1
	;; [unrolled: 1-line block ×3, first 2 shown]
	.size	__const._ZL30rocblas_trsm_small_left_deviceILi4ELi4ELb1E19rocblas_complex_numIdES1_PKPKS1_PKPS1_Ev13rocblas_fill_18rocblas_operation_17rocblas_diagonal_iiT3_T4_lilT5_lili.step_sizes, 12

	.type	__const._ZL30rocblas_trsm_small_left_deviceILi8ELi8ELb0E19rocblas_complex_numIdES1_PKPKS1_PKPS1_Ev13rocblas_fill_18rocblas_operation_17rocblas_diagonal_iiT3_T4_lilT5_lili.step_sizes,@object ; @__const._ZL30rocblas_trsm_small_left_deviceILi8ELi8ELb0E19rocblas_complex_numIdES1_PKPKS1_PKPS1_Ev13rocblas_fill_18rocblas_operation_17rocblas_diagonal_iiT3_T4_lilT5_lili.step_sizes
	.p2align	2, 0x0
__const._ZL30rocblas_trsm_small_left_deviceILi8ELi8ELb0E19rocblas_complex_numIdES1_PKPKS1_PKPS1_Ev13rocblas_fill_18rocblas_operation_17rocblas_diagonal_iiT3_T4_lilT5_lili.step_sizes:
	.long	8                               ; 0x8
	.long	4                               ; 0x4
	;; [unrolled: 1-line block ×3, first 2 shown]
	.size	__const._ZL30rocblas_trsm_small_left_deviceILi8ELi8ELb0E19rocblas_complex_numIdES1_PKPKS1_PKPS1_Ev13rocblas_fill_18rocblas_operation_17rocblas_diagonal_iiT3_T4_lilT5_lili.step_sizes, 12

	.type	__const._ZL30rocblas_trsm_small_left_deviceILi8ELi8ELb1E19rocblas_complex_numIdES1_PKPKS1_PKPS1_Ev13rocblas_fill_18rocblas_operation_17rocblas_diagonal_iiT3_T4_lilT5_lili.step_sizes,@object ; @__const._ZL30rocblas_trsm_small_left_deviceILi8ELi8ELb1E19rocblas_complex_numIdES1_PKPKS1_PKPS1_Ev13rocblas_fill_18rocblas_operation_17rocblas_diagonal_iiT3_T4_lilT5_lili.step_sizes
	.p2align	2, 0x0
__const._ZL30rocblas_trsm_small_left_deviceILi8ELi8ELb1E19rocblas_complex_numIdES1_PKPKS1_PKPS1_Ev13rocblas_fill_18rocblas_operation_17rocblas_diagonal_iiT3_T4_lilT5_lili.step_sizes:
	.long	8                               ; 0x8
	.long	4                               ; 0x4
	;; [unrolled: 1-line block ×3, first 2 shown]
	.size	__const._ZL30rocblas_trsm_small_left_deviceILi8ELi8ELb1E19rocblas_complex_numIdES1_PKPKS1_PKPS1_Ev13rocblas_fill_18rocblas_operation_17rocblas_diagonal_iiT3_T4_lilT5_lili.step_sizes, 12

	.type	__const._ZL38rocblas_trsm_small_left_device_sharedBILi12ELi12ELb0E19rocblas_complex_numIdES1_PKPKS1_PKPS1_Ev13rocblas_fill_18rocblas_operation_17rocblas_diagonal_iiT3_T4_lilT5_lili.step_sizes,@object ; @__const._ZL38rocblas_trsm_small_left_device_sharedBILi12ELi12ELb0E19rocblas_complex_numIdES1_PKPKS1_PKPS1_Ev13rocblas_fill_18rocblas_operation_17rocblas_diagonal_iiT3_T4_lilT5_lili.step_sizes
	.p2align	2, 0x0
__const._ZL38rocblas_trsm_small_left_device_sharedBILi12ELi12ELb0E19rocblas_complex_numIdES1_PKPKS1_PKPS1_Ev13rocblas_fill_18rocblas_operation_17rocblas_diagonal_iiT3_T4_lilT5_lili.step_sizes:
	.long	12                              ; 0xc
	.long	8                               ; 0x8
	.long	1                               ; 0x1
	.size	__const._ZL38rocblas_trsm_small_left_device_sharedBILi12ELi12ELb0E19rocblas_complex_numIdES1_PKPKS1_PKPS1_Ev13rocblas_fill_18rocblas_operation_17rocblas_diagonal_iiT3_T4_lilT5_lili.step_sizes, 12

	.type	__const._ZL30rocblas_trsm_small_left_deviceILi12ELi12ELb0E19rocblas_complex_numIdES1_PKPKS1_PKPS1_Ev13rocblas_fill_18rocblas_operation_17rocblas_diagonal_iiT3_T4_lilT5_lili.step_sizes,@object ; @__const._ZL30rocblas_trsm_small_left_deviceILi12ELi12ELb0E19rocblas_complex_numIdES1_PKPKS1_PKPS1_Ev13rocblas_fill_18rocblas_operation_17rocblas_diagonal_iiT3_T4_lilT5_lili.step_sizes
	.p2align	2, 0x0
__const._ZL30rocblas_trsm_small_left_deviceILi12ELi12ELb0E19rocblas_complex_numIdES1_PKPKS1_PKPS1_Ev13rocblas_fill_18rocblas_operation_17rocblas_diagonal_iiT3_T4_lilT5_lili.step_sizes:
	.long	12                              ; 0xc
	.long	8                               ; 0x8
	.long	1                               ; 0x1
	.size	__const._ZL30rocblas_trsm_small_left_deviceILi12ELi12ELb0E19rocblas_complex_numIdES1_PKPKS1_PKPS1_Ev13rocblas_fill_18rocblas_operation_17rocblas_diagonal_iiT3_T4_lilT5_lili.step_sizes, 12

	.type	__const._ZL38rocblas_trsm_small_left_device_sharedBILi12ELi12ELb1E19rocblas_complex_numIdES1_PKPKS1_PKPS1_Ev13rocblas_fill_18rocblas_operation_17rocblas_diagonal_iiT3_T4_lilT5_lili.step_sizes,@object ; @__const._ZL38rocblas_trsm_small_left_device_sharedBILi12ELi12ELb1E19rocblas_complex_numIdES1_PKPKS1_PKPS1_Ev13rocblas_fill_18rocblas_operation_17rocblas_diagonal_iiT3_T4_lilT5_lili.step_sizes
	.p2align	2, 0x0
__const._ZL38rocblas_trsm_small_left_device_sharedBILi12ELi12ELb1E19rocblas_complex_numIdES1_PKPKS1_PKPS1_Ev13rocblas_fill_18rocblas_operation_17rocblas_diagonal_iiT3_T4_lilT5_lili.step_sizes:
	.long	12                              ; 0xc
	.long	8                               ; 0x8
	.long	1                               ; 0x1
	.size	__const._ZL38rocblas_trsm_small_left_device_sharedBILi12ELi12ELb1E19rocblas_complex_numIdES1_PKPKS1_PKPS1_Ev13rocblas_fill_18rocblas_operation_17rocblas_diagonal_iiT3_T4_lilT5_lili.step_sizes, 12

	.type	__const._ZL30rocblas_trsm_small_left_deviceILi12ELi12ELb1E19rocblas_complex_numIdES1_PKPKS1_PKPS1_Ev13rocblas_fill_18rocblas_operation_17rocblas_diagonal_iiT3_T4_lilT5_lili.step_sizes,@object ; @__const._ZL30rocblas_trsm_small_left_deviceILi12ELi12ELb1E19rocblas_complex_numIdES1_PKPKS1_PKPS1_Ev13rocblas_fill_18rocblas_operation_17rocblas_diagonal_iiT3_T4_lilT5_lili.step_sizes
	.p2align	2, 0x0
__const._ZL30rocblas_trsm_small_left_deviceILi12ELi12ELb1E19rocblas_complex_numIdES1_PKPKS1_PKPS1_Ev13rocblas_fill_18rocblas_operation_17rocblas_diagonal_iiT3_T4_lilT5_lili.step_sizes:
	.long	12                              ; 0xc
	.long	8                               ; 0x8
	.long	1                               ; 0x1
	.size	__const._ZL30rocblas_trsm_small_left_deviceILi12ELi12ELb1E19rocblas_complex_numIdES1_PKPKS1_PKPS1_Ev13rocblas_fill_18rocblas_operation_17rocblas_diagonal_iiT3_T4_lilT5_lili.step_sizes, 12

	.type	__const._ZL30rocblas_trsm_small_left_deviceILi16ELi16ELb0E19rocblas_complex_numIdES1_PKPKS1_PKPS1_Ev13rocblas_fill_18rocblas_operation_17rocblas_diagonal_iiT3_T4_lilT5_lili.step_sizes,@object ; @__const._ZL30rocblas_trsm_small_left_deviceILi16ELi16ELb0E19rocblas_complex_numIdES1_PKPKS1_PKPS1_Ev13rocblas_fill_18rocblas_operation_17rocblas_diagonal_iiT3_T4_lilT5_lili.step_sizes
	.p2align	2, 0x0
__const._ZL30rocblas_trsm_small_left_deviceILi16ELi16ELb0E19rocblas_complex_numIdES1_PKPKS1_PKPS1_Ev13rocblas_fill_18rocblas_operation_17rocblas_diagonal_iiT3_T4_lilT5_lili.step_sizes:
	.long	16                              ; 0x10
	.long	12                              ; 0xc
	.long	1                               ; 0x1
	.size	__const._ZL30rocblas_trsm_small_left_deviceILi16ELi16ELb0E19rocblas_complex_numIdES1_PKPKS1_PKPS1_Ev13rocblas_fill_18rocblas_operation_17rocblas_diagonal_iiT3_T4_lilT5_lili.step_sizes, 12

	.type	__const._ZL30rocblas_trsm_small_left_deviceILi16ELi16ELb1E19rocblas_complex_numIdES1_PKPKS1_PKPS1_Ev13rocblas_fill_18rocblas_operation_17rocblas_diagonal_iiT3_T4_lilT5_lili.step_sizes,@object ; @__const._ZL30rocblas_trsm_small_left_deviceILi16ELi16ELb1E19rocblas_complex_numIdES1_PKPKS1_PKPS1_Ev13rocblas_fill_18rocblas_operation_17rocblas_diagonal_iiT3_T4_lilT5_lili.step_sizes
	.p2align	2, 0x0
__const._ZL30rocblas_trsm_small_left_deviceILi16ELi16ELb1E19rocblas_complex_numIdES1_PKPKS1_PKPS1_Ev13rocblas_fill_18rocblas_operation_17rocblas_diagonal_iiT3_T4_lilT5_lili.step_sizes:
	.long	16                              ; 0x10
	.long	12                              ; 0xc
	.long	1                               ; 0x1
	.size	__const._ZL30rocblas_trsm_small_left_deviceILi16ELi16ELb1E19rocblas_complex_numIdES1_PKPKS1_PKPS1_Ev13rocblas_fill_18rocblas_operation_17rocblas_diagonal_iiT3_T4_lilT5_lili.step_sizes, 12

	.type	__const._ZL38rocblas_trsm_small_left_device_sharedBILi20ELi20ELb0E19rocblas_complex_numIdES1_PKPKS1_PKPS1_Ev13rocblas_fill_18rocblas_operation_17rocblas_diagonal_iiT3_T4_lilT5_lili.step_sizes,@object ; @__const._ZL38rocblas_trsm_small_left_device_sharedBILi20ELi20ELb0E19rocblas_complex_numIdES1_PKPKS1_PKPS1_Ev13rocblas_fill_18rocblas_operation_17rocblas_diagonal_iiT3_T4_lilT5_lili.step_sizes
	.p2align	2, 0x0
__const._ZL38rocblas_trsm_small_left_device_sharedBILi20ELi20ELb0E19rocblas_complex_numIdES1_PKPKS1_PKPS1_Ev13rocblas_fill_18rocblas_operation_17rocblas_diagonal_iiT3_T4_lilT5_lili.step_sizes:
	.long	20                              ; 0x14
	.long	16                              ; 0x10
	.long	1                               ; 0x1
	.size	__const._ZL38rocblas_trsm_small_left_device_sharedBILi20ELi20ELb0E19rocblas_complex_numIdES1_PKPKS1_PKPS1_Ev13rocblas_fill_18rocblas_operation_17rocblas_diagonal_iiT3_T4_lilT5_lili.step_sizes, 12

	.type	__const._ZL30rocblas_trsm_small_left_deviceILi20ELi20ELb0E19rocblas_complex_numIdES1_PKPKS1_PKPS1_Ev13rocblas_fill_18rocblas_operation_17rocblas_diagonal_iiT3_T4_lilT5_lili.step_sizes,@object ; @__const._ZL30rocblas_trsm_small_left_deviceILi20ELi20ELb0E19rocblas_complex_numIdES1_PKPKS1_PKPS1_Ev13rocblas_fill_18rocblas_operation_17rocblas_diagonal_iiT3_T4_lilT5_lili.step_sizes
	.p2align	2, 0x0
__const._ZL30rocblas_trsm_small_left_deviceILi20ELi20ELb0E19rocblas_complex_numIdES1_PKPKS1_PKPS1_Ev13rocblas_fill_18rocblas_operation_17rocblas_diagonal_iiT3_T4_lilT5_lili.step_sizes:
	.long	20                              ; 0x14
	.long	16                              ; 0x10
	.long	1                               ; 0x1
	.size	__const._ZL30rocblas_trsm_small_left_deviceILi20ELi20ELb0E19rocblas_complex_numIdES1_PKPKS1_PKPS1_Ev13rocblas_fill_18rocblas_operation_17rocblas_diagonal_iiT3_T4_lilT5_lili.step_sizes, 12

	.type	__const._ZL38rocblas_trsm_small_left_device_sharedBILi20ELi20ELb1E19rocblas_complex_numIdES1_PKPKS1_PKPS1_Ev13rocblas_fill_18rocblas_operation_17rocblas_diagonal_iiT3_T4_lilT5_lili.step_sizes,@object ; @__const._ZL38rocblas_trsm_small_left_device_sharedBILi20ELi20ELb1E19rocblas_complex_numIdES1_PKPKS1_PKPS1_Ev13rocblas_fill_18rocblas_operation_17rocblas_diagonal_iiT3_T4_lilT5_lili.step_sizes
	.p2align	2, 0x0
__const._ZL38rocblas_trsm_small_left_device_sharedBILi20ELi20ELb1E19rocblas_complex_numIdES1_PKPKS1_PKPS1_Ev13rocblas_fill_18rocblas_operation_17rocblas_diagonal_iiT3_T4_lilT5_lili.step_sizes:
	.long	20                              ; 0x14
	.long	16                              ; 0x10
	.long	1                               ; 0x1
	.size	__const._ZL38rocblas_trsm_small_left_device_sharedBILi20ELi20ELb1E19rocblas_complex_numIdES1_PKPKS1_PKPS1_Ev13rocblas_fill_18rocblas_operation_17rocblas_diagonal_iiT3_T4_lilT5_lili.step_sizes, 12

	.type	__const._ZL30rocblas_trsm_small_left_deviceILi20ELi20ELb1E19rocblas_complex_numIdES1_PKPKS1_PKPS1_Ev13rocblas_fill_18rocblas_operation_17rocblas_diagonal_iiT3_T4_lilT5_lili.step_sizes,@object ; @__const._ZL30rocblas_trsm_small_left_deviceILi20ELi20ELb1E19rocblas_complex_numIdES1_PKPKS1_PKPS1_Ev13rocblas_fill_18rocblas_operation_17rocblas_diagonal_iiT3_T4_lilT5_lili.step_sizes
	.p2align	2, 0x0
__const._ZL30rocblas_trsm_small_left_deviceILi20ELi20ELb1E19rocblas_complex_numIdES1_PKPKS1_PKPS1_Ev13rocblas_fill_18rocblas_operation_17rocblas_diagonal_iiT3_T4_lilT5_lili.step_sizes:
	.long	20                              ; 0x14
	.long	16                              ; 0x10
	.long	1                               ; 0x1
	.size	__const._ZL30rocblas_trsm_small_left_deviceILi20ELi20ELb1E19rocblas_complex_numIdES1_PKPKS1_PKPS1_Ev13rocblas_fill_18rocblas_operation_17rocblas_diagonal_iiT3_T4_lilT5_lili.step_sizes, 12

	.type	__const._ZL38rocblas_trsm_small_left_device_sharedBILi24ELi24ELb0E19rocblas_complex_numIdES1_PKPKS1_PKPS1_Ev13rocblas_fill_18rocblas_operation_17rocblas_diagonal_iiT3_T4_lilT5_lili.step_sizes,@object ; @__const._ZL38rocblas_trsm_small_left_device_sharedBILi24ELi24ELb0E19rocblas_complex_numIdES1_PKPKS1_PKPS1_Ev13rocblas_fill_18rocblas_operation_17rocblas_diagonal_iiT3_T4_lilT5_lili.step_sizes
	.p2align	2, 0x0
__const._ZL38rocblas_trsm_small_left_device_sharedBILi24ELi24ELb0E19rocblas_complex_numIdES1_PKPKS1_PKPS1_Ev13rocblas_fill_18rocblas_operation_17rocblas_diagonal_iiT3_T4_lilT5_lili.step_sizes:
	.long	24                              ; 0x18
	.long	20                              ; 0x14
	.long	1                               ; 0x1
	.size	__const._ZL38rocblas_trsm_small_left_device_sharedBILi24ELi24ELb0E19rocblas_complex_numIdES1_PKPKS1_PKPS1_Ev13rocblas_fill_18rocblas_operation_17rocblas_diagonal_iiT3_T4_lilT5_lili.step_sizes, 12

	.type	__const._ZL30rocblas_trsm_small_left_deviceILi24ELi24ELb0E19rocblas_complex_numIdES1_PKPKS1_PKPS1_Ev13rocblas_fill_18rocblas_operation_17rocblas_diagonal_iiT3_T4_lilT5_lili.step_sizes,@object ; @__const._ZL30rocblas_trsm_small_left_deviceILi24ELi24ELb0E19rocblas_complex_numIdES1_PKPKS1_PKPS1_Ev13rocblas_fill_18rocblas_operation_17rocblas_diagonal_iiT3_T4_lilT5_lili.step_sizes
	.p2align	2, 0x0
__const._ZL30rocblas_trsm_small_left_deviceILi24ELi24ELb0E19rocblas_complex_numIdES1_PKPKS1_PKPS1_Ev13rocblas_fill_18rocblas_operation_17rocblas_diagonal_iiT3_T4_lilT5_lili.step_sizes:
	.long	24                              ; 0x18
	.long	20                              ; 0x14
	.long	1                               ; 0x1
	.size	__const._ZL30rocblas_trsm_small_left_deviceILi24ELi24ELb0E19rocblas_complex_numIdES1_PKPKS1_PKPS1_Ev13rocblas_fill_18rocblas_operation_17rocblas_diagonal_iiT3_T4_lilT5_lili.step_sizes, 12

	.type	__const._ZL38rocblas_trsm_small_left_device_sharedBILi24ELi24ELb1E19rocblas_complex_numIdES1_PKPKS1_PKPS1_Ev13rocblas_fill_18rocblas_operation_17rocblas_diagonal_iiT3_T4_lilT5_lili.step_sizes,@object ; @__const._ZL38rocblas_trsm_small_left_device_sharedBILi24ELi24ELb1E19rocblas_complex_numIdES1_PKPKS1_PKPS1_Ev13rocblas_fill_18rocblas_operation_17rocblas_diagonal_iiT3_T4_lilT5_lili.step_sizes
	.p2align	2, 0x0
__const._ZL38rocblas_trsm_small_left_device_sharedBILi24ELi24ELb1E19rocblas_complex_numIdES1_PKPKS1_PKPS1_Ev13rocblas_fill_18rocblas_operation_17rocblas_diagonal_iiT3_T4_lilT5_lili.step_sizes:
	.long	24                              ; 0x18
	.long	20                              ; 0x14
	.long	1                               ; 0x1
	.size	__const._ZL38rocblas_trsm_small_left_device_sharedBILi24ELi24ELb1E19rocblas_complex_numIdES1_PKPKS1_PKPS1_Ev13rocblas_fill_18rocblas_operation_17rocblas_diagonal_iiT3_T4_lilT5_lili.step_sizes, 12

	.type	__const._ZL30rocblas_trsm_small_left_deviceILi24ELi24ELb1E19rocblas_complex_numIdES1_PKPKS1_PKPS1_Ev13rocblas_fill_18rocblas_operation_17rocblas_diagonal_iiT3_T4_lilT5_lili.step_sizes,@object ; @__const._ZL30rocblas_trsm_small_left_deviceILi24ELi24ELb1E19rocblas_complex_numIdES1_PKPKS1_PKPS1_Ev13rocblas_fill_18rocblas_operation_17rocblas_diagonal_iiT3_T4_lilT5_lili.step_sizes
	.p2align	2, 0x0
__const._ZL30rocblas_trsm_small_left_deviceILi24ELi24ELb1E19rocblas_complex_numIdES1_PKPKS1_PKPS1_Ev13rocblas_fill_18rocblas_operation_17rocblas_diagonal_iiT3_T4_lilT5_lili.step_sizes:
	.long	24                              ; 0x18
	.long	20                              ; 0x14
	.long	1                               ; 0x1
	.size	__const._ZL30rocblas_trsm_small_left_deviceILi24ELi24ELb1E19rocblas_complex_numIdES1_PKPKS1_PKPS1_Ev13rocblas_fill_18rocblas_operation_17rocblas_diagonal_iiT3_T4_lilT5_lili.step_sizes, 12

	.type	__const._ZL38rocblas_trsm_small_left_device_sharedBILi28ELi28ELb0E19rocblas_complex_numIdES1_PKPKS1_PKPS1_Ev13rocblas_fill_18rocblas_operation_17rocblas_diagonal_iiT3_T4_lilT5_lili.step_sizes,@object ; @__const._ZL38rocblas_trsm_small_left_device_sharedBILi28ELi28ELb0E19rocblas_complex_numIdES1_PKPKS1_PKPS1_Ev13rocblas_fill_18rocblas_operation_17rocblas_diagonal_iiT3_T4_lilT5_lili.step_sizes
	.p2align	2, 0x0
__const._ZL38rocblas_trsm_small_left_device_sharedBILi28ELi28ELb0E19rocblas_complex_numIdES1_PKPKS1_PKPS1_Ev13rocblas_fill_18rocblas_operation_17rocblas_diagonal_iiT3_T4_lilT5_lili.step_sizes:
	.long	28                              ; 0x1c
	.long	24                              ; 0x18
	.long	1                               ; 0x1
	.size	__const._ZL38rocblas_trsm_small_left_device_sharedBILi28ELi28ELb0E19rocblas_complex_numIdES1_PKPKS1_PKPS1_Ev13rocblas_fill_18rocblas_operation_17rocblas_diagonal_iiT3_T4_lilT5_lili.step_sizes, 12

	.type	__const._ZL30rocblas_trsm_small_left_deviceILi28ELi28ELb0E19rocblas_complex_numIdES1_PKPKS1_PKPS1_Ev13rocblas_fill_18rocblas_operation_17rocblas_diagonal_iiT3_T4_lilT5_lili.step_sizes,@object ; @__const._ZL30rocblas_trsm_small_left_deviceILi28ELi28ELb0E19rocblas_complex_numIdES1_PKPKS1_PKPS1_Ev13rocblas_fill_18rocblas_operation_17rocblas_diagonal_iiT3_T4_lilT5_lili.step_sizes
	.p2align	2, 0x0
__const._ZL30rocblas_trsm_small_left_deviceILi28ELi28ELb0E19rocblas_complex_numIdES1_PKPKS1_PKPS1_Ev13rocblas_fill_18rocblas_operation_17rocblas_diagonal_iiT3_T4_lilT5_lili.step_sizes:
	.long	28                              ; 0x1c
	.long	24                              ; 0x18
	.long	1                               ; 0x1
	.size	__const._ZL30rocblas_trsm_small_left_deviceILi28ELi28ELb0E19rocblas_complex_numIdES1_PKPKS1_PKPS1_Ev13rocblas_fill_18rocblas_operation_17rocblas_diagonal_iiT3_T4_lilT5_lili.step_sizes, 12

	.type	__const._ZL38rocblas_trsm_small_left_device_sharedBILi28ELi28ELb1E19rocblas_complex_numIdES1_PKPKS1_PKPS1_Ev13rocblas_fill_18rocblas_operation_17rocblas_diagonal_iiT3_T4_lilT5_lili.step_sizes,@object ; @__const._ZL38rocblas_trsm_small_left_device_sharedBILi28ELi28ELb1E19rocblas_complex_numIdES1_PKPKS1_PKPS1_Ev13rocblas_fill_18rocblas_operation_17rocblas_diagonal_iiT3_T4_lilT5_lili.step_sizes
	.p2align	2, 0x0
__const._ZL38rocblas_trsm_small_left_device_sharedBILi28ELi28ELb1E19rocblas_complex_numIdES1_PKPKS1_PKPS1_Ev13rocblas_fill_18rocblas_operation_17rocblas_diagonal_iiT3_T4_lilT5_lili.step_sizes:
	.long	28                              ; 0x1c
	.long	24                              ; 0x18
	.long	1                               ; 0x1
	.size	__const._ZL38rocblas_trsm_small_left_device_sharedBILi28ELi28ELb1E19rocblas_complex_numIdES1_PKPKS1_PKPS1_Ev13rocblas_fill_18rocblas_operation_17rocblas_diagonal_iiT3_T4_lilT5_lili.step_sizes, 12

	.type	__const._ZL30rocblas_trsm_small_left_deviceILi28ELi28ELb1E19rocblas_complex_numIdES1_PKPKS1_PKPS1_Ev13rocblas_fill_18rocblas_operation_17rocblas_diagonal_iiT3_T4_lilT5_lili.step_sizes,@object ; @__const._ZL30rocblas_trsm_small_left_deviceILi28ELi28ELb1E19rocblas_complex_numIdES1_PKPKS1_PKPS1_Ev13rocblas_fill_18rocblas_operation_17rocblas_diagonal_iiT3_T4_lilT5_lili.step_sizes
	.p2align	2, 0x0
__const._ZL30rocblas_trsm_small_left_deviceILi28ELi28ELb1E19rocblas_complex_numIdES1_PKPKS1_PKPS1_Ev13rocblas_fill_18rocblas_operation_17rocblas_diagonal_iiT3_T4_lilT5_lili.step_sizes:
	.long	28                              ; 0x1c
	.long	24                              ; 0x18
	.long	1                               ; 0x1
	.size	__const._ZL30rocblas_trsm_small_left_deviceILi28ELi28ELb1E19rocblas_complex_numIdES1_PKPKS1_PKPS1_Ev13rocblas_fill_18rocblas_operation_17rocblas_diagonal_iiT3_T4_lilT5_lili.step_sizes, 12

	.type	__const._ZL30rocblas_trsm_small_left_deviceILi32ELi32ELb0E19rocblas_complex_numIdES1_PKPKS1_PKPS1_Ev13rocblas_fill_18rocblas_operation_17rocblas_diagonal_iiT3_T4_lilT5_lili.step_sizes,@object ; @__const._ZL30rocblas_trsm_small_left_deviceILi32ELi32ELb0E19rocblas_complex_numIdES1_PKPKS1_PKPS1_Ev13rocblas_fill_18rocblas_operation_17rocblas_diagonal_iiT3_T4_lilT5_lili.step_sizes
	.p2align	2, 0x0
__const._ZL30rocblas_trsm_small_left_deviceILi32ELi32ELb0E19rocblas_complex_numIdES1_PKPKS1_PKPS1_Ev13rocblas_fill_18rocblas_operation_17rocblas_diagonal_iiT3_T4_lilT5_lili.step_sizes:
	.long	32                              ; 0x20
	.long	28                              ; 0x1c
	.long	1                               ; 0x1
	.size	__const._ZL30rocblas_trsm_small_left_deviceILi32ELi32ELb0E19rocblas_complex_numIdES1_PKPKS1_PKPS1_Ev13rocblas_fill_18rocblas_operation_17rocblas_diagonal_iiT3_T4_lilT5_lili.step_sizes, 12

	.type	__const._ZL30rocblas_trsm_small_left_deviceILi32ELi32ELb1E19rocblas_complex_numIdES1_PKPKS1_PKPS1_Ev13rocblas_fill_18rocblas_operation_17rocblas_diagonal_iiT3_T4_lilT5_lili.step_sizes,@object ; @__const._ZL30rocblas_trsm_small_left_deviceILi32ELi32ELb1E19rocblas_complex_numIdES1_PKPKS1_PKPS1_Ev13rocblas_fill_18rocblas_operation_17rocblas_diagonal_iiT3_T4_lilT5_lili.step_sizes
	.p2align	2, 0x0
__const._ZL30rocblas_trsm_small_left_deviceILi32ELi32ELb1E19rocblas_complex_numIdES1_PKPKS1_PKPS1_Ev13rocblas_fill_18rocblas_operation_17rocblas_diagonal_iiT3_T4_lilT5_lili.step_sizes:
	.long	32                              ; 0x20
	.long	28                              ; 0x1c
	.long	1                               ; 0x1
	.size	__const._ZL30rocblas_trsm_small_left_deviceILi32ELi32ELb1E19rocblas_complex_numIdES1_PKPKS1_PKPS1_Ev13rocblas_fill_18rocblas_operation_17rocblas_diagonal_iiT3_T4_lilT5_lili.step_sizes, 12

	.type	__hip_cuid_9885a4c6eb025274,@object ; @__hip_cuid_9885a4c6eb025274
	.section	.bss,"aw",@nobits
	.globl	__hip_cuid_9885a4c6eb025274
__hip_cuid_9885a4c6eb025274:
	.byte	0                               ; 0x0
	.size	__hip_cuid_9885a4c6eb025274, 1

	.ident	"AMD clang version 22.0.0git (https://github.com/RadeonOpenCompute/llvm-project roc-7.2.4 26084 f58b06dce1f9c15707c5f808fd002e18c2accf7e)"
	.section	".note.GNU-stack","",@progbits
	.addrsig
	.addrsig_sym __hip_cuid_9885a4c6eb025274
	.amdgpu_metadata
---
amdhsa.kernels:
  - .agpr_count:     0
    .args:
      - .offset:         0
        .size:           8
        .value_kind:     by_value
      - .offset:         8
        .size:           8
        .value_kind:     by_value
      - .offset:         16
        .size:           4
        .value_kind:     by_value
      - .address_space:  global
        .offset:         24
        .size:           8
        .value_kind:     global_buffer
      - .offset:         32
        .size:           8
        .value_kind:     by_value
      - .offset:         40
        .size:           8
        .value_kind:     by_value
      - .offset:         48
        .size:           4
        .value_kind:     by_value
      - .offset:         56
        .size:           8
        .value_kind:     by_value
      - .offset:         64
        .size:           4
        .value_kind:     by_value
    .group_segment_fixed_size: 0
    .kernarg_segment_align: 8
    .kernarg_segment_size: 68
    .language:       OpenCL C
    .language_version:
      - 2
      - 0
    .max_flat_workgroup_size: 1024
    .name:           _ZL23rocblas_set_matrix_trsmILi128ELi8EfPKPfEvlliT2_llT1_li
    .private_segment_fixed_size: 0
    .sgpr_count:     18
    .sgpr_spill_count: 0
    .symbol:         _ZL23rocblas_set_matrix_trsmILi128ELi8EfPKPfEvlliT2_llT1_li.kd
    .uniform_work_group_size: 1
    .uses_dynamic_stack: false
    .vgpr_count:     8
    .vgpr_spill_count: 0
    .wavefront_size: 64
  - .agpr_count:     0
    .args:
      - .offset:         0
        .size:           4
        .value_kind:     by_value
      - .offset:         4
        .size:           4
        .value_kind:     by_value
      - .offset:         8
        .size:           4
        .value_kind:     by_value
      - .offset:         12
        .size:           4
        .value_kind:     by_value
      - .offset:         16
        .size:           4
        .value_kind:     by_value
      - .offset:         20
        .size:           4
        .value_kind:     by_value
      - .address_space:  global
        .offset:         24
        .size:           8
        .value_kind:     global_buffer
      - .offset:         32
        .size:           8
        .value_kind:     by_value
      - .offset:         40
        .size:           4
        .value_kind:     by_value
      - .offset:         48
        .size:           8
        .value_kind:     by_value
      - .address_space:  global
        .offset:         56
        .size:           8
        .value_kind:     global_buffer
      - .offset:         64
        .size:           8
        .value_kind:     by_value
      - .offset:         72
        .size:           4
        .value_kind:     by_value
      - .offset:         80
        .size:           8
        .value_kind:     by_value
      - .offset:         88
        .size:           4
        .value_kind:     by_value
      - .offset:         96
        .size:           4
        .value_kind:     hidden_block_count_x
      - .offset:         100
        .size:           4
        .value_kind:     hidden_block_count_y
      - .offset:         104
        .size:           4
        .value_kind:     hidden_block_count_z
      - .offset:         108
        .size:           2
        .value_kind:     hidden_group_size_x
      - .offset:         110
        .size:           2
        .value_kind:     hidden_group_size_y
      - .offset:         112
        .size:           2
        .value_kind:     hidden_group_size_z
      - .offset:         114
        .size:           2
        .value_kind:     hidden_remainder_x
      - .offset:         116
        .size:           2
        .value_kind:     hidden_remainder_y
      - .offset:         118
        .size:           2
        .value_kind:     hidden_remainder_z
      - .offset:         136
        .size:           8
        .value_kind:     hidden_global_offset_x
      - .offset:         144
        .size:           8
        .value_kind:     hidden_global_offset_y
      - .offset:         152
        .size:           8
        .value_kind:     hidden_global_offset_z
      - .offset:         160
        .size:           2
        .value_kind:     hidden_grid_dims
    .group_segment_fixed_size: 128
    .kernarg_segment_align: 8
    .kernarg_segment_size: 352
    .language:       OpenCL C
    .language_version:
      - 2
      - 0
    .max_flat_workgroup_size: 4
    .name:           _ZL38rocblas_trsm_small_left_device_sharedBILi4ELi4ELb0EffPKPKfPKPfEv13rocblas_fill_18rocblas_operation_17rocblas_diagonal_iiT3_T4_lilT5_lili
    .private_segment_fixed_size: 0
    .sgpr_count:     36
    .sgpr_spill_count: 0
    .symbol:         _ZL38rocblas_trsm_small_left_device_sharedBILi4ELi4ELb0EffPKPKfPKPfEv13rocblas_fill_18rocblas_operation_17rocblas_diagonal_iiT3_T4_lilT5_lili.kd
    .uniform_work_group_size: 1
    .uses_dynamic_stack: false
    .vgpr_count:     20
    .vgpr_spill_count: 0
    .wavefront_size: 64
  - .agpr_count:     0
    .args:
      - .offset:         0
        .size:           4
        .value_kind:     by_value
      - .offset:         4
        .size:           4
        .value_kind:     by_value
      - .offset:         8
        .size:           4
        .value_kind:     by_value
      - .offset:         12
        .size:           4
        .value_kind:     by_value
      - .offset:         16
        .size:           4
        .value_kind:     by_value
      - .offset:         20
        .size:           4
        .value_kind:     by_value
      - .address_space:  global
        .offset:         24
        .size:           8
        .value_kind:     global_buffer
      - .offset:         32
        .size:           8
        .value_kind:     by_value
      - .offset:         40
        .size:           4
        .value_kind:     by_value
      - .offset:         48
        .size:           8
        .value_kind:     by_value
      - .address_space:  global
        .offset:         56
        .size:           8
        .value_kind:     global_buffer
      - .offset:         64
        .size:           8
        .value_kind:     by_value
      - .offset:         72
        .size:           4
        .value_kind:     by_value
      - .offset:         80
        .size:           8
        .value_kind:     by_value
      - .offset:         88
        .size:           4
        .value_kind:     by_value
      - .offset:         96
        .size:           4
        .value_kind:     hidden_block_count_x
      - .offset:         100
        .size:           4
        .value_kind:     hidden_block_count_y
      - .offset:         104
        .size:           4
        .value_kind:     hidden_block_count_z
      - .offset:         108
        .size:           2
        .value_kind:     hidden_group_size_x
      - .offset:         110
        .size:           2
        .value_kind:     hidden_group_size_y
      - .offset:         112
        .size:           2
        .value_kind:     hidden_group_size_z
      - .offset:         114
        .size:           2
        .value_kind:     hidden_remainder_x
      - .offset:         116
        .size:           2
        .value_kind:     hidden_remainder_y
      - .offset:         118
        .size:           2
        .value_kind:     hidden_remainder_z
      - .offset:         136
        .size:           8
        .value_kind:     hidden_global_offset_x
      - .offset:         144
        .size:           8
        .value_kind:     hidden_global_offset_y
      - .offset:         152
        .size:           8
        .value_kind:     hidden_global_offset_z
      - .offset:         160
        .size:           2
        .value_kind:     hidden_grid_dims
    .group_segment_fixed_size: 64
    .kernarg_segment_align: 8
    .kernarg_segment_size: 352
    .language:       OpenCL C
    .language_version:
      - 2
      - 0
    .max_flat_workgroup_size: 4
    .name:           _ZL30rocblas_trsm_small_left_deviceILi4ELi4ELb0EffPKPKfPKPfEv13rocblas_fill_18rocblas_operation_17rocblas_diagonal_iiT3_T4_lilT5_lili
    .private_segment_fixed_size: 0
    .sgpr_count:     36
    .sgpr_spill_count: 0
    .symbol:         _ZL30rocblas_trsm_small_left_deviceILi4ELi4ELb0EffPKPKfPKPfEv13rocblas_fill_18rocblas_operation_17rocblas_diagonal_iiT3_T4_lilT5_lili.kd
    .uniform_work_group_size: 1
    .uses_dynamic_stack: false
    .vgpr_count:     23
    .vgpr_spill_count: 0
    .wavefront_size: 64
  - .agpr_count:     0
    .args:
      - .offset:         0
        .size:           4
        .value_kind:     by_value
      - .offset:         4
        .size:           4
        .value_kind:     by_value
      - .offset:         8
        .size:           4
        .value_kind:     by_value
      - .offset:         12
        .size:           4
        .value_kind:     by_value
      - .offset:         16
        .size:           4
        .value_kind:     by_value
      - .offset:         20
        .size:           4
        .value_kind:     by_value
      - .address_space:  global
        .offset:         24
        .size:           8
        .value_kind:     global_buffer
      - .offset:         32
        .size:           8
        .value_kind:     by_value
      - .offset:         40
        .size:           4
        .value_kind:     by_value
      - .offset:         48
        .size:           8
        .value_kind:     by_value
      - .address_space:  global
        .offset:         56
        .size:           8
        .value_kind:     global_buffer
      - .offset:         64
        .size:           8
        .value_kind:     by_value
      - .offset:         72
        .size:           4
        .value_kind:     by_value
      - .offset:         80
        .size:           8
        .value_kind:     by_value
      - .offset:         88
        .size:           4
        .value_kind:     by_value
      - .offset:         96
        .size:           4
        .value_kind:     hidden_block_count_x
      - .offset:         100
        .size:           4
        .value_kind:     hidden_block_count_y
      - .offset:         104
        .size:           4
        .value_kind:     hidden_block_count_z
      - .offset:         108
        .size:           2
        .value_kind:     hidden_group_size_x
      - .offset:         110
        .size:           2
        .value_kind:     hidden_group_size_y
      - .offset:         112
        .size:           2
        .value_kind:     hidden_group_size_z
      - .offset:         114
        .size:           2
        .value_kind:     hidden_remainder_x
      - .offset:         116
        .size:           2
        .value_kind:     hidden_remainder_y
      - .offset:         118
        .size:           2
        .value_kind:     hidden_remainder_z
      - .offset:         136
        .size:           8
        .value_kind:     hidden_global_offset_x
      - .offset:         144
        .size:           8
        .value_kind:     hidden_global_offset_y
      - .offset:         152
        .size:           8
        .value_kind:     hidden_global_offset_z
      - .offset:         160
        .size:           2
        .value_kind:     hidden_grid_dims
    .group_segment_fixed_size: 128
    .kernarg_segment_align: 8
    .kernarg_segment_size: 352
    .language:       OpenCL C
    .language_version:
      - 2
      - 0
    .max_flat_workgroup_size: 4
    .name:           _ZL38rocblas_trsm_small_left_device_sharedBILi4ELi4ELb1EffPKPKfPKPfEv13rocblas_fill_18rocblas_operation_17rocblas_diagonal_iiT3_T4_lilT5_lili
    .private_segment_fixed_size: 0
    .sgpr_count:     36
    .sgpr_spill_count: 0
    .symbol:         _ZL38rocblas_trsm_small_left_device_sharedBILi4ELi4ELb1EffPKPKfPKPfEv13rocblas_fill_18rocblas_operation_17rocblas_diagonal_iiT3_T4_lilT5_lili.kd
    .uniform_work_group_size: 1
    .uses_dynamic_stack: false
    .vgpr_count:     19
    .vgpr_spill_count: 0
    .wavefront_size: 64
  - .agpr_count:     0
    .args:
      - .offset:         0
        .size:           4
        .value_kind:     by_value
      - .offset:         4
        .size:           4
        .value_kind:     by_value
      - .offset:         8
        .size:           4
        .value_kind:     by_value
      - .offset:         12
        .size:           4
        .value_kind:     by_value
      - .offset:         16
        .size:           4
        .value_kind:     by_value
      - .offset:         20
        .size:           4
        .value_kind:     by_value
      - .address_space:  global
        .offset:         24
        .size:           8
        .value_kind:     global_buffer
      - .offset:         32
        .size:           8
        .value_kind:     by_value
      - .offset:         40
        .size:           4
        .value_kind:     by_value
      - .offset:         48
        .size:           8
        .value_kind:     by_value
      - .address_space:  global
        .offset:         56
        .size:           8
        .value_kind:     global_buffer
      - .offset:         64
        .size:           8
        .value_kind:     by_value
      - .offset:         72
        .size:           4
        .value_kind:     by_value
      - .offset:         80
        .size:           8
        .value_kind:     by_value
      - .offset:         88
        .size:           4
        .value_kind:     by_value
      - .offset:         96
        .size:           4
        .value_kind:     hidden_block_count_x
      - .offset:         100
        .size:           4
        .value_kind:     hidden_block_count_y
      - .offset:         104
        .size:           4
        .value_kind:     hidden_block_count_z
      - .offset:         108
        .size:           2
        .value_kind:     hidden_group_size_x
      - .offset:         110
        .size:           2
        .value_kind:     hidden_group_size_y
      - .offset:         112
        .size:           2
        .value_kind:     hidden_group_size_z
      - .offset:         114
        .size:           2
        .value_kind:     hidden_remainder_x
      - .offset:         116
        .size:           2
        .value_kind:     hidden_remainder_y
      - .offset:         118
        .size:           2
        .value_kind:     hidden_remainder_z
      - .offset:         136
        .size:           8
        .value_kind:     hidden_global_offset_x
      - .offset:         144
        .size:           8
        .value_kind:     hidden_global_offset_y
      - .offset:         152
        .size:           8
        .value_kind:     hidden_global_offset_z
      - .offset:         160
        .size:           2
        .value_kind:     hidden_grid_dims
    .group_segment_fixed_size: 64
    .kernarg_segment_align: 8
    .kernarg_segment_size: 352
    .language:       OpenCL C
    .language_version:
      - 2
      - 0
    .max_flat_workgroup_size: 4
    .name:           _ZL30rocblas_trsm_small_left_deviceILi4ELi4ELb1EffPKPKfPKPfEv13rocblas_fill_18rocblas_operation_17rocblas_diagonal_iiT3_T4_lilT5_lili
    .private_segment_fixed_size: 0
    .sgpr_count:     36
    .sgpr_spill_count: 0
    .symbol:         _ZL30rocblas_trsm_small_left_deviceILi4ELi4ELb1EffPKPKfPKPfEv13rocblas_fill_18rocblas_operation_17rocblas_diagonal_iiT3_T4_lilT5_lili.kd
    .uniform_work_group_size: 1
    .uses_dynamic_stack: false
    .vgpr_count:     23
    .vgpr_spill_count: 0
    .wavefront_size: 64
  - .agpr_count:     0
    .args:
      - .offset:         0
        .size:           4
        .value_kind:     by_value
      - .offset:         4
        .size:           4
        .value_kind:     by_value
      - .offset:         8
        .size:           4
        .value_kind:     by_value
      - .offset:         12
        .size:           4
        .value_kind:     by_value
      - .offset:         16
        .size:           4
        .value_kind:     by_value
      - .offset:         20
        .size:           4
        .value_kind:     by_value
      - .address_space:  global
        .offset:         24
        .size:           8
        .value_kind:     global_buffer
      - .offset:         32
        .size:           8
        .value_kind:     by_value
      - .offset:         40
        .size:           4
        .value_kind:     by_value
      - .offset:         48
        .size:           8
        .value_kind:     by_value
      - .address_space:  global
        .offset:         56
        .size:           8
        .value_kind:     global_buffer
      - .offset:         64
        .size:           8
        .value_kind:     by_value
      - .offset:         72
        .size:           4
        .value_kind:     by_value
      - .offset:         80
        .size:           8
        .value_kind:     by_value
      - .offset:         88
        .size:           4
        .value_kind:     by_value
      - .offset:         96
        .size:           4
        .value_kind:     hidden_block_count_x
      - .offset:         100
        .size:           4
        .value_kind:     hidden_block_count_y
      - .offset:         104
        .size:           4
        .value_kind:     hidden_block_count_z
      - .offset:         108
        .size:           2
        .value_kind:     hidden_group_size_x
      - .offset:         110
        .size:           2
        .value_kind:     hidden_group_size_y
      - .offset:         112
        .size:           2
        .value_kind:     hidden_group_size_z
      - .offset:         114
        .size:           2
        .value_kind:     hidden_remainder_x
      - .offset:         116
        .size:           2
        .value_kind:     hidden_remainder_y
      - .offset:         118
        .size:           2
        .value_kind:     hidden_remainder_z
      - .offset:         136
        .size:           8
        .value_kind:     hidden_global_offset_x
      - .offset:         144
        .size:           8
        .value_kind:     hidden_global_offset_y
      - .offset:         152
        .size:           8
        .value_kind:     hidden_global_offset_z
      - .offset:         160
        .size:           2
        .value_kind:     hidden_grid_dims
    .group_segment_fixed_size: 128
    .kernarg_segment_align: 8
    .kernarg_segment_size: 352
    .language:       OpenCL C
    .language_version:
      - 2
      - 0
    .max_flat_workgroup_size: 4
    .name:           _ZL31rocblas_trsm_small_right_deviceIffPKPKfPKPfLi4EEv13rocblas_fill_18rocblas_operation_17rocblas_diagonal_iiT0_T1_lilT2_lili
    .private_segment_fixed_size: 0
    .sgpr_count:     38
    .sgpr_spill_count: 0
    .symbol:         _ZL31rocblas_trsm_small_right_deviceIffPKPKfPKPfLi4EEv13rocblas_fill_18rocblas_operation_17rocblas_diagonal_iiT0_T1_lilT2_lili.kd
    .uniform_work_group_size: 1
    .uses_dynamic_stack: false
    .vgpr_count:     20
    .vgpr_spill_count: 0
    .wavefront_size: 64
  - .agpr_count:     0
    .args:
      - .offset:         0
        .size:           4
        .value_kind:     by_value
      - .offset:         4
        .size:           4
        .value_kind:     by_value
      - .offset:         8
        .size:           4
        .value_kind:     by_value
      - .offset:         12
        .size:           4
        .value_kind:     by_value
      - .offset:         16
        .size:           4
        .value_kind:     by_value
      - .offset:         20
        .size:           4
        .value_kind:     by_value
      - .address_space:  global
        .offset:         24
        .size:           8
        .value_kind:     global_buffer
      - .offset:         32
        .size:           8
        .value_kind:     by_value
      - .offset:         40
        .size:           4
        .value_kind:     by_value
      - .offset:         48
        .size:           8
        .value_kind:     by_value
      - .address_space:  global
        .offset:         56
        .size:           8
        .value_kind:     global_buffer
      - .offset:         64
        .size:           8
        .value_kind:     by_value
      - .offset:         72
        .size:           4
        .value_kind:     by_value
      - .offset:         80
        .size:           8
        .value_kind:     by_value
      - .offset:         88
        .size:           4
        .value_kind:     by_value
      - .offset:         96
        .size:           4
        .value_kind:     hidden_block_count_x
      - .offset:         100
        .size:           4
        .value_kind:     hidden_block_count_y
      - .offset:         104
        .size:           4
        .value_kind:     hidden_block_count_z
      - .offset:         108
        .size:           2
        .value_kind:     hidden_group_size_x
      - .offset:         110
        .size:           2
        .value_kind:     hidden_group_size_y
      - .offset:         112
        .size:           2
        .value_kind:     hidden_group_size_z
      - .offset:         114
        .size:           2
        .value_kind:     hidden_remainder_x
      - .offset:         116
        .size:           2
        .value_kind:     hidden_remainder_y
      - .offset:         118
        .size:           2
        .value_kind:     hidden_remainder_z
      - .offset:         136
        .size:           8
        .value_kind:     hidden_global_offset_x
      - .offset:         144
        .size:           8
        .value_kind:     hidden_global_offset_y
      - .offset:         152
        .size:           8
        .value_kind:     hidden_global_offset_z
      - .offset:         160
        .size:           2
        .value_kind:     hidden_grid_dims
    .group_segment_fixed_size: 512
    .kernarg_segment_align: 8
    .kernarg_segment_size: 352
    .language:       OpenCL C
    .language_version:
      - 2
      - 0
    .max_flat_workgroup_size: 8
    .name:           _ZL38rocblas_trsm_small_left_device_sharedBILi8ELi8ELb0EffPKPKfPKPfEv13rocblas_fill_18rocblas_operation_17rocblas_diagonal_iiT3_T4_lilT5_lili
    .private_segment_fixed_size: 0
    .sgpr_count:     36
    .sgpr_spill_count: 0
    .symbol:         _ZL38rocblas_trsm_small_left_device_sharedBILi8ELi8ELb0EffPKPKfPKPfEv13rocblas_fill_18rocblas_operation_17rocblas_diagonal_iiT3_T4_lilT5_lili.kd
    .uniform_work_group_size: 1
    .uses_dynamic_stack: false
    .vgpr_count:     57
    .vgpr_spill_count: 0
    .wavefront_size: 64
  - .agpr_count:     0
    .args:
      - .offset:         0
        .size:           4
        .value_kind:     by_value
      - .offset:         4
        .size:           4
        .value_kind:     by_value
      - .offset:         8
        .size:           4
        .value_kind:     by_value
      - .offset:         12
        .size:           4
        .value_kind:     by_value
      - .offset:         16
        .size:           4
        .value_kind:     by_value
      - .offset:         20
        .size:           4
        .value_kind:     by_value
      - .address_space:  global
        .offset:         24
        .size:           8
        .value_kind:     global_buffer
      - .offset:         32
        .size:           8
        .value_kind:     by_value
      - .offset:         40
        .size:           4
        .value_kind:     by_value
      - .offset:         48
        .size:           8
        .value_kind:     by_value
      - .address_space:  global
        .offset:         56
        .size:           8
        .value_kind:     global_buffer
      - .offset:         64
        .size:           8
        .value_kind:     by_value
      - .offset:         72
        .size:           4
        .value_kind:     by_value
      - .offset:         80
        .size:           8
        .value_kind:     by_value
      - .offset:         88
        .size:           4
        .value_kind:     by_value
      - .offset:         96
        .size:           4
        .value_kind:     hidden_block_count_x
      - .offset:         100
        .size:           4
        .value_kind:     hidden_block_count_y
      - .offset:         104
        .size:           4
        .value_kind:     hidden_block_count_z
      - .offset:         108
        .size:           2
        .value_kind:     hidden_group_size_x
      - .offset:         110
        .size:           2
        .value_kind:     hidden_group_size_y
      - .offset:         112
        .size:           2
        .value_kind:     hidden_group_size_z
      - .offset:         114
        .size:           2
        .value_kind:     hidden_remainder_x
      - .offset:         116
        .size:           2
        .value_kind:     hidden_remainder_y
      - .offset:         118
        .size:           2
        .value_kind:     hidden_remainder_z
      - .offset:         136
        .size:           8
        .value_kind:     hidden_global_offset_x
      - .offset:         144
        .size:           8
        .value_kind:     hidden_global_offset_y
      - .offset:         152
        .size:           8
        .value_kind:     hidden_global_offset_z
      - .offset:         160
        .size:           2
        .value_kind:     hidden_grid_dims
    .group_segment_fixed_size: 256
    .kernarg_segment_align: 8
    .kernarg_segment_size: 352
    .language:       OpenCL C
    .language_version:
      - 2
      - 0
    .max_flat_workgroup_size: 8
    .name:           _ZL30rocblas_trsm_small_left_deviceILi8ELi8ELb0EffPKPKfPKPfEv13rocblas_fill_18rocblas_operation_17rocblas_diagonal_iiT3_T4_lilT5_lili
    .private_segment_fixed_size: 0
    .sgpr_count:     36
    .sgpr_spill_count: 0
    .symbol:         _ZL30rocblas_trsm_small_left_deviceILi8ELi8ELb0EffPKPKfPKPfEv13rocblas_fill_18rocblas_operation_17rocblas_diagonal_iiT3_T4_lilT5_lili.kd
    .uniform_work_group_size: 1
    .uses_dynamic_stack: false
    .vgpr_count:     63
    .vgpr_spill_count: 0
    .wavefront_size: 64
  - .agpr_count:     0
    .args:
      - .offset:         0
        .size:           4
        .value_kind:     by_value
      - .offset:         4
        .size:           4
        .value_kind:     by_value
      - .offset:         8
        .size:           4
        .value_kind:     by_value
      - .offset:         12
        .size:           4
        .value_kind:     by_value
      - .offset:         16
        .size:           4
        .value_kind:     by_value
      - .offset:         20
        .size:           4
        .value_kind:     by_value
      - .address_space:  global
        .offset:         24
        .size:           8
        .value_kind:     global_buffer
      - .offset:         32
        .size:           8
        .value_kind:     by_value
      - .offset:         40
        .size:           4
        .value_kind:     by_value
      - .offset:         48
        .size:           8
        .value_kind:     by_value
      - .address_space:  global
        .offset:         56
        .size:           8
        .value_kind:     global_buffer
      - .offset:         64
        .size:           8
        .value_kind:     by_value
      - .offset:         72
        .size:           4
        .value_kind:     by_value
      - .offset:         80
        .size:           8
        .value_kind:     by_value
      - .offset:         88
        .size:           4
        .value_kind:     by_value
      - .offset:         96
        .size:           4
        .value_kind:     hidden_block_count_x
      - .offset:         100
        .size:           4
        .value_kind:     hidden_block_count_y
      - .offset:         104
        .size:           4
        .value_kind:     hidden_block_count_z
      - .offset:         108
        .size:           2
        .value_kind:     hidden_group_size_x
      - .offset:         110
        .size:           2
        .value_kind:     hidden_group_size_y
      - .offset:         112
        .size:           2
        .value_kind:     hidden_group_size_z
      - .offset:         114
        .size:           2
        .value_kind:     hidden_remainder_x
      - .offset:         116
        .size:           2
        .value_kind:     hidden_remainder_y
      - .offset:         118
        .size:           2
        .value_kind:     hidden_remainder_z
      - .offset:         136
        .size:           8
        .value_kind:     hidden_global_offset_x
      - .offset:         144
        .size:           8
        .value_kind:     hidden_global_offset_y
      - .offset:         152
        .size:           8
        .value_kind:     hidden_global_offset_z
      - .offset:         160
        .size:           2
        .value_kind:     hidden_grid_dims
    .group_segment_fixed_size: 512
    .kernarg_segment_align: 8
    .kernarg_segment_size: 352
    .language:       OpenCL C
    .language_version:
      - 2
      - 0
    .max_flat_workgroup_size: 8
    .name:           _ZL38rocblas_trsm_small_left_device_sharedBILi8ELi8ELb1EffPKPKfPKPfEv13rocblas_fill_18rocblas_operation_17rocblas_diagonal_iiT3_T4_lilT5_lili
    .private_segment_fixed_size: 0
    .sgpr_count:     36
    .sgpr_spill_count: 0
    .symbol:         _ZL38rocblas_trsm_small_left_device_sharedBILi8ELi8ELb1EffPKPKfPKPfEv13rocblas_fill_18rocblas_operation_17rocblas_diagonal_iiT3_T4_lilT5_lili.kd
    .uniform_work_group_size: 1
    .uses_dynamic_stack: false
    .vgpr_count:     57
    .vgpr_spill_count: 0
    .wavefront_size: 64
  - .agpr_count:     0
    .args:
      - .offset:         0
        .size:           4
        .value_kind:     by_value
      - .offset:         4
        .size:           4
        .value_kind:     by_value
      - .offset:         8
        .size:           4
        .value_kind:     by_value
      - .offset:         12
        .size:           4
        .value_kind:     by_value
      - .offset:         16
        .size:           4
        .value_kind:     by_value
      - .offset:         20
        .size:           4
        .value_kind:     by_value
      - .address_space:  global
        .offset:         24
        .size:           8
        .value_kind:     global_buffer
      - .offset:         32
        .size:           8
        .value_kind:     by_value
      - .offset:         40
        .size:           4
        .value_kind:     by_value
      - .offset:         48
        .size:           8
        .value_kind:     by_value
      - .address_space:  global
        .offset:         56
        .size:           8
        .value_kind:     global_buffer
      - .offset:         64
        .size:           8
        .value_kind:     by_value
      - .offset:         72
        .size:           4
        .value_kind:     by_value
      - .offset:         80
        .size:           8
        .value_kind:     by_value
      - .offset:         88
        .size:           4
        .value_kind:     by_value
      - .offset:         96
        .size:           4
        .value_kind:     hidden_block_count_x
      - .offset:         100
        .size:           4
        .value_kind:     hidden_block_count_y
      - .offset:         104
        .size:           4
        .value_kind:     hidden_block_count_z
      - .offset:         108
        .size:           2
        .value_kind:     hidden_group_size_x
      - .offset:         110
        .size:           2
        .value_kind:     hidden_group_size_y
      - .offset:         112
        .size:           2
        .value_kind:     hidden_group_size_z
      - .offset:         114
        .size:           2
        .value_kind:     hidden_remainder_x
      - .offset:         116
        .size:           2
        .value_kind:     hidden_remainder_y
      - .offset:         118
        .size:           2
        .value_kind:     hidden_remainder_z
      - .offset:         136
        .size:           8
        .value_kind:     hidden_global_offset_x
      - .offset:         144
        .size:           8
        .value_kind:     hidden_global_offset_y
      - .offset:         152
        .size:           8
        .value_kind:     hidden_global_offset_z
      - .offset:         160
        .size:           2
        .value_kind:     hidden_grid_dims
    .group_segment_fixed_size: 256
    .kernarg_segment_align: 8
    .kernarg_segment_size: 352
    .language:       OpenCL C
    .language_version:
      - 2
      - 0
    .max_flat_workgroup_size: 8
    .name:           _ZL30rocblas_trsm_small_left_deviceILi8ELi8ELb1EffPKPKfPKPfEv13rocblas_fill_18rocblas_operation_17rocblas_diagonal_iiT3_T4_lilT5_lili
    .private_segment_fixed_size: 0
    .sgpr_count:     36
    .sgpr_spill_count: 0
    .symbol:         _ZL30rocblas_trsm_small_left_deviceILi8ELi8ELb1EffPKPKfPKPfEv13rocblas_fill_18rocblas_operation_17rocblas_diagonal_iiT3_T4_lilT5_lili.kd
    .uniform_work_group_size: 1
    .uses_dynamic_stack: false
    .vgpr_count:     59
    .vgpr_spill_count: 0
    .wavefront_size: 64
  - .agpr_count:     0
    .args:
      - .offset:         0
        .size:           4
        .value_kind:     by_value
      - .offset:         4
        .size:           4
        .value_kind:     by_value
      - .offset:         8
        .size:           4
        .value_kind:     by_value
      - .offset:         12
        .size:           4
        .value_kind:     by_value
      - .offset:         16
        .size:           4
        .value_kind:     by_value
      - .offset:         20
        .size:           4
        .value_kind:     by_value
      - .address_space:  global
        .offset:         24
        .size:           8
        .value_kind:     global_buffer
      - .offset:         32
        .size:           8
        .value_kind:     by_value
      - .offset:         40
        .size:           4
        .value_kind:     by_value
      - .offset:         48
        .size:           8
        .value_kind:     by_value
      - .address_space:  global
        .offset:         56
        .size:           8
        .value_kind:     global_buffer
      - .offset:         64
        .size:           8
        .value_kind:     by_value
      - .offset:         72
        .size:           4
        .value_kind:     by_value
      - .offset:         80
        .size:           8
        .value_kind:     by_value
      - .offset:         88
        .size:           4
        .value_kind:     by_value
      - .offset:         96
        .size:           4
        .value_kind:     hidden_block_count_x
      - .offset:         100
        .size:           4
        .value_kind:     hidden_block_count_y
      - .offset:         104
        .size:           4
        .value_kind:     hidden_block_count_z
      - .offset:         108
        .size:           2
        .value_kind:     hidden_group_size_x
      - .offset:         110
        .size:           2
        .value_kind:     hidden_group_size_y
      - .offset:         112
        .size:           2
        .value_kind:     hidden_group_size_z
      - .offset:         114
        .size:           2
        .value_kind:     hidden_remainder_x
      - .offset:         116
        .size:           2
        .value_kind:     hidden_remainder_y
      - .offset:         118
        .size:           2
        .value_kind:     hidden_remainder_z
      - .offset:         136
        .size:           8
        .value_kind:     hidden_global_offset_x
      - .offset:         144
        .size:           8
        .value_kind:     hidden_global_offset_y
      - .offset:         152
        .size:           8
        .value_kind:     hidden_global_offset_z
      - .offset:         160
        .size:           2
        .value_kind:     hidden_grid_dims
    .group_segment_fixed_size: 512
    .kernarg_segment_align: 8
    .kernarg_segment_size: 352
    .language:       OpenCL C
    .language_version:
      - 2
      - 0
    .max_flat_workgroup_size: 8
    .name:           _ZL31rocblas_trsm_small_right_deviceIffPKPKfPKPfLi8EEv13rocblas_fill_18rocblas_operation_17rocblas_diagonal_iiT0_T1_lilT2_lili
    .private_segment_fixed_size: 0
    .sgpr_count:     38
    .sgpr_spill_count: 0
    .symbol:         _ZL31rocblas_trsm_small_right_deviceIffPKPKfPKPfLi8EEv13rocblas_fill_18rocblas_operation_17rocblas_diagonal_iiT0_T1_lilT2_lili.kd
    .uniform_work_group_size: 1
    .uses_dynamic_stack: false
    .vgpr_count:     23
    .vgpr_spill_count: 0
    .wavefront_size: 64
  - .agpr_count:     0
    .args:
      - .offset:         0
        .size:           4
        .value_kind:     by_value
      - .offset:         4
        .size:           4
        .value_kind:     by_value
      - .offset:         8
        .size:           4
        .value_kind:     by_value
      - .offset:         12
        .size:           4
        .value_kind:     by_value
      - .offset:         16
        .size:           4
        .value_kind:     by_value
      - .offset:         20
        .size:           4
        .value_kind:     by_value
      - .address_space:  global
        .offset:         24
        .size:           8
        .value_kind:     global_buffer
      - .offset:         32
        .size:           8
        .value_kind:     by_value
      - .offset:         40
        .size:           4
        .value_kind:     by_value
      - .offset:         48
        .size:           8
        .value_kind:     by_value
      - .address_space:  global
        .offset:         56
        .size:           8
        .value_kind:     global_buffer
      - .offset:         64
        .size:           8
        .value_kind:     by_value
      - .offset:         72
        .size:           4
        .value_kind:     by_value
      - .offset:         80
        .size:           8
        .value_kind:     by_value
      - .offset:         88
        .size:           4
        .value_kind:     by_value
      - .offset:         96
        .size:           4
        .value_kind:     hidden_block_count_x
      - .offset:         100
        .size:           4
        .value_kind:     hidden_block_count_y
      - .offset:         104
        .size:           4
        .value_kind:     hidden_block_count_z
      - .offset:         108
        .size:           2
        .value_kind:     hidden_group_size_x
      - .offset:         110
        .size:           2
        .value_kind:     hidden_group_size_y
      - .offset:         112
        .size:           2
        .value_kind:     hidden_group_size_z
      - .offset:         114
        .size:           2
        .value_kind:     hidden_remainder_x
      - .offset:         116
        .size:           2
        .value_kind:     hidden_remainder_y
      - .offset:         118
        .size:           2
        .value_kind:     hidden_remainder_z
      - .offset:         136
        .size:           8
        .value_kind:     hidden_global_offset_x
      - .offset:         144
        .size:           8
        .value_kind:     hidden_global_offset_y
      - .offset:         152
        .size:           8
        .value_kind:     hidden_global_offset_z
      - .offset:         160
        .size:           2
        .value_kind:     hidden_grid_dims
    .group_segment_fixed_size: 1152
    .kernarg_segment_align: 8
    .kernarg_segment_size: 352
    .language:       OpenCL C
    .language_version:
      - 2
      - 0
    .max_flat_workgroup_size: 12
    .name:           _ZL38rocblas_trsm_small_left_device_sharedBILi12ELi12ELb0EffPKPKfPKPfEv13rocblas_fill_18rocblas_operation_17rocblas_diagonal_iiT3_T4_lilT5_lili
    .private_segment_fixed_size: 0
    .sgpr_count:     36
    .sgpr_spill_count: 0
    .symbol:         _ZL38rocblas_trsm_small_left_device_sharedBILi12ELi12ELb0EffPKPKfPKPfEv13rocblas_fill_18rocblas_operation_17rocblas_diagonal_iiT3_T4_lilT5_lili.kd
    .uniform_work_group_size: 1
    .uses_dynamic_stack: false
    .vgpr_count:     65
    .vgpr_spill_count: 0
    .wavefront_size: 64
  - .agpr_count:     0
    .args:
      - .offset:         0
        .size:           4
        .value_kind:     by_value
      - .offset:         4
        .size:           4
        .value_kind:     by_value
      - .offset:         8
        .size:           4
        .value_kind:     by_value
      - .offset:         12
        .size:           4
        .value_kind:     by_value
      - .offset:         16
        .size:           4
        .value_kind:     by_value
      - .offset:         20
        .size:           4
        .value_kind:     by_value
      - .address_space:  global
        .offset:         24
        .size:           8
        .value_kind:     global_buffer
      - .offset:         32
        .size:           8
        .value_kind:     by_value
      - .offset:         40
        .size:           4
        .value_kind:     by_value
      - .offset:         48
        .size:           8
        .value_kind:     by_value
      - .address_space:  global
        .offset:         56
        .size:           8
        .value_kind:     global_buffer
      - .offset:         64
        .size:           8
        .value_kind:     by_value
      - .offset:         72
        .size:           4
        .value_kind:     by_value
      - .offset:         80
        .size:           8
        .value_kind:     by_value
      - .offset:         88
        .size:           4
        .value_kind:     by_value
      - .offset:         96
        .size:           4
        .value_kind:     hidden_block_count_x
      - .offset:         100
        .size:           4
        .value_kind:     hidden_block_count_y
      - .offset:         104
        .size:           4
        .value_kind:     hidden_block_count_z
      - .offset:         108
        .size:           2
        .value_kind:     hidden_group_size_x
      - .offset:         110
        .size:           2
        .value_kind:     hidden_group_size_y
      - .offset:         112
        .size:           2
        .value_kind:     hidden_group_size_z
      - .offset:         114
        .size:           2
        .value_kind:     hidden_remainder_x
      - .offset:         116
        .size:           2
        .value_kind:     hidden_remainder_y
      - .offset:         118
        .size:           2
        .value_kind:     hidden_remainder_z
      - .offset:         136
        .size:           8
        .value_kind:     hidden_global_offset_x
      - .offset:         144
        .size:           8
        .value_kind:     hidden_global_offset_y
      - .offset:         152
        .size:           8
        .value_kind:     hidden_global_offset_z
      - .offset:         160
        .size:           2
        .value_kind:     hidden_grid_dims
    .group_segment_fixed_size: 576
    .kernarg_segment_align: 8
    .kernarg_segment_size: 352
    .language:       OpenCL C
    .language_version:
      - 2
      - 0
    .max_flat_workgroup_size: 12
    .name:           _ZL30rocblas_trsm_small_left_deviceILi12ELi12ELb0EffPKPKfPKPfEv13rocblas_fill_18rocblas_operation_17rocblas_diagonal_iiT3_T4_lilT5_lili
    .private_segment_fixed_size: 0
    .sgpr_count:     36
    .sgpr_spill_count: 0
    .symbol:         _ZL30rocblas_trsm_small_left_deviceILi12ELi12ELb0EffPKPKfPKPfEv13rocblas_fill_18rocblas_operation_17rocblas_diagonal_iiT3_T4_lilT5_lili.kd
    .uniform_work_group_size: 1
    .uses_dynamic_stack: false
    .vgpr_count:     107
    .vgpr_spill_count: 0
    .wavefront_size: 64
  - .agpr_count:     0
    .args:
      - .offset:         0
        .size:           4
        .value_kind:     by_value
      - .offset:         4
        .size:           4
        .value_kind:     by_value
      - .offset:         8
        .size:           4
        .value_kind:     by_value
      - .offset:         12
        .size:           4
        .value_kind:     by_value
      - .offset:         16
        .size:           4
        .value_kind:     by_value
      - .offset:         20
        .size:           4
        .value_kind:     by_value
      - .address_space:  global
        .offset:         24
        .size:           8
        .value_kind:     global_buffer
      - .offset:         32
        .size:           8
        .value_kind:     by_value
      - .offset:         40
        .size:           4
        .value_kind:     by_value
      - .offset:         48
        .size:           8
        .value_kind:     by_value
      - .address_space:  global
        .offset:         56
        .size:           8
        .value_kind:     global_buffer
      - .offset:         64
        .size:           8
        .value_kind:     by_value
      - .offset:         72
        .size:           4
        .value_kind:     by_value
      - .offset:         80
        .size:           8
        .value_kind:     by_value
      - .offset:         88
        .size:           4
        .value_kind:     by_value
      - .offset:         96
        .size:           4
        .value_kind:     hidden_block_count_x
      - .offset:         100
        .size:           4
        .value_kind:     hidden_block_count_y
      - .offset:         104
        .size:           4
        .value_kind:     hidden_block_count_z
      - .offset:         108
        .size:           2
        .value_kind:     hidden_group_size_x
      - .offset:         110
        .size:           2
        .value_kind:     hidden_group_size_y
      - .offset:         112
        .size:           2
        .value_kind:     hidden_group_size_z
      - .offset:         114
        .size:           2
        .value_kind:     hidden_remainder_x
      - .offset:         116
        .size:           2
        .value_kind:     hidden_remainder_y
      - .offset:         118
        .size:           2
        .value_kind:     hidden_remainder_z
      - .offset:         136
        .size:           8
        .value_kind:     hidden_global_offset_x
      - .offset:         144
        .size:           8
        .value_kind:     hidden_global_offset_y
      - .offset:         152
        .size:           8
        .value_kind:     hidden_global_offset_z
      - .offset:         160
        .size:           2
        .value_kind:     hidden_grid_dims
    .group_segment_fixed_size: 1152
    .kernarg_segment_align: 8
    .kernarg_segment_size: 352
    .language:       OpenCL C
    .language_version:
      - 2
      - 0
    .max_flat_workgroup_size: 12
    .name:           _ZL38rocblas_trsm_small_left_device_sharedBILi12ELi12ELb1EffPKPKfPKPfEv13rocblas_fill_18rocblas_operation_17rocblas_diagonal_iiT3_T4_lilT5_lili
    .private_segment_fixed_size: 0
    .sgpr_count:     36
    .sgpr_spill_count: 0
    .symbol:         _ZL38rocblas_trsm_small_left_device_sharedBILi12ELi12ELb1EffPKPKfPKPfEv13rocblas_fill_18rocblas_operation_17rocblas_diagonal_iiT3_T4_lilT5_lili.kd
    .uniform_work_group_size: 1
    .uses_dynamic_stack: false
    .vgpr_count:     63
    .vgpr_spill_count: 0
    .wavefront_size: 64
  - .agpr_count:     0
    .args:
      - .offset:         0
        .size:           4
        .value_kind:     by_value
      - .offset:         4
        .size:           4
        .value_kind:     by_value
      - .offset:         8
        .size:           4
        .value_kind:     by_value
      - .offset:         12
        .size:           4
        .value_kind:     by_value
      - .offset:         16
        .size:           4
        .value_kind:     by_value
      - .offset:         20
        .size:           4
        .value_kind:     by_value
      - .address_space:  global
        .offset:         24
        .size:           8
        .value_kind:     global_buffer
      - .offset:         32
        .size:           8
        .value_kind:     by_value
      - .offset:         40
        .size:           4
        .value_kind:     by_value
      - .offset:         48
        .size:           8
        .value_kind:     by_value
      - .address_space:  global
        .offset:         56
        .size:           8
        .value_kind:     global_buffer
      - .offset:         64
        .size:           8
        .value_kind:     by_value
      - .offset:         72
        .size:           4
        .value_kind:     by_value
      - .offset:         80
        .size:           8
        .value_kind:     by_value
      - .offset:         88
        .size:           4
        .value_kind:     by_value
      - .offset:         96
        .size:           4
        .value_kind:     hidden_block_count_x
      - .offset:         100
        .size:           4
        .value_kind:     hidden_block_count_y
      - .offset:         104
        .size:           4
        .value_kind:     hidden_block_count_z
      - .offset:         108
        .size:           2
        .value_kind:     hidden_group_size_x
      - .offset:         110
        .size:           2
        .value_kind:     hidden_group_size_y
      - .offset:         112
        .size:           2
        .value_kind:     hidden_group_size_z
      - .offset:         114
        .size:           2
        .value_kind:     hidden_remainder_x
      - .offset:         116
        .size:           2
        .value_kind:     hidden_remainder_y
      - .offset:         118
        .size:           2
        .value_kind:     hidden_remainder_z
      - .offset:         136
        .size:           8
        .value_kind:     hidden_global_offset_x
      - .offset:         144
        .size:           8
        .value_kind:     hidden_global_offset_y
      - .offset:         152
        .size:           8
        .value_kind:     hidden_global_offset_z
      - .offset:         160
        .size:           2
        .value_kind:     hidden_grid_dims
    .group_segment_fixed_size: 576
    .kernarg_segment_align: 8
    .kernarg_segment_size: 352
    .language:       OpenCL C
    .language_version:
      - 2
      - 0
    .max_flat_workgroup_size: 12
    .name:           _ZL30rocblas_trsm_small_left_deviceILi12ELi12ELb1EffPKPKfPKPfEv13rocblas_fill_18rocblas_operation_17rocblas_diagonal_iiT3_T4_lilT5_lili
    .private_segment_fixed_size: 0
    .sgpr_count:     36
    .sgpr_spill_count: 0
    .symbol:         _ZL30rocblas_trsm_small_left_deviceILi12ELi12ELb1EffPKPKfPKPfEv13rocblas_fill_18rocblas_operation_17rocblas_diagonal_iiT3_T4_lilT5_lili.kd
    .uniform_work_group_size: 1
    .uses_dynamic_stack: false
    .vgpr_count:     78
    .vgpr_spill_count: 0
    .wavefront_size: 64
  - .agpr_count:     0
    .args:
      - .offset:         0
        .size:           4
        .value_kind:     by_value
      - .offset:         4
        .size:           4
        .value_kind:     by_value
      - .offset:         8
        .size:           4
        .value_kind:     by_value
      - .offset:         12
        .size:           4
        .value_kind:     by_value
      - .offset:         16
        .size:           4
        .value_kind:     by_value
      - .offset:         20
        .size:           4
        .value_kind:     by_value
      - .address_space:  global
        .offset:         24
        .size:           8
        .value_kind:     global_buffer
      - .offset:         32
        .size:           8
        .value_kind:     by_value
      - .offset:         40
        .size:           4
        .value_kind:     by_value
      - .offset:         48
        .size:           8
        .value_kind:     by_value
      - .address_space:  global
        .offset:         56
        .size:           8
        .value_kind:     global_buffer
      - .offset:         64
        .size:           8
        .value_kind:     by_value
      - .offset:         72
        .size:           4
        .value_kind:     by_value
      - .offset:         80
        .size:           8
        .value_kind:     by_value
      - .offset:         88
        .size:           4
        .value_kind:     by_value
      - .offset:         96
        .size:           4
        .value_kind:     hidden_block_count_x
      - .offset:         100
        .size:           4
        .value_kind:     hidden_block_count_y
      - .offset:         104
        .size:           4
        .value_kind:     hidden_block_count_z
      - .offset:         108
        .size:           2
        .value_kind:     hidden_group_size_x
      - .offset:         110
        .size:           2
        .value_kind:     hidden_group_size_y
      - .offset:         112
        .size:           2
        .value_kind:     hidden_group_size_z
      - .offset:         114
        .size:           2
        .value_kind:     hidden_remainder_x
      - .offset:         116
        .size:           2
        .value_kind:     hidden_remainder_y
      - .offset:         118
        .size:           2
        .value_kind:     hidden_remainder_z
      - .offset:         136
        .size:           8
        .value_kind:     hidden_global_offset_x
      - .offset:         144
        .size:           8
        .value_kind:     hidden_global_offset_y
      - .offset:         152
        .size:           8
        .value_kind:     hidden_global_offset_z
      - .offset:         160
        .size:           2
        .value_kind:     hidden_grid_dims
    .group_segment_fixed_size: 1152
    .kernarg_segment_align: 8
    .kernarg_segment_size: 352
    .language:       OpenCL C
    .language_version:
      - 2
      - 0
    .max_flat_workgroup_size: 12
    .name:           _ZL31rocblas_trsm_small_right_deviceIffPKPKfPKPfLi12EEv13rocblas_fill_18rocblas_operation_17rocblas_diagonal_iiT0_T1_lilT2_lili
    .private_segment_fixed_size: 0
    .sgpr_count:     36
    .sgpr_spill_count: 0
    .symbol:         _ZL31rocblas_trsm_small_right_deviceIffPKPKfPKPfLi12EEv13rocblas_fill_18rocblas_operation_17rocblas_diagonal_iiT0_T1_lilT2_lili.kd
    .uniform_work_group_size: 1
    .uses_dynamic_stack: false
    .vgpr_count:     23
    .vgpr_spill_count: 0
    .wavefront_size: 64
  - .agpr_count:     0
    .args:
      - .offset:         0
        .size:           4
        .value_kind:     by_value
      - .offset:         4
        .size:           4
        .value_kind:     by_value
      - .offset:         8
        .size:           4
        .value_kind:     by_value
      - .offset:         12
        .size:           4
        .value_kind:     by_value
      - .offset:         16
        .size:           4
        .value_kind:     by_value
      - .offset:         20
        .size:           4
        .value_kind:     by_value
      - .address_space:  global
        .offset:         24
        .size:           8
        .value_kind:     global_buffer
      - .offset:         32
        .size:           8
        .value_kind:     by_value
      - .offset:         40
        .size:           4
        .value_kind:     by_value
      - .offset:         48
        .size:           8
        .value_kind:     by_value
      - .address_space:  global
        .offset:         56
        .size:           8
        .value_kind:     global_buffer
      - .offset:         64
        .size:           8
        .value_kind:     by_value
      - .offset:         72
        .size:           4
        .value_kind:     by_value
      - .offset:         80
        .size:           8
        .value_kind:     by_value
      - .offset:         88
        .size:           4
        .value_kind:     by_value
      - .offset:         96
        .size:           4
        .value_kind:     hidden_block_count_x
      - .offset:         100
        .size:           4
        .value_kind:     hidden_block_count_y
      - .offset:         104
        .size:           4
        .value_kind:     hidden_block_count_z
      - .offset:         108
        .size:           2
        .value_kind:     hidden_group_size_x
      - .offset:         110
        .size:           2
        .value_kind:     hidden_group_size_y
      - .offset:         112
        .size:           2
        .value_kind:     hidden_group_size_z
      - .offset:         114
        .size:           2
        .value_kind:     hidden_remainder_x
      - .offset:         116
        .size:           2
        .value_kind:     hidden_remainder_y
      - .offset:         118
        .size:           2
        .value_kind:     hidden_remainder_z
      - .offset:         136
        .size:           8
        .value_kind:     hidden_global_offset_x
      - .offset:         144
        .size:           8
        .value_kind:     hidden_global_offset_y
      - .offset:         152
        .size:           8
        .value_kind:     hidden_global_offset_z
      - .offset:         160
        .size:           2
        .value_kind:     hidden_grid_dims
    .group_segment_fixed_size: 2048
    .kernarg_segment_align: 8
    .kernarg_segment_size: 352
    .language:       OpenCL C
    .language_version:
      - 2
      - 0
    .max_flat_workgroup_size: 16
    .name:           _ZL38rocblas_trsm_small_left_device_sharedBILi16ELi16ELb0EffPKPKfPKPfEv13rocblas_fill_18rocblas_operation_17rocblas_diagonal_iiT3_T4_lilT5_lili
    .private_segment_fixed_size: 0
    .sgpr_count:     38
    .sgpr_spill_count: 0
    .symbol:         _ZL38rocblas_trsm_small_left_device_sharedBILi16ELi16ELb0EffPKPKfPKPfEv13rocblas_fill_18rocblas_operation_17rocblas_diagonal_iiT3_T4_lilT5_lili.kd
    .uniform_work_group_size: 1
    .uses_dynamic_stack: false
    .vgpr_count:     114
    .vgpr_spill_count: 0
    .wavefront_size: 64
  - .agpr_count:     0
    .args:
      - .offset:         0
        .size:           4
        .value_kind:     by_value
      - .offset:         4
        .size:           4
        .value_kind:     by_value
      - .offset:         8
        .size:           4
        .value_kind:     by_value
      - .offset:         12
        .size:           4
        .value_kind:     by_value
      - .offset:         16
        .size:           4
        .value_kind:     by_value
      - .offset:         20
        .size:           4
        .value_kind:     by_value
      - .address_space:  global
        .offset:         24
        .size:           8
        .value_kind:     global_buffer
      - .offset:         32
        .size:           8
        .value_kind:     by_value
      - .offset:         40
        .size:           4
        .value_kind:     by_value
      - .offset:         48
        .size:           8
        .value_kind:     by_value
      - .address_space:  global
        .offset:         56
        .size:           8
        .value_kind:     global_buffer
      - .offset:         64
        .size:           8
        .value_kind:     by_value
      - .offset:         72
        .size:           4
        .value_kind:     by_value
      - .offset:         80
        .size:           8
        .value_kind:     by_value
      - .offset:         88
        .size:           4
        .value_kind:     by_value
      - .offset:         96
        .size:           4
        .value_kind:     hidden_block_count_x
      - .offset:         100
        .size:           4
        .value_kind:     hidden_block_count_y
      - .offset:         104
        .size:           4
        .value_kind:     hidden_block_count_z
      - .offset:         108
        .size:           2
        .value_kind:     hidden_group_size_x
      - .offset:         110
        .size:           2
        .value_kind:     hidden_group_size_y
      - .offset:         112
        .size:           2
        .value_kind:     hidden_group_size_z
      - .offset:         114
        .size:           2
        .value_kind:     hidden_remainder_x
      - .offset:         116
        .size:           2
        .value_kind:     hidden_remainder_y
      - .offset:         118
        .size:           2
        .value_kind:     hidden_remainder_z
      - .offset:         136
        .size:           8
        .value_kind:     hidden_global_offset_x
      - .offset:         144
        .size:           8
        .value_kind:     hidden_global_offset_y
      - .offset:         152
        .size:           8
        .value_kind:     hidden_global_offset_z
      - .offset:         160
        .size:           2
        .value_kind:     hidden_grid_dims
    .group_segment_fixed_size: 1024
    .kernarg_segment_align: 8
    .kernarg_segment_size: 352
    .language:       OpenCL C
    .language_version:
      - 2
      - 0
    .max_flat_workgroup_size: 16
    .name:           _ZL30rocblas_trsm_small_left_deviceILi16ELi16ELb0EffPKPKfPKPfEv13rocblas_fill_18rocblas_operation_17rocblas_diagonal_iiT3_T4_lilT5_lili
    .private_segment_fixed_size: 0
    .sgpr_count:     36
    .sgpr_spill_count: 0
    .symbol:         _ZL30rocblas_trsm_small_left_deviceILi16ELi16ELb0EffPKPKfPKPfEv13rocblas_fill_18rocblas_operation_17rocblas_diagonal_iiT3_T4_lilT5_lili.kd
    .uniform_work_group_size: 1
    .uses_dynamic_stack: false
    .vgpr_count:     164
    .vgpr_spill_count: 0
    .wavefront_size: 64
  - .agpr_count:     0
    .args:
      - .offset:         0
        .size:           4
        .value_kind:     by_value
      - .offset:         4
        .size:           4
        .value_kind:     by_value
      - .offset:         8
        .size:           4
        .value_kind:     by_value
      - .offset:         12
        .size:           4
        .value_kind:     by_value
      - .offset:         16
        .size:           4
        .value_kind:     by_value
      - .offset:         20
        .size:           4
        .value_kind:     by_value
      - .address_space:  global
        .offset:         24
        .size:           8
        .value_kind:     global_buffer
      - .offset:         32
        .size:           8
        .value_kind:     by_value
      - .offset:         40
        .size:           4
        .value_kind:     by_value
      - .offset:         48
        .size:           8
        .value_kind:     by_value
      - .address_space:  global
        .offset:         56
        .size:           8
        .value_kind:     global_buffer
      - .offset:         64
        .size:           8
        .value_kind:     by_value
      - .offset:         72
        .size:           4
        .value_kind:     by_value
      - .offset:         80
        .size:           8
        .value_kind:     by_value
      - .offset:         88
        .size:           4
        .value_kind:     by_value
      - .offset:         96
        .size:           4
        .value_kind:     hidden_block_count_x
      - .offset:         100
        .size:           4
        .value_kind:     hidden_block_count_y
      - .offset:         104
        .size:           4
        .value_kind:     hidden_block_count_z
      - .offset:         108
        .size:           2
        .value_kind:     hidden_group_size_x
      - .offset:         110
        .size:           2
        .value_kind:     hidden_group_size_y
      - .offset:         112
        .size:           2
        .value_kind:     hidden_group_size_z
      - .offset:         114
        .size:           2
        .value_kind:     hidden_remainder_x
      - .offset:         116
        .size:           2
        .value_kind:     hidden_remainder_y
      - .offset:         118
        .size:           2
        .value_kind:     hidden_remainder_z
      - .offset:         136
        .size:           8
        .value_kind:     hidden_global_offset_x
      - .offset:         144
        .size:           8
        .value_kind:     hidden_global_offset_y
      - .offset:         152
        .size:           8
        .value_kind:     hidden_global_offset_z
      - .offset:         160
        .size:           2
        .value_kind:     hidden_grid_dims
    .group_segment_fixed_size: 2048
    .kernarg_segment_align: 8
    .kernarg_segment_size: 352
    .language:       OpenCL C
    .language_version:
      - 2
      - 0
    .max_flat_workgroup_size: 16
    .name:           _ZL38rocblas_trsm_small_left_device_sharedBILi16ELi16ELb1EffPKPKfPKPfEv13rocblas_fill_18rocblas_operation_17rocblas_diagonal_iiT3_T4_lilT5_lili
    .private_segment_fixed_size: 0
    .sgpr_count:     55
    .sgpr_spill_count: 0
    .symbol:         _ZL38rocblas_trsm_small_left_device_sharedBILi16ELi16ELb1EffPKPKfPKPfEv13rocblas_fill_18rocblas_operation_17rocblas_diagonal_iiT3_T4_lilT5_lili.kd
    .uniform_work_group_size: 1
    .uses_dynamic_stack: false
    .vgpr_count:     67
    .vgpr_spill_count: 0
    .wavefront_size: 64
  - .agpr_count:     0
    .args:
      - .offset:         0
        .size:           4
        .value_kind:     by_value
      - .offset:         4
        .size:           4
        .value_kind:     by_value
      - .offset:         8
        .size:           4
        .value_kind:     by_value
      - .offset:         12
        .size:           4
        .value_kind:     by_value
      - .offset:         16
        .size:           4
        .value_kind:     by_value
      - .offset:         20
        .size:           4
        .value_kind:     by_value
      - .address_space:  global
        .offset:         24
        .size:           8
        .value_kind:     global_buffer
      - .offset:         32
        .size:           8
        .value_kind:     by_value
      - .offset:         40
        .size:           4
        .value_kind:     by_value
      - .offset:         48
        .size:           8
        .value_kind:     by_value
      - .address_space:  global
        .offset:         56
        .size:           8
        .value_kind:     global_buffer
      - .offset:         64
        .size:           8
        .value_kind:     by_value
      - .offset:         72
        .size:           4
        .value_kind:     by_value
      - .offset:         80
        .size:           8
        .value_kind:     by_value
      - .offset:         88
        .size:           4
        .value_kind:     by_value
      - .offset:         96
        .size:           4
        .value_kind:     hidden_block_count_x
      - .offset:         100
        .size:           4
        .value_kind:     hidden_block_count_y
      - .offset:         104
        .size:           4
        .value_kind:     hidden_block_count_z
      - .offset:         108
        .size:           2
        .value_kind:     hidden_group_size_x
      - .offset:         110
        .size:           2
        .value_kind:     hidden_group_size_y
      - .offset:         112
        .size:           2
        .value_kind:     hidden_group_size_z
      - .offset:         114
        .size:           2
        .value_kind:     hidden_remainder_x
      - .offset:         116
        .size:           2
        .value_kind:     hidden_remainder_y
      - .offset:         118
        .size:           2
        .value_kind:     hidden_remainder_z
      - .offset:         136
        .size:           8
        .value_kind:     hidden_global_offset_x
      - .offset:         144
        .size:           8
        .value_kind:     hidden_global_offset_y
      - .offset:         152
        .size:           8
        .value_kind:     hidden_global_offset_z
      - .offset:         160
        .size:           2
        .value_kind:     hidden_grid_dims
    .group_segment_fixed_size: 1024
    .kernarg_segment_align: 8
    .kernarg_segment_size: 352
    .language:       OpenCL C
    .language_version:
      - 2
      - 0
    .max_flat_workgroup_size: 16
    .name:           _ZL30rocblas_trsm_small_left_deviceILi16ELi16ELb1EffPKPKfPKPfEv13rocblas_fill_18rocblas_operation_17rocblas_diagonal_iiT3_T4_lilT5_lili
    .private_segment_fixed_size: 0
    .sgpr_count:     42
    .sgpr_spill_count: 0
    .symbol:         _ZL30rocblas_trsm_small_left_deviceILi16ELi16ELb1EffPKPKfPKPfEv13rocblas_fill_18rocblas_operation_17rocblas_diagonal_iiT3_T4_lilT5_lili.kd
    .uniform_work_group_size: 1
    .uses_dynamic_stack: false
    .vgpr_count:     126
    .vgpr_spill_count: 0
    .wavefront_size: 64
  - .agpr_count:     0
    .args:
      - .offset:         0
        .size:           4
        .value_kind:     by_value
      - .offset:         4
        .size:           4
        .value_kind:     by_value
      - .offset:         8
        .size:           4
        .value_kind:     by_value
      - .offset:         12
        .size:           4
        .value_kind:     by_value
      - .offset:         16
        .size:           4
        .value_kind:     by_value
      - .offset:         20
        .size:           4
        .value_kind:     by_value
      - .address_space:  global
        .offset:         24
        .size:           8
        .value_kind:     global_buffer
      - .offset:         32
        .size:           8
        .value_kind:     by_value
      - .offset:         40
        .size:           4
        .value_kind:     by_value
      - .offset:         48
        .size:           8
        .value_kind:     by_value
      - .address_space:  global
        .offset:         56
        .size:           8
        .value_kind:     global_buffer
      - .offset:         64
        .size:           8
        .value_kind:     by_value
      - .offset:         72
        .size:           4
        .value_kind:     by_value
      - .offset:         80
        .size:           8
        .value_kind:     by_value
      - .offset:         88
        .size:           4
        .value_kind:     by_value
      - .offset:         96
        .size:           4
        .value_kind:     hidden_block_count_x
      - .offset:         100
        .size:           4
        .value_kind:     hidden_block_count_y
      - .offset:         104
        .size:           4
        .value_kind:     hidden_block_count_z
      - .offset:         108
        .size:           2
        .value_kind:     hidden_group_size_x
      - .offset:         110
        .size:           2
        .value_kind:     hidden_group_size_y
      - .offset:         112
        .size:           2
        .value_kind:     hidden_group_size_z
      - .offset:         114
        .size:           2
        .value_kind:     hidden_remainder_x
      - .offset:         116
        .size:           2
        .value_kind:     hidden_remainder_y
      - .offset:         118
        .size:           2
        .value_kind:     hidden_remainder_z
      - .offset:         136
        .size:           8
        .value_kind:     hidden_global_offset_x
      - .offset:         144
        .size:           8
        .value_kind:     hidden_global_offset_y
      - .offset:         152
        .size:           8
        .value_kind:     hidden_global_offset_z
      - .offset:         160
        .size:           2
        .value_kind:     hidden_grid_dims
    .group_segment_fixed_size: 2048
    .kernarg_segment_align: 8
    .kernarg_segment_size: 352
    .language:       OpenCL C
    .language_version:
      - 2
      - 0
    .max_flat_workgroup_size: 16
    .name:           _ZL31rocblas_trsm_small_right_deviceIffPKPKfPKPfLi16EEv13rocblas_fill_18rocblas_operation_17rocblas_diagonal_iiT0_T1_lilT2_lili
    .private_segment_fixed_size: 0
    .sgpr_count:     38
    .sgpr_spill_count: 0
    .symbol:         _ZL31rocblas_trsm_small_right_deviceIffPKPKfPKPfLi16EEv13rocblas_fill_18rocblas_operation_17rocblas_diagonal_iiT0_T1_lilT2_lili.kd
    .uniform_work_group_size: 1
    .uses_dynamic_stack: false
    .vgpr_count:     23
    .vgpr_spill_count: 0
    .wavefront_size: 64
  - .agpr_count:     0
    .args:
      - .offset:         0
        .size:           4
        .value_kind:     by_value
      - .offset:         4
        .size:           4
        .value_kind:     by_value
      - .offset:         8
        .size:           4
        .value_kind:     by_value
      - .offset:         12
        .size:           4
        .value_kind:     by_value
      - .offset:         16
        .size:           4
        .value_kind:     by_value
      - .offset:         20
        .size:           4
        .value_kind:     by_value
      - .address_space:  global
        .offset:         24
        .size:           8
        .value_kind:     global_buffer
      - .offset:         32
        .size:           8
        .value_kind:     by_value
      - .offset:         40
        .size:           4
        .value_kind:     by_value
      - .offset:         48
        .size:           8
        .value_kind:     by_value
      - .address_space:  global
        .offset:         56
        .size:           8
        .value_kind:     global_buffer
      - .offset:         64
        .size:           8
        .value_kind:     by_value
      - .offset:         72
        .size:           4
        .value_kind:     by_value
      - .offset:         80
        .size:           8
        .value_kind:     by_value
      - .offset:         88
        .size:           4
        .value_kind:     by_value
      - .offset:         96
        .size:           4
        .value_kind:     hidden_block_count_x
      - .offset:         100
        .size:           4
        .value_kind:     hidden_block_count_y
      - .offset:         104
        .size:           4
        .value_kind:     hidden_block_count_z
      - .offset:         108
        .size:           2
        .value_kind:     hidden_group_size_x
      - .offset:         110
        .size:           2
        .value_kind:     hidden_group_size_y
      - .offset:         112
        .size:           2
        .value_kind:     hidden_group_size_z
      - .offset:         114
        .size:           2
        .value_kind:     hidden_remainder_x
      - .offset:         116
        .size:           2
        .value_kind:     hidden_remainder_y
      - .offset:         118
        .size:           2
        .value_kind:     hidden_remainder_z
      - .offset:         136
        .size:           8
        .value_kind:     hidden_global_offset_x
      - .offset:         144
        .size:           8
        .value_kind:     hidden_global_offset_y
      - .offset:         152
        .size:           8
        .value_kind:     hidden_global_offset_z
      - .offset:         160
        .size:           2
        .value_kind:     hidden_grid_dims
    .group_segment_fixed_size: 3200
    .kernarg_segment_align: 8
    .kernarg_segment_size: 352
    .language:       OpenCL C
    .language_version:
      - 2
      - 0
    .max_flat_workgroup_size: 20
    .name:           _ZL38rocblas_trsm_small_left_device_sharedBILi20ELi20ELb0EffPKPKfPKPfEv13rocblas_fill_18rocblas_operation_17rocblas_diagonal_iiT3_T4_lilT5_lili
    .private_segment_fixed_size: 0
    .sgpr_count:     44
    .sgpr_spill_count: 0
    .symbol:         _ZL38rocblas_trsm_small_left_device_sharedBILi20ELi20ELb0EffPKPKfPKPfEv13rocblas_fill_18rocblas_operation_17rocblas_diagonal_iiT3_T4_lilT5_lili.kd
    .uniform_work_group_size: 1
    .uses_dynamic_stack: false
    .vgpr_count:     123
    .vgpr_spill_count: 0
    .wavefront_size: 64
  - .agpr_count:     0
    .args:
      - .offset:         0
        .size:           4
        .value_kind:     by_value
      - .offset:         4
        .size:           4
        .value_kind:     by_value
      - .offset:         8
        .size:           4
        .value_kind:     by_value
      - .offset:         12
        .size:           4
        .value_kind:     by_value
      - .offset:         16
        .size:           4
        .value_kind:     by_value
      - .offset:         20
        .size:           4
        .value_kind:     by_value
      - .address_space:  global
        .offset:         24
        .size:           8
        .value_kind:     global_buffer
      - .offset:         32
        .size:           8
        .value_kind:     by_value
      - .offset:         40
        .size:           4
        .value_kind:     by_value
      - .offset:         48
        .size:           8
        .value_kind:     by_value
      - .address_space:  global
        .offset:         56
        .size:           8
        .value_kind:     global_buffer
      - .offset:         64
        .size:           8
        .value_kind:     by_value
      - .offset:         72
        .size:           4
        .value_kind:     by_value
      - .offset:         80
        .size:           8
        .value_kind:     by_value
      - .offset:         88
        .size:           4
        .value_kind:     by_value
      - .offset:         96
        .size:           4
        .value_kind:     hidden_block_count_x
      - .offset:         100
        .size:           4
        .value_kind:     hidden_block_count_y
      - .offset:         104
        .size:           4
        .value_kind:     hidden_block_count_z
      - .offset:         108
        .size:           2
        .value_kind:     hidden_group_size_x
      - .offset:         110
        .size:           2
        .value_kind:     hidden_group_size_y
      - .offset:         112
        .size:           2
        .value_kind:     hidden_group_size_z
      - .offset:         114
        .size:           2
        .value_kind:     hidden_remainder_x
      - .offset:         116
        .size:           2
        .value_kind:     hidden_remainder_y
      - .offset:         118
        .size:           2
        .value_kind:     hidden_remainder_z
      - .offset:         136
        .size:           8
        .value_kind:     hidden_global_offset_x
      - .offset:         144
        .size:           8
        .value_kind:     hidden_global_offset_y
      - .offset:         152
        .size:           8
        .value_kind:     hidden_global_offset_z
      - .offset:         160
        .size:           2
        .value_kind:     hidden_grid_dims
    .group_segment_fixed_size: 1600
    .kernarg_segment_align: 8
    .kernarg_segment_size: 352
    .language:       OpenCL C
    .language_version:
      - 2
      - 0
    .max_flat_workgroup_size: 20
    .name:           _ZL30rocblas_trsm_small_left_deviceILi20ELi20ELb0EffPKPKfPKPfEv13rocblas_fill_18rocblas_operation_17rocblas_diagonal_iiT3_T4_lilT5_lili
    .private_segment_fixed_size: 0
    .sgpr_count:     58
    .sgpr_spill_count: 0
    .symbol:         _ZL30rocblas_trsm_small_left_deviceILi20ELi20ELb0EffPKPKfPKPfEv13rocblas_fill_18rocblas_operation_17rocblas_diagonal_iiT3_T4_lilT5_lili.kd
    .uniform_work_group_size: 1
    .uses_dynamic_stack: false
    .vgpr_count:     220
    .vgpr_spill_count: 0
    .wavefront_size: 64
  - .agpr_count:     0
    .args:
      - .offset:         0
        .size:           4
        .value_kind:     by_value
      - .offset:         4
        .size:           4
        .value_kind:     by_value
      - .offset:         8
        .size:           4
        .value_kind:     by_value
      - .offset:         12
        .size:           4
        .value_kind:     by_value
      - .offset:         16
        .size:           4
        .value_kind:     by_value
      - .offset:         20
        .size:           4
        .value_kind:     by_value
      - .address_space:  global
        .offset:         24
        .size:           8
        .value_kind:     global_buffer
      - .offset:         32
        .size:           8
        .value_kind:     by_value
      - .offset:         40
        .size:           4
        .value_kind:     by_value
      - .offset:         48
        .size:           8
        .value_kind:     by_value
      - .address_space:  global
        .offset:         56
        .size:           8
        .value_kind:     global_buffer
      - .offset:         64
        .size:           8
        .value_kind:     by_value
      - .offset:         72
        .size:           4
        .value_kind:     by_value
      - .offset:         80
        .size:           8
        .value_kind:     by_value
      - .offset:         88
        .size:           4
        .value_kind:     by_value
      - .offset:         96
        .size:           4
        .value_kind:     hidden_block_count_x
      - .offset:         100
        .size:           4
        .value_kind:     hidden_block_count_y
      - .offset:         104
        .size:           4
        .value_kind:     hidden_block_count_z
      - .offset:         108
        .size:           2
        .value_kind:     hidden_group_size_x
      - .offset:         110
        .size:           2
        .value_kind:     hidden_group_size_y
      - .offset:         112
        .size:           2
        .value_kind:     hidden_group_size_z
      - .offset:         114
        .size:           2
        .value_kind:     hidden_remainder_x
      - .offset:         116
        .size:           2
        .value_kind:     hidden_remainder_y
      - .offset:         118
        .size:           2
        .value_kind:     hidden_remainder_z
      - .offset:         136
        .size:           8
        .value_kind:     hidden_global_offset_x
      - .offset:         144
        .size:           8
        .value_kind:     hidden_global_offset_y
      - .offset:         152
        .size:           8
        .value_kind:     hidden_global_offset_z
      - .offset:         160
        .size:           2
        .value_kind:     hidden_grid_dims
    .group_segment_fixed_size: 3200
    .kernarg_segment_align: 8
    .kernarg_segment_size: 352
    .language:       OpenCL C
    .language_version:
      - 2
      - 0
    .max_flat_workgroup_size: 20
    .name:           _ZL38rocblas_trsm_small_left_device_sharedBILi20ELi20ELb1EffPKPKfPKPfEv13rocblas_fill_18rocblas_operation_17rocblas_diagonal_iiT3_T4_lilT5_lili
    .private_segment_fixed_size: 0
    .sgpr_count:     61
    .sgpr_spill_count: 0
    .symbol:         _ZL38rocblas_trsm_small_left_device_sharedBILi20ELi20ELb1EffPKPKfPKPfEv13rocblas_fill_18rocblas_operation_17rocblas_diagonal_iiT3_T4_lilT5_lili.kd
    .uniform_work_group_size: 1
    .uses_dynamic_stack: false
    .vgpr_count:     77
    .vgpr_spill_count: 0
    .wavefront_size: 64
  - .agpr_count:     0
    .args:
      - .offset:         0
        .size:           4
        .value_kind:     by_value
      - .offset:         4
        .size:           4
        .value_kind:     by_value
      - .offset:         8
        .size:           4
        .value_kind:     by_value
      - .offset:         12
        .size:           4
        .value_kind:     by_value
      - .offset:         16
        .size:           4
        .value_kind:     by_value
      - .offset:         20
        .size:           4
        .value_kind:     by_value
      - .address_space:  global
        .offset:         24
        .size:           8
        .value_kind:     global_buffer
      - .offset:         32
        .size:           8
        .value_kind:     by_value
      - .offset:         40
        .size:           4
        .value_kind:     by_value
      - .offset:         48
        .size:           8
        .value_kind:     by_value
      - .address_space:  global
        .offset:         56
        .size:           8
        .value_kind:     global_buffer
      - .offset:         64
        .size:           8
        .value_kind:     by_value
      - .offset:         72
        .size:           4
        .value_kind:     by_value
      - .offset:         80
        .size:           8
        .value_kind:     by_value
      - .offset:         88
        .size:           4
        .value_kind:     by_value
      - .offset:         96
        .size:           4
        .value_kind:     hidden_block_count_x
      - .offset:         100
        .size:           4
        .value_kind:     hidden_block_count_y
      - .offset:         104
        .size:           4
        .value_kind:     hidden_block_count_z
      - .offset:         108
        .size:           2
        .value_kind:     hidden_group_size_x
      - .offset:         110
        .size:           2
        .value_kind:     hidden_group_size_y
      - .offset:         112
        .size:           2
        .value_kind:     hidden_group_size_z
      - .offset:         114
        .size:           2
        .value_kind:     hidden_remainder_x
      - .offset:         116
        .size:           2
        .value_kind:     hidden_remainder_y
      - .offset:         118
        .size:           2
        .value_kind:     hidden_remainder_z
      - .offset:         136
        .size:           8
        .value_kind:     hidden_global_offset_x
      - .offset:         144
        .size:           8
        .value_kind:     hidden_global_offset_y
      - .offset:         152
        .size:           8
        .value_kind:     hidden_global_offset_z
      - .offset:         160
        .size:           2
        .value_kind:     hidden_grid_dims
    .group_segment_fixed_size: 1600
    .kernarg_segment_align: 8
    .kernarg_segment_size: 352
    .language:       OpenCL C
    .language_version:
      - 2
      - 0
    .max_flat_workgroup_size: 20
    .name:           _ZL30rocblas_trsm_small_left_deviceILi20ELi20ELb1EffPKPKfPKPfEv13rocblas_fill_18rocblas_operation_17rocblas_diagonal_iiT3_T4_lilT5_lili
    .private_segment_fixed_size: 0
    .sgpr_count:     53
    .sgpr_spill_count: 0
    .symbol:         _ZL30rocblas_trsm_small_left_deviceILi20ELi20ELb1EffPKPKfPKPfEv13rocblas_fill_18rocblas_operation_17rocblas_diagonal_iiT3_T4_lilT5_lili.kd
    .uniform_work_group_size: 1
    .uses_dynamic_stack: false
    .vgpr_count:     154
    .vgpr_spill_count: 0
    .wavefront_size: 64
  - .agpr_count:     0
    .args:
      - .offset:         0
        .size:           4
        .value_kind:     by_value
      - .offset:         4
        .size:           4
        .value_kind:     by_value
      - .offset:         8
        .size:           4
        .value_kind:     by_value
      - .offset:         12
        .size:           4
        .value_kind:     by_value
      - .offset:         16
        .size:           4
        .value_kind:     by_value
      - .offset:         20
        .size:           4
        .value_kind:     by_value
      - .address_space:  global
        .offset:         24
        .size:           8
        .value_kind:     global_buffer
      - .offset:         32
        .size:           8
        .value_kind:     by_value
      - .offset:         40
        .size:           4
        .value_kind:     by_value
      - .offset:         48
        .size:           8
        .value_kind:     by_value
      - .address_space:  global
        .offset:         56
        .size:           8
        .value_kind:     global_buffer
      - .offset:         64
        .size:           8
        .value_kind:     by_value
      - .offset:         72
        .size:           4
        .value_kind:     by_value
      - .offset:         80
        .size:           8
        .value_kind:     by_value
      - .offset:         88
        .size:           4
        .value_kind:     by_value
      - .offset:         96
        .size:           4
        .value_kind:     hidden_block_count_x
      - .offset:         100
        .size:           4
        .value_kind:     hidden_block_count_y
      - .offset:         104
        .size:           4
        .value_kind:     hidden_block_count_z
      - .offset:         108
        .size:           2
        .value_kind:     hidden_group_size_x
      - .offset:         110
        .size:           2
        .value_kind:     hidden_group_size_y
      - .offset:         112
        .size:           2
        .value_kind:     hidden_group_size_z
      - .offset:         114
        .size:           2
        .value_kind:     hidden_remainder_x
      - .offset:         116
        .size:           2
        .value_kind:     hidden_remainder_y
      - .offset:         118
        .size:           2
        .value_kind:     hidden_remainder_z
      - .offset:         136
        .size:           8
        .value_kind:     hidden_global_offset_x
      - .offset:         144
        .size:           8
        .value_kind:     hidden_global_offset_y
      - .offset:         152
        .size:           8
        .value_kind:     hidden_global_offset_z
      - .offset:         160
        .size:           2
        .value_kind:     hidden_grid_dims
    .group_segment_fixed_size: 3200
    .kernarg_segment_align: 8
    .kernarg_segment_size: 352
    .language:       OpenCL C
    .language_version:
      - 2
      - 0
    .max_flat_workgroup_size: 20
    .name:           _ZL31rocblas_trsm_small_right_deviceIffPKPKfPKPfLi20EEv13rocblas_fill_18rocblas_operation_17rocblas_diagonal_iiT0_T1_lilT2_lili
    .private_segment_fixed_size: 0
    .sgpr_count:     36
    .sgpr_spill_count: 0
    .symbol:         _ZL31rocblas_trsm_small_right_deviceIffPKPKfPKPfLi20EEv13rocblas_fill_18rocblas_operation_17rocblas_diagonal_iiT0_T1_lilT2_lili.kd
    .uniform_work_group_size: 1
    .uses_dynamic_stack: false
    .vgpr_count:     23
    .vgpr_spill_count: 0
    .wavefront_size: 64
  - .agpr_count:     0
    .args:
      - .offset:         0
        .size:           4
        .value_kind:     by_value
      - .offset:         4
        .size:           4
        .value_kind:     by_value
      - .offset:         8
        .size:           4
        .value_kind:     by_value
      - .offset:         12
        .size:           4
        .value_kind:     by_value
      - .offset:         16
        .size:           4
        .value_kind:     by_value
      - .offset:         20
        .size:           4
        .value_kind:     by_value
      - .address_space:  global
        .offset:         24
        .size:           8
        .value_kind:     global_buffer
      - .offset:         32
        .size:           8
        .value_kind:     by_value
      - .offset:         40
        .size:           4
        .value_kind:     by_value
      - .offset:         48
        .size:           8
        .value_kind:     by_value
      - .address_space:  global
        .offset:         56
        .size:           8
        .value_kind:     global_buffer
      - .offset:         64
        .size:           8
        .value_kind:     by_value
      - .offset:         72
        .size:           4
        .value_kind:     by_value
      - .offset:         80
        .size:           8
        .value_kind:     by_value
      - .offset:         88
        .size:           4
        .value_kind:     by_value
      - .offset:         96
        .size:           4
        .value_kind:     hidden_block_count_x
      - .offset:         100
        .size:           4
        .value_kind:     hidden_block_count_y
      - .offset:         104
        .size:           4
        .value_kind:     hidden_block_count_z
      - .offset:         108
        .size:           2
        .value_kind:     hidden_group_size_x
      - .offset:         110
        .size:           2
        .value_kind:     hidden_group_size_y
      - .offset:         112
        .size:           2
        .value_kind:     hidden_group_size_z
      - .offset:         114
        .size:           2
        .value_kind:     hidden_remainder_x
      - .offset:         116
        .size:           2
        .value_kind:     hidden_remainder_y
      - .offset:         118
        .size:           2
        .value_kind:     hidden_remainder_z
      - .offset:         136
        .size:           8
        .value_kind:     hidden_global_offset_x
      - .offset:         144
        .size:           8
        .value_kind:     hidden_global_offset_y
      - .offset:         152
        .size:           8
        .value_kind:     hidden_global_offset_z
      - .offset:         160
        .size:           2
        .value_kind:     hidden_grid_dims
    .group_segment_fixed_size: 4608
    .kernarg_segment_align: 8
    .kernarg_segment_size: 352
    .language:       OpenCL C
    .language_version:
      - 2
      - 0
    .max_flat_workgroup_size: 24
    .name:           _ZL38rocblas_trsm_small_left_device_sharedBILi24ELi24ELb0EffPKPKfPKPfEv13rocblas_fill_18rocblas_operation_17rocblas_diagonal_iiT3_T4_lilT5_lili
    .private_segment_fixed_size: 0
    .sgpr_count:     46
    .sgpr_spill_count: 0
    .symbol:         _ZL38rocblas_trsm_small_left_device_sharedBILi24ELi24ELb0EffPKPKfPKPfEv13rocblas_fill_18rocblas_operation_17rocblas_diagonal_iiT3_T4_lilT5_lili.kd
    .uniform_work_group_size: 1
    .uses_dynamic_stack: false
    .vgpr_count:     112
    .vgpr_spill_count: 0
    .wavefront_size: 64
  - .agpr_count:     0
    .args:
      - .offset:         0
        .size:           4
        .value_kind:     by_value
      - .offset:         4
        .size:           4
        .value_kind:     by_value
      - .offset:         8
        .size:           4
        .value_kind:     by_value
      - .offset:         12
        .size:           4
        .value_kind:     by_value
      - .offset:         16
        .size:           4
        .value_kind:     by_value
      - .offset:         20
        .size:           4
        .value_kind:     by_value
      - .address_space:  global
        .offset:         24
        .size:           8
        .value_kind:     global_buffer
      - .offset:         32
        .size:           8
        .value_kind:     by_value
      - .offset:         40
        .size:           4
        .value_kind:     by_value
      - .offset:         48
        .size:           8
        .value_kind:     by_value
      - .address_space:  global
        .offset:         56
        .size:           8
        .value_kind:     global_buffer
      - .offset:         64
        .size:           8
        .value_kind:     by_value
      - .offset:         72
        .size:           4
        .value_kind:     by_value
      - .offset:         80
        .size:           8
        .value_kind:     by_value
      - .offset:         88
        .size:           4
        .value_kind:     by_value
      - .offset:         96
        .size:           4
        .value_kind:     hidden_block_count_x
      - .offset:         100
        .size:           4
        .value_kind:     hidden_block_count_y
      - .offset:         104
        .size:           4
        .value_kind:     hidden_block_count_z
      - .offset:         108
        .size:           2
        .value_kind:     hidden_group_size_x
      - .offset:         110
        .size:           2
        .value_kind:     hidden_group_size_y
      - .offset:         112
        .size:           2
        .value_kind:     hidden_group_size_z
      - .offset:         114
        .size:           2
        .value_kind:     hidden_remainder_x
      - .offset:         116
        .size:           2
        .value_kind:     hidden_remainder_y
      - .offset:         118
        .size:           2
        .value_kind:     hidden_remainder_z
      - .offset:         136
        .size:           8
        .value_kind:     hidden_global_offset_x
      - .offset:         144
        .size:           8
        .value_kind:     hidden_global_offset_y
      - .offset:         152
        .size:           8
        .value_kind:     hidden_global_offset_z
      - .offset:         160
        .size:           2
        .value_kind:     hidden_grid_dims
    .group_segment_fixed_size: 2304
    .kernarg_segment_align: 8
    .kernarg_segment_size: 352
    .language:       OpenCL C
    .language_version:
      - 2
      - 0
    .max_flat_workgroup_size: 24
    .name:           _ZL30rocblas_trsm_small_left_deviceILi24ELi24ELb0EffPKPKfPKPfEv13rocblas_fill_18rocblas_operation_17rocblas_diagonal_iiT3_T4_lilT5_lili
    .private_segment_fixed_size: 0
    .sgpr_count:     49
    .sgpr_spill_count: 0
    .symbol:         _ZL30rocblas_trsm_small_left_deviceILi24ELi24ELb0EffPKPKfPKPfEv13rocblas_fill_18rocblas_operation_17rocblas_diagonal_iiT3_T4_lilT5_lili.kd
    .uniform_work_group_size: 1
    .uses_dynamic_stack: false
    .vgpr_count:     178
    .vgpr_spill_count: 0
    .wavefront_size: 64
  - .agpr_count:     0
    .args:
      - .offset:         0
        .size:           4
        .value_kind:     by_value
      - .offset:         4
        .size:           4
        .value_kind:     by_value
      - .offset:         8
        .size:           4
        .value_kind:     by_value
      - .offset:         12
        .size:           4
        .value_kind:     by_value
      - .offset:         16
        .size:           4
        .value_kind:     by_value
      - .offset:         20
        .size:           4
        .value_kind:     by_value
      - .address_space:  global
        .offset:         24
        .size:           8
        .value_kind:     global_buffer
      - .offset:         32
        .size:           8
        .value_kind:     by_value
      - .offset:         40
        .size:           4
        .value_kind:     by_value
      - .offset:         48
        .size:           8
        .value_kind:     by_value
      - .address_space:  global
        .offset:         56
        .size:           8
        .value_kind:     global_buffer
      - .offset:         64
        .size:           8
        .value_kind:     by_value
      - .offset:         72
        .size:           4
        .value_kind:     by_value
      - .offset:         80
        .size:           8
        .value_kind:     by_value
      - .offset:         88
        .size:           4
        .value_kind:     by_value
      - .offset:         96
        .size:           4
        .value_kind:     hidden_block_count_x
      - .offset:         100
        .size:           4
        .value_kind:     hidden_block_count_y
      - .offset:         104
        .size:           4
        .value_kind:     hidden_block_count_z
      - .offset:         108
        .size:           2
        .value_kind:     hidden_group_size_x
      - .offset:         110
        .size:           2
        .value_kind:     hidden_group_size_y
      - .offset:         112
        .size:           2
        .value_kind:     hidden_group_size_z
      - .offset:         114
        .size:           2
        .value_kind:     hidden_remainder_x
      - .offset:         116
        .size:           2
        .value_kind:     hidden_remainder_y
      - .offset:         118
        .size:           2
        .value_kind:     hidden_remainder_z
      - .offset:         136
        .size:           8
        .value_kind:     hidden_global_offset_x
      - .offset:         144
        .size:           8
        .value_kind:     hidden_global_offset_y
      - .offset:         152
        .size:           8
        .value_kind:     hidden_global_offset_z
      - .offset:         160
        .size:           2
        .value_kind:     hidden_grid_dims
    .group_segment_fixed_size: 4608
    .kernarg_segment_align: 8
    .kernarg_segment_size: 352
    .language:       OpenCL C
    .language_version:
      - 2
      - 0
    .max_flat_workgroup_size: 24
    .name:           _ZL38rocblas_trsm_small_left_device_sharedBILi24ELi24ELb1EffPKPKfPKPfEv13rocblas_fill_18rocblas_operation_17rocblas_diagonal_iiT3_T4_lilT5_lili
    .private_segment_fixed_size: 0
    .sgpr_count:     62
    .sgpr_spill_count: 0
    .symbol:         _ZL38rocblas_trsm_small_left_device_sharedBILi24ELi24ELb1EffPKPKfPKPfEv13rocblas_fill_18rocblas_operation_17rocblas_diagonal_iiT3_T4_lilT5_lili.kd
    .uniform_work_group_size: 1
    .uses_dynamic_stack: false
    .vgpr_count:     97
    .vgpr_spill_count: 0
    .wavefront_size: 64
  - .agpr_count:     0
    .args:
      - .offset:         0
        .size:           4
        .value_kind:     by_value
      - .offset:         4
        .size:           4
        .value_kind:     by_value
      - .offset:         8
        .size:           4
        .value_kind:     by_value
      - .offset:         12
        .size:           4
        .value_kind:     by_value
      - .offset:         16
        .size:           4
        .value_kind:     by_value
      - .offset:         20
        .size:           4
        .value_kind:     by_value
      - .address_space:  global
        .offset:         24
        .size:           8
        .value_kind:     global_buffer
      - .offset:         32
        .size:           8
        .value_kind:     by_value
      - .offset:         40
        .size:           4
        .value_kind:     by_value
      - .offset:         48
        .size:           8
        .value_kind:     by_value
      - .address_space:  global
        .offset:         56
        .size:           8
        .value_kind:     global_buffer
      - .offset:         64
        .size:           8
        .value_kind:     by_value
      - .offset:         72
        .size:           4
        .value_kind:     by_value
      - .offset:         80
        .size:           8
        .value_kind:     by_value
      - .offset:         88
        .size:           4
        .value_kind:     by_value
      - .offset:         96
        .size:           4
        .value_kind:     hidden_block_count_x
      - .offset:         100
        .size:           4
        .value_kind:     hidden_block_count_y
      - .offset:         104
        .size:           4
        .value_kind:     hidden_block_count_z
      - .offset:         108
        .size:           2
        .value_kind:     hidden_group_size_x
      - .offset:         110
        .size:           2
        .value_kind:     hidden_group_size_y
      - .offset:         112
        .size:           2
        .value_kind:     hidden_group_size_z
      - .offset:         114
        .size:           2
        .value_kind:     hidden_remainder_x
      - .offset:         116
        .size:           2
        .value_kind:     hidden_remainder_y
      - .offset:         118
        .size:           2
        .value_kind:     hidden_remainder_z
      - .offset:         136
        .size:           8
        .value_kind:     hidden_global_offset_x
      - .offset:         144
        .size:           8
        .value_kind:     hidden_global_offset_y
      - .offset:         152
        .size:           8
        .value_kind:     hidden_global_offset_z
      - .offset:         160
        .size:           2
        .value_kind:     hidden_grid_dims
    .group_segment_fixed_size: 2304
    .kernarg_segment_align: 8
    .kernarg_segment_size: 352
    .language:       OpenCL C
    .language_version:
      - 2
      - 0
    .max_flat_workgroup_size: 24
    .name:           _ZL30rocblas_trsm_small_left_deviceILi24ELi24ELb1EffPKPKfPKPfEv13rocblas_fill_18rocblas_operation_17rocblas_diagonal_iiT3_T4_lilT5_lili
    .private_segment_fixed_size: 0
    .sgpr_count:     53
    .sgpr_spill_count: 0
    .symbol:         _ZL30rocblas_trsm_small_left_deviceILi24ELi24ELb1EffPKPKfPKPfEv13rocblas_fill_18rocblas_operation_17rocblas_diagonal_iiT3_T4_lilT5_lili.kd
    .uniform_work_group_size: 1
    .uses_dynamic_stack: false
    .vgpr_count:     159
    .vgpr_spill_count: 0
    .wavefront_size: 64
  - .agpr_count:     0
    .args:
      - .offset:         0
        .size:           4
        .value_kind:     by_value
      - .offset:         4
        .size:           4
        .value_kind:     by_value
      - .offset:         8
        .size:           4
        .value_kind:     by_value
      - .offset:         12
        .size:           4
        .value_kind:     by_value
      - .offset:         16
        .size:           4
        .value_kind:     by_value
      - .offset:         20
        .size:           4
        .value_kind:     by_value
      - .address_space:  global
        .offset:         24
        .size:           8
        .value_kind:     global_buffer
      - .offset:         32
        .size:           8
        .value_kind:     by_value
      - .offset:         40
        .size:           4
        .value_kind:     by_value
      - .offset:         48
        .size:           8
        .value_kind:     by_value
      - .address_space:  global
        .offset:         56
        .size:           8
        .value_kind:     global_buffer
      - .offset:         64
        .size:           8
        .value_kind:     by_value
      - .offset:         72
        .size:           4
        .value_kind:     by_value
      - .offset:         80
        .size:           8
        .value_kind:     by_value
      - .offset:         88
        .size:           4
        .value_kind:     by_value
      - .offset:         96
        .size:           4
        .value_kind:     hidden_block_count_x
      - .offset:         100
        .size:           4
        .value_kind:     hidden_block_count_y
      - .offset:         104
        .size:           4
        .value_kind:     hidden_block_count_z
      - .offset:         108
        .size:           2
        .value_kind:     hidden_group_size_x
      - .offset:         110
        .size:           2
        .value_kind:     hidden_group_size_y
      - .offset:         112
        .size:           2
        .value_kind:     hidden_group_size_z
      - .offset:         114
        .size:           2
        .value_kind:     hidden_remainder_x
      - .offset:         116
        .size:           2
        .value_kind:     hidden_remainder_y
      - .offset:         118
        .size:           2
        .value_kind:     hidden_remainder_z
      - .offset:         136
        .size:           8
        .value_kind:     hidden_global_offset_x
      - .offset:         144
        .size:           8
        .value_kind:     hidden_global_offset_y
      - .offset:         152
        .size:           8
        .value_kind:     hidden_global_offset_z
      - .offset:         160
        .size:           2
        .value_kind:     hidden_grid_dims
    .group_segment_fixed_size: 4608
    .kernarg_segment_align: 8
    .kernarg_segment_size: 352
    .language:       OpenCL C
    .language_version:
      - 2
      - 0
    .max_flat_workgroup_size: 24
    .name:           _ZL31rocblas_trsm_small_right_deviceIffPKPKfPKPfLi24EEv13rocblas_fill_18rocblas_operation_17rocblas_diagonal_iiT0_T1_lilT2_lili
    .private_segment_fixed_size: 0
    .sgpr_count:     36
    .sgpr_spill_count: 0
    .symbol:         _ZL31rocblas_trsm_small_right_deviceIffPKPKfPKPfLi24EEv13rocblas_fill_18rocblas_operation_17rocblas_diagonal_iiT0_T1_lilT2_lili.kd
    .uniform_work_group_size: 1
    .uses_dynamic_stack: false
    .vgpr_count:     23
    .vgpr_spill_count: 0
    .wavefront_size: 64
  - .agpr_count:     0
    .args:
      - .offset:         0
        .size:           4
        .value_kind:     by_value
      - .offset:         4
        .size:           4
        .value_kind:     by_value
      - .offset:         8
        .size:           4
        .value_kind:     by_value
      - .offset:         12
        .size:           4
        .value_kind:     by_value
      - .offset:         16
        .size:           4
        .value_kind:     by_value
      - .offset:         20
        .size:           4
        .value_kind:     by_value
      - .address_space:  global
        .offset:         24
        .size:           8
        .value_kind:     global_buffer
      - .offset:         32
        .size:           8
        .value_kind:     by_value
      - .offset:         40
        .size:           4
        .value_kind:     by_value
      - .offset:         48
        .size:           8
        .value_kind:     by_value
      - .address_space:  global
        .offset:         56
        .size:           8
        .value_kind:     global_buffer
      - .offset:         64
        .size:           8
        .value_kind:     by_value
      - .offset:         72
        .size:           4
        .value_kind:     by_value
      - .offset:         80
        .size:           8
        .value_kind:     by_value
      - .offset:         88
        .size:           4
        .value_kind:     by_value
      - .offset:         96
        .size:           4
        .value_kind:     hidden_block_count_x
      - .offset:         100
        .size:           4
        .value_kind:     hidden_block_count_y
      - .offset:         104
        .size:           4
        .value_kind:     hidden_block_count_z
      - .offset:         108
        .size:           2
        .value_kind:     hidden_group_size_x
      - .offset:         110
        .size:           2
        .value_kind:     hidden_group_size_y
      - .offset:         112
        .size:           2
        .value_kind:     hidden_group_size_z
      - .offset:         114
        .size:           2
        .value_kind:     hidden_remainder_x
      - .offset:         116
        .size:           2
        .value_kind:     hidden_remainder_y
      - .offset:         118
        .size:           2
        .value_kind:     hidden_remainder_z
      - .offset:         136
        .size:           8
        .value_kind:     hidden_global_offset_x
      - .offset:         144
        .size:           8
        .value_kind:     hidden_global_offset_y
      - .offset:         152
        .size:           8
        .value_kind:     hidden_global_offset_z
      - .offset:         160
        .size:           2
        .value_kind:     hidden_grid_dims
    .group_segment_fixed_size: 6272
    .kernarg_segment_align: 8
    .kernarg_segment_size: 352
    .language:       OpenCL C
    .language_version:
      - 2
      - 0
    .max_flat_workgroup_size: 28
    .name:           _ZL38rocblas_trsm_small_left_device_sharedBILi28ELi28ELb0EffPKPKfPKPfEv13rocblas_fill_18rocblas_operation_17rocblas_diagonal_iiT3_T4_lilT5_lili
    .private_segment_fixed_size: 0
    .sgpr_count:     48
    .sgpr_spill_count: 0
    .symbol:         _ZL38rocblas_trsm_small_left_device_sharedBILi28ELi28ELb0EffPKPKfPKPfEv13rocblas_fill_18rocblas_operation_17rocblas_diagonal_iiT3_T4_lilT5_lili.kd
    .uniform_work_group_size: 1
    .uses_dynamic_stack: false
    .vgpr_count:     99
    .vgpr_spill_count: 0
    .wavefront_size: 64
  - .agpr_count:     0
    .args:
      - .offset:         0
        .size:           4
        .value_kind:     by_value
      - .offset:         4
        .size:           4
        .value_kind:     by_value
      - .offset:         8
        .size:           4
        .value_kind:     by_value
      - .offset:         12
        .size:           4
        .value_kind:     by_value
      - .offset:         16
        .size:           4
        .value_kind:     by_value
      - .offset:         20
        .size:           4
        .value_kind:     by_value
      - .address_space:  global
        .offset:         24
        .size:           8
        .value_kind:     global_buffer
      - .offset:         32
        .size:           8
        .value_kind:     by_value
      - .offset:         40
        .size:           4
        .value_kind:     by_value
      - .offset:         48
        .size:           8
        .value_kind:     by_value
      - .address_space:  global
        .offset:         56
        .size:           8
        .value_kind:     global_buffer
      - .offset:         64
        .size:           8
        .value_kind:     by_value
      - .offset:         72
        .size:           4
        .value_kind:     by_value
      - .offset:         80
        .size:           8
        .value_kind:     by_value
      - .offset:         88
        .size:           4
        .value_kind:     by_value
      - .offset:         96
        .size:           4
        .value_kind:     hidden_block_count_x
      - .offset:         100
        .size:           4
        .value_kind:     hidden_block_count_y
      - .offset:         104
        .size:           4
        .value_kind:     hidden_block_count_z
      - .offset:         108
        .size:           2
        .value_kind:     hidden_group_size_x
      - .offset:         110
        .size:           2
        .value_kind:     hidden_group_size_y
      - .offset:         112
        .size:           2
        .value_kind:     hidden_group_size_z
      - .offset:         114
        .size:           2
        .value_kind:     hidden_remainder_x
      - .offset:         116
        .size:           2
        .value_kind:     hidden_remainder_y
      - .offset:         118
        .size:           2
        .value_kind:     hidden_remainder_z
      - .offset:         136
        .size:           8
        .value_kind:     hidden_global_offset_x
      - .offset:         144
        .size:           8
        .value_kind:     hidden_global_offset_y
      - .offset:         152
        .size:           8
        .value_kind:     hidden_global_offset_z
      - .offset:         160
        .size:           2
        .value_kind:     hidden_grid_dims
    .group_segment_fixed_size: 3136
    .kernarg_segment_align: 8
    .kernarg_segment_size: 352
    .language:       OpenCL C
    .language_version:
      - 2
      - 0
    .max_flat_workgroup_size: 28
    .name:           _ZL30rocblas_trsm_small_left_deviceILi28ELi28ELb0EffPKPKfPKPfEv13rocblas_fill_18rocblas_operation_17rocblas_diagonal_iiT3_T4_lilT5_lili
    .private_segment_fixed_size: 0
    .sgpr_count:     66
    .sgpr_spill_count: 0
    .symbol:         _ZL30rocblas_trsm_small_left_deviceILi28ELi28ELb0EffPKPKfPKPfEv13rocblas_fill_18rocblas_operation_17rocblas_diagonal_iiT3_T4_lilT5_lili.kd
    .uniform_work_group_size: 1
    .uses_dynamic_stack: false
    .vgpr_count:     256
    .vgpr_spill_count: 0
    .wavefront_size: 64
  - .agpr_count:     0
    .args:
      - .offset:         0
        .size:           4
        .value_kind:     by_value
      - .offset:         4
        .size:           4
        .value_kind:     by_value
      - .offset:         8
        .size:           4
        .value_kind:     by_value
      - .offset:         12
        .size:           4
        .value_kind:     by_value
      - .offset:         16
        .size:           4
        .value_kind:     by_value
      - .offset:         20
        .size:           4
        .value_kind:     by_value
      - .address_space:  global
        .offset:         24
        .size:           8
        .value_kind:     global_buffer
      - .offset:         32
        .size:           8
        .value_kind:     by_value
      - .offset:         40
        .size:           4
        .value_kind:     by_value
      - .offset:         48
        .size:           8
        .value_kind:     by_value
      - .address_space:  global
        .offset:         56
        .size:           8
        .value_kind:     global_buffer
      - .offset:         64
        .size:           8
        .value_kind:     by_value
      - .offset:         72
        .size:           4
        .value_kind:     by_value
      - .offset:         80
        .size:           8
        .value_kind:     by_value
      - .offset:         88
        .size:           4
        .value_kind:     by_value
      - .offset:         96
        .size:           4
        .value_kind:     hidden_block_count_x
      - .offset:         100
        .size:           4
        .value_kind:     hidden_block_count_y
      - .offset:         104
        .size:           4
        .value_kind:     hidden_block_count_z
      - .offset:         108
        .size:           2
        .value_kind:     hidden_group_size_x
      - .offset:         110
        .size:           2
        .value_kind:     hidden_group_size_y
      - .offset:         112
        .size:           2
        .value_kind:     hidden_group_size_z
      - .offset:         114
        .size:           2
        .value_kind:     hidden_remainder_x
      - .offset:         116
        .size:           2
        .value_kind:     hidden_remainder_y
      - .offset:         118
        .size:           2
        .value_kind:     hidden_remainder_z
      - .offset:         136
        .size:           8
        .value_kind:     hidden_global_offset_x
      - .offset:         144
        .size:           8
        .value_kind:     hidden_global_offset_y
      - .offset:         152
        .size:           8
        .value_kind:     hidden_global_offset_z
      - .offset:         160
        .size:           2
        .value_kind:     hidden_grid_dims
    .group_segment_fixed_size: 6272
    .kernarg_segment_align: 8
    .kernarg_segment_size: 352
    .language:       OpenCL C
    .language_version:
      - 2
      - 0
    .max_flat_workgroup_size: 28
    .name:           _ZL38rocblas_trsm_small_left_device_sharedBILi28ELi28ELb1EffPKPKfPKPfEv13rocblas_fill_18rocblas_operation_17rocblas_diagonal_iiT3_T4_lilT5_lili
    .private_segment_fixed_size: 0
    .sgpr_count:     62
    .sgpr_spill_count: 0
    .symbol:         _ZL38rocblas_trsm_small_left_device_sharedBILi28ELi28ELb1EffPKPKfPKPfEv13rocblas_fill_18rocblas_operation_17rocblas_diagonal_iiT3_T4_lilT5_lili.kd
    .uniform_work_group_size: 1
    .uses_dynamic_stack: false
    .vgpr_count:     103
    .vgpr_spill_count: 0
    .wavefront_size: 64
  - .agpr_count:     0
    .args:
      - .offset:         0
        .size:           4
        .value_kind:     by_value
      - .offset:         4
        .size:           4
        .value_kind:     by_value
      - .offset:         8
        .size:           4
        .value_kind:     by_value
      - .offset:         12
        .size:           4
        .value_kind:     by_value
      - .offset:         16
        .size:           4
        .value_kind:     by_value
      - .offset:         20
        .size:           4
        .value_kind:     by_value
      - .address_space:  global
        .offset:         24
        .size:           8
        .value_kind:     global_buffer
      - .offset:         32
        .size:           8
        .value_kind:     by_value
      - .offset:         40
        .size:           4
        .value_kind:     by_value
      - .offset:         48
        .size:           8
        .value_kind:     by_value
      - .address_space:  global
        .offset:         56
        .size:           8
        .value_kind:     global_buffer
      - .offset:         64
        .size:           8
        .value_kind:     by_value
      - .offset:         72
        .size:           4
        .value_kind:     by_value
      - .offset:         80
        .size:           8
        .value_kind:     by_value
      - .offset:         88
        .size:           4
        .value_kind:     by_value
      - .offset:         96
        .size:           4
        .value_kind:     hidden_block_count_x
      - .offset:         100
        .size:           4
        .value_kind:     hidden_block_count_y
      - .offset:         104
        .size:           4
        .value_kind:     hidden_block_count_z
      - .offset:         108
        .size:           2
        .value_kind:     hidden_group_size_x
      - .offset:         110
        .size:           2
        .value_kind:     hidden_group_size_y
      - .offset:         112
        .size:           2
        .value_kind:     hidden_group_size_z
      - .offset:         114
        .size:           2
        .value_kind:     hidden_remainder_x
      - .offset:         116
        .size:           2
        .value_kind:     hidden_remainder_y
      - .offset:         118
        .size:           2
        .value_kind:     hidden_remainder_z
      - .offset:         136
        .size:           8
        .value_kind:     hidden_global_offset_x
      - .offset:         144
        .size:           8
        .value_kind:     hidden_global_offset_y
      - .offset:         152
        .size:           8
        .value_kind:     hidden_global_offset_z
      - .offset:         160
        .size:           2
        .value_kind:     hidden_grid_dims
    .group_segment_fixed_size: 3136
    .kernarg_segment_align: 8
    .kernarg_segment_size: 352
    .language:       OpenCL C
    .language_version:
      - 2
      - 0
    .max_flat_workgroup_size: 28
    .name:           _ZL30rocblas_trsm_small_left_deviceILi28ELi28ELb1EffPKPKfPKPfEv13rocblas_fill_18rocblas_operation_17rocblas_diagonal_iiT3_T4_lilT5_lili
    .private_segment_fixed_size: 0
    .sgpr_count:     56
    .sgpr_spill_count: 0
    .symbol:         _ZL30rocblas_trsm_small_left_deviceILi28ELi28ELb1EffPKPKfPKPfEv13rocblas_fill_18rocblas_operation_17rocblas_diagonal_iiT3_T4_lilT5_lili.kd
    .uniform_work_group_size: 1
    .uses_dynamic_stack: false
    .vgpr_count:     176
    .vgpr_spill_count: 0
    .wavefront_size: 64
  - .agpr_count:     0
    .args:
      - .offset:         0
        .size:           4
        .value_kind:     by_value
      - .offset:         4
        .size:           4
        .value_kind:     by_value
      - .offset:         8
        .size:           4
        .value_kind:     by_value
      - .offset:         12
        .size:           4
        .value_kind:     by_value
      - .offset:         16
        .size:           4
        .value_kind:     by_value
      - .offset:         20
        .size:           4
        .value_kind:     by_value
      - .address_space:  global
        .offset:         24
        .size:           8
        .value_kind:     global_buffer
      - .offset:         32
        .size:           8
        .value_kind:     by_value
      - .offset:         40
        .size:           4
        .value_kind:     by_value
      - .offset:         48
        .size:           8
        .value_kind:     by_value
      - .address_space:  global
        .offset:         56
        .size:           8
        .value_kind:     global_buffer
      - .offset:         64
        .size:           8
        .value_kind:     by_value
      - .offset:         72
        .size:           4
        .value_kind:     by_value
      - .offset:         80
        .size:           8
        .value_kind:     by_value
      - .offset:         88
        .size:           4
        .value_kind:     by_value
      - .offset:         96
        .size:           4
        .value_kind:     hidden_block_count_x
      - .offset:         100
        .size:           4
        .value_kind:     hidden_block_count_y
      - .offset:         104
        .size:           4
        .value_kind:     hidden_block_count_z
      - .offset:         108
        .size:           2
        .value_kind:     hidden_group_size_x
      - .offset:         110
        .size:           2
        .value_kind:     hidden_group_size_y
      - .offset:         112
        .size:           2
        .value_kind:     hidden_group_size_z
      - .offset:         114
        .size:           2
        .value_kind:     hidden_remainder_x
      - .offset:         116
        .size:           2
        .value_kind:     hidden_remainder_y
      - .offset:         118
        .size:           2
        .value_kind:     hidden_remainder_z
      - .offset:         136
        .size:           8
        .value_kind:     hidden_global_offset_x
      - .offset:         144
        .size:           8
        .value_kind:     hidden_global_offset_y
      - .offset:         152
        .size:           8
        .value_kind:     hidden_global_offset_z
      - .offset:         160
        .size:           2
        .value_kind:     hidden_grid_dims
    .group_segment_fixed_size: 6272
    .kernarg_segment_align: 8
    .kernarg_segment_size: 352
    .language:       OpenCL C
    .language_version:
      - 2
      - 0
    .max_flat_workgroup_size: 28
    .name:           _ZL31rocblas_trsm_small_right_deviceIffPKPKfPKPfLi28EEv13rocblas_fill_18rocblas_operation_17rocblas_diagonal_iiT0_T1_lilT2_lili
    .private_segment_fixed_size: 0
    .sgpr_count:     36
    .sgpr_spill_count: 0
    .symbol:         _ZL31rocblas_trsm_small_right_deviceIffPKPKfPKPfLi28EEv13rocblas_fill_18rocblas_operation_17rocblas_diagonal_iiT0_T1_lilT2_lili.kd
    .uniform_work_group_size: 1
    .uses_dynamic_stack: false
    .vgpr_count:     23
    .vgpr_spill_count: 0
    .wavefront_size: 64
  - .agpr_count:     0
    .args:
      - .offset:         0
        .size:           4
        .value_kind:     by_value
      - .offset:         4
        .size:           4
        .value_kind:     by_value
      - .offset:         8
        .size:           4
        .value_kind:     by_value
      - .offset:         12
        .size:           4
        .value_kind:     by_value
      - .offset:         16
        .size:           4
        .value_kind:     by_value
      - .offset:         20
        .size:           4
        .value_kind:     by_value
      - .address_space:  global
        .offset:         24
        .size:           8
        .value_kind:     global_buffer
      - .offset:         32
        .size:           8
        .value_kind:     by_value
      - .offset:         40
        .size:           4
        .value_kind:     by_value
      - .offset:         48
        .size:           8
        .value_kind:     by_value
      - .address_space:  global
        .offset:         56
        .size:           8
        .value_kind:     global_buffer
      - .offset:         64
        .size:           8
        .value_kind:     by_value
      - .offset:         72
        .size:           4
        .value_kind:     by_value
      - .offset:         80
        .size:           8
        .value_kind:     by_value
      - .offset:         88
        .size:           4
        .value_kind:     by_value
      - .offset:         96
        .size:           4
        .value_kind:     hidden_block_count_x
      - .offset:         100
        .size:           4
        .value_kind:     hidden_block_count_y
      - .offset:         104
        .size:           4
        .value_kind:     hidden_block_count_z
      - .offset:         108
        .size:           2
        .value_kind:     hidden_group_size_x
      - .offset:         110
        .size:           2
        .value_kind:     hidden_group_size_y
      - .offset:         112
        .size:           2
        .value_kind:     hidden_group_size_z
      - .offset:         114
        .size:           2
        .value_kind:     hidden_remainder_x
      - .offset:         116
        .size:           2
        .value_kind:     hidden_remainder_y
      - .offset:         118
        .size:           2
        .value_kind:     hidden_remainder_z
      - .offset:         136
        .size:           8
        .value_kind:     hidden_global_offset_x
      - .offset:         144
        .size:           8
        .value_kind:     hidden_global_offset_y
      - .offset:         152
        .size:           8
        .value_kind:     hidden_global_offset_z
      - .offset:         160
        .size:           2
        .value_kind:     hidden_grid_dims
    .group_segment_fixed_size: 8192
    .kernarg_segment_align: 8
    .kernarg_segment_size: 352
    .language:       OpenCL C
    .language_version:
      - 2
      - 0
    .max_flat_workgroup_size: 32
    .name:           _ZL38rocblas_trsm_small_left_device_sharedBILi32ELi32ELb0EffPKPKfPKPfEv13rocblas_fill_18rocblas_operation_17rocblas_diagonal_iiT3_T4_lilT5_lili
    .private_segment_fixed_size: 0
    .sgpr_count:     57
    .sgpr_spill_count: 0
    .symbol:         _ZL38rocblas_trsm_small_left_device_sharedBILi32ELi32ELb0EffPKPKfPKPfEv13rocblas_fill_18rocblas_operation_17rocblas_diagonal_iiT3_T4_lilT5_lili.kd
    .uniform_work_group_size: 1
    .uses_dynamic_stack: false
    .vgpr_count:     131
    .vgpr_spill_count: 0
    .wavefront_size: 64
  - .agpr_count:     0
    .args:
      - .offset:         0
        .size:           4
        .value_kind:     by_value
      - .offset:         4
        .size:           4
        .value_kind:     by_value
      - .offset:         8
        .size:           4
        .value_kind:     by_value
      - .offset:         12
        .size:           4
        .value_kind:     by_value
      - .offset:         16
        .size:           4
        .value_kind:     by_value
      - .offset:         20
        .size:           4
        .value_kind:     by_value
      - .address_space:  global
        .offset:         24
        .size:           8
        .value_kind:     global_buffer
      - .offset:         32
        .size:           8
        .value_kind:     by_value
      - .offset:         40
        .size:           4
        .value_kind:     by_value
      - .offset:         48
        .size:           8
        .value_kind:     by_value
      - .address_space:  global
        .offset:         56
        .size:           8
        .value_kind:     global_buffer
      - .offset:         64
        .size:           8
        .value_kind:     by_value
      - .offset:         72
        .size:           4
        .value_kind:     by_value
      - .offset:         80
        .size:           8
        .value_kind:     by_value
      - .offset:         88
        .size:           4
        .value_kind:     by_value
      - .offset:         96
        .size:           4
        .value_kind:     hidden_block_count_x
      - .offset:         100
        .size:           4
        .value_kind:     hidden_block_count_y
      - .offset:         104
        .size:           4
        .value_kind:     hidden_block_count_z
      - .offset:         108
        .size:           2
        .value_kind:     hidden_group_size_x
      - .offset:         110
        .size:           2
        .value_kind:     hidden_group_size_y
      - .offset:         112
        .size:           2
        .value_kind:     hidden_group_size_z
      - .offset:         114
        .size:           2
        .value_kind:     hidden_remainder_x
      - .offset:         116
        .size:           2
        .value_kind:     hidden_remainder_y
      - .offset:         118
        .size:           2
        .value_kind:     hidden_remainder_z
      - .offset:         136
        .size:           8
        .value_kind:     hidden_global_offset_x
      - .offset:         144
        .size:           8
        .value_kind:     hidden_global_offset_y
      - .offset:         152
        .size:           8
        .value_kind:     hidden_global_offset_z
      - .offset:         160
        .size:           2
        .value_kind:     hidden_grid_dims
    .group_segment_fixed_size: 4096
    .kernarg_segment_align: 8
    .kernarg_segment_size: 352
    .language:       OpenCL C
    .language_version:
      - 2
      - 0
    .max_flat_workgroup_size: 32
    .name:           _ZL30rocblas_trsm_small_left_deviceILi32ELi32ELb0EffPKPKfPKPfEv13rocblas_fill_18rocblas_operation_17rocblas_diagonal_iiT3_T4_lilT5_lili
    .private_segment_fixed_size: 0
    .sgpr_count:     74
    .sgpr_spill_count: 0
    .symbol:         _ZL30rocblas_trsm_small_left_deviceILi32ELi32ELb0EffPKPKfPKPfEv13rocblas_fill_18rocblas_operation_17rocblas_diagonal_iiT3_T4_lilT5_lili.kd
    .uniform_work_group_size: 1
    .uses_dynamic_stack: false
    .vgpr_count:     188
    .vgpr_spill_count: 0
    .wavefront_size: 64
  - .agpr_count:     0
    .args:
      - .offset:         0
        .size:           4
        .value_kind:     by_value
      - .offset:         4
        .size:           4
        .value_kind:     by_value
      - .offset:         8
        .size:           4
        .value_kind:     by_value
      - .offset:         12
        .size:           4
        .value_kind:     by_value
      - .offset:         16
        .size:           4
        .value_kind:     by_value
      - .offset:         20
        .size:           4
        .value_kind:     by_value
      - .address_space:  global
        .offset:         24
        .size:           8
        .value_kind:     global_buffer
      - .offset:         32
        .size:           8
        .value_kind:     by_value
      - .offset:         40
        .size:           4
        .value_kind:     by_value
      - .offset:         48
        .size:           8
        .value_kind:     by_value
      - .address_space:  global
        .offset:         56
        .size:           8
        .value_kind:     global_buffer
      - .offset:         64
        .size:           8
        .value_kind:     by_value
      - .offset:         72
        .size:           4
        .value_kind:     by_value
      - .offset:         80
        .size:           8
        .value_kind:     by_value
      - .offset:         88
        .size:           4
        .value_kind:     by_value
      - .offset:         96
        .size:           4
        .value_kind:     hidden_block_count_x
      - .offset:         100
        .size:           4
        .value_kind:     hidden_block_count_y
      - .offset:         104
        .size:           4
        .value_kind:     hidden_block_count_z
      - .offset:         108
        .size:           2
        .value_kind:     hidden_group_size_x
      - .offset:         110
        .size:           2
        .value_kind:     hidden_group_size_y
      - .offset:         112
        .size:           2
        .value_kind:     hidden_group_size_z
      - .offset:         114
        .size:           2
        .value_kind:     hidden_remainder_x
      - .offset:         116
        .size:           2
        .value_kind:     hidden_remainder_y
      - .offset:         118
        .size:           2
        .value_kind:     hidden_remainder_z
      - .offset:         136
        .size:           8
        .value_kind:     hidden_global_offset_x
      - .offset:         144
        .size:           8
        .value_kind:     hidden_global_offset_y
      - .offset:         152
        .size:           8
        .value_kind:     hidden_global_offset_z
      - .offset:         160
        .size:           2
        .value_kind:     hidden_grid_dims
    .group_segment_fixed_size: 8192
    .kernarg_segment_align: 8
    .kernarg_segment_size: 352
    .language:       OpenCL C
    .language_version:
      - 2
      - 0
    .max_flat_workgroup_size: 32
    .name:           _ZL38rocblas_trsm_small_left_device_sharedBILi32ELi32ELb1EffPKPKfPKPfEv13rocblas_fill_18rocblas_operation_17rocblas_diagonal_iiT3_T4_lilT5_lili
    .private_segment_fixed_size: 0
    .sgpr_count:     78
    .sgpr_spill_count: 0
    .symbol:         _ZL38rocblas_trsm_small_left_device_sharedBILi32ELi32ELb1EffPKPKfPKPfEv13rocblas_fill_18rocblas_operation_17rocblas_diagonal_iiT3_T4_lilT5_lili.kd
    .uniform_work_group_size: 1
    .uses_dynamic_stack: false
    .vgpr_count:     94
    .vgpr_spill_count: 0
    .wavefront_size: 64
  - .agpr_count:     0
    .args:
      - .offset:         0
        .size:           4
        .value_kind:     by_value
      - .offset:         4
        .size:           4
        .value_kind:     by_value
      - .offset:         8
        .size:           4
        .value_kind:     by_value
      - .offset:         12
        .size:           4
        .value_kind:     by_value
      - .offset:         16
        .size:           4
        .value_kind:     by_value
      - .offset:         20
        .size:           4
        .value_kind:     by_value
      - .address_space:  global
        .offset:         24
        .size:           8
        .value_kind:     global_buffer
      - .offset:         32
        .size:           8
        .value_kind:     by_value
      - .offset:         40
        .size:           4
        .value_kind:     by_value
      - .offset:         48
        .size:           8
        .value_kind:     by_value
      - .address_space:  global
        .offset:         56
        .size:           8
        .value_kind:     global_buffer
      - .offset:         64
        .size:           8
        .value_kind:     by_value
      - .offset:         72
        .size:           4
        .value_kind:     by_value
      - .offset:         80
        .size:           8
        .value_kind:     by_value
      - .offset:         88
        .size:           4
        .value_kind:     by_value
      - .offset:         96
        .size:           4
        .value_kind:     hidden_block_count_x
      - .offset:         100
        .size:           4
        .value_kind:     hidden_block_count_y
      - .offset:         104
        .size:           4
        .value_kind:     hidden_block_count_z
      - .offset:         108
        .size:           2
        .value_kind:     hidden_group_size_x
      - .offset:         110
        .size:           2
        .value_kind:     hidden_group_size_y
      - .offset:         112
        .size:           2
        .value_kind:     hidden_group_size_z
      - .offset:         114
        .size:           2
        .value_kind:     hidden_remainder_x
      - .offset:         116
        .size:           2
        .value_kind:     hidden_remainder_y
      - .offset:         118
        .size:           2
        .value_kind:     hidden_remainder_z
      - .offset:         136
        .size:           8
        .value_kind:     hidden_global_offset_x
      - .offset:         144
        .size:           8
        .value_kind:     hidden_global_offset_y
      - .offset:         152
        .size:           8
        .value_kind:     hidden_global_offset_z
      - .offset:         160
        .size:           2
        .value_kind:     hidden_grid_dims
    .group_segment_fixed_size: 4096
    .kernarg_segment_align: 8
    .kernarg_segment_size: 352
    .language:       OpenCL C
    .language_version:
      - 2
      - 0
    .max_flat_workgroup_size: 32
    .name:           _ZL30rocblas_trsm_small_left_deviceILi32ELi32ELb1EffPKPKfPKPfEv13rocblas_fill_18rocblas_operation_17rocblas_diagonal_iiT3_T4_lilT5_lili
    .private_segment_fixed_size: 0
    .sgpr_count:     36
    .sgpr_spill_count: 0
    .symbol:         _ZL30rocblas_trsm_small_left_deviceILi32ELi32ELb1EffPKPKfPKPfEv13rocblas_fill_18rocblas_operation_17rocblas_diagonal_iiT3_T4_lilT5_lili.kd
    .uniform_work_group_size: 1
    .uses_dynamic_stack: false
    .vgpr_count:     204
    .vgpr_spill_count: 0
    .wavefront_size: 64
  - .agpr_count:     0
    .args:
      - .offset:         0
        .size:           4
        .value_kind:     by_value
      - .offset:         4
        .size:           4
        .value_kind:     by_value
      - .offset:         8
        .size:           4
        .value_kind:     by_value
      - .offset:         12
        .size:           4
        .value_kind:     by_value
      - .offset:         16
        .size:           4
        .value_kind:     by_value
      - .offset:         20
        .size:           4
        .value_kind:     by_value
      - .address_space:  global
        .offset:         24
        .size:           8
        .value_kind:     global_buffer
      - .offset:         32
        .size:           8
        .value_kind:     by_value
      - .offset:         40
        .size:           4
        .value_kind:     by_value
      - .offset:         48
        .size:           8
        .value_kind:     by_value
      - .address_space:  global
        .offset:         56
        .size:           8
        .value_kind:     global_buffer
      - .offset:         64
        .size:           8
        .value_kind:     by_value
      - .offset:         72
        .size:           4
        .value_kind:     by_value
      - .offset:         80
        .size:           8
        .value_kind:     by_value
      - .offset:         88
        .size:           4
        .value_kind:     by_value
      - .offset:         96
        .size:           4
        .value_kind:     hidden_block_count_x
      - .offset:         100
        .size:           4
        .value_kind:     hidden_block_count_y
      - .offset:         104
        .size:           4
        .value_kind:     hidden_block_count_z
      - .offset:         108
        .size:           2
        .value_kind:     hidden_group_size_x
      - .offset:         110
        .size:           2
        .value_kind:     hidden_group_size_y
      - .offset:         112
        .size:           2
        .value_kind:     hidden_group_size_z
      - .offset:         114
        .size:           2
        .value_kind:     hidden_remainder_x
      - .offset:         116
        .size:           2
        .value_kind:     hidden_remainder_y
      - .offset:         118
        .size:           2
        .value_kind:     hidden_remainder_z
      - .offset:         136
        .size:           8
        .value_kind:     hidden_global_offset_x
      - .offset:         144
        .size:           8
        .value_kind:     hidden_global_offset_y
      - .offset:         152
        .size:           8
        .value_kind:     hidden_global_offset_z
      - .offset:         160
        .size:           2
        .value_kind:     hidden_grid_dims
    .group_segment_fixed_size: 8192
    .kernarg_segment_align: 8
    .kernarg_segment_size: 352
    .language:       OpenCL C
    .language_version:
      - 2
      - 0
    .max_flat_workgroup_size: 32
    .name:           _ZL31rocblas_trsm_small_right_deviceIffPKPKfPKPfLi32EEv13rocblas_fill_18rocblas_operation_17rocblas_diagonal_iiT0_T1_lilT2_lili
    .private_segment_fixed_size: 0
    .sgpr_count:     38
    .sgpr_spill_count: 0
    .symbol:         _ZL31rocblas_trsm_small_right_deviceIffPKPKfPKPfLi32EEv13rocblas_fill_18rocblas_operation_17rocblas_diagonal_iiT0_T1_lilT2_lili.kd
    .uniform_work_group_size: 1
    .uses_dynamic_stack: false
    .vgpr_count:     23
    .vgpr_spill_count: 0
    .wavefront_size: 64
  - .agpr_count:     0
    .args:
      - .offset:         0
        .size:           4
        .value_kind:     by_value
      - .offset:         4
        .size:           4
        .value_kind:     by_value
      - .offset:         8
        .size:           4
        .value_kind:     by_value
      - .offset:         12
        .size:           4
        .value_kind:     by_value
      - .offset:         16
        .size:           4
        .value_kind:     by_value
      - .offset:         20
        .size:           4
        .value_kind:     by_value
      - .address_space:  global
        .offset:         24
        .size:           8
        .value_kind:     global_buffer
      - .offset:         32
        .size:           8
        .value_kind:     by_value
      - .offset:         40
        .size:           4
        .value_kind:     by_value
      - .offset:         48
        .size:           8
        .value_kind:     by_value
      - .address_space:  global
        .offset:         56
        .size:           8
        .value_kind:     global_buffer
      - .offset:         64
        .size:           8
        .value_kind:     by_value
      - .offset:         72
        .size:           4
        .value_kind:     by_value
      - .offset:         80
        .size:           8
        .value_kind:     by_value
      - .offset:         88
        .size:           4
        .value_kind:     by_value
      - .offset:         96
        .size:           4
        .value_kind:     hidden_block_count_x
      - .offset:         100
        .size:           4
        .value_kind:     hidden_block_count_y
      - .offset:         104
        .size:           4
        .value_kind:     hidden_block_count_z
      - .offset:         108
        .size:           2
        .value_kind:     hidden_group_size_x
      - .offset:         110
        .size:           2
        .value_kind:     hidden_group_size_y
      - .offset:         112
        .size:           2
        .value_kind:     hidden_group_size_z
      - .offset:         114
        .size:           2
        .value_kind:     hidden_remainder_x
      - .offset:         116
        .size:           2
        .value_kind:     hidden_remainder_y
      - .offset:         118
        .size:           2
        .value_kind:     hidden_remainder_z
      - .offset:         136
        .size:           8
        .value_kind:     hidden_global_offset_x
      - .offset:         144
        .size:           8
        .value_kind:     hidden_global_offset_y
      - .offset:         152
        .size:           8
        .value_kind:     hidden_global_offset_z
      - .offset:         160
        .size:           2
        .value_kind:     hidden_grid_dims
    .group_segment_fixed_size: 32768
    .kernarg_segment_align: 8
    .kernarg_segment_size: 352
    .language:       OpenCL C
    .language_version:
      - 2
      - 0
    .max_flat_workgroup_size: 64
    .name:           _ZL38rocblas_trsm_small_left_device_sharedBILi64ELi32ELb0EffPKPKfPKPfEv13rocblas_fill_18rocblas_operation_17rocblas_diagonal_iiT3_T4_lilT5_lili
    .private_segment_fixed_size: 0
    .sgpr_count:     38
    .sgpr_spill_count: 0
    .symbol:         _ZL38rocblas_trsm_small_left_device_sharedBILi64ELi32ELb0EffPKPKfPKPfEv13rocblas_fill_18rocblas_operation_17rocblas_diagonal_iiT3_T4_lilT5_lili.kd
    .uniform_work_group_size: 1
    .uses_dynamic_stack: false
    .vgpr_count:     70
    .vgpr_spill_count: 0
    .wavefront_size: 64
  - .agpr_count:     0
    .args:
      - .offset:         0
        .size:           4
        .value_kind:     by_value
      - .offset:         4
        .size:           4
        .value_kind:     by_value
      - .offset:         8
        .size:           4
        .value_kind:     by_value
      - .offset:         12
        .size:           4
        .value_kind:     by_value
      - .offset:         16
        .size:           4
        .value_kind:     by_value
      - .offset:         20
        .size:           4
        .value_kind:     by_value
      - .address_space:  global
        .offset:         24
        .size:           8
        .value_kind:     global_buffer
      - .offset:         32
        .size:           8
        .value_kind:     by_value
      - .offset:         40
        .size:           4
        .value_kind:     by_value
      - .offset:         48
        .size:           8
        .value_kind:     by_value
      - .address_space:  global
        .offset:         56
        .size:           8
        .value_kind:     global_buffer
      - .offset:         64
        .size:           8
        .value_kind:     by_value
      - .offset:         72
        .size:           4
        .value_kind:     by_value
      - .offset:         80
        .size:           8
        .value_kind:     by_value
      - .offset:         88
        .size:           4
        .value_kind:     by_value
      - .offset:         96
        .size:           4
        .value_kind:     hidden_block_count_x
      - .offset:         100
        .size:           4
        .value_kind:     hidden_block_count_y
      - .offset:         104
        .size:           4
        .value_kind:     hidden_block_count_z
      - .offset:         108
        .size:           2
        .value_kind:     hidden_group_size_x
      - .offset:         110
        .size:           2
        .value_kind:     hidden_group_size_y
      - .offset:         112
        .size:           2
        .value_kind:     hidden_group_size_z
      - .offset:         114
        .size:           2
        .value_kind:     hidden_remainder_x
      - .offset:         116
        .size:           2
        .value_kind:     hidden_remainder_y
      - .offset:         118
        .size:           2
        .value_kind:     hidden_remainder_z
      - .offset:         136
        .size:           8
        .value_kind:     hidden_global_offset_x
      - .offset:         144
        .size:           8
        .value_kind:     hidden_global_offset_y
      - .offset:         152
        .size:           8
        .value_kind:     hidden_global_offset_z
      - .offset:         160
        .size:           2
        .value_kind:     hidden_grid_dims
    .group_segment_fixed_size: 16384
    .kernarg_segment_align: 8
    .kernarg_segment_size: 352
    .language:       OpenCL C
    .language_version:
      - 2
      - 0
    .max_flat_workgroup_size: 64
    .name:           _ZL30rocblas_trsm_small_left_deviceILi64ELi32ELb0EffPKPKfPKPfEv13rocblas_fill_18rocblas_operation_17rocblas_diagonal_iiT3_T4_lilT5_lili
    .private_segment_fixed_size: 0
    .sgpr_count:     58
    .sgpr_spill_count: 0
    .symbol:         _ZL30rocblas_trsm_small_left_deviceILi64ELi32ELb0EffPKPKfPKPfEv13rocblas_fill_18rocblas_operation_17rocblas_diagonal_iiT3_T4_lilT5_lili.kd
    .uniform_work_group_size: 1
    .uses_dynamic_stack: false
    .vgpr_count:     74
    .vgpr_spill_count: 0
    .wavefront_size: 64
  - .agpr_count:     0
    .args:
      - .offset:         0
        .size:           4
        .value_kind:     by_value
      - .offset:         4
        .size:           4
        .value_kind:     by_value
      - .offset:         8
        .size:           4
        .value_kind:     by_value
      - .offset:         12
        .size:           4
        .value_kind:     by_value
      - .offset:         16
        .size:           4
        .value_kind:     by_value
      - .offset:         20
        .size:           4
        .value_kind:     by_value
      - .address_space:  global
        .offset:         24
        .size:           8
        .value_kind:     global_buffer
      - .offset:         32
        .size:           8
        .value_kind:     by_value
      - .offset:         40
        .size:           4
        .value_kind:     by_value
      - .offset:         48
        .size:           8
        .value_kind:     by_value
      - .address_space:  global
        .offset:         56
        .size:           8
        .value_kind:     global_buffer
      - .offset:         64
        .size:           8
        .value_kind:     by_value
      - .offset:         72
        .size:           4
        .value_kind:     by_value
      - .offset:         80
        .size:           8
        .value_kind:     by_value
      - .offset:         88
        .size:           4
        .value_kind:     by_value
      - .offset:         96
        .size:           4
        .value_kind:     hidden_block_count_x
      - .offset:         100
        .size:           4
        .value_kind:     hidden_block_count_y
      - .offset:         104
        .size:           4
        .value_kind:     hidden_block_count_z
      - .offset:         108
        .size:           2
        .value_kind:     hidden_group_size_x
      - .offset:         110
        .size:           2
        .value_kind:     hidden_group_size_y
      - .offset:         112
        .size:           2
        .value_kind:     hidden_group_size_z
      - .offset:         114
        .size:           2
        .value_kind:     hidden_remainder_x
      - .offset:         116
        .size:           2
        .value_kind:     hidden_remainder_y
      - .offset:         118
        .size:           2
        .value_kind:     hidden_remainder_z
      - .offset:         136
        .size:           8
        .value_kind:     hidden_global_offset_x
      - .offset:         144
        .size:           8
        .value_kind:     hidden_global_offset_y
      - .offset:         152
        .size:           8
        .value_kind:     hidden_global_offset_z
      - .offset:         160
        .size:           2
        .value_kind:     hidden_grid_dims
    .group_segment_fixed_size: 32768
    .kernarg_segment_align: 8
    .kernarg_segment_size: 352
    .language:       OpenCL C
    .language_version:
      - 2
      - 0
    .max_flat_workgroup_size: 64
    .name:           _ZL38rocblas_trsm_small_left_device_sharedBILi64ELi32ELb1EffPKPKfPKPfEv13rocblas_fill_18rocblas_operation_17rocblas_diagonal_iiT3_T4_lilT5_lili
    .private_segment_fixed_size: 0
    .sgpr_count:     38
    .sgpr_spill_count: 0
    .symbol:         _ZL38rocblas_trsm_small_left_device_sharedBILi64ELi32ELb1EffPKPKfPKPfEv13rocblas_fill_18rocblas_operation_17rocblas_diagonal_iiT3_T4_lilT5_lili.kd
    .uniform_work_group_size: 1
    .uses_dynamic_stack: false
    .vgpr_count:     72
    .vgpr_spill_count: 0
    .wavefront_size: 64
  - .agpr_count:     0
    .args:
      - .offset:         0
        .size:           4
        .value_kind:     by_value
      - .offset:         4
        .size:           4
        .value_kind:     by_value
      - .offset:         8
        .size:           4
        .value_kind:     by_value
      - .offset:         12
        .size:           4
        .value_kind:     by_value
      - .offset:         16
        .size:           4
        .value_kind:     by_value
      - .offset:         20
        .size:           4
        .value_kind:     by_value
      - .address_space:  global
        .offset:         24
        .size:           8
        .value_kind:     global_buffer
      - .offset:         32
        .size:           8
        .value_kind:     by_value
      - .offset:         40
        .size:           4
        .value_kind:     by_value
      - .offset:         48
        .size:           8
        .value_kind:     by_value
      - .address_space:  global
        .offset:         56
        .size:           8
        .value_kind:     global_buffer
      - .offset:         64
        .size:           8
        .value_kind:     by_value
      - .offset:         72
        .size:           4
        .value_kind:     by_value
      - .offset:         80
        .size:           8
        .value_kind:     by_value
      - .offset:         88
        .size:           4
        .value_kind:     by_value
      - .offset:         96
        .size:           4
        .value_kind:     hidden_block_count_x
      - .offset:         100
        .size:           4
        .value_kind:     hidden_block_count_y
      - .offset:         104
        .size:           4
        .value_kind:     hidden_block_count_z
      - .offset:         108
        .size:           2
        .value_kind:     hidden_group_size_x
      - .offset:         110
        .size:           2
        .value_kind:     hidden_group_size_y
      - .offset:         112
        .size:           2
        .value_kind:     hidden_group_size_z
      - .offset:         114
        .size:           2
        .value_kind:     hidden_remainder_x
      - .offset:         116
        .size:           2
        .value_kind:     hidden_remainder_y
      - .offset:         118
        .size:           2
        .value_kind:     hidden_remainder_z
      - .offset:         136
        .size:           8
        .value_kind:     hidden_global_offset_x
      - .offset:         144
        .size:           8
        .value_kind:     hidden_global_offset_y
      - .offset:         152
        .size:           8
        .value_kind:     hidden_global_offset_z
      - .offset:         160
        .size:           2
        .value_kind:     hidden_grid_dims
    .group_segment_fixed_size: 16384
    .kernarg_segment_align: 8
    .kernarg_segment_size: 352
    .language:       OpenCL C
    .language_version:
      - 2
      - 0
    .max_flat_workgroup_size: 64
    .name:           _ZL30rocblas_trsm_small_left_deviceILi64ELi32ELb1EffPKPKfPKPfEv13rocblas_fill_18rocblas_operation_17rocblas_diagonal_iiT3_T4_lilT5_lili
    .private_segment_fixed_size: 0
    .sgpr_count:     53
    .sgpr_spill_count: 0
    .symbol:         _ZL30rocblas_trsm_small_left_deviceILi64ELi32ELb1EffPKPKfPKPfEv13rocblas_fill_18rocblas_operation_17rocblas_diagonal_iiT3_T4_lilT5_lili.kd
    .uniform_work_group_size: 1
    .uses_dynamic_stack: false
    .vgpr_count:     72
    .vgpr_spill_count: 0
    .wavefront_size: 64
  - .agpr_count:     0
    .args:
      - .offset:         0
        .size:           4
        .value_kind:     by_value
      - .offset:         4
        .size:           4
        .value_kind:     by_value
      - .offset:         8
        .size:           4
        .value_kind:     by_value
      - .offset:         12
        .size:           4
        .value_kind:     by_value
      - .offset:         16
        .size:           4
        .value_kind:     by_value
      - .offset:         20
        .size:           4
        .value_kind:     by_value
      - .address_space:  global
        .offset:         24
        .size:           8
        .value_kind:     global_buffer
      - .offset:         32
        .size:           8
        .value_kind:     by_value
      - .offset:         40
        .size:           4
        .value_kind:     by_value
      - .offset:         48
        .size:           8
        .value_kind:     by_value
      - .address_space:  global
        .offset:         56
        .size:           8
        .value_kind:     global_buffer
      - .offset:         64
        .size:           8
        .value_kind:     by_value
      - .offset:         72
        .size:           4
        .value_kind:     by_value
      - .offset:         80
        .size:           8
        .value_kind:     by_value
      - .offset:         88
        .size:           4
        .value_kind:     by_value
      - .offset:         96
        .size:           4
        .value_kind:     hidden_block_count_x
      - .offset:         100
        .size:           4
        .value_kind:     hidden_block_count_y
      - .offset:         104
        .size:           4
        .value_kind:     hidden_block_count_z
      - .offset:         108
        .size:           2
        .value_kind:     hidden_group_size_x
      - .offset:         110
        .size:           2
        .value_kind:     hidden_group_size_y
      - .offset:         112
        .size:           2
        .value_kind:     hidden_group_size_z
      - .offset:         114
        .size:           2
        .value_kind:     hidden_remainder_x
      - .offset:         116
        .size:           2
        .value_kind:     hidden_remainder_y
      - .offset:         118
        .size:           2
        .value_kind:     hidden_remainder_z
      - .offset:         136
        .size:           8
        .value_kind:     hidden_global_offset_x
      - .offset:         144
        .size:           8
        .value_kind:     hidden_global_offset_y
      - .offset:         152
        .size:           8
        .value_kind:     hidden_global_offset_z
      - .offset:         160
        .size:           2
        .value_kind:     hidden_grid_dims
    .group_segment_fixed_size: 32768
    .kernarg_segment_align: 8
    .kernarg_segment_size: 352
    .language:       OpenCL C
    .language_version:
      - 2
      - 0
    .max_flat_workgroup_size: 64
    .name:           _ZL31rocblas_trsm_small_right_deviceIffPKPKfPKPfLi64EEv13rocblas_fill_18rocblas_operation_17rocblas_diagonal_iiT0_T1_lilT2_lili
    .private_segment_fixed_size: 0
    .sgpr_count:     38
    .sgpr_spill_count: 0
    .symbol:         _ZL31rocblas_trsm_small_right_deviceIffPKPKfPKPfLi64EEv13rocblas_fill_18rocblas_operation_17rocblas_diagonal_iiT0_T1_lilT2_lili.kd
    .uniform_work_group_size: 1
    .uses_dynamic_stack: false
    .vgpr_count:     23
    .vgpr_spill_count: 0
    .wavefront_size: 64
  - .agpr_count:     0
    .args:
      - .offset:         0
        .size:           4
        .value_kind:     by_value
      - .offset:         8
        .size:           8
        .value_kind:     by_value
      - .offset:         16
        .size:           8
        .value_kind:     by_value
      - .offset:         24
        .size:           4
        .value_kind:     by_value
      - .address_space:  global
        .offset:         32
        .size:           8
        .value_kind:     global_buffer
      - .offset:         40
        .size:           8
        .value_kind:     by_value
      - .offset:         48
        .size:           8
        .value_kind:     by_value
      - .offset:         56
        .size:           8
        .value_kind:     by_value
      - .address_space:  global
        .offset:         64
        .size:           8
        .value_kind:     global_buffer
      - .offset:         72
        .size:           8
        .value_kind:     by_value
      - .offset:         80
        .size:           8
        .value_kind:     by_value
      - .offset:         88
        .size:           8
        .value_kind:     by_value
      - .offset:         96
        .size:           4
        .value_kind:     by_value
      - .offset:         100
        .size:           1
        .value_kind:     by_value
      - .offset:         104
        .size:           4
        .value_kind:     hidden_block_count_x
      - .offset:         108
        .size:           4
        .value_kind:     hidden_block_count_y
      - .offset:         112
        .size:           4
        .value_kind:     hidden_block_count_z
      - .offset:         116
        .size:           2
        .value_kind:     hidden_group_size_x
      - .offset:         118
        .size:           2
        .value_kind:     hidden_group_size_y
      - .offset:         120
        .size:           2
        .value_kind:     hidden_group_size_z
      - .offset:         122
        .size:           2
        .value_kind:     hidden_remainder_x
      - .offset:         124
        .size:           2
        .value_kind:     hidden_remainder_y
      - .offset:         126
        .size:           2
        .value_kind:     hidden_remainder_z
      - .offset:         144
        .size:           8
        .value_kind:     hidden_global_offset_x
      - .offset:         152
        .size:           8
        .value_kind:     hidden_global_offset_y
      - .offset:         160
        .size:           8
        .value_kind:     hidden_global_offset_z
      - .offset:         168
        .size:           2
        .value_kind:     hidden_grid_dims
      - .offset:         224
        .size:           4
        .value_kind:     hidden_dynamic_lds_size
    .group_segment_fixed_size: 0
    .kernarg_segment_align: 8
    .kernarg_segment_size: 360
    .language:       OpenCL C
    .language_version:
      - 2
      - 0
    .max_flat_workgroup_size: 1024
    .name:           _ZL39rocblas_trsm_block_forward_substitutionIffPKPKfPKPfLb0ELb0ELb0EEv18rocblas_operation_llT0_T1_lllT2_lllib
    .private_segment_fixed_size: 0
    .sgpr_count:     42
    .sgpr_spill_count: 0
    .symbol:         _ZL39rocblas_trsm_block_forward_substitutionIffPKPKfPKPfLb0ELb0ELb0EEv18rocblas_operation_llT0_T1_lllT2_lllib.kd
    .uniform_work_group_size: 1
    .uses_dynamic_stack: false
    .vgpr_count:     16
    .vgpr_spill_count: 0
    .wavefront_size: 64
  - .agpr_count:     0
    .args:
      - .offset:         0
        .size:           4
        .value_kind:     by_value
      - .offset:         8
        .size:           8
        .value_kind:     by_value
      - .offset:         16
        .size:           8
        .value_kind:     by_value
      - .offset:         24
        .size:           4
        .value_kind:     by_value
      - .address_space:  global
        .offset:         32
        .size:           8
        .value_kind:     global_buffer
      - .offset:         40
        .size:           8
        .value_kind:     by_value
      - .offset:         48
        .size:           8
        .value_kind:     by_value
      - .offset:         56
        .size:           8
        .value_kind:     by_value
      - .address_space:  global
        .offset:         64
        .size:           8
        .value_kind:     global_buffer
      - .offset:         72
        .size:           8
        .value_kind:     by_value
      - .offset:         80
        .size:           8
        .value_kind:     by_value
      - .offset:         88
        .size:           8
        .value_kind:     by_value
      - .offset:         96
        .size:           4
        .value_kind:     by_value
      - .offset:         100
        .size:           1
        .value_kind:     by_value
      - .offset:         104
        .size:           4
        .value_kind:     hidden_block_count_x
      - .offset:         108
        .size:           4
        .value_kind:     hidden_block_count_y
      - .offset:         112
        .size:           4
        .value_kind:     hidden_block_count_z
      - .offset:         116
        .size:           2
        .value_kind:     hidden_group_size_x
      - .offset:         118
        .size:           2
        .value_kind:     hidden_group_size_y
      - .offset:         120
        .size:           2
        .value_kind:     hidden_group_size_z
      - .offset:         122
        .size:           2
        .value_kind:     hidden_remainder_x
      - .offset:         124
        .size:           2
        .value_kind:     hidden_remainder_y
      - .offset:         126
        .size:           2
        .value_kind:     hidden_remainder_z
      - .offset:         144
        .size:           8
        .value_kind:     hidden_global_offset_x
      - .offset:         152
        .size:           8
        .value_kind:     hidden_global_offset_y
      - .offset:         160
        .size:           8
        .value_kind:     hidden_global_offset_z
      - .offset:         168
        .size:           2
        .value_kind:     hidden_grid_dims
      - .offset:         224
        .size:           4
        .value_kind:     hidden_dynamic_lds_size
    .group_segment_fixed_size: 0
    .kernarg_segment_align: 8
    .kernarg_segment_size: 360
    .language:       OpenCL C
    .language_version:
      - 2
      - 0
    .max_flat_workgroup_size: 1024
    .name:           _ZL40rocblas_trsm_block_backward_substitutionIffPKPKfPKPfLb0ELb0ELb0EEv18rocblas_operation_llT0_T1_lllT2_lllib
    .private_segment_fixed_size: 0
    .sgpr_count:     46
    .sgpr_spill_count: 0
    .symbol:         _ZL40rocblas_trsm_block_backward_substitutionIffPKPKfPKPfLb0ELb0ELb0EEv18rocblas_operation_llT0_T1_lllT2_lllib.kd
    .uniform_work_group_size: 1
    .uses_dynamic_stack: false
    .vgpr_count:     16
    .vgpr_spill_count: 0
    .wavefront_size: 64
  - .agpr_count:     0
    .args:
      - .offset:         0
        .size:           4
        .value_kind:     by_value
      - .offset:         8
        .size:           8
        .value_kind:     by_value
      - .offset:         16
        .size:           8
        .value_kind:     by_value
      - .offset:         24
        .size:           4
        .value_kind:     by_value
      - .address_space:  global
        .offset:         32
        .size:           8
        .value_kind:     global_buffer
      - .offset:         40
        .size:           8
        .value_kind:     by_value
      - .offset:         48
        .size:           8
        .value_kind:     by_value
      - .offset:         56
        .size:           8
        .value_kind:     by_value
      - .address_space:  global
        .offset:         64
        .size:           8
        .value_kind:     global_buffer
      - .offset:         72
        .size:           8
        .value_kind:     by_value
      - .offset:         80
        .size:           8
        .value_kind:     by_value
      - .offset:         88
        .size:           8
        .value_kind:     by_value
      - .offset:         96
        .size:           4
        .value_kind:     by_value
      - .offset:         100
        .size:           1
        .value_kind:     by_value
      - .offset:         104
        .size:           4
        .value_kind:     hidden_block_count_x
      - .offset:         108
        .size:           4
        .value_kind:     hidden_block_count_y
      - .offset:         112
        .size:           4
        .value_kind:     hidden_block_count_z
      - .offset:         116
        .size:           2
        .value_kind:     hidden_group_size_x
      - .offset:         118
        .size:           2
        .value_kind:     hidden_group_size_y
      - .offset:         120
        .size:           2
        .value_kind:     hidden_group_size_z
      - .offset:         122
        .size:           2
        .value_kind:     hidden_remainder_x
      - .offset:         124
        .size:           2
        .value_kind:     hidden_remainder_y
      - .offset:         126
        .size:           2
        .value_kind:     hidden_remainder_z
      - .offset:         144
        .size:           8
        .value_kind:     hidden_global_offset_x
      - .offset:         152
        .size:           8
        .value_kind:     hidden_global_offset_y
      - .offset:         160
        .size:           8
        .value_kind:     hidden_global_offset_z
      - .offset:         168
        .size:           2
        .value_kind:     hidden_grid_dims
      - .offset:         224
        .size:           4
        .value_kind:     hidden_dynamic_lds_size
    .group_segment_fixed_size: 0
    .kernarg_segment_align: 8
    .kernarg_segment_size: 360
    .language:       OpenCL C
    .language_version:
      - 2
      - 0
    .max_flat_workgroup_size: 1024
    .name:           _ZL39rocblas_trsm_block_forward_substitutionIffPKPKfPKPfLb0ELb0ELb1EEv18rocblas_operation_llT0_T1_lllT2_lllib
    .private_segment_fixed_size: 0
    .sgpr_count:     32
    .sgpr_spill_count: 0
    .symbol:         _ZL39rocblas_trsm_block_forward_substitutionIffPKPKfPKPfLb0ELb0ELb1EEv18rocblas_operation_llT0_T1_lllT2_lllib.kd
    .uniform_work_group_size: 1
    .uses_dynamic_stack: false
    .vgpr_count:     10
    .vgpr_spill_count: 0
    .wavefront_size: 64
  - .agpr_count:     0
    .args:
      - .offset:         0
        .size:           4
        .value_kind:     by_value
      - .offset:         8
        .size:           8
        .value_kind:     by_value
      - .offset:         16
        .size:           8
        .value_kind:     by_value
      - .offset:         24
        .size:           4
        .value_kind:     by_value
      - .address_space:  global
        .offset:         32
        .size:           8
        .value_kind:     global_buffer
      - .offset:         40
        .size:           8
        .value_kind:     by_value
      - .offset:         48
        .size:           8
        .value_kind:     by_value
      - .offset:         56
        .size:           8
        .value_kind:     by_value
      - .address_space:  global
        .offset:         64
        .size:           8
        .value_kind:     global_buffer
      - .offset:         72
        .size:           8
        .value_kind:     by_value
      - .offset:         80
        .size:           8
        .value_kind:     by_value
      - .offset:         88
        .size:           8
        .value_kind:     by_value
      - .offset:         96
        .size:           4
        .value_kind:     by_value
      - .offset:         100
        .size:           1
        .value_kind:     by_value
      - .offset:         104
        .size:           4
        .value_kind:     hidden_block_count_x
      - .offset:         108
        .size:           4
        .value_kind:     hidden_block_count_y
      - .offset:         112
        .size:           4
        .value_kind:     hidden_block_count_z
      - .offset:         116
        .size:           2
        .value_kind:     hidden_group_size_x
      - .offset:         118
        .size:           2
        .value_kind:     hidden_group_size_y
      - .offset:         120
        .size:           2
        .value_kind:     hidden_group_size_z
      - .offset:         122
        .size:           2
        .value_kind:     hidden_remainder_x
      - .offset:         124
        .size:           2
        .value_kind:     hidden_remainder_y
      - .offset:         126
        .size:           2
        .value_kind:     hidden_remainder_z
      - .offset:         144
        .size:           8
        .value_kind:     hidden_global_offset_x
      - .offset:         152
        .size:           8
        .value_kind:     hidden_global_offset_y
      - .offset:         160
        .size:           8
        .value_kind:     hidden_global_offset_z
      - .offset:         168
        .size:           2
        .value_kind:     hidden_grid_dims
      - .offset:         224
        .size:           4
        .value_kind:     hidden_dynamic_lds_size
    .group_segment_fixed_size: 0
    .kernarg_segment_align: 8
    .kernarg_segment_size: 360
    .language:       OpenCL C
    .language_version:
      - 2
      - 0
    .max_flat_workgroup_size: 1024
    .name:           _ZL40rocblas_trsm_block_backward_substitutionIffPKPKfPKPfLb0ELb0ELb1EEv18rocblas_operation_llT0_T1_lllT2_lllib
    .private_segment_fixed_size: 0
    .sgpr_count:     34
    .sgpr_spill_count: 0
    .symbol:         _ZL40rocblas_trsm_block_backward_substitutionIffPKPKfPKPfLb0ELb0ELb1EEv18rocblas_operation_llT0_T1_lllT2_lllib.kd
    .uniform_work_group_size: 1
    .uses_dynamic_stack: false
    .vgpr_count:     10
    .vgpr_spill_count: 0
    .wavefront_size: 64
  - .agpr_count:     0
    .args:
      - .offset:         0
        .size:           4
        .value_kind:     by_value
      - .offset:         8
        .size:           8
        .value_kind:     by_value
      - .offset:         16
        .size:           8
        .value_kind:     by_value
      - .offset:         24
        .size:           4
        .value_kind:     by_value
      - .address_space:  global
        .offset:         32
        .size:           8
        .value_kind:     global_buffer
      - .offset:         40
        .size:           8
        .value_kind:     by_value
      - .offset:         48
        .size:           8
        .value_kind:     by_value
      - .offset:         56
        .size:           8
        .value_kind:     by_value
      - .address_space:  global
        .offset:         64
        .size:           8
        .value_kind:     global_buffer
      - .offset:         72
        .size:           8
        .value_kind:     by_value
      - .offset:         80
        .size:           8
        .value_kind:     by_value
      - .offset:         88
        .size:           8
        .value_kind:     by_value
      - .offset:         96
        .size:           4
        .value_kind:     by_value
      - .offset:         100
        .size:           1
        .value_kind:     by_value
      - .offset:         104
        .size:           4
        .value_kind:     hidden_block_count_x
      - .offset:         108
        .size:           4
        .value_kind:     hidden_block_count_y
      - .offset:         112
        .size:           4
        .value_kind:     hidden_block_count_z
      - .offset:         116
        .size:           2
        .value_kind:     hidden_group_size_x
      - .offset:         118
        .size:           2
        .value_kind:     hidden_group_size_y
      - .offset:         120
        .size:           2
        .value_kind:     hidden_group_size_z
      - .offset:         122
        .size:           2
        .value_kind:     hidden_remainder_x
      - .offset:         124
        .size:           2
        .value_kind:     hidden_remainder_y
      - .offset:         126
        .size:           2
        .value_kind:     hidden_remainder_z
      - .offset:         144
        .size:           8
        .value_kind:     hidden_global_offset_x
      - .offset:         152
        .size:           8
        .value_kind:     hidden_global_offset_y
      - .offset:         160
        .size:           8
        .value_kind:     hidden_global_offset_z
      - .offset:         168
        .size:           2
        .value_kind:     hidden_grid_dims
      - .offset:         224
        .size:           4
        .value_kind:     hidden_dynamic_lds_size
    .group_segment_fixed_size: 0
    .kernarg_segment_align: 8
    .kernarg_segment_size: 360
    .language:       OpenCL C
    .language_version:
      - 2
      - 0
    .max_flat_workgroup_size: 1024
    .name:           _ZL39rocblas_trsm_block_forward_substitutionIffPKPKfPKPfLb0ELb1ELb0EEv18rocblas_operation_llT0_T1_lllT2_lllib
    .private_segment_fixed_size: 0
    .sgpr_count:     42
    .sgpr_spill_count: 0
    .symbol:         _ZL39rocblas_trsm_block_forward_substitutionIffPKPKfPKPfLb0ELb1ELb0EEv18rocblas_operation_llT0_T1_lllT2_lllib.kd
    .uniform_work_group_size: 1
    .uses_dynamic_stack: false
    .vgpr_count:     16
    .vgpr_spill_count: 0
    .wavefront_size: 64
  - .agpr_count:     0
    .args:
      - .offset:         0
        .size:           4
        .value_kind:     by_value
      - .offset:         8
        .size:           8
        .value_kind:     by_value
      - .offset:         16
        .size:           8
        .value_kind:     by_value
      - .offset:         24
        .size:           4
        .value_kind:     by_value
      - .address_space:  global
        .offset:         32
        .size:           8
        .value_kind:     global_buffer
      - .offset:         40
        .size:           8
        .value_kind:     by_value
      - .offset:         48
        .size:           8
        .value_kind:     by_value
      - .offset:         56
        .size:           8
        .value_kind:     by_value
      - .address_space:  global
        .offset:         64
        .size:           8
        .value_kind:     global_buffer
      - .offset:         72
        .size:           8
        .value_kind:     by_value
      - .offset:         80
        .size:           8
        .value_kind:     by_value
      - .offset:         88
        .size:           8
        .value_kind:     by_value
      - .offset:         96
        .size:           4
        .value_kind:     by_value
      - .offset:         100
        .size:           1
        .value_kind:     by_value
      - .offset:         104
        .size:           4
        .value_kind:     hidden_block_count_x
      - .offset:         108
        .size:           4
        .value_kind:     hidden_block_count_y
      - .offset:         112
        .size:           4
        .value_kind:     hidden_block_count_z
      - .offset:         116
        .size:           2
        .value_kind:     hidden_group_size_x
      - .offset:         118
        .size:           2
        .value_kind:     hidden_group_size_y
      - .offset:         120
        .size:           2
        .value_kind:     hidden_group_size_z
      - .offset:         122
        .size:           2
        .value_kind:     hidden_remainder_x
      - .offset:         124
        .size:           2
        .value_kind:     hidden_remainder_y
      - .offset:         126
        .size:           2
        .value_kind:     hidden_remainder_z
      - .offset:         144
        .size:           8
        .value_kind:     hidden_global_offset_x
      - .offset:         152
        .size:           8
        .value_kind:     hidden_global_offset_y
      - .offset:         160
        .size:           8
        .value_kind:     hidden_global_offset_z
      - .offset:         168
        .size:           2
        .value_kind:     hidden_grid_dims
      - .offset:         224
        .size:           4
        .value_kind:     hidden_dynamic_lds_size
    .group_segment_fixed_size: 0
    .kernarg_segment_align: 8
    .kernarg_segment_size: 360
    .language:       OpenCL C
    .language_version:
      - 2
      - 0
    .max_flat_workgroup_size: 1024
    .name:           _ZL40rocblas_trsm_block_backward_substitutionIffPKPKfPKPfLb0ELb1ELb0EEv18rocblas_operation_llT0_T1_lllT2_lllib
    .private_segment_fixed_size: 0
    .sgpr_count:     46
    .sgpr_spill_count: 0
    .symbol:         _ZL40rocblas_trsm_block_backward_substitutionIffPKPKfPKPfLb0ELb1ELb0EEv18rocblas_operation_llT0_T1_lllT2_lllib.kd
    .uniform_work_group_size: 1
    .uses_dynamic_stack: false
    .vgpr_count:     16
    .vgpr_spill_count: 0
    .wavefront_size: 64
  - .agpr_count:     0
    .args:
      - .offset:         0
        .size:           4
        .value_kind:     by_value
      - .offset:         8
        .size:           8
        .value_kind:     by_value
      - .offset:         16
        .size:           8
        .value_kind:     by_value
      - .offset:         24
        .size:           4
        .value_kind:     by_value
      - .address_space:  global
        .offset:         32
        .size:           8
        .value_kind:     global_buffer
      - .offset:         40
        .size:           8
        .value_kind:     by_value
      - .offset:         48
        .size:           8
        .value_kind:     by_value
      - .offset:         56
        .size:           8
        .value_kind:     by_value
      - .address_space:  global
        .offset:         64
        .size:           8
        .value_kind:     global_buffer
      - .offset:         72
        .size:           8
        .value_kind:     by_value
      - .offset:         80
        .size:           8
        .value_kind:     by_value
      - .offset:         88
        .size:           8
        .value_kind:     by_value
      - .offset:         96
        .size:           4
        .value_kind:     by_value
      - .offset:         100
        .size:           1
        .value_kind:     by_value
      - .offset:         104
        .size:           4
        .value_kind:     hidden_block_count_x
      - .offset:         108
        .size:           4
        .value_kind:     hidden_block_count_y
      - .offset:         112
        .size:           4
        .value_kind:     hidden_block_count_z
      - .offset:         116
        .size:           2
        .value_kind:     hidden_group_size_x
      - .offset:         118
        .size:           2
        .value_kind:     hidden_group_size_y
      - .offset:         120
        .size:           2
        .value_kind:     hidden_group_size_z
      - .offset:         122
        .size:           2
        .value_kind:     hidden_remainder_x
      - .offset:         124
        .size:           2
        .value_kind:     hidden_remainder_y
      - .offset:         126
        .size:           2
        .value_kind:     hidden_remainder_z
      - .offset:         144
        .size:           8
        .value_kind:     hidden_global_offset_x
      - .offset:         152
        .size:           8
        .value_kind:     hidden_global_offset_y
      - .offset:         160
        .size:           8
        .value_kind:     hidden_global_offset_z
      - .offset:         168
        .size:           2
        .value_kind:     hidden_grid_dims
      - .offset:         224
        .size:           4
        .value_kind:     hidden_dynamic_lds_size
    .group_segment_fixed_size: 0
    .kernarg_segment_align: 8
    .kernarg_segment_size: 360
    .language:       OpenCL C
    .language_version:
      - 2
      - 0
    .max_flat_workgroup_size: 1024
    .name:           _ZL39rocblas_trsm_block_forward_substitutionIffPKPKfPKPfLb0ELb1ELb1EEv18rocblas_operation_llT0_T1_lllT2_lllib
    .private_segment_fixed_size: 0
    .sgpr_count:     32
    .sgpr_spill_count: 0
    .symbol:         _ZL39rocblas_trsm_block_forward_substitutionIffPKPKfPKPfLb0ELb1ELb1EEv18rocblas_operation_llT0_T1_lllT2_lllib.kd
    .uniform_work_group_size: 1
    .uses_dynamic_stack: false
    .vgpr_count:     10
    .vgpr_spill_count: 0
    .wavefront_size: 64
  - .agpr_count:     0
    .args:
      - .offset:         0
        .size:           4
        .value_kind:     by_value
      - .offset:         8
        .size:           8
        .value_kind:     by_value
      - .offset:         16
        .size:           8
        .value_kind:     by_value
      - .offset:         24
        .size:           4
        .value_kind:     by_value
      - .address_space:  global
        .offset:         32
        .size:           8
        .value_kind:     global_buffer
      - .offset:         40
        .size:           8
        .value_kind:     by_value
      - .offset:         48
        .size:           8
        .value_kind:     by_value
      - .offset:         56
        .size:           8
        .value_kind:     by_value
      - .address_space:  global
        .offset:         64
        .size:           8
        .value_kind:     global_buffer
      - .offset:         72
        .size:           8
        .value_kind:     by_value
      - .offset:         80
        .size:           8
        .value_kind:     by_value
      - .offset:         88
        .size:           8
        .value_kind:     by_value
      - .offset:         96
        .size:           4
        .value_kind:     by_value
      - .offset:         100
        .size:           1
        .value_kind:     by_value
      - .offset:         104
        .size:           4
        .value_kind:     hidden_block_count_x
      - .offset:         108
        .size:           4
        .value_kind:     hidden_block_count_y
      - .offset:         112
        .size:           4
        .value_kind:     hidden_block_count_z
      - .offset:         116
        .size:           2
        .value_kind:     hidden_group_size_x
      - .offset:         118
        .size:           2
        .value_kind:     hidden_group_size_y
      - .offset:         120
        .size:           2
        .value_kind:     hidden_group_size_z
      - .offset:         122
        .size:           2
        .value_kind:     hidden_remainder_x
      - .offset:         124
        .size:           2
        .value_kind:     hidden_remainder_y
      - .offset:         126
        .size:           2
        .value_kind:     hidden_remainder_z
      - .offset:         144
        .size:           8
        .value_kind:     hidden_global_offset_x
      - .offset:         152
        .size:           8
        .value_kind:     hidden_global_offset_y
      - .offset:         160
        .size:           8
        .value_kind:     hidden_global_offset_z
      - .offset:         168
        .size:           2
        .value_kind:     hidden_grid_dims
      - .offset:         224
        .size:           4
        .value_kind:     hidden_dynamic_lds_size
    .group_segment_fixed_size: 0
    .kernarg_segment_align: 8
    .kernarg_segment_size: 360
    .language:       OpenCL C
    .language_version:
      - 2
      - 0
    .max_flat_workgroup_size: 1024
    .name:           _ZL40rocblas_trsm_block_backward_substitutionIffPKPKfPKPfLb0ELb1ELb1EEv18rocblas_operation_llT0_T1_lllT2_lllib
    .private_segment_fixed_size: 0
    .sgpr_count:     34
    .sgpr_spill_count: 0
    .symbol:         _ZL40rocblas_trsm_block_backward_substitutionIffPKPKfPKPfLb0ELb1ELb1EEv18rocblas_operation_llT0_T1_lllT2_lllib.kd
    .uniform_work_group_size: 1
    .uses_dynamic_stack: false
    .vgpr_count:     10
    .vgpr_spill_count: 0
    .wavefront_size: 64
  - .agpr_count:     0
    .args:
      - .offset:         0
        .size:           4
        .value_kind:     by_value
      - .offset:         8
        .size:           8
        .value_kind:     by_value
      - .offset:         16
        .size:           8
        .value_kind:     by_value
      - .offset:         24
        .size:           4
        .value_kind:     by_value
      - .address_space:  global
        .offset:         32
        .size:           8
        .value_kind:     global_buffer
      - .offset:         40
        .size:           8
        .value_kind:     by_value
      - .offset:         48
        .size:           8
        .value_kind:     by_value
      - .offset:         56
        .size:           8
        .value_kind:     by_value
      - .address_space:  global
        .offset:         64
        .size:           8
        .value_kind:     global_buffer
      - .offset:         72
        .size:           8
        .value_kind:     by_value
      - .offset:         80
        .size:           8
        .value_kind:     by_value
      - .offset:         88
        .size:           8
        .value_kind:     by_value
      - .offset:         96
        .size:           4
        .value_kind:     by_value
      - .offset:         100
        .size:           1
        .value_kind:     by_value
      - .offset:         104
        .size:           4
        .value_kind:     hidden_block_count_x
      - .offset:         108
        .size:           4
        .value_kind:     hidden_block_count_y
      - .offset:         112
        .size:           4
        .value_kind:     hidden_block_count_z
      - .offset:         116
        .size:           2
        .value_kind:     hidden_group_size_x
      - .offset:         118
        .size:           2
        .value_kind:     hidden_group_size_y
      - .offset:         120
        .size:           2
        .value_kind:     hidden_group_size_z
      - .offset:         122
        .size:           2
        .value_kind:     hidden_remainder_x
      - .offset:         124
        .size:           2
        .value_kind:     hidden_remainder_y
      - .offset:         126
        .size:           2
        .value_kind:     hidden_remainder_z
      - .offset:         144
        .size:           8
        .value_kind:     hidden_global_offset_x
      - .offset:         152
        .size:           8
        .value_kind:     hidden_global_offset_y
      - .offset:         160
        .size:           8
        .value_kind:     hidden_global_offset_z
      - .offset:         168
        .size:           2
        .value_kind:     hidden_grid_dims
      - .offset:         224
        .size:           4
        .value_kind:     hidden_dynamic_lds_size
    .group_segment_fixed_size: 0
    .kernarg_segment_align: 8
    .kernarg_segment_size: 360
    .language:       OpenCL C
    .language_version:
      - 2
      - 0
    .max_flat_workgroup_size: 1024
    .name:           _ZL39rocblas_trsm_block_forward_substitutionIffPKPKfPKPfLb1ELb1ELb0EEv18rocblas_operation_llT0_T1_lllT2_lllib
    .private_segment_fixed_size: 0
    .sgpr_count:     42
    .sgpr_spill_count: 0
    .symbol:         _ZL39rocblas_trsm_block_forward_substitutionIffPKPKfPKPfLb1ELb1ELb0EEv18rocblas_operation_llT0_T1_lllT2_lllib.kd
    .uniform_work_group_size: 1
    .uses_dynamic_stack: false
    .vgpr_count:     16
    .vgpr_spill_count: 0
    .wavefront_size: 64
  - .agpr_count:     0
    .args:
      - .offset:         0
        .size:           4
        .value_kind:     by_value
      - .offset:         8
        .size:           8
        .value_kind:     by_value
      - .offset:         16
        .size:           8
        .value_kind:     by_value
      - .offset:         24
        .size:           4
        .value_kind:     by_value
      - .address_space:  global
        .offset:         32
        .size:           8
        .value_kind:     global_buffer
      - .offset:         40
        .size:           8
        .value_kind:     by_value
      - .offset:         48
        .size:           8
        .value_kind:     by_value
      - .offset:         56
        .size:           8
        .value_kind:     by_value
      - .address_space:  global
        .offset:         64
        .size:           8
        .value_kind:     global_buffer
      - .offset:         72
        .size:           8
        .value_kind:     by_value
      - .offset:         80
        .size:           8
        .value_kind:     by_value
      - .offset:         88
        .size:           8
        .value_kind:     by_value
      - .offset:         96
        .size:           4
        .value_kind:     by_value
      - .offset:         100
        .size:           1
        .value_kind:     by_value
      - .offset:         104
        .size:           4
        .value_kind:     hidden_block_count_x
      - .offset:         108
        .size:           4
        .value_kind:     hidden_block_count_y
      - .offset:         112
        .size:           4
        .value_kind:     hidden_block_count_z
      - .offset:         116
        .size:           2
        .value_kind:     hidden_group_size_x
      - .offset:         118
        .size:           2
        .value_kind:     hidden_group_size_y
      - .offset:         120
        .size:           2
        .value_kind:     hidden_group_size_z
      - .offset:         122
        .size:           2
        .value_kind:     hidden_remainder_x
      - .offset:         124
        .size:           2
        .value_kind:     hidden_remainder_y
      - .offset:         126
        .size:           2
        .value_kind:     hidden_remainder_z
      - .offset:         144
        .size:           8
        .value_kind:     hidden_global_offset_x
      - .offset:         152
        .size:           8
        .value_kind:     hidden_global_offset_y
      - .offset:         160
        .size:           8
        .value_kind:     hidden_global_offset_z
      - .offset:         168
        .size:           2
        .value_kind:     hidden_grid_dims
      - .offset:         224
        .size:           4
        .value_kind:     hidden_dynamic_lds_size
    .group_segment_fixed_size: 0
    .kernarg_segment_align: 8
    .kernarg_segment_size: 360
    .language:       OpenCL C
    .language_version:
      - 2
      - 0
    .max_flat_workgroup_size: 1024
    .name:           _ZL40rocblas_trsm_block_backward_substitutionIffPKPKfPKPfLb1ELb1ELb0EEv18rocblas_operation_llT0_T1_lllT2_lllib
    .private_segment_fixed_size: 0
    .sgpr_count:     46
    .sgpr_spill_count: 0
    .symbol:         _ZL40rocblas_trsm_block_backward_substitutionIffPKPKfPKPfLb1ELb1ELb0EEv18rocblas_operation_llT0_T1_lllT2_lllib.kd
    .uniform_work_group_size: 1
    .uses_dynamic_stack: false
    .vgpr_count:     16
    .vgpr_spill_count: 0
    .wavefront_size: 64
  - .agpr_count:     0
    .args:
      - .offset:         0
        .size:           4
        .value_kind:     by_value
      - .offset:         8
        .size:           8
        .value_kind:     by_value
      - .offset:         16
        .size:           8
        .value_kind:     by_value
      - .offset:         24
        .size:           4
        .value_kind:     by_value
      - .address_space:  global
        .offset:         32
        .size:           8
        .value_kind:     global_buffer
      - .offset:         40
        .size:           8
        .value_kind:     by_value
      - .offset:         48
        .size:           8
        .value_kind:     by_value
      - .offset:         56
        .size:           8
        .value_kind:     by_value
      - .address_space:  global
        .offset:         64
        .size:           8
        .value_kind:     global_buffer
      - .offset:         72
        .size:           8
        .value_kind:     by_value
      - .offset:         80
        .size:           8
        .value_kind:     by_value
      - .offset:         88
        .size:           8
        .value_kind:     by_value
      - .offset:         96
        .size:           4
        .value_kind:     by_value
      - .offset:         100
        .size:           1
        .value_kind:     by_value
      - .offset:         104
        .size:           4
        .value_kind:     hidden_block_count_x
      - .offset:         108
        .size:           4
        .value_kind:     hidden_block_count_y
      - .offset:         112
        .size:           4
        .value_kind:     hidden_block_count_z
      - .offset:         116
        .size:           2
        .value_kind:     hidden_group_size_x
      - .offset:         118
        .size:           2
        .value_kind:     hidden_group_size_y
      - .offset:         120
        .size:           2
        .value_kind:     hidden_group_size_z
      - .offset:         122
        .size:           2
        .value_kind:     hidden_remainder_x
      - .offset:         124
        .size:           2
        .value_kind:     hidden_remainder_y
      - .offset:         126
        .size:           2
        .value_kind:     hidden_remainder_z
      - .offset:         144
        .size:           8
        .value_kind:     hidden_global_offset_x
      - .offset:         152
        .size:           8
        .value_kind:     hidden_global_offset_y
      - .offset:         160
        .size:           8
        .value_kind:     hidden_global_offset_z
      - .offset:         168
        .size:           2
        .value_kind:     hidden_grid_dims
      - .offset:         224
        .size:           4
        .value_kind:     hidden_dynamic_lds_size
    .group_segment_fixed_size: 0
    .kernarg_segment_align: 8
    .kernarg_segment_size: 360
    .language:       OpenCL C
    .language_version:
      - 2
      - 0
    .max_flat_workgroup_size: 1024
    .name:           _ZL39rocblas_trsm_block_forward_substitutionIffPKPKfPKPfLb1ELb1ELb1EEv18rocblas_operation_llT0_T1_lllT2_lllib
    .private_segment_fixed_size: 0
    .sgpr_count:     34
    .sgpr_spill_count: 0
    .symbol:         _ZL39rocblas_trsm_block_forward_substitutionIffPKPKfPKPfLb1ELb1ELb1EEv18rocblas_operation_llT0_T1_lllT2_lllib.kd
    .uniform_work_group_size: 1
    .uses_dynamic_stack: false
    .vgpr_count:     10
    .vgpr_spill_count: 0
    .wavefront_size: 64
  - .agpr_count:     0
    .args:
      - .offset:         0
        .size:           4
        .value_kind:     by_value
      - .offset:         8
        .size:           8
        .value_kind:     by_value
      - .offset:         16
        .size:           8
        .value_kind:     by_value
      - .offset:         24
        .size:           4
        .value_kind:     by_value
      - .address_space:  global
        .offset:         32
        .size:           8
        .value_kind:     global_buffer
      - .offset:         40
        .size:           8
        .value_kind:     by_value
      - .offset:         48
        .size:           8
        .value_kind:     by_value
      - .offset:         56
        .size:           8
        .value_kind:     by_value
      - .address_space:  global
        .offset:         64
        .size:           8
        .value_kind:     global_buffer
      - .offset:         72
        .size:           8
        .value_kind:     by_value
      - .offset:         80
        .size:           8
        .value_kind:     by_value
      - .offset:         88
        .size:           8
        .value_kind:     by_value
      - .offset:         96
        .size:           4
        .value_kind:     by_value
      - .offset:         100
        .size:           1
        .value_kind:     by_value
      - .offset:         104
        .size:           4
        .value_kind:     hidden_block_count_x
      - .offset:         108
        .size:           4
        .value_kind:     hidden_block_count_y
      - .offset:         112
        .size:           4
        .value_kind:     hidden_block_count_z
      - .offset:         116
        .size:           2
        .value_kind:     hidden_group_size_x
      - .offset:         118
        .size:           2
        .value_kind:     hidden_group_size_y
      - .offset:         120
        .size:           2
        .value_kind:     hidden_group_size_z
      - .offset:         122
        .size:           2
        .value_kind:     hidden_remainder_x
      - .offset:         124
        .size:           2
        .value_kind:     hidden_remainder_y
      - .offset:         126
        .size:           2
        .value_kind:     hidden_remainder_z
      - .offset:         144
        .size:           8
        .value_kind:     hidden_global_offset_x
      - .offset:         152
        .size:           8
        .value_kind:     hidden_global_offset_y
      - .offset:         160
        .size:           8
        .value_kind:     hidden_global_offset_z
      - .offset:         168
        .size:           2
        .value_kind:     hidden_grid_dims
      - .offset:         224
        .size:           4
        .value_kind:     hidden_dynamic_lds_size
    .group_segment_fixed_size: 0
    .kernarg_segment_align: 8
    .kernarg_segment_size: 360
    .language:       OpenCL C
    .language_version:
      - 2
      - 0
    .max_flat_workgroup_size: 1024
    .name:           _ZL40rocblas_trsm_block_backward_substitutionIffPKPKfPKPfLb1ELb1ELb1EEv18rocblas_operation_llT0_T1_lllT2_lllib
    .private_segment_fixed_size: 0
    .sgpr_count:     32
    .sgpr_spill_count: 0
    .symbol:         _ZL40rocblas_trsm_block_backward_substitutionIffPKPKfPKPfLb1ELb1ELb1EEv18rocblas_operation_llT0_T1_lllT2_lllib.kd
    .uniform_work_group_size: 1
    .uses_dynamic_stack: false
    .vgpr_count:     10
    .vgpr_spill_count: 0
    .wavefront_size: 64
  - .agpr_count:     0
    .args:
      - .offset:         0
        .size:           4
        .value_kind:     by_value
      - .offset:         8
        .size:           8
        .value_kind:     by_value
      - .offset:         16
        .size:           8
        .value_kind:     by_value
      - .offset:         24
        .size:           4
        .value_kind:     by_value
      - .address_space:  global
        .offset:         32
        .size:           8
        .value_kind:     global_buffer
      - .offset:         40
        .size:           8
        .value_kind:     by_value
      - .offset:         48
        .size:           8
        .value_kind:     by_value
      - .offset:         56
        .size:           8
        .value_kind:     by_value
      - .address_space:  global
        .offset:         64
        .size:           8
        .value_kind:     global_buffer
      - .offset:         72
        .size:           8
        .value_kind:     by_value
      - .offset:         80
        .size:           8
        .value_kind:     by_value
      - .offset:         88
        .size:           8
        .value_kind:     by_value
      - .offset:         96
        .size:           4
        .value_kind:     by_value
      - .offset:         100
        .size:           1
        .value_kind:     by_value
      - .offset:         104
        .size:           4
        .value_kind:     hidden_block_count_x
      - .offset:         108
        .size:           4
        .value_kind:     hidden_block_count_y
      - .offset:         112
        .size:           4
        .value_kind:     hidden_block_count_z
      - .offset:         116
        .size:           2
        .value_kind:     hidden_group_size_x
      - .offset:         118
        .size:           2
        .value_kind:     hidden_group_size_y
      - .offset:         120
        .size:           2
        .value_kind:     hidden_group_size_z
      - .offset:         122
        .size:           2
        .value_kind:     hidden_remainder_x
      - .offset:         124
        .size:           2
        .value_kind:     hidden_remainder_y
      - .offset:         126
        .size:           2
        .value_kind:     hidden_remainder_z
      - .offset:         144
        .size:           8
        .value_kind:     hidden_global_offset_x
      - .offset:         152
        .size:           8
        .value_kind:     hidden_global_offset_y
      - .offset:         160
        .size:           8
        .value_kind:     hidden_global_offset_z
      - .offset:         168
        .size:           2
        .value_kind:     hidden_grid_dims
      - .offset:         224
        .size:           4
        .value_kind:     hidden_dynamic_lds_size
    .group_segment_fixed_size: 0
    .kernarg_segment_align: 8
    .kernarg_segment_size: 360
    .language:       OpenCL C
    .language_version:
      - 2
      - 0
    .max_flat_workgroup_size: 1024
    .name:           _ZL39rocblas_trsm_block_forward_substitutionIffPKPKfPKPfLb1ELb0ELb0EEv18rocblas_operation_llT0_T1_lllT2_lllib
    .private_segment_fixed_size: 0
    .sgpr_count:     42
    .sgpr_spill_count: 0
    .symbol:         _ZL39rocblas_trsm_block_forward_substitutionIffPKPKfPKPfLb1ELb0ELb0EEv18rocblas_operation_llT0_T1_lllT2_lllib.kd
    .uniform_work_group_size: 1
    .uses_dynamic_stack: false
    .vgpr_count:     16
    .vgpr_spill_count: 0
    .wavefront_size: 64
  - .agpr_count:     0
    .args:
      - .offset:         0
        .size:           4
        .value_kind:     by_value
      - .offset:         8
        .size:           8
        .value_kind:     by_value
      - .offset:         16
        .size:           8
        .value_kind:     by_value
      - .offset:         24
        .size:           4
        .value_kind:     by_value
      - .address_space:  global
        .offset:         32
        .size:           8
        .value_kind:     global_buffer
      - .offset:         40
        .size:           8
        .value_kind:     by_value
      - .offset:         48
        .size:           8
        .value_kind:     by_value
      - .offset:         56
        .size:           8
        .value_kind:     by_value
      - .address_space:  global
        .offset:         64
        .size:           8
        .value_kind:     global_buffer
      - .offset:         72
        .size:           8
        .value_kind:     by_value
      - .offset:         80
        .size:           8
        .value_kind:     by_value
      - .offset:         88
        .size:           8
        .value_kind:     by_value
      - .offset:         96
        .size:           4
        .value_kind:     by_value
      - .offset:         100
        .size:           1
        .value_kind:     by_value
      - .offset:         104
        .size:           4
        .value_kind:     hidden_block_count_x
      - .offset:         108
        .size:           4
        .value_kind:     hidden_block_count_y
      - .offset:         112
        .size:           4
        .value_kind:     hidden_block_count_z
      - .offset:         116
        .size:           2
        .value_kind:     hidden_group_size_x
      - .offset:         118
        .size:           2
        .value_kind:     hidden_group_size_y
      - .offset:         120
        .size:           2
        .value_kind:     hidden_group_size_z
      - .offset:         122
        .size:           2
        .value_kind:     hidden_remainder_x
      - .offset:         124
        .size:           2
        .value_kind:     hidden_remainder_y
      - .offset:         126
        .size:           2
        .value_kind:     hidden_remainder_z
      - .offset:         144
        .size:           8
        .value_kind:     hidden_global_offset_x
      - .offset:         152
        .size:           8
        .value_kind:     hidden_global_offset_y
      - .offset:         160
        .size:           8
        .value_kind:     hidden_global_offset_z
      - .offset:         168
        .size:           2
        .value_kind:     hidden_grid_dims
      - .offset:         224
        .size:           4
        .value_kind:     hidden_dynamic_lds_size
    .group_segment_fixed_size: 0
    .kernarg_segment_align: 8
    .kernarg_segment_size: 360
    .language:       OpenCL C
    .language_version:
      - 2
      - 0
    .max_flat_workgroup_size: 1024
    .name:           _ZL40rocblas_trsm_block_backward_substitutionIffPKPKfPKPfLb1ELb0ELb0EEv18rocblas_operation_llT0_T1_lllT2_lllib
    .private_segment_fixed_size: 0
    .sgpr_count:     46
    .sgpr_spill_count: 0
    .symbol:         _ZL40rocblas_trsm_block_backward_substitutionIffPKPKfPKPfLb1ELb0ELb0EEv18rocblas_operation_llT0_T1_lllT2_lllib.kd
    .uniform_work_group_size: 1
    .uses_dynamic_stack: false
    .vgpr_count:     16
    .vgpr_spill_count: 0
    .wavefront_size: 64
  - .agpr_count:     0
    .args:
      - .offset:         0
        .size:           4
        .value_kind:     by_value
      - .offset:         8
        .size:           8
        .value_kind:     by_value
      - .offset:         16
        .size:           8
        .value_kind:     by_value
      - .offset:         24
        .size:           4
        .value_kind:     by_value
      - .address_space:  global
        .offset:         32
        .size:           8
        .value_kind:     global_buffer
      - .offset:         40
        .size:           8
        .value_kind:     by_value
      - .offset:         48
        .size:           8
        .value_kind:     by_value
      - .offset:         56
        .size:           8
        .value_kind:     by_value
      - .address_space:  global
        .offset:         64
        .size:           8
        .value_kind:     global_buffer
      - .offset:         72
        .size:           8
        .value_kind:     by_value
      - .offset:         80
        .size:           8
        .value_kind:     by_value
      - .offset:         88
        .size:           8
        .value_kind:     by_value
      - .offset:         96
        .size:           4
        .value_kind:     by_value
      - .offset:         100
        .size:           1
        .value_kind:     by_value
      - .offset:         104
        .size:           4
        .value_kind:     hidden_block_count_x
      - .offset:         108
        .size:           4
        .value_kind:     hidden_block_count_y
      - .offset:         112
        .size:           4
        .value_kind:     hidden_block_count_z
      - .offset:         116
        .size:           2
        .value_kind:     hidden_group_size_x
      - .offset:         118
        .size:           2
        .value_kind:     hidden_group_size_y
      - .offset:         120
        .size:           2
        .value_kind:     hidden_group_size_z
      - .offset:         122
        .size:           2
        .value_kind:     hidden_remainder_x
      - .offset:         124
        .size:           2
        .value_kind:     hidden_remainder_y
      - .offset:         126
        .size:           2
        .value_kind:     hidden_remainder_z
      - .offset:         144
        .size:           8
        .value_kind:     hidden_global_offset_x
      - .offset:         152
        .size:           8
        .value_kind:     hidden_global_offset_y
      - .offset:         160
        .size:           8
        .value_kind:     hidden_global_offset_z
      - .offset:         168
        .size:           2
        .value_kind:     hidden_grid_dims
      - .offset:         224
        .size:           4
        .value_kind:     hidden_dynamic_lds_size
    .group_segment_fixed_size: 0
    .kernarg_segment_align: 8
    .kernarg_segment_size: 360
    .language:       OpenCL C
    .language_version:
      - 2
      - 0
    .max_flat_workgroup_size: 1024
    .name:           _ZL39rocblas_trsm_block_forward_substitutionIffPKPKfPKPfLb1ELb0ELb1EEv18rocblas_operation_llT0_T1_lllT2_lllib
    .private_segment_fixed_size: 0
    .sgpr_count:     34
    .sgpr_spill_count: 0
    .symbol:         _ZL39rocblas_trsm_block_forward_substitutionIffPKPKfPKPfLb1ELb0ELb1EEv18rocblas_operation_llT0_T1_lllT2_lllib.kd
    .uniform_work_group_size: 1
    .uses_dynamic_stack: false
    .vgpr_count:     10
    .vgpr_spill_count: 0
    .wavefront_size: 64
  - .agpr_count:     0
    .args:
      - .offset:         0
        .size:           4
        .value_kind:     by_value
      - .offset:         8
        .size:           8
        .value_kind:     by_value
      - .offset:         16
        .size:           8
        .value_kind:     by_value
      - .offset:         24
        .size:           4
        .value_kind:     by_value
      - .address_space:  global
        .offset:         32
        .size:           8
        .value_kind:     global_buffer
      - .offset:         40
        .size:           8
        .value_kind:     by_value
      - .offset:         48
        .size:           8
        .value_kind:     by_value
      - .offset:         56
        .size:           8
        .value_kind:     by_value
      - .address_space:  global
        .offset:         64
        .size:           8
        .value_kind:     global_buffer
      - .offset:         72
        .size:           8
        .value_kind:     by_value
      - .offset:         80
        .size:           8
        .value_kind:     by_value
      - .offset:         88
        .size:           8
        .value_kind:     by_value
      - .offset:         96
        .size:           4
        .value_kind:     by_value
      - .offset:         100
        .size:           1
        .value_kind:     by_value
      - .offset:         104
        .size:           4
        .value_kind:     hidden_block_count_x
      - .offset:         108
        .size:           4
        .value_kind:     hidden_block_count_y
      - .offset:         112
        .size:           4
        .value_kind:     hidden_block_count_z
      - .offset:         116
        .size:           2
        .value_kind:     hidden_group_size_x
      - .offset:         118
        .size:           2
        .value_kind:     hidden_group_size_y
      - .offset:         120
        .size:           2
        .value_kind:     hidden_group_size_z
      - .offset:         122
        .size:           2
        .value_kind:     hidden_remainder_x
      - .offset:         124
        .size:           2
        .value_kind:     hidden_remainder_y
      - .offset:         126
        .size:           2
        .value_kind:     hidden_remainder_z
      - .offset:         144
        .size:           8
        .value_kind:     hidden_global_offset_x
      - .offset:         152
        .size:           8
        .value_kind:     hidden_global_offset_y
      - .offset:         160
        .size:           8
        .value_kind:     hidden_global_offset_z
      - .offset:         168
        .size:           2
        .value_kind:     hidden_grid_dims
      - .offset:         224
        .size:           4
        .value_kind:     hidden_dynamic_lds_size
    .group_segment_fixed_size: 0
    .kernarg_segment_align: 8
    .kernarg_segment_size: 360
    .language:       OpenCL C
    .language_version:
      - 2
      - 0
    .max_flat_workgroup_size: 1024
    .name:           _ZL40rocblas_trsm_block_backward_substitutionIffPKPKfPKPfLb1ELb0ELb1EEv18rocblas_operation_llT0_T1_lllT2_lllib
    .private_segment_fixed_size: 0
    .sgpr_count:     32
    .sgpr_spill_count: 0
    .symbol:         _ZL40rocblas_trsm_block_backward_substitutionIffPKPKfPKPfLb1ELb0ELb1EEv18rocblas_operation_llT0_T1_lllT2_lllib.kd
    .uniform_work_group_size: 1
    .uses_dynamic_stack: false
    .vgpr_count:     10
    .vgpr_spill_count: 0
    .wavefront_size: 64
  - .agpr_count:     0
    .args:
      - .address_space:  global
        .offset:         0
        .size:           8
        .value_kind:     global_buffer
      - .offset:         8
        .size:           8
        .value_kind:     by_value
      - .address_space:  global
        .offset:         16
        .size:           8
        .value_kind:     global_buffer
    .group_segment_fixed_size: 0
    .kernarg_segment_align: 8
    .kernarg_segment_size: 24
    .language:       OpenCL C
    .language_version:
      - 2
      - 0
    .max_flat_workgroup_size: 128
    .name:           _ZL26setup_batched_array_kernelILi128EfEvPT0_lPS1_
    .private_segment_fixed_size: 0
    .sgpr_count:     15
    .sgpr_spill_count: 0
    .symbol:         _ZL26setup_batched_array_kernelILi128EfEvPT0_lPS1_.kd
    .uniform_work_group_size: 1
    .uses_dynamic_stack: false
    .vgpr_count:     4
    .vgpr_spill_count: 0
    .wavefront_size: 64
  - .agpr_count:     0
    .args:
      - .offset:         0
        .size:           4
        .value_kind:     by_value
      - .offset:         4
        .size:           4
        .value_kind:     by_value
      - .address_space:  global
        .offset:         8
        .size:           8
        .value_kind:     global_buffer
      - .offset:         16
        .size:           8
        .value_kind:     by_value
      - .offset:         24
        .size:           4
        .value_kind:     by_value
      - .offset:         32
        .size:           8
        .value_kind:     by_value
      - .address_space:  global
        .offset:         40
        .size:           8
        .value_kind:     global_buffer
      - .offset:         48
        .size:           8
        .value_kind:     by_value
      - .offset:         56
        .size:           8
        .value_kind:     by_value
      - .offset:         64
        .size:           4
        .value_kind:     by_value
    .group_segment_fixed_size: 4096
    .kernarg_segment_align: 8
    .kernarg_segment_size: 68
    .language:       OpenCL C
    .language_version:
      - 2
      - 0
    .max_flat_workgroup_size: 256
    .name:           _ZL25rocblas_trtri_trsm_kernelILi128ELi16ELi8EfPKPKfPKPfEv13rocblas_fill_17rocblas_diagonal_T3_lilT4_lli
    .private_segment_fixed_size: 0
    .sgpr_count:     32
    .sgpr_spill_count: 0
    .symbol:         _ZL25rocblas_trtri_trsm_kernelILi128ELi16ELi8EfPKPKfPKPfEv13rocblas_fill_17rocblas_diagonal_T3_lilT4_lli.kd
    .uniform_work_group_size: 1
    .uses_dynamic_stack: false
    .vgpr_count:     15
    .vgpr_spill_count: 0
    .wavefront_size: 64
  - .agpr_count:     0
    .args:
      - .address_space:  global
        .offset:         0
        .size:           8
        .value_kind:     global_buffer
      - .offset:         8
        .size:           4
        .value_kind:     by_value
      - .offset:         12
        .size:           4
        .value_kind:     by_value
      - .offset:         16
        .size:           8
        .value_kind:     by_value
      - .offset:         24
        .size:           4
        .value_kind:     by_value
      - .offset:         32
        .size:           8
        .value_kind:     by_value
      - .address_space:  global
        .offset:         40
        .size:           8
        .value_kind:     global_buffer
      - .offset:         48
        .size:           8
        .value_kind:     by_value
      - .offset:         56
        .size:           8
        .value_kind:     by_value
      - .offset:         64
        .size:           4
        .value_kind:     by_value
      - .offset:         68
        .size:           4
        .value_kind:     by_value
      - .offset:         72
        .size:           4
        .value_kind:     hidden_block_count_x
      - .offset:         76
        .size:           4
        .value_kind:     hidden_block_count_y
      - .offset:         80
        .size:           4
        .value_kind:     hidden_block_count_z
      - .offset:         84
        .size:           2
        .value_kind:     hidden_group_size_x
      - .offset:         86
        .size:           2
        .value_kind:     hidden_group_size_y
      - .offset:         88
        .size:           2
        .value_kind:     hidden_group_size_z
      - .offset:         90
        .size:           2
        .value_kind:     hidden_remainder_x
      - .offset:         92
        .size:           2
        .value_kind:     hidden_remainder_y
      - .offset:         94
        .size:           2
        .value_kind:     hidden_remainder_z
      - .offset:         112
        .size:           8
        .value_kind:     hidden_global_offset_x
      - .offset:         120
        .size:           8
        .value_kind:     hidden_global_offset_y
      - .offset:         128
        .size:           8
        .value_kind:     hidden_global_offset_z
      - .offset:         136
        .size:           2
        .value_kind:     hidden_grid_dims
    .group_segment_fixed_size: 0
    .kernarg_segment_align: 8
    .kernarg_segment_size: 328
    .language:       OpenCL C
    .language_version:
      - 2
      - 0
    .max_flat_workgroup_size: 128
    .name:           _ZL18rocblas_trtri_fillILi128EfPKPfEvP15_rocblas_handle13rocblas_fill_ililT1_llii
    .private_segment_fixed_size: 0
    .sgpr_count:     43
    .sgpr_spill_count: 0
    .symbol:         _ZL18rocblas_trtri_fillILi128EfPKPfEvP15_rocblas_handle13rocblas_fill_ililT1_llii.kd
    .uniform_work_group_size: 1
    .uses_dynamic_stack: false
    .vgpr_count:     27
    .vgpr_spill_count: 0
    .wavefront_size: 64
  - .agpr_count:     0
    .args:
      - .offset:         0
        .size:           4
        .value_kind:     by_value
      - .offset:         4
        .size:           4
        .value_kind:     by_value
      - .offset:         8
        .size:           4
        .value_kind:     by_value
      - .address_space:  global
        .offset:         16
        .size:           8
        .value_kind:     global_buffer
      - .offset:         24
        .size:           4
        .value_kind:     by_value
      - .offset:         32
        .size:           8
        .value_kind:     by_value
      - .address_space:  global
        .offset:         40
        .size:           8
        .value_kind:     global_buffer
      - .offset:         48
        .size:           4
        .value_kind:     by_value
      - .offset:         56
        .size:           8
        .value_kind:     by_value
      - .offset:         64
        .size:           8
        .value_kind:     by_value
      - .offset:         72
        .size:           8
        .value_kind:     by_value
      - .offset:         80
        .size:           4
        .value_kind:     by_value
      - .offset:         88
        .size:           4
        .value_kind:     hidden_block_count_x
      - .offset:         92
        .size:           4
        .value_kind:     hidden_block_count_y
      - .offset:         96
        .size:           4
        .value_kind:     hidden_block_count_z
      - .offset:         100
        .size:           2
        .value_kind:     hidden_group_size_x
      - .offset:         102
        .size:           2
        .value_kind:     hidden_group_size_y
      - .offset:         104
        .size:           2
        .value_kind:     hidden_group_size_z
      - .offset:         106
        .size:           2
        .value_kind:     hidden_remainder_x
      - .offset:         108
        .size:           2
        .value_kind:     hidden_remainder_y
      - .offset:         110
        .size:           2
        .value_kind:     hidden_remainder_z
      - .offset:         128
        .size:           8
        .value_kind:     hidden_global_offset_x
      - .offset:         136
        .size:           8
        .value_kind:     hidden_global_offset_y
      - .offset:         144
        .size:           8
        .value_kind:     hidden_global_offset_z
      - .offset:         152
        .size:           2
        .value_kind:     hidden_grid_dims
    .group_segment_fixed_size: 0
    .kernarg_segment_align: 8
    .kernarg_segment_size: 344
    .language:       OpenCL C
    .language_version:
      - 2
      - 0
    .max_flat_workgroup_size: 1024
    .name:           _ZL24rocblas_copy_matrix_trsmILi128ELi8EfPKPKfPKPfEviiiT2_ilT3_illli
    .private_segment_fixed_size: 0
    .sgpr_count:     28
    .sgpr_spill_count: 0
    .symbol:         _ZL24rocblas_copy_matrix_trsmILi128ELi8EfPKPKfPKPfEviiiT2_ilT3_illli.kd
    .uniform_work_group_size: 1
    .uses_dynamic_stack: false
    .vgpr_count:     10
    .vgpr_spill_count: 0
    .wavefront_size: 64
  - .agpr_count:     0
    .args:
      - .offset:         0
        .size:           8
        .value_kind:     by_value
      - .offset:         8
        .size:           8
        .value_kind:     by_value
      - .offset:         16
        .size:           4
        .value_kind:     by_value
      - .address_space:  global
        .offset:         24
        .size:           8
        .value_kind:     global_buffer
      - .offset:         32
        .size:           8
        .value_kind:     by_value
      - .offset:         40
        .size:           8
        .value_kind:     by_value
      - .offset:         48
        .size:           8
        .value_kind:     by_value
      - .offset:         56
        .size:           8
        .value_kind:     by_value
      - .offset:         64
        .size:           4
        .value_kind:     by_value
    .group_segment_fixed_size: 0
    .kernarg_segment_align: 8
    .kernarg_segment_size: 68
    .language:       OpenCL C
    .language_version:
      - 2
      - 0
    .max_flat_workgroup_size: 1024
    .name:           _ZL23rocblas_set_matrix_trsmILi128ELi8EdPKPdEvlliT2_llT1_li
    .private_segment_fixed_size: 0
    .sgpr_count:     18
    .sgpr_spill_count: 0
    .symbol:         _ZL23rocblas_set_matrix_trsmILi128ELi8EdPKPdEvlliT2_llT1_li.kd
    .uniform_work_group_size: 1
    .uses_dynamic_stack: false
    .vgpr_count:     8
    .vgpr_spill_count: 0
    .wavefront_size: 64
  - .agpr_count:     0
    .args:
      - .offset:         0
        .size:           4
        .value_kind:     by_value
      - .offset:         4
        .size:           4
        .value_kind:     by_value
      - .offset:         8
        .size:           4
        .value_kind:     by_value
      - .offset:         12
        .size:           4
        .value_kind:     by_value
      - .offset:         16
        .size:           4
        .value_kind:     by_value
      - .offset:         24
        .size:           8
        .value_kind:     by_value
      - .address_space:  global
        .offset:         32
        .size:           8
        .value_kind:     global_buffer
      - .offset:         40
        .size:           8
        .value_kind:     by_value
      - .offset:         48
        .size:           4
        .value_kind:     by_value
      - .offset:         56
        .size:           8
        .value_kind:     by_value
      - .address_space:  global
        .offset:         64
        .size:           8
        .value_kind:     global_buffer
      - .offset:         72
        .size:           8
        .value_kind:     by_value
      - .offset:         80
        .size:           4
        .value_kind:     by_value
      - .offset:         88
        .size:           8
        .value_kind:     by_value
      - .offset:         96
        .size:           4
        .value_kind:     by_value
      - .offset:         104
        .size:           4
        .value_kind:     hidden_block_count_x
      - .offset:         108
        .size:           4
        .value_kind:     hidden_block_count_y
      - .offset:         112
        .size:           4
        .value_kind:     hidden_block_count_z
      - .offset:         116
        .size:           2
        .value_kind:     hidden_group_size_x
      - .offset:         118
        .size:           2
        .value_kind:     hidden_group_size_y
      - .offset:         120
        .size:           2
        .value_kind:     hidden_group_size_z
      - .offset:         122
        .size:           2
        .value_kind:     hidden_remainder_x
      - .offset:         124
        .size:           2
        .value_kind:     hidden_remainder_y
      - .offset:         126
        .size:           2
        .value_kind:     hidden_remainder_z
      - .offset:         144
        .size:           8
        .value_kind:     hidden_global_offset_x
      - .offset:         152
        .size:           8
        .value_kind:     hidden_global_offset_y
      - .offset:         160
        .size:           8
        .value_kind:     hidden_global_offset_z
      - .offset:         168
        .size:           2
        .value_kind:     hidden_grid_dims
    .group_segment_fixed_size: 256
    .kernarg_segment_align: 8
    .kernarg_segment_size: 360
    .language:       OpenCL C
    .language_version:
      - 2
      - 0
    .max_flat_workgroup_size: 4
    .name:           _ZL38rocblas_trsm_small_left_device_sharedBILi4ELi4ELb0EddPKPKdPKPdEv13rocblas_fill_18rocblas_operation_17rocblas_diagonal_iiT3_T4_lilT5_lili
    .private_segment_fixed_size: 0
    .sgpr_count:     32
    .sgpr_spill_count: 0
    .symbol:         _ZL38rocblas_trsm_small_left_device_sharedBILi4ELi4ELb0EddPKPKdPKPdEv13rocblas_fill_18rocblas_operation_17rocblas_diagonal_iiT3_T4_lilT5_lili.kd
    .uniform_work_group_size: 1
    .uses_dynamic_stack: false
    .vgpr_count:     27
    .vgpr_spill_count: 0
    .wavefront_size: 64
  - .agpr_count:     0
    .args:
      - .offset:         0
        .size:           4
        .value_kind:     by_value
      - .offset:         4
        .size:           4
        .value_kind:     by_value
      - .offset:         8
        .size:           4
        .value_kind:     by_value
      - .offset:         12
        .size:           4
        .value_kind:     by_value
      - .offset:         16
        .size:           4
        .value_kind:     by_value
      - .offset:         24
        .size:           8
        .value_kind:     by_value
      - .address_space:  global
        .offset:         32
        .size:           8
        .value_kind:     global_buffer
      - .offset:         40
        .size:           8
        .value_kind:     by_value
      - .offset:         48
        .size:           4
        .value_kind:     by_value
      - .offset:         56
        .size:           8
        .value_kind:     by_value
      - .address_space:  global
        .offset:         64
        .size:           8
        .value_kind:     global_buffer
      - .offset:         72
        .size:           8
        .value_kind:     by_value
      - .offset:         80
        .size:           4
        .value_kind:     by_value
      - .offset:         88
        .size:           8
        .value_kind:     by_value
      - .offset:         96
        .size:           4
        .value_kind:     by_value
      - .offset:         104
        .size:           4
        .value_kind:     hidden_block_count_x
      - .offset:         108
        .size:           4
        .value_kind:     hidden_block_count_y
      - .offset:         112
        .size:           4
        .value_kind:     hidden_block_count_z
      - .offset:         116
        .size:           2
        .value_kind:     hidden_group_size_x
      - .offset:         118
        .size:           2
        .value_kind:     hidden_group_size_y
      - .offset:         120
        .size:           2
        .value_kind:     hidden_group_size_z
      - .offset:         122
        .size:           2
        .value_kind:     hidden_remainder_x
      - .offset:         124
        .size:           2
        .value_kind:     hidden_remainder_y
      - .offset:         126
        .size:           2
        .value_kind:     hidden_remainder_z
      - .offset:         144
        .size:           8
        .value_kind:     hidden_global_offset_x
      - .offset:         152
        .size:           8
        .value_kind:     hidden_global_offset_y
      - .offset:         160
        .size:           8
        .value_kind:     hidden_global_offset_z
      - .offset:         168
        .size:           2
        .value_kind:     hidden_grid_dims
    .group_segment_fixed_size: 128
    .kernarg_segment_align: 8
    .kernarg_segment_size: 360
    .language:       OpenCL C
    .language_version:
      - 2
      - 0
    .max_flat_workgroup_size: 4
    .name:           _ZL30rocblas_trsm_small_left_deviceILi4ELi4ELb0EddPKPKdPKPdEv13rocblas_fill_18rocblas_operation_17rocblas_diagonal_iiT3_T4_lilT5_lili
    .private_segment_fixed_size: 0
    .sgpr_count:     32
    .sgpr_spill_count: 0
    .symbol:         _ZL30rocblas_trsm_small_left_deviceILi4ELi4ELb0EddPKPKdPKPdEv13rocblas_fill_18rocblas_operation_17rocblas_diagonal_iiT3_T4_lilT5_lili.kd
    .uniform_work_group_size: 1
    .uses_dynamic_stack: false
    .vgpr_count:     19
    .vgpr_spill_count: 0
    .wavefront_size: 64
  - .agpr_count:     0
    .args:
      - .offset:         0
        .size:           4
        .value_kind:     by_value
      - .offset:         4
        .size:           4
        .value_kind:     by_value
      - .offset:         8
        .size:           4
        .value_kind:     by_value
      - .offset:         12
        .size:           4
        .value_kind:     by_value
      - .offset:         16
        .size:           4
        .value_kind:     by_value
      - .offset:         24
        .size:           8
        .value_kind:     by_value
      - .address_space:  global
        .offset:         32
        .size:           8
        .value_kind:     global_buffer
      - .offset:         40
        .size:           8
        .value_kind:     by_value
      - .offset:         48
        .size:           4
        .value_kind:     by_value
      - .offset:         56
        .size:           8
        .value_kind:     by_value
      - .address_space:  global
        .offset:         64
        .size:           8
        .value_kind:     global_buffer
      - .offset:         72
        .size:           8
        .value_kind:     by_value
      - .offset:         80
        .size:           4
        .value_kind:     by_value
      - .offset:         88
        .size:           8
        .value_kind:     by_value
      - .offset:         96
        .size:           4
        .value_kind:     by_value
      - .offset:         104
        .size:           4
        .value_kind:     hidden_block_count_x
      - .offset:         108
        .size:           4
        .value_kind:     hidden_block_count_y
      - .offset:         112
        .size:           4
        .value_kind:     hidden_block_count_z
      - .offset:         116
        .size:           2
        .value_kind:     hidden_group_size_x
      - .offset:         118
        .size:           2
        .value_kind:     hidden_group_size_y
      - .offset:         120
        .size:           2
        .value_kind:     hidden_group_size_z
      - .offset:         122
        .size:           2
        .value_kind:     hidden_remainder_x
      - .offset:         124
        .size:           2
        .value_kind:     hidden_remainder_y
      - .offset:         126
        .size:           2
        .value_kind:     hidden_remainder_z
      - .offset:         144
        .size:           8
        .value_kind:     hidden_global_offset_x
      - .offset:         152
        .size:           8
        .value_kind:     hidden_global_offset_y
      - .offset:         160
        .size:           8
        .value_kind:     hidden_global_offset_z
      - .offset:         168
        .size:           2
        .value_kind:     hidden_grid_dims
    .group_segment_fixed_size: 256
    .kernarg_segment_align: 8
    .kernarg_segment_size: 360
    .language:       OpenCL C
    .language_version:
      - 2
      - 0
    .max_flat_workgroup_size: 4
    .name:           _ZL38rocblas_trsm_small_left_device_sharedBILi4ELi4ELb1EddPKPKdPKPdEv13rocblas_fill_18rocblas_operation_17rocblas_diagonal_iiT3_T4_lilT5_lili
    .private_segment_fixed_size: 0
    .sgpr_count:     32
    .sgpr_spill_count: 0
    .symbol:         _ZL38rocblas_trsm_small_left_device_sharedBILi4ELi4ELb1EddPKPKdPKPdEv13rocblas_fill_18rocblas_operation_17rocblas_diagonal_iiT3_T4_lilT5_lili.kd
    .uniform_work_group_size: 1
    .uses_dynamic_stack: false
    .vgpr_count:     27
    .vgpr_spill_count: 0
    .wavefront_size: 64
  - .agpr_count:     0
    .args:
      - .offset:         0
        .size:           4
        .value_kind:     by_value
      - .offset:         4
        .size:           4
        .value_kind:     by_value
      - .offset:         8
        .size:           4
        .value_kind:     by_value
      - .offset:         12
        .size:           4
        .value_kind:     by_value
      - .offset:         16
        .size:           4
        .value_kind:     by_value
      - .offset:         24
        .size:           8
        .value_kind:     by_value
      - .address_space:  global
        .offset:         32
        .size:           8
        .value_kind:     global_buffer
      - .offset:         40
        .size:           8
        .value_kind:     by_value
      - .offset:         48
        .size:           4
        .value_kind:     by_value
      - .offset:         56
        .size:           8
        .value_kind:     by_value
      - .address_space:  global
        .offset:         64
        .size:           8
        .value_kind:     global_buffer
      - .offset:         72
        .size:           8
        .value_kind:     by_value
      - .offset:         80
        .size:           4
        .value_kind:     by_value
      - .offset:         88
        .size:           8
        .value_kind:     by_value
      - .offset:         96
        .size:           4
        .value_kind:     by_value
      - .offset:         104
        .size:           4
        .value_kind:     hidden_block_count_x
      - .offset:         108
        .size:           4
        .value_kind:     hidden_block_count_y
      - .offset:         112
        .size:           4
        .value_kind:     hidden_block_count_z
      - .offset:         116
        .size:           2
        .value_kind:     hidden_group_size_x
      - .offset:         118
        .size:           2
        .value_kind:     hidden_group_size_y
      - .offset:         120
        .size:           2
        .value_kind:     hidden_group_size_z
      - .offset:         122
        .size:           2
        .value_kind:     hidden_remainder_x
      - .offset:         124
        .size:           2
        .value_kind:     hidden_remainder_y
      - .offset:         126
        .size:           2
        .value_kind:     hidden_remainder_z
      - .offset:         144
        .size:           8
        .value_kind:     hidden_global_offset_x
      - .offset:         152
        .size:           8
        .value_kind:     hidden_global_offset_y
      - .offset:         160
        .size:           8
        .value_kind:     hidden_global_offset_z
      - .offset:         168
        .size:           2
        .value_kind:     hidden_grid_dims
    .group_segment_fixed_size: 128
    .kernarg_segment_align: 8
    .kernarg_segment_size: 360
    .language:       OpenCL C
    .language_version:
      - 2
      - 0
    .max_flat_workgroup_size: 4
    .name:           _ZL30rocblas_trsm_small_left_deviceILi4ELi4ELb1EddPKPKdPKPdEv13rocblas_fill_18rocblas_operation_17rocblas_diagonal_iiT3_T4_lilT5_lili
    .private_segment_fixed_size: 0
    .sgpr_count:     32
    .sgpr_spill_count: 0
    .symbol:         _ZL30rocblas_trsm_small_left_deviceILi4ELi4ELb1EddPKPKdPKPdEv13rocblas_fill_18rocblas_operation_17rocblas_diagonal_iiT3_T4_lilT5_lili.kd
    .uniform_work_group_size: 1
    .uses_dynamic_stack: false
    .vgpr_count:     19
    .vgpr_spill_count: 0
    .wavefront_size: 64
  - .agpr_count:     0
    .args:
      - .offset:         0
        .size:           4
        .value_kind:     by_value
      - .offset:         4
        .size:           4
        .value_kind:     by_value
      - .offset:         8
        .size:           4
        .value_kind:     by_value
      - .offset:         12
        .size:           4
        .value_kind:     by_value
      - .offset:         16
        .size:           4
        .value_kind:     by_value
      - .offset:         24
        .size:           8
        .value_kind:     by_value
      - .address_space:  global
        .offset:         32
        .size:           8
        .value_kind:     global_buffer
      - .offset:         40
        .size:           8
        .value_kind:     by_value
      - .offset:         48
        .size:           4
        .value_kind:     by_value
      - .offset:         56
        .size:           8
        .value_kind:     by_value
      - .address_space:  global
        .offset:         64
        .size:           8
        .value_kind:     global_buffer
      - .offset:         72
        .size:           8
        .value_kind:     by_value
      - .offset:         80
        .size:           4
        .value_kind:     by_value
      - .offset:         88
        .size:           8
        .value_kind:     by_value
      - .offset:         96
        .size:           4
        .value_kind:     by_value
      - .offset:         104
        .size:           4
        .value_kind:     hidden_block_count_x
      - .offset:         108
        .size:           4
        .value_kind:     hidden_block_count_y
      - .offset:         112
        .size:           4
        .value_kind:     hidden_block_count_z
      - .offset:         116
        .size:           2
        .value_kind:     hidden_group_size_x
      - .offset:         118
        .size:           2
        .value_kind:     hidden_group_size_y
      - .offset:         120
        .size:           2
        .value_kind:     hidden_group_size_z
      - .offset:         122
        .size:           2
        .value_kind:     hidden_remainder_x
      - .offset:         124
        .size:           2
        .value_kind:     hidden_remainder_y
      - .offset:         126
        .size:           2
        .value_kind:     hidden_remainder_z
      - .offset:         144
        .size:           8
        .value_kind:     hidden_global_offset_x
      - .offset:         152
        .size:           8
        .value_kind:     hidden_global_offset_y
      - .offset:         160
        .size:           8
        .value_kind:     hidden_global_offset_z
      - .offset:         168
        .size:           2
        .value_kind:     hidden_grid_dims
    .group_segment_fixed_size: 256
    .kernarg_segment_align: 8
    .kernarg_segment_size: 360
    .language:       OpenCL C
    .language_version:
      - 2
      - 0
    .max_flat_workgroup_size: 4
    .name:           _ZL31rocblas_trsm_small_right_deviceIddPKPKdPKPdLi4EEv13rocblas_fill_18rocblas_operation_17rocblas_diagonal_iiT0_T1_lilT2_lili
    .private_segment_fixed_size: 0
    .sgpr_count:     32
    .sgpr_spill_count: 0
    .symbol:         _ZL31rocblas_trsm_small_right_deviceIddPKPKdPKPdLi4EEv13rocblas_fill_18rocblas_operation_17rocblas_diagonal_iiT0_T1_lilT2_lili.kd
    .uniform_work_group_size: 1
    .uses_dynamic_stack: false
    .vgpr_count:     32
    .vgpr_spill_count: 0
    .wavefront_size: 64
  - .agpr_count:     0
    .args:
      - .offset:         0
        .size:           4
        .value_kind:     by_value
      - .offset:         4
        .size:           4
        .value_kind:     by_value
      - .offset:         8
        .size:           4
        .value_kind:     by_value
      - .offset:         12
        .size:           4
        .value_kind:     by_value
      - .offset:         16
        .size:           4
        .value_kind:     by_value
      - .offset:         24
        .size:           8
        .value_kind:     by_value
      - .address_space:  global
        .offset:         32
        .size:           8
        .value_kind:     global_buffer
      - .offset:         40
        .size:           8
        .value_kind:     by_value
      - .offset:         48
        .size:           4
        .value_kind:     by_value
      - .offset:         56
        .size:           8
        .value_kind:     by_value
      - .address_space:  global
        .offset:         64
        .size:           8
        .value_kind:     global_buffer
      - .offset:         72
        .size:           8
        .value_kind:     by_value
      - .offset:         80
        .size:           4
        .value_kind:     by_value
      - .offset:         88
        .size:           8
        .value_kind:     by_value
      - .offset:         96
        .size:           4
        .value_kind:     by_value
      - .offset:         104
        .size:           4
        .value_kind:     hidden_block_count_x
      - .offset:         108
        .size:           4
        .value_kind:     hidden_block_count_y
      - .offset:         112
        .size:           4
        .value_kind:     hidden_block_count_z
      - .offset:         116
        .size:           2
        .value_kind:     hidden_group_size_x
      - .offset:         118
        .size:           2
        .value_kind:     hidden_group_size_y
      - .offset:         120
        .size:           2
        .value_kind:     hidden_group_size_z
      - .offset:         122
        .size:           2
        .value_kind:     hidden_remainder_x
      - .offset:         124
        .size:           2
        .value_kind:     hidden_remainder_y
      - .offset:         126
        .size:           2
        .value_kind:     hidden_remainder_z
      - .offset:         144
        .size:           8
        .value_kind:     hidden_global_offset_x
      - .offset:         152
        .size:           8
        .value_kind:     hidden_global_offset_y
      - .offset:         160
        .size:           8
        .value_kind:     hidden_global_offset_z
      - .offset:         168
        .size:           2
        .value_kind:     hidden_grid_dims
    .group_segment_fixed_size: 1024
    .kernarg_segment_align: 8
    .kernarg_segment_size: 360
    .language:       OpenCL C
    .language_version:
      - 2
      - 0
    .max_flat_workgroup_size: 8
    .name:           _ZL38rocblas_trsm_small_left_device_sharedBILi8ELi8ELb0EddPKPKdPKPdEv13rocblas_fill_18rocblas_operation_17rocblas_diagonal_iiT3_T4_lilT5_lili
    .private_segment_fixed_size: 0
    .sgpr_count:     32
    .sgpr_spill_count: 0
    .symbol:         _ZL38rocblas_trsm_small_left_device_sharedBILi8ELi8ELb0EddPKPKdPKPdEv13rocblas_fill_18rocblas_operation_17rocblas_diagonal_iiT3_T4_lilT5_lili.kd
    .uniform_work_group_size: 1
    .uses_dynamic_stack: false
    .vgpr_count:     66
    .vgpr_spill_count: 0
    .wavefront_size: 64
  - .agpr_count:     0
    .args:
      - .offset:         0
        .size:           4
        .value_kind:     by_value
      - .offset:         4
        .size:           4
        .value_kind:     by_value
      - .offset:         8
        .size:           4
        .value_kind:     by_value
      - .offset:         12
        .size:           4
        .value_kind:     by_value
      - .offset:         16
        .size:           4
        .value_kind:     by_value
      - .offset:         24
        .size:           8
        .value_kind:     by_value
      - .address_space:  global
        .offset:         32
        .size:           8
        .value_kind:     global_buffer
      - .offset:         40
        .size:           8
        .value_kind:     by_value
      - .offset:         48
        .size:           4
        .value_kind:     by_value
      - .offset:         56
        .size:           8
        .value_kind:     by_value
      - .address_space:  global
        .offset:         64
        .size:           8
        .value_kind:     global_buffer
      - .offset:         72
        .size:           8
        .value_kind:     by_value
      - .offset:         80
        .size:           4
        .value_kind:     by_value
      - .offset:         88
        .size:           8
        .value_kind:     by_value
      - .offset:         96
        .size:           4
        .value_kind:     by_value
      - .offset:         104
        .size:           4
        .value_kind:     hidden_block_count_x
      - .offset:         108
        .size:           4
        .value_kind:     hidden_block_count_y
      - .offset:         112
        .size:           4
        .value_kind:     hidden_block_count_z
      - .offset:         116
        .size:           2
        .value_kind:     hidden_group_size_x
      - .offset:         118
        .size:           2
        .value_kind:     hidden_group_size_y
      - .offset:         120
        .size:           2
        .value_kind:     hidden_group_size_z
      - .offset:         122
        .size:           2
        .value_kind:     hidden_remainder_x
      - .offset:         124
        .size:           2
        .value_kind:     hidden_remainder_y
      - .offset:         126
        .size:           2
        .value_kind:     hidden_remainder_z
      - .offset:         144
        .size:           8
        .value_kind:     hidden_global_offset_x
      - .offset:         152
        .size:           8
        .value_kind:     hidden_global_offset_y
      - .offset:         160
        .size:           8
        .value_kind:     hidden_global_offset_z
      - .offset:         168
        .size:           2
        .value_kind:     hidden_grid_dims
    .group_segment_fixed_size: 512
    .kernarg_segment_align: 8
    .kernarg_segment_size: 360
    .language:       OpenCL C
    .language_version:
      - 2
      - 0
    .max_flat_workgroup_size: 8
    .name:           _ZL30rocblas_trsm_small_left_deviceILi8ELi8ELb0EddPKPKdPKPdEv13rocblas_fill_18rocblas_operation_17rocblas_diagonal_iiT3_T4_lilT5_lili
    .private_segment_fixed_size: 0
    .sgpr_count:     32
    .sgpr_spill_count: 0
    .symbol:         _ZL30rocblas_trsm_small_left_deviceILi8ELi8ELb0EddPKPKdPKPdEv13rocblas_fill_18rocblas_operation_17rocblas_diagonal_iiT3_T4_lilT5_lili.kd
    .uniform_work_group_size: 1
    .uses_dynamic_stack: false
    .vgpr_count:     61
    .vgpr_spill_count: 0
    .wavefront_size: 64
  - .agpr_count:     0
    .args:
      - .offset:         0
        .size:           4
        .value_kind:     by_value
      - .offset:         4
        .size:           4
        .value_kind:     by_value
      - .offset:         8
        .size:           4
        .value_kind:     by_value
      - .offset:         12
        .size:           4
        .value_kind:     by_value
      - .offset:         16
        .size:           4
        .value_kind:     by_value
      - .offset:         24
        .size:           8
        .value_kind:     by_value
      - .address_space:  global
        .offset:         32
        .size:           8
        .value_kind:     global_buffer
      - .offset:         40
        .size:           8
        .value_kind:     by_value
      - .offset:         48
        .size:           4
        .value_kind:     by_value
      - .offset:         56
        .size:           8
        .value_kind:     by_value
      - .address_space:  global
        .offset:         64
        .size:           8
        .value_kind:     global_buffer
      - .offset:         72
        .size:           8
        .value_kind:     by_value
      - .offset:         80
        .size:           4
        .value_kind:     by_value
      - .offset:         88
        .size:           8
        .value_kind:     by_value
      - .offset:         96
        .size:           4
        .value_kind:     by_value
      - .offset:         104
        .size:           4
        .value_kind:     hidden_block_count_x
      - .offset:         108
        .size:           4
        .value_kind:     hidden_block_count_y
      - .offset:         112
        .size:           4
        .value_kind:     hidden_block_count_z
      - .offset:         116
        .size:           2
        .value_kind:     hidden_group_size_x
      - .offset:         118
        .size:           2
        .value_kind:     hidden_group_size_y
      - .offset:         120
        .size:           2
        .value_kind:     hidden_group_size_z
      - .offset:         122
        .size:           2
        .value_kind:     hidden_remainder_x
      - .offset:         124
        .size:           2
        .value_kind:     hidden_remainder_y
      - .offset:         126
        .size:           2
        .value_kind:     hidden_remainder_z
      - .offset:         144
        .size:           8
        .value_kind:     hidden_global_offset_x
      - .offset:         152
        .size:           8
        .value_kind:     hidden_global_offset_y
      - .offset:         160
        .size:           8
        .value_kind:     hidden_global_offset_z
      - .offset:         168
        .size:           2
        .value_kind:     hidden_grid_dims
    .group_segment_fixed_size: 1024
    .kernarg_segment_align: 8
    .kernarg_segment_size: 360
    .language:       OpenCL C
    .language_version:
      - 2
      - 0
    .max_flat_workgroup_size: 8
    .name:           _ZL38rocblas_trsm_small_left_device_sharedBILi8ELi8ELb1EddPKPKdPKPdEv13rocblas_fill_18rocblas_operation_17rocblas_diagonal_iiT3_T4_lilT5_lili
    .private_segment_fixed_size: 0
    .sgpr_count:     32
    .sgpr_spill_count: 0
    .symbol:         _ZL38rocblas_trsm_small_left_device_sharedBILi8ELi8ELb1EddPKPKdPKPdEv13rocblas_fill_18rocblas_operation_17rocblas_diagonal_iiT3_T4_lilT5_lili.kd
    .uniform_work_group_size: 1
    .uses_dynamic_stack: false
    .vgpr_count:     51
    .vgpr_spill_count: 0
    .wavefront_size: 64
  - .agpr_count:     0
    .args:
      - .offset:         0
        .size:           4
        .value_kind:     by_value
      - .offset:         4
        .size:           4
        .value_kind:     by_value
      - .offset:         8
        .size:           4
        .value_kind:     by_value
      - .offset:         12
        .size:           4
        .value_kind:     by_value
      - .offset:         16
        .size:           4
        .value_kind:     by_value
      - .offset:         24
        .size:           8
        .value_kind:     by_value
      - .address_space:  global
        .offset:         32
        .size:           8
        .value_kind:     global_buffer
      - .offset:         40
        .size:           8
        .value_kind:     by_value
      - .offset:         48
        .size:           4
        .value_kind:     by_value
      - .offset:         56
        .size:           8
        .value_kind:     by_value
      - .address_space:  global
        .offset:         64
        .size:           8
        .value_kind:     global_buffer
      - .offset:         72
        .size:           8
        .value_kind:     by_value
      - .offset:         80
        .size:           4
        .value_kind:     by_value
      - .offset:         88
        .size:           8
        .value_kind:     by_value
      - .offset:         96
        .size:           4
        .value_kind:     by_value
      - .offset:         104
        .size:           4
        .value_kind:     hidden_block_count_x
      - .offset:         108
        .size:           4
        .value_kind:     hidden_block_count_y
      - .offset:         112
        .size:           4
        .value_kind:     hidden_block_count_z
      - .offset:         116
        .size:           2
        .value_kind:     hidden_group_size_x
      - .offset:         118
        .size:           2
        .value_kind:     hidden_group_size_y
      - .offset:         120
        .size:           2
        .value_kind:     hidden_group_size_z
      - .offset:         122
        .size:           2
        .value_kind:     hidden_remainder_x
      - .offset:         124
        .size:           2
        .value_kind:     hidden_remainder_y
      - .offset:         126
        .size:           2
        .value_kind:     hidden_remainder_z
      - .offset:         144
        .size:           8
        .value_kind:     hidden_global_offset_x
      - .offset:         152
        .size:           8
        .value_kind:     hidden_global_offset_y
      - .offset:         160
        .size:           8
        .value_kind:     hidden_global_offset_z
      - .offset:         168
        .size:           2
        .value_kind:     hidden_grid_dims
    .group_segment_fixed_size: 512
    .kernarg_segment_align: 8
    .kernarg_segment_size: 360
    .language:       OpenCL C
    .language_version:
      - 2
      - 0
    .max_flat_workgroup_size: 8
    .name:           _ZL30rocblas_trsm_small_left_deviceILi8ELi8ELb1EddPKPKdPKPdEv13rocblas_fill_18rocblas_operation_17rocblas_diagonal_iiT3_T4_lilT5_lili
    .private_segment_fixed_size: 0
    .sgpr_count:     32
    .sgpr_spill_count: 0
    .symbol:         _ZL30rocblas_trsm_small_left_deviceILi8ELi8ELb1EddPKPKdPKPdEv13rocblas_fill_18rocblas_operation_17rocblas_diagonal_iiT3_T4_lilT5_lili.kd
    .uniform_work_group_size: 1
    .uses_dynamic_stack: false
    .vgpr_count:     35
    .vgpr_spill_count: 0
    .wavefront_size: 64
  - .agpr_count:     0
    .args:
      - .offset:         0
        .size:           4
        .value_kind:     by_value
      - .offset:         4
        .size:           4
        .value_kind:     by_value
      - .offset:         8
        .size:           4
        .value_kind:     by_value
      - .offset:         12
        .size:           4
        .value_kind:     by_value
      - .offset:         16
        .size:           4
        .value_kind:     by_value
      - .offset:         24
        .size:           8
        .value_kind:     by_value
      - .address_space:  global
        .offset:         32
        .size:           8
        .value_kind:     global_buffer
      - .offset:         40
        .size:           8
        .value_kind:     by_value
      - .offset:         48
        .size:           4
        .value_kind:     by_value
      - .offset:         56
        .size:           8
        .value_kind:     by_value
      - .address_space:  global
        .offset:         64
        .size:           8
        .value_kind:     global_buffer
      - .offset:         72
        .size:           8
        .value_kind:     by_value
      - .offset:         80
        .size:           4
        .value_kind:     by_value
      - .offset:         88
        .size:           8
        .value_kind:     by_value
      - .offset:         96
        .size:           4
        .value_kind:     by_value
      - .offset:         104
        .size:           4
        .value_kind:     hidden_block_count_x
      - .offset:         108
        .size:           4
        .value_kind:     hidden_block_count_y
      - .offset:         112
        .size:           4
        .value_kind:     hidden_block_count_z
      - .offset:         116
        .size:           2
        .value_kind:     hidden_group_size_x
      - .offset:         118
        .size:           2
        .value_kind:     hidden_group_size_y
      - .offset:         120
        .size:           2
        .value_kind:     hidden_group_size_z
      - .offset:         122
        .size:           2
        .value_kind:     hidden_remainder_x
      - .offset:         124
        .size:           2
        .value_kind:     hidden_remainder_y
      - .offset:         126
        .size:           2
        .value_kind:     hidden_remainder_z
      - .offset:         144
        .size:           8
        .value_kind:     hidden_global_offset_x
      - .offset:         152
        .size:           8
        .value_kind:     hidden_global_offset_y
      - .offset:         160
        .size:           8
        .value_kind:     hidden_global_offset_z
      - .offset:         168
        .size:           2
        .value_kind:     hidden_grid_dims
    .group_segment_fixed_size: 1024
    .kernarg_segment_align: 8
    .kernarg_segment_size: 360
    .language:       OpenCL C
    .language_version:
      - 2
      - 0
    .max_flat_workgroup_size: 8
    .name:           _ZL31rocblas_trsm_small_right_deviceIddPKPKdPKPdLi8EEv13rocblas_fill_18rocblas_operation_17rocblas_diagonal_iiT0_T1_lilT2_lili
    .private_segment_fixed_size: 0
    .sgpr_count:     32
    .sgpr_spill_count: 0
    .symbol:         _ZL31rocblas_trsm_small_right_deviceIddPKPKdPKPdLi8EEv13rocblas_fill_18rocblas_operation_17rocblas_diagonal_iiT0_T1_lilT2_lili.kd
    .uniform_work_group_size: 1
    .uses_dynamic_stack: false
    .vgpr_count:     36
    .vgpr_spill_count: 0
    .wavefront_size: 64
  - .agpr_count:     0
    .args:
      - .offset:         0
        .size:           4
        .value_kind:     by_value
      - .offset:         4
        .size:           4
        .value_kind:     by_value
      - .offset:         8
        .size:           4
        .value_kind:     by_value
      - .offset:         12
        .size:           4
        .value_kind:     by_value
      - .offset:         16
        .size:           4
        .value_kind:     by_value
      - .offset:         24
        .size:           8
        .value_kind:     by_value
      - .address_space:  global
        .offset:         32
        .size:           8
        .value_kind:     global_buffer
      - .offset:         40
        .size:           8
        .value_kind:     by_value
      - .offset:         48
        .size:           4
        .value_kind:     by_value
      - .offset:         56
        .size:           8
        .value_kind:     by_value
      - .address_space:  global
        .offset:         64
        .size:           8
        .value_kind:     global_buffer
      - .offset:         72
        .size:           8
        .value_kind:     by_value
      - .offset:         80
        .size:           4
        .value_kind:     by_value
      - .offset:         88
        .size:           8
        .value_kind:     by_value
      - .offset:         96
        .size:           4
        .value_kind:     by_value
      - .offset:         104
        .size:           4
        .value_kind:     hidden_block_count_x
      - .offset:         108
        .size:           4
        .value_kind:     hidden_block_count_y
      - .offset:         112
        .size:           4
        .value_kind:     hidden_block_count_z
      - .offset:         116
        .size:           2
        .value_kind:     hidden_group_size_x
      - .offset:         118
        .size:           2
        .value_kind:     hidden_group_size_y
      - .offset:         120
        .size:           2
        .value_kind:     hidden_group_size_z
      - .offset:         122
        .size:           2
        .value_kind:     hidden_remainder_x
      - .offset:         124
        .size:           2
        .value_kind:     hidden_remainder_y
      - .offset:         126
        .size:           2
        .value_kind:     hidden_remainder_z
      - .offset:         144
        .size:           8
        .value_kind:     hidden_global_offset_x
      - .offset:         152
        .size:           8
        .value_kind:     hidden_global_offset_y
      - .offset:         160
        .size:           8
        .value_kind:     hidden_global_offset_z
      - .offset:         168
        .size:           2
        .value_kind:     hidden_grid_dims
    .group_segment_fixed_size: 2304
    .kernarg_segment_align: 8
    .kernarg_segment_size: 360
    .language:       OpenCL C
    .language_version:
      - 2
      - 0
    .max_flat_workgroup_size: 12
    .name:           _ZL38rocblas_trsm_small_left_device_sharedBILi12ELi12ELb0EddPKPKdPKPdEv13rocblas_fill_18rocblas_operation_17rocblas_diagonal_iiT3_T4_lilT5_lili
    .private_segment_fixed_size: 0
    .sgpr_count:     32
    .sgpr_spill_count: 0
    .symbol:         _ZL38rocblas_trsm_small_left_device_sharedBILi12ELi12ELb0EddPKPKdPKPdEv13rocblas_fill_18rocblas_operation_17rocblas_diagonal_iiT3_T4_lilT5_lili.kd
    .uniform_work_group_size: 1
    .uses_dynamic_stack: false
    .vgpr_count:     63
    .vgpr_spill_count: 0
    .wavefront_size: 64
  - .agpr_count:     0
    .args:
      - .offset:         0
        .size:           4
        .value_kind:     by_value
      - .offset:         4
        .size:           4
        .value_kind:     by_value
      - .offset:         8
        .size:           4
        .value_kind:     by_value
      - .offset:         12
        .size:           4
        .value_kind:     by_value
      - .offset:         16
        .size:           4
        .value_kind:     by_value
      - .offset:         24
        .size:           8
        .value_kind:     by_value
      - .address_space:  global
        .offset:         32
        .size:           8
        .value_kind:     global_buffer
      - .offset:         40
        .size:           8
        .value_kind:     by_value
      - .offset:         48
        .size:           4
        .value_kind:     by_value
      - .offset:         56
        .size:           8
        .value_kind:     by_value
      - .address_space:  global
        .offset:         64
        .size:           8
        .value_kind:     global_buffer
      - .offset:         72
        .size:           8
        .value_kind:     by_value
      - .offset:         80
        .size:           4
        .value_kind:     by_value
      - .offset:         88
        .size:           8
        .value_kind:     by_value
      - .offset:         96
        .size:           4
        .value_kind:     by_value
      - .offset:         104
        .size:           4
        .value_kind:     hidden_block_count_x
      - .offset:         108
        .size:           4
        .value_kind:     hidden_block_count_y
      - .offset:         112
        .size:           4
        .value_kind:     hidden_block_count_z
      - .offset:         116
        .size:           2
        .value_kind:     hidden_group_size_x
      - .offset:         118
        .size:           2
        .value_kind:     hidden_group_size_y
      - .offset:         120
        .size:           2
        .value_kind:     hidden_group_size_z
      - .offset:         122
        .size:           2
        .value_kind:     hidden_remainder_x
      - .offset:         124
        .size:           2
        .value_kind:     hidden_remainder_y
      - .offset:         126
        .size:           2
        .value_kind:     hidden_remainder_z
      - .offset:         144
        .size:           8
        .value_kind:     hidden_global_offset_x
      - .offset:         152
        .size:           8
        .value_kind:     hidden_global_offset_y
      - .offset:         160
        .size:           8
        .value_kind:     hidden_global_offset_z
      - .offset:         168
        .size:           2
        .value_kind:     hidden_grid_dims
    .group_segment_fixed_size: 1152
    .kernarg_segment_align: 8
    .kernarg_segment_size: 360
    .language:       OpenCL C
    .language_version:
      - 2
      - 0
    .max_flat_workgroup_size: 12
    .name:           _ZL30rocblas_trsm_small_left_deviceILi12ELi12ELb0EddPKPKdPKPdEv13rocblas_fill_18rocblas_operation_17rocblas_diagonal_iiT3_T4_lilT5_lili
    .private_segment_fixed_size: 0
    .sgpr_count:     32
    .sgpr_spill_count: 0
    .symbol:         _ZL30rocblas_trsm_small_left_deviceILi12ELi12ELb0EddPKPKdPKPdEv13rocblas_fill_18rocblas_operation_17rocblas_diagonal_iiT3_T4_lilT5_lili.kd
    .uniform_work_group_size: 1
    .uses_dynamic_stack: false
    .vgpr_count:     61
    .vgpr_spill_count: 0
    .wavefront_size: 64
  - .agpr_count:     0
    .args:
      - .offset:         0
        .size:           4
        .value_kind:     by_value
      - .offset:         4
        .size:           4
        .value_kind:     by_value
      - .offset:         8
        .size:           4
        .value_kind:     by_value
      - .offset:         12
        .size:           4
        .value_kind:     by_value
      - .offset:         16
        .size:           4
        .value_kind:     by_value
      - .offset:         24
        .size:           8
        .value_kind:     by_value
      - .address_space:  global
        .offset:         32
        .size:           8
        .value_kind:     global_buffer
      - .offset:         40
        .size:           8
        .value_kind:     by_value
      - .offset:         48
        .size:           4
        .value_kind:     by_value
      - .offset:         56
        .size:           8
        .value_kind:     by_value
      - .address_space:  global
        .offset:         64
        .size:           8
        .value_kind:     global_buffer
      - .offset:         72
        .size:           8
        .value_kind:     by_value
      - .offset:         80
        .size:           4
        .value_kind:     by_value
      - .offset:         88
        .size:           8
        .value_kind:     by_value
      - .offset:         96
        .size:           4
        .value_kind:     by_value
      - .offset:         104
        .size:           4
        .value_kind:     hidden_block_count_x
      - .offset:         108
        .size:           4
        .value_kind:     hidden_block_count_y
      - .offset:         112
        .size:           4
        .value_kind:     hidden_block_count_z
      - .offset:         116
        .size:           2
        .value_kind:     hidden_group_size_x
      - .offset:         118
        .size:           2
        .value_kind:     hidden_group_size_y
      - .offset:         120
        .size:           2
        .value_kind:     hidden_group_size_z
      - .offset:         122
        .size:           2
        .value_kind:     hidden_remainder_x
      - .offset:         124
        .size:           2
        .value_kind:     hidden_remainder_y
      - .offset:         126
        .size:           2
        .value_kind:     hidden_remainder_z
      - .offset:         144
        .size:           8
        .value_kind:     hidden_global_offset_x
      - .offset:         152
        .size:           8
        .value_kind:     hidden_global_offset_y
      - .offset:         160
        .size:           8
        .value_kind:     hidden_global_offset_z
      - .offset:         168
        .size:           2
        .value_kind:     hidden_grid_dims
    .group_segment_fixed_size: 2304
    .kernarg_segment_align: 8
    .kernarg_segment_size: 360
    .language:       OpenCL C
    .language_version:
      - 2
      - 0
    .max_flat_workgroup_size: 12
    .name:           _ZL38rocblas_trsm_small_left_device_sharedBILi12ELi12ELb1EddPKPKdPKPdEv13rocblas_fill_18rocblas_operation_17rocblas_diagonal_iiT3_T4_lilT5_lili
    .private_segment_fixed_size: 0
    .sgpr_count:     32
    .sgpr_spill_count: 0
    .symbol:         _ZL38rocblas_trsm_small_left_device_sharedBILi12ELi12ELb1EddPKPKdPKPdEv13rocblas_fill_18rocblas_operation_17rocblas_diagonal_iiT3_T4_lilT5_lili.kd
    .uniform_work_group_size: 1
    .uses_dynamic_stack: false
    .vgpr_count:     49
    .vgpr_spill_count: 0
    .wavefront_size: 64
  - .agpr_count:     0
    .args:
      - .offset:         0
        .size:           4
        .value_kind:     by_value
      - .offset:         4
        .size:           4
        .value_kind:     by_value
      - .offset:         8
        .size:           4
        .value_kind:     by_value
      - .offset:         12
        .size:           4
        .value_kind:     by_value
      - .offset:         16
        .size:           4
        .value_kind:     by_value
      - .offset:         24
        .size:           8
        .value_kind:     by_value
      - .address_space:  global
        .offset:         32
        .size:           8
        .value_kind:     global_buffer
      - .offset:         40
        .size:           8
        .value_kind:     by_value
      - .offset:         48
        .size:           4
        .value_kind:     by_value
      - .offset:         56
        .size:           8
        .value_kind:     by_value
      - .address_space:  global
        .offset:         64
        .size:           8
        .value_kind:     global_buffer
      - .offset:         72
        .size:           8
        .value_kind:     by_value
      - .offset:         80
        .size:           4
        .value_kind:     by_value
      - .offset:         88
        .size:           8
        .value_kind:     by_value
      - .offset:         96
        .size:           4
        .value_kind:     by_value
      - .offset:         104
        .size:           4
        .value_kind:     hidden_block_count_x
      - .offset:         108
        .size:           4
        .value_kind:     hidden_block_count_y
      - .offset:         112
        .size:           4
        .value_kind:     hidden_block_count_z
      - .offset:         116
        .size:           2
        .value_kind:     hidden_group_size_x
      - .offset:         118
        .size:           2
        .value_kind:     hidden_group_size_y
      - .offset:         120
        .size:           2
        .value_kind:     hidden_group_size_z
      - .offset:         122
        .size:           2
        .value_kind:     hidden_remainder_x
      - .offset:         124
        .size:           2
        .value_kind:     hidden_remainder_y
      - .offset:         126
        .size:           2
        .value_kind:     hidden_remainder_z
      - .offset:         144
        .size:           8
        .value_kind:     hidden_global_offset_x
      - .offset:         152
        .size:           8
        .value_kind:     hidden_global_offset_y
      - .offset:         160
        .size:           8
        .value_kind:     hidden_global_offset_z
      - .offset:         168
        .size:           2
        .value_kind:     hidden_grid_dims
    .group_segment_fixed_size: 1152
    .kernarg_segment_align: 8
    .kernarg_segment_size: 360
    .language:       OpenCL C
    .language_version:
      - 2
      - 0
    .max_flat_workgroup_size: 12
    .name:           _ZL30rocblas_trsm_small_left_deviceILi12ELi12ELb1EddPKPKdPKPdEv13rocblas_fill_18rocblas_operation_17rocblas_diagonal_iiT3_T4_lilT5_lili
    .private_segment_fixed_size: 0
    .sgpr_count:     32
    .sgpr_spill_count: 0
    .symbol:         _ZL30rocblas_trsm_small_left_deviceILi12ELi12ELb1EddPKPKdPKPdEv13rocblas_fill_18rocblas_operation_17rocblas_diagonal_iiT3_T4_lilT5_lili.kd
    .uniform_work_group_size: 1
    .uses_dynamic_stack: false
    .vgpr_count:     51
    .vgpr_spill_count: 0
    .wavefront_size: 64
  - .agpr_count:     0
    .args:
      - .offset:         0
        .size:           4
        .value_kind:     by_value
      - .offset:         4
        .size:           4
        .value_kind:     by_value
      - .offset:         8
        .size:           4
        .value_kind:     by_value
      - .offset:         12
        .size:           4
        .value_kind:     by_value
      - .offset:         16
        .size:           4
        .value_kind:     by_value
      - .offset:         24
        .size:           8
        .value_kind:     by_value
      - .address_space:  global
        .offset:         32
        .size:           8
        .value_kind:     global_buffer
      - .offset:         40
        .size:           8
        .value_kind:     by_value
      - .offset:         48
        .size:           4
        .value_kind:     by_value
      - .offset:         56
        .size:           8
        .value_kind:     by_value
      - .address_space:  global
        .offset:         64
        .size:           8
        .value_kind:     global_buffer
      - .offset:         72
        .size:           8
        .value_kind:     by_value
      - .offset:         80
        .size:           4
        .value_kind:     by_value
      - .offset:         88
        .size:           8
        .value_kind:     by_value
      - .offset:         96
        .size:           4
        .value_kind:     by_value
      - .offset:         104
        .size:           4
        .value_kind:     hidden_block_count_x
      - .offset:         108
        .size:           4
        .value_kind:     hidden_block_count_y
      - .offset:         112
        .size:           4
        .value_kind:     hidden_block_count_z
      - .offset:         116
        .size:           2
        .value_kind:     hidden_group_size_x
      - .offset:         118
        .size:           2
        .value_kind:     hidden_group_size_y
      - .offset:         120
        .size:           2
        .value_kind:     hidden_group_size_z
      - .offset:         122
        .size:           2
        .value_kind:     hidden_remainder_x
      - .offset:         124
        .size:           2
        .value_kind:     hidden_remainder_y
      - .offset:         126
        .size:           2
        .value_kind:     hidden_remainder_z
      - .offset:         144
        .size:           8
        .value_kind:     hidden_global_offset_x
      - .offset:         152
        .size:           8
        .value_kind:     hidden_global_offset_y
      - .offset:         160
        .size:           8
        .value_kind:     hidden_global_offset_z
      - .offset:         168
        .size:           2
        .value_kind:     hidden_grid_dims
    .group_segment_fixed_size: 2304
    .kernarg_segment_align: 8
    .kernarg_segment_size: 360
    .language:       OpenCL C
    .language_version:
      - 2
      - 0
    .max_flat_workgroup_size: 12
    .name:           _ZL31rocblas_trsm_small_right_deviceIddPKPKdPKPdLi12EEv13rocblas_fill_18rocblas_operation_17rocblas_diagonal_iiT0_T1_lilT2_lili
    .private_segment_fixed_size: 0
    .sgpr_count:     32
    .sgpr_spill_count: 0
    .symbol:         _ZL31rocblas_trsm_small_right_deviceIddPKPKdPKPdLi12EEv13rocblas_fill_18rocblas_operation_17rocblas_diagonal_iiT0_T1_lilT2_lili.kd
    .uniform_work_group_size: 1
    .uses_dynamic_stack: false
    .vgpr_count:     38
    .vgpr_spill_count: 0
    .wavefront_size: 64
  - .agpr_count:     0
    .args:
      - .offset:         0
        .size:           4
        .value_kind:     by_value
      - .offset:         4
        .size:           4
        .value_kind:     by_value
      - .offset:         8
        .size:           4
        .value_kind:     by_value
      - .offset:         12
        .size:           4
        .value_kind:     by_value
      - .offset:         16
        .size:           4
        .value_kind:     by_value
      - .offset:         24
        .size:           8
        .value_kind:     by_value
      - .address_space:  global
        .offset:         32
        .size:           8
        .value_kind:     global_buffer
      - .offset:         40
        .size:           8
        .value_kind:     by_value
      - .offset:         48
        .size:           4
        .value_kind:     by_value
      - .offset:         56
        .size:           8
        .value_kind:     by_value
      - .address_space:  global
        .offset:         64
        .size:           8
        .value_kind:     global_buffer
      - .offset:         72
        .size:           8
        .value_kind:     by_value
      - .offset:         80
        .size:           4
        .value_kind:     by_value
      - .offset:         88
        .size:           8
        .value_kind:     by_value
      - .offset:         96
        .size:           4
        .value_kind:     by_value
      - .offset:         104
        .size:           4
        .value_kind:     hidden_block_count_x
      - .offset:         108
        .size:           4
        .value_kind:     hidden_block_count_y
      - .offset:         112
        .size:           4
        .value_kind:     hidden_block_count_z
      - .offset:         116
        .size:           2
        .value_kind:     hidden_group_size_x
      - .offset:         118
        .size:           2
        .value_kind:     hidden_group_size_y
      - .offset:         120
        .size:           2
        .value_kind:     hidden_group_size_z
      - .offset:         122
        .size:           2
        .value_kind:     hidden_remainder_x
      - .offset:         124
        .size:           2
        .value_kind:     hidden_remainder_y
      - .offset:         126
        .size:           2
        .value_kind:     hidden_remainder_z
      - .offset:         144
        .size:           8
        .value_kind:     hidden_global_offset_x
      - .offset:         152
        .size:           8
        .value_kind:     hidden_global_offset_y
      - .offset:         160
        .size:           8
        .value_kind:     hidden_global_offset_z
      - .offset:         168
        .size:           2
        .value_kind:     hidden_grid_dims
    .group_segment_fixed_size: 4096
    .kernarg_segment_align: 8
    .kernarg_segment_size: 360
    .language:       OpenCL C
    .language_version:
      - 2
      - 0
    .max_flat_workgroup_size: 16
    .name:           _ZL38rocblas_trsm_small_left_device_sharedBILi16ELi16ELb0EddPKPKdPKPdEv13rocblas_fill_18rocblas_operation_17rocblas_diagonal_iiT3_T4_lilT5_lili
    .private_segment_fixed_size: 0
    .sgpr_count:     32
    .sgpr_spill_count: 0
    .symbol:         _ZL38rocblas_trsm_small_left_device_sharedBILi16ELi16ELb0EddPKPKdPKPdEv13rocblas_fill_18rocblas_operation_17rocblas_diagonal_iiT3_T4_lilT5_lili.kd
    .uniform_work_group_size: 1
    .uses_dynamic_stack: false
    .vgpr_count:     68
    .vgpr_spill_count: 0
    .wavefront_size: 64
  - .agpr_count:     0
    .args:
      - .offset:         0
        .size:           4
        .value_kind:     by_value
      - .offset:         4
        .size:           4
        .value_kind:     by_value
      - .offset:         8
        .size:           4
        .value_kind:     by_value
      - .offset:         12
        .size:           4
        .value_kind:     by_value
      - .offset:         16
        .size:           4
        .value_kind:     by_value
      - .offset:         24
        .size:           8
        .value_kind:     by_value
      - .address_space:  global
        .offset:         32
        .size:           8
        .value_kind:     global_buffer
      - .offset:         40
        .size:           8
        .value_kind:     by_value
      - .offset:         48
        .size:           4
        .value_kind:     by_value
      - .offset:         56
        .size:           8
        .value_kind:     by_value
      - .address_space:  global
        .offset:         64
        .size:           8
        .value_kind:     global_buffer
      - .offset:         72
        .size:           8
        .value_kind:     by_value
      - .offset:         80
        .size:           4
        .value_kind:     by_value
      - .offset:         88
        .size:           8
        .value_kind:     by_value
      - .offset:         96
        .size:           4
        .value_kind:     by_value
      - .offset:         104
        .size:           4
        .value_kind:     hidden_block_count_x
      - .offset:         108
        .size:           4
        .value_kind:     hidden_block_count_y
      - .offset:         112
        .size:           4
        .value_kind:     hidden_block_count_z
      - .offset:         116
        .size:           2
        .value_kind:     hidden_group_size_x
      - .offset:         118
        .size:           2
        .value_kind:     hidden_group_size_y
      - .offset:         120
        .size:           2
        .value_kind:     hidden_group_size_z
      - .offset:         122
        .size:           2
        .value_kind:     hidden_remainder_x
      - .offset:         124
        .size:           2
        .value_kind:     hidden_remainder_y
      - .offset:         126
        .size:           2
        .value_kind:     hidden_remainder_z
      - .offset:         144
        .size:           8
        .value_kind:     hidden_global_offset_x
      - .offset:         152
        .size:           8
        .value_kind:     hidden_global_offset_y
      - .offset:         160
        .size:           8
        .value_kind:     hidden_global_offset_z
      - .offset:         168
        .size:           2
        .value_kind:     hidden_grid_dims
    .group_segment_fixed_size: 2048
    .kernarg_segment_align: 8
    .kernarg_segment_size: 360
    .language:       OpenCL C
    .language_version:
      - 2
      - 0
    .max_flat_workgroup_size: 16
    .name:           _ZL30rocblas_trsm_small_left_deviceILi16ELi16ELb0EddPKPKdPKPdEv13rocblas_fill_18rocblas_operation_17rocblas_diagonal_iiT3_T4_lilT5_lili
    .private_segment_fixed_size: 0
    .sgpr_count:     32
    .sgpr_spill_count: 0
    .symbol:         _ZL30rocblas_trsm_small_left_deviceILi16ELi16ELb0EddPKPKdPKPdEv13rocblas_fill_18rocblas_operation_17rocblas_diagonal_iiT3_T4_lilT5_lili.kd
    .uniform_work_group_size: 1
    .uses_dynamic_stack: false
    .vgpr_count:     92
    .vgpr_spill_count: 0
    .wavefront_size: 64
  - .agpr_count:     0
    .args:
      - .offset:         0
        .size:           4
        .value_kind:     by_value
      - .offset:         4
        .size:           4
        .value_kind:     by_value
      - .offset:         8
        .size:           4
        .value_kind:     by_value
      - .offset:         12
        .size:           4
        .value_kind:     by_value
      - .offset:         16
        .size:           4
        .value_kind:     by_value
      - .offset:         24
        .size:           8
        .value_kind:     by_value
      - .address_space:  global
        .offset:         32
        .size:           8
        .value_kind:     global_buffer
      - .offset:         40
        .size:           8
        .value_kind:     by_value
      - .offset:         48
        .size:           4
        .value_kind:     by_value
      - .offset:         56
        .size:           8
        .value_kind:     by_value
      - .address_space:  global
        .offset:         64
        .size:           8
        .value_kind:     global_buffer
      - .offset:         72
        .size:           8
        .value_kind:     by_value
      - .offset:         80
        .size:           4
        .value_kind:     by_value
      - .offset:         88
        .size:           8
        .value_kind:     by_value
      - .offset:         96
        .size:           4
        .value_kind:     by_value
      - .offset:         104
        .size:           4
        .value_kind:     hidden_block_count_x
      - .offset:         108
        .size:           4
        .value_kind:     hidden_block_count_y
      - .offset:         112
        .size:           4
        .value_kind:     hidden_block_count_z
      - .offset:         116
        .size:           2
        .value_kind:     hidden_group_size_x
      - .offset:         118
        .size:           2
        .value_kind:     hidden_group_size_y
      - .offset:         120
        .size:           2
        .value_kind:     hidden_group_size_z
      - .offset:         122
        .size:           2
        .value_kind:     hidden_remainder_x
      - .offset:         124
        .size:           2
        .value_kind:     hidden_remainder_y
      - .offset:         126
        .size:           2
        .value_kind:     hidden_remainder_z
      - .offset:         144
        .size:           8
        .value_kind:     hidden_global_offset_x
      - .offset:         152
        .size:           8
        .value_kind:     hidden_global_offset_y
      - .offset:         160
        .size:           8
        .value_kind:     hidden_global_offset_z
      - .offset:         168
        .size:           2
        .value_kind:     hidden_grid_dims
    .group_segment_fixed_size: 4096
    .kernarg_segment_align: 8
    .kernarg_segment_size: 360
    .language:       OpenCL C
    .language_version:
      - 2
      - 0
    .max_flat_workgroup_size: 16
    .name:           _ZL38rocblas_trsm_small_left_device_sharedBILi16ELi16ELb1EddPKPKdPKPdEv13rocblas_fill_18rocblas_operation_17rocblas_diagonal_iiT3_T4_lilT5_lili
    .private_segment_fixed_size: 0
    .sgpr_count:     32
    .sgpr_spill_count: 0
    .symbol:         _ZL38rocblas_trsm_small_left_device_sharedBILi16ELi16ELb1EddPKPKdPKPdEv13rocblas_fill_18rocblas_operation_17rocblas_diagonal_iiT3_T4_lilT5_lili.kd
    .uniform_work_group_size: 1
    .uses_dynamic_stack: false
    .vgpr_count:     74
    .vgpr_spill_count: 0
    .wavefront_size: 64
  - .agpr_count:     0
    .args:
      - .offset:         0
        .size:           4
        .value_kind:     by_value
      - .offset:         4
        .size:           4
        .value_kind:     by_value
      - .offset:         8
        .size:           4
        .value_kind:     by_value
      - .offset:         12
        .size:           4
        .value_kind:     by_value
      - .offset:         16
        .size:           4
        .value_kind:     by_value
      - .offset:         24
        .size:           8
        .value_kind:     by_value
      - .address_space:  global
        .offset:         32
        .size:           8
        .value_kind:     global_buffer
      - .offset:         40
        .size:           8
        .value_kind:     by_value
      - .offset:         48
        .size:           4
        .value_kind:     by_value
      - .offset:         56
        .size:           8
        .value_kind:     by_value
      - .address_space:  global
        .offset:         64
        .size:           8
        .value_kind:     global_buffer
      - .offset:         72
        .size:           8
        .value_kind:     by_value
      - .offset:         80
        .size:           4
        .value_kind:     by_value
      - .offset:         88
        .size:           8
        .value_kind:     by_value
      - .offset:         96
        .size:           4
        .value_kind:     by_value
      - .offset:         104
        .size:           4
        .value_kind:     hidden_block_count_x
      - .offset:         108
        .size:           4
        .value_kind:     hidden_block_count_y
      - .offset:         112
        .size:           4
        .value_kind:     hidden_block_count_z
      - .offset:         116
        .size:           2
        .value_kind:     hidden_group_size_x
      - .offset:         118
        .size:           2
        .value_kind:     hidden_group_size_y
      - .offset:         120
        .size:           2
        .value_kind:     hidden_group_size_z
      - .offset:         122
        .size:           2
        .value_kind:     hidden_remainder_x
      - .offset:         124
        .size:           2
        .value_kind:     hidden_remainder_y
      - .offset:         126
        .size:           2
        .value_kind:     hidden_remainder_z
      - .offset:         144
        .size:           8
        .value_kind:     hidden_global_offset_x
      - .offset:         152
        .size:           8
        .value_kind:     hidden_global_offset_y
      - .offset:         160
        .size:           8
        .value_kind:     hidden_global_offset_z
      - .offset:         168
        .size:           2
        .value_kind:     hidden_grid_dims
    .group_segment_fixed_size: 2048
    .kernarg_segment_align: 8
    .kernarg_segment_size: 360
    .language:       OpenCL C
    .language_version:
      - 2
      - 0
    .max_flat_workgroup_size: 16
    .name:           _ZL30rocblas_trsm_small_left_deviceILi16ELi16ELb1EddPKPKdPKPdEv13rocblas_fill_18rocblas_operation_17rocblas_diagonal_iiT3_T4_lilT5_lili
    .private_segment_fixed_size: 0
    .sgpr_count:     32
    .sgpr_spill_count: 0
    .symbol:         _ZL30rocblas_trsm_small_left_deviceILi16ELi16ELb1EddPKPKdPKPdEv13rocblas_fill_18rocblas_operation_17rocblas_diagonal_iiT3_T4_lilT5_lili.kd
    .uniform_work_group_size: 1
    .uses_dynamic_stack: false
    .vgpr_count:     61
    .vgpr_spill_count: 0
    .wavefront_size: 64
  - .agpr_count:     0
    .args:
      - .offset:         0
        .size:           4
        .value_kind:     by_value
      - .offset:         4
        .size:           4
        .value_kind:     by_value
      - .offset:         8
        .size:           4
        .value_kind:     by_value
      - .offset:         12
        .size:           4
        .value_kind:     by_value
      - .offset:         16
        .size:           4
        .value_kind:     by_value
      - .offset:         24
        .size:           8
        .value_kind:     by_value
      - .address_space:  global
        .offset:         32
        .size:           8
        .value_kind:     global_buffer
      - .offset:         40
        .size:           8
        .value_kind:     by_value
      - .offset:         48
        .size:           4
        .value_kind:     by_value
      - .offset:         56
        .size:           8
        .value_kind:     by_value
      - .address_space:  global
        .offset:         64
        .size:           8
        .value_kind:     global_buffer
      - .offset:         72
        .size:           8
        .value_kind:     by_value
      - .offset:         80
        .size:           4
        .value_kind:     by_value
      - .offset:         88
        .size:           8
        .value_kind:     by_value
      - .offset:         96
        .size:           4
        .value_kind:     by_value
      - .offset:         104
        .size:           4
        .value_kind:     hidden_block_count_x
      - .offset:         108
        .size:           4
        .value_kind:     hidden_block_count_y
      - .offset:         112
        .size:           4
        .value_kind:     hidden_block_count_z
      - .offset:         116
        .size:           2
        .value_kind:     hidden_group_size_x
      - .offset:         118
        .size:           2
        .value_kind:     hidden_group_size_y
      - .offset:         120
        .size:           2
        .value_kind:     hidden_group_size_z
      - .offset:         122
        .size:           2
        .value_kind:     hidden_remainder_x
      - .offset:         124
        .size:           2
        .value_kind:     hidden_remainder_y
      - .offset:         126
        .size:           2
        .value_kind:     hidden_remainder_z
      - .offset:         144
        .size:           8
        .value_kind:     hidden_global_offset_x
      - .offset:         152
        .size:           8
        .value_kind:     hidden_global_offset_y
      - .offset:         160
        .size:           8
        .value_kind:     hidden_global_offset_z
      - .offset:         168
        .size:           2
        .value_kind:     hidden_grid_dims
    .group_segment_fixed_size: 4096
    .kernarg_segment_align: 8
    .kernarg_segment_size: 360
    .language:       OpenCL C
    .language_version:
      - 2
      - 0
    .max_flat_workgroup_size: 16
    .name:           _ZL31rocblas_trsm_small_right_deviceIddPKPKdPKPdLi16EEv13rocblas_fill_18rocblas_operation_17rocblas_diagonal_iiT0_T1_lilT2_lili
    .private_segment_fixed_size: 0
    .sgpr_count:     32
    .sgpr_spill_count: 0
    .symbol:         _ZL31rocblas_trsm_small_right_deviceIddPKPKdPKPdLi16EEv13rocblas_fill_18rocblas_operation_17rocblas_diagonal_iiT0_T1_lilT2_lili.kd
    .uniform_work_group_size: 1
    .uses_dynamic_stack: false
    .vgpr_count:     40
    .vgpr_spill_count: 0
    .wavefront_size: 64
  - .agpr_count:     0
    .args:
      - .offset:         0
        .size:           4
        .value_kind:     by_value
      - .offset:         4
        .size:           4
        .value_kind:     by_value
      - .offset:         8
        .size:           4
        .value_kind:     by_value
      - .offset:         12
        .size:           4
        .value_kind:     by_value
      - .offset:         16
        .size:           4
        .value_kind:     by_value
      - .offset:         24
        .size:           8
        .value_kind:     by_value
      - .address_space:  global
        .offset:         32
        .size:           8
        .value_kind:     global_buffer
      - .offset:         40
        .size:           8
        .value_kind:     by_value
      - .offset:         48
        .size:           4
        .value_kind:     by_value
      - .offset:         56
        .size:           8
        .value_kind:     by_value
      - .address_space:  global
        .offset:         64
        .size:           8
        .value_kind:     global_buffer
      - .offset:         72
        .size:           8
        .value_kind:     by_value
      - .offset:         80
        .size:           4
        .value_kind:     by_value
      - .offset:         88
        .size:           8
        .value_kind:     by_value
      - .offset:         96
        .size:           4
        .value_kind:     by_value
      - .offset:         104
        .size:           4
        .value_kind:     hidden_block_count_x
      - .offset:         108
        .size:           4
        .value_kind:     hidden_block_count_y
      - .offset:         112
        .size:           4
        .value_kind:     hidden_block_count_z
      - .offset:         116
        .size:           2
        .value_kind:     hidden_group_size_x
      - .offset:         118
        .size:           2
        .value_kind:     hidden_group_size_y
      - .offset:         120
        .size:           2
        .value_kind:     hidden_group_size_z
      - .offset:         122
        .size:           2
        .value_kind:     hidden_remainder_x
      - .offset:         124
        .size:           2
        .value_kind:     hidden_remainder_y
      - .offset:         126
        .size:           2
        .value_kind:     hidden_remainder_z
      - .offset:         144
        .size:           8
        .value_kind:     hidden_global_offset_x
      - .offset:         152
        .size:           8
        .value_kind:     hidden_global_offset_y
      - .offset:         160
        .size:           8
        .value_kind:     hidden_global_offset_z
      - .offset:         168
        .size:           2
        .value_kind:     hidden_grid_dims
    .group_segment_fixed_size: 6400
    .kernarg_segment_align: 8
    .kernarg_segment_size: 360
    .language:       OpenCL C
    .language_version:
      - 2
      - 0
    .max_flat_workgroup_size: 20
    .name:           _ZL38rocblas_trsm_small_left_device_sharedBILi20ELi20ELb0EddPKPKdPKPdEv13rocblas_fill_18rocblas_operation_17rocblas_diagonal_iiT3_T4_lilT5_lili
    .private_segment_fixed_size: 0
    .sgpr_count:     32
    .sgpr_spill_count: 0
    .symbol:         _ZL38rocblas_trsm_small_left_device_sharedBILi20ELi20ELb0EddPKPKdPKPdEv13rocblas_fill_18rocblas_operation_17rocblas_diagonal_iiT3_T4_lilT5_lili.kd
    .uniform_work_group_size: 1
    .uses_dynamic_stack: false
    .vgpr_count:     82
    .vgpr_spill_count: 0
    .wavefront_size: 64
  - .agpr_count:     0
    .args:
      - .offset:         0
        .size:           4
        .value_kind:     by_value
      - .offset:         4
        .size:           4
        .value_kind:     by_value
      - .offset:         8
        .size:           4
        .value_kind:     by_value
      - .offset:         12
        .size:           4
        .value_kind:     by_value
      - .offset:         16
        .size:           4
        .value_kind:     by_value
      - .offset:         24
        .size:           8
        .value_kind:     by_value
      - .address_space:  global
        .offset:         32
        .size:           8
        .value_kind:     global_buffer
      - .offset:         40
        .size:           8
        .value_kind:     by_value
      - .offset:         48
        .size:           4
        .value_kind:     by_value
      - .offset:         56
        .size:           8
        .value_kind:     by_value
      - .address_space:  global
        .offset:         64
        .size:           8
        .value_kind:     global_buffer
      - .offset:         72
        .size:           8
        .value_kind:     by_value
      - .offset:         80
        .size:           4
        .value_kind:     by_value
      - .offset:         88
        .size:           8
        .value_kind:     by_value
      - .offset:         96
        .size:           4
        .value_kind:     by_value
      - .offset:         104
        .size:           4
        .value_kind:     hidden_block_count_x
      - .offset:         108
        .size:           4
        .value_kind:     hidden_block_count_y
      - .offset:         112
        .size:           4
        .value_kind:     hidden_block_count_z
      - .offset:         116
        .size:           2
        .value_kind:     hidden_group_size_x
      - .offset:         118
        .size:           2
        .value_kind:     hidden_group_size_y
      - .offset:         120
        .size:           2
        .value_kind:     hidden_group_size_z
      - .offset:         122
        .size:           2
        .value_kind:     hidden_remainder_x
      - .offset:         124
        .size:           2
        .value_kind:     hidden_remainder_y
      - .offset:         126
        .size:           2
        .value_kind:     hidden_remainder_z
      - .offset:         144
        .size:           8
        .value_kind:     hidden_global_offset_x
      - .offset:         152
        .size:           8
        .value_kind:     hidden_global_offset_y
      - .offset:         160
        .size:           8
        .value_kind:     hidden_global_offset_z
      - .offset:         168
        .size:           2
        .value_kind:     hidden_grid_dims
    .group_segment_fixed_size: 3200
    .kernarg_segment_align: 8
    .kernarg_segment_size: 360
    .language:       OpenCL C
    .language_version:
      - 2
      - 0
    .max_flat_workgroup_size: 20
    .name:           _ZL30rocblas_trsm_small_left_deviceILi20ELi20ELb0EddPKPKdPKPdEv13rocblas_fill_18rocblas_operation_17rocblas_diagonal_iiT3_T4_lilT5_lili
    .private_segment_fixed_size: 0
    .sgpr_count:     32
    .sgpr_spill_count: 0
    .symbol:         _ZL30rocblas_trsm_small_left_deviceILi20ELi20ELb0EddPKPKdPKPdEv13rocblas_fill_18rocblas_operation_17rocblas_diagonal_iiT3_T4_lilT5_lili.kd
    .uniform_work_group_size: 1
    .uses_dynamic_stack: false
    .vgpr_count:     62
    .vgpr_spill_count: 0
    .wavefront_size: 64
  - .agpr_count:     0
    .args:
      - .offset:         0
        .size:           4
        .value_kind:     by_value
      - .offset:         4
        .size:           4
        .value_kind:     by_value
      - .offset:         8
        .size:           4
        .value_kind:     by_value
      - .offset:         12
        .size:           4
        .value_kind:     by_value
      - .offset:         16
        .size:           4
        .value_kind:     by_value
      - .offset:         24
        .size:           8
        .value_kind:     by_value
      - .address_space:  global
        .offset:         32
        .size:           8
        .value_kind:     global_buffer
      - .offset:         40
        .size:           8
        .value_kind:     by_value
      - .offset:         48
        .size:           4
        .value_kind:     by_value
      - .offset:         56
        .size:           8
        .value_kind:     by_value
      - .address_space:  global
        .offset:         64
        .size:           8
        .value_kind:     global_buffer
      - .offset:         72
        .size:           8
        .value_kind:     by_value
      - .offset:         80
        .size:           4
        .value_kind:     by_value
      - .offset:         88
        .size:           8
        .value_kind:     by_value
      - .offset:         96
        .size:           4
        .value_kind:     by_value
      - .offset:         104
        .size:           4
        .value_kind:     hidden_block_count_x
      - .offset:         108
        .size:           4
        .value_kind:     hidden_block_count_y
      - .offset:         112
        .size:           4
        .value_kind:     hidden_block_count_z
      - .offset:         116
        .size:           2
        .value_kind:     hidden_group_size_x
      - .offset:         118
        .size:           2
        .value_kind:     hidden_group_size_y
      - .offset:         120
        .size:           2
        .value_kind:     hidden_group_size_z
      - .offset:         122
        .size:           2
        .value_kind:     hidden_remainder_x
      - .offset:         124
        .size:           2
        .value_kind:     hidden_remainder_y
      - .offset:         126
        .size:           2
        .value_kind:     hidden_remainder_z
      - .offset:         144
        .size:           8
        .value_kind:     hidden_global_offset_x
      - .offset:         152
        .size:           8
        .value_kind:     hidden_global_offset_y
      - .offset:         160
        .size:           8
        .value_kind:     hidden_global_offset_z
      - .offset:         168
        .size:           2
        .value_kind:     hidden_grid_dims
    .group_segment_fixed_size: 6400
    .kernarg_segment_align: 8
    .kernarg_segment_size: 360
    .language:       OpenCL C
    .language_version:
      - 2
      - 0
    .max_flat_workgroup_size: 20
    .name:           _ZL38rocblas_trsm_small_left_device_sharedBILi20ELi20ELb1EddPKPKdPKPdEv13rocblas_fill_18rocblas_operation_17rocblas_diagonal_iiT3_T4_lilT5_lili
    .private_segment_fixed_size: 0
    .sgpr_count:     32
    .sgpr_spill_count: 0
    .symbol:         _ZL38rocblas_trsm_small_left_device_sharedBILi20ELi20ELb1EddPKPKdPKPdEv13rocblas_fill_18rocblas_operation_17rocblas_diagonal_iiT3_T4_lilT5_lili.kd
    .uniform_work_group_size: 1
    .uses_dynamic_stack: false
    .vgpr_count:     96
    .vgpr_spill_count: 0
    .wavefront_size: 64
  - .agpr_count:     0
    .args:
      - .offset:         0
        .size:           4
        .value_kind:     by_value
      - .offset:         4
        .size:           4
        .value_kind:     by_value
      - .offset:         8
        .size:           4
        .value_kind:     by_value
      - .offset:         12
        .size:           4
        .value_kind:     by_value
      - .offset:         16
        .size:           4
        .value_kind:     by_value
      - .offset:         24
        .size:           8
        .value_kind:     by_value
      - .address_space:  global
        .offset:         32
        .size:           8
        .value_kind:     global_buffer
      - .offset:         40
        .size:           8
        .value_kind:     by_value
      - .offset:         48
        .size:           4
        .value_kind:     by_value
      - .offset:         56
        .size:           8
        .value_kind:     by_value
      - .address_space:  global
        .offset:         64
        .size:           8
        .value_kind:     global_buffer
      - .offset:         72
        .size:           8
        .value_kind:     by_value
      - .offset:         80
        .size:           4
        .value_kind:     by_value
      - .offset:         88
        .size:           8
        .value_kind:     by_value
      - .offset:         96
        .size:           4
        .value_kind:     by_value
      - .offset:         104
        .size:           4
        .value_kind:     hidden_block_count_x
      - .offset:         108
        .size:           4
        .value_kind:     hidden_block_count_y
      - .offset:         112
        .size:           4
        .value_kind:     hidden_block_count_z
      - .offset:         116
        .size:           2
        .value_kind:     hidden_group_size_x
      - .offset:         118
        .size:           2
        .value_kind:     hidden_group_size_y
      - .offset:         120
        .size:           2
        .value_kind:     hidden_group_size_z
      - .offset:         122
        .size:           2
        .value_kind:     hidden_remainder_x
      - .offset:         124
        .size:           2
        .value_kind:     hidden_remainder_y
      - .offset:         126
        .size:           2
        .value_kind:     hidden_remainder_z
      - .offset:         144
        .size:           8
        .value_kind:     hidden_global_offset_x
      - .offset:         152
        .size:           8
        .value_kind:     hidden_global_offset_y
      - .offset:         160
        .size:           8
        .value_kind:     hidden_global_offset_z
      - .offset:         168
        .size:           2
        .value_kind:     hidden_grid_dims
    .group_segment_fixed_size: 3200
    .kernarg_segment_align: 8
    .kernarg_segment_size: 360
    .language:       OpenCL C
    .language_version:
      - 2
      - 0
    .max_flat_workgroup_size: 20
    .name:           _ZL30rocblas_trsm_small_left_deviceILi20ELi20ELb1EddPKPKdPKPdEv13rocblas_fill_18rocblas_operation_17rocblas_diagonal_iiT3_T4_lilT5_lili
    .private_segment_fixed_size: 0
    .sgpr_count:     32
    .sgpr_spill_count: 0
    .symbol:         _ZL30rocblas_trsm_small_left_deviceILi20ELi20ELb1EddPKPKdPKPdEv13rocblas_fill_18rocblas_operation_17rocblas_diagonal_iiT3_T4_lilT5_lili.kd
    .uniform_work_group_size: 1
    .uses_dynamic_stack: false
    .vgpr_count:     57
    .vgpr_spill_count: 0
    .wavefront_size: 64
  - .agpr_count:     0
    .args:
      - .offset:         0
        .size:           4
        .value_kind:     by_value
      - .offset:         4
        .size:           4
        .value_kind:     by_value
      - .offset:         8
        .size:           4
        .value_kind:     by_value
      - .offset:         12
        .size:           4
        .value_kind:     by_value
      - .offset:         16
        .size:           4
        .value_kind:     by_value
      - .offset:         24
        .size:           8
        .value_kind:     by_value
      - .address_space:  global
        .offset:         32
        .size:           8
        .value_kind:     global_buffer
      - .offset:         40
        .size:           8
        .value_kind:     by_value
      - .offset:         48
        .size:           4
        .value_kind:     by_value
      - .offset:         56
        .size:           8
        .value_kind:     by_value
      - .address_space:  global
        .offset:         64
        .size:           8
        .value_kind:     global_buffer
      - .offset:         72
        .size:           8
        .value_kind:     by_value
      - .offset:         80
        .size:           4
        .value_kind:     by_value
      - .offset:         88
        .size:           8
        .value_kind:     by_value
      - .offset:         96
        .size:           4
        .value_kind:     by_value
      - .offset:         104
        .size:           4
        .value_kind:     hidden_block_count_x
      - .offset:         108
        .size:           4
        .value_kind:     hidden_block_count_y
      - .offset:         112
        .size:           4
        .value_kind:     hidden_block_count_z
      - .offset:         116
        .size:           2
        .value_kind:     hidden_group_size_x
      - .offset:         118
        .size:           2
        .value_kind:     hidden_group_size_y
      - .offset:         120
        .size:           2
        .value_kind:     hidden_group_size_z
      - .offset:         122
        .size:           2
        .value_kind:     hidden_remainder_x
      - .offset:         124
        .size:           2
        .value_kind:     hidden_remainder_y
      - .offset:         126
        .size:           2
        .value_kind:     hidden_remainder_z
      - .offset:         144
        .size:           8
        .value_kind:     hidden_global_offset_x
      - .offset:         152
        .size:           8
        .value_kind:     hidden_global_offset_y
      - .offset:         160
        .size:           8
        .value_kind:     hidden_global_offset_z
      - .offset:         168
        .size:           2
        .value_kind:     hidden_grid_dims
    .group_segment_fixed_size: 6400
    .kernarg_segment_align: 8
    .kernarg_segment_size: 360
    .language:       OpenCL C
    .language_version:
      - 2
      - 0
    .max_flat_workgroup_size: 20
    .name:           _ZL31rocblas_trsm_small_right_deviceIddPKPKdPKPdLi20EEv13rocblas_fill_18rocblas_operation_17rocblas_diagonal_iiT0_T1_lilT2_lili
    .private_segment_fixed_size: 0
    .sgpr_count:     32
    .sgpr_spill_count: 0
    .symbol:         _ZL31rocblas_trsm_small_right_deviceIddPKPKdPKPdLi20EEv13rocblas_fill_18rocblas_operation_17rocblas_diagonal_iiT0_T1_lilT2_lili.kd
    .uniform_work_group_size: 1
    .uses_dynamic_stack: false
    .vgpr_count:     38
    .vgpr_spill_count: 0
    .wavefront_size: 64
  - .agpr_count:     0
    .args:
      - .offset:         0
        .size:           4
        .value_kind:     by_value
      - .offset:         4
        .size:           4
        .value_kind:     by_value
      - .offset:         8
        .size:           4
        .value_kind:     by_value
      - .offset:         12
        .size:           4
        .value_kind:     by_value
      - .offset:         16
        .size:           4
        .value_kind:     by_value
      - .offset:         24
        .size:           8
        .value_kind:     by_value
      - .address_space:  global
        .offset:         32
        .size:           8
        .value_kind:     global_buffer
      - .offset:         40
        .size:           8
        .value_kind:     by_value
      - .offset:         48
        .size:           4
        .value_kind:     by_value
      - .offset:         56
        .size:           8
        .value_kind:     by_value
      - .address_space:  global
        .offset:         64
        .size:           8
        .value_kind:     global_buffer
      - .offset:         72
        .size:           8
        .value_kind:     by_value
      - .offset:         80
        .size:           4
        .value_kind:     by_value
      - .offset:         88
        .size:           8
        .value_kind:     by_value
      - .offset:         96
        .size:           4
        .value_kind:     by_value
      - .offset:         104
        .size:           4
        .value_kind:     hidden_block_count_x
      - .offset:         108
        .size:           4
        .value_kind:     hidden_block_count_y
      - .offset:         112
        .size:           4
        .value_kind:     hidden_block_count_z
      - .offset:         116
        .size:           2
        .value_kind:     hidden_group_size_x
      - .offset:         118
        .size:           2
        .value_kind:     hidden_group_size_y
      - .offset:         120
        .size:           2
        .value_kind:     hidden_group_size_z
      - .offset:         122
        .size:           2
        .value_kind:     hidden_remainder_x
      - .offset:         124
        .size:           2
        .value_kind:     hidden_remainder_y
      - .offset:         126
        .size:           2
        .value_kind:     hidden_remainder_z
      - .offset:         144
        .size:           8
        .value_kind:     hidden_global_offset_x
      - .offset:         152
        .size:           8
        .value_kind:     hidden_global_offset_y
      - .offset:         160
        .size:           8
        .value_kind:     hidden_global_offset_z
      - .offset:         168
        .size:           2
        .value_kind:     hidden_grid_dims
    .group_segment_fixed_size: 9216
    .kernarg_segment_align: 8
    .kernarg_segment_size: 360
    .language:       OpenCL C
    .language_version:
      - 2
      - 0
    .max_flat_workgroup_size: 24
    .name:           _ZL38rocblas_trsm_small_left_device_sharedBILi24ELi24ELb0EddPKPKdPKPdEv13rocblas_fill_18rocblas_operation_17rocblas_diagonal_iiT3_T4_lilT5_lili
    .private_segment_fixed_size: 0
    .sgpr_count:     36
    .sgpr_spill_count: 0
    .symbol:         _ZL38rocblas_trsm_small_left_device_sharedBILi24ELi24ELb0EddPKPKdPKPdEv13rocblas_fill_18rocblas_operation_17rocblas_diagonal_iiT3_T4_lilT5_lili.kd
    .uniform_work_group_size: 1
    .uses_dynamic_stack: false
    .vgpr_count:     96
    .vgpr_spill_count: 0
    .wavefront_size: 64
  - .agpr_count:     0
    .args:
      - .offset:         0
        .size:           4
        .value_kind:     by_value
      - .offset:         4
        .size:           4
        .value_kind:     by_value
      - .offset:         8
        .size:           4
        .value_kind:     by_value
      - .offset:         12
        .size:           4
        .value_kind:     by_value
      - .offset:         16
        .size:           4
        .value_kind:     by_value
      - .offset:         24
        .size:           8
        .value_kind:     by_value
      - .address_space:  global
        .offset:         32
        .size:           8
        .value_kind:     global_buffer
      - .offset:         40
        .size:           8
        .value_kind:     by_value
      - .offset:         48
        .size:           4
        .value_kind:     by_value
      - .offset:         56
        .size:           8
        .value_kind:     by_value
      - .address_space:  global
        .offset:         64
        .size:           8
        .value_kind:     global_buffer
      - .offset:         72
        .size:           8
        .value_kind:     by_value
      - .offset:         80
        .size:           4
        .value_kind:     by_value
      - .offset:         88
        .size:           8
        .value_kind:     by_value
      - .offset:         96
        .size:           4
        .value_kind:     by_value
      - .offset:         104
        .size:           4
        .value_kind:     hidden_block_count_x
      - .offset:         108
        .size:           4
        .value_kind:     hidden_block_count_y
      - .offset:         112
        .size:           4
        .value_kind:     hidden_block_count_z
      - .offset:         116
        .size:           2
        .value_kind:     hidden_group_size_x
      - .offset:         118
        .size:           2
        .value_kind:     hidden_group_size_y
      - .offset:         120
        .size:           2
        .value_kind:     hidden_group_size_z
      - .offset:         122
        .size:           2
        .value_kind:     hidden_remainder_x
      - .offset:         124
        .size:           2
        .value_kind:     hidden_remainder_y
      - .offset:         126
        .size:           2
        .value_kind:     hidden_remainder_z
      - .offset:         144
        .size:           8
        .value_kind:     hidden_global_offset_x
      - .offset:         152
        .size:           8
        .value_kind:     hidden_global_offset_y
      - .offset:         160
        .size:           8
        .value_kind:     hidden_global_offset_z
      - .offset:         168
        .size:           2
        .value_kind:     hidden_grid_dims
    .group_segment_fixed_size: 4608
    .kernarg_segment_align: 8
    .kernarg_segment_size: 360
    .language:       OpenCL C
    .language_version:
      - 2
      - 0
    .max_flat_workgroup_size: 24
    .name:           _ZL30rocblas_trsm_small_left_deviceILi24ELi24ELb0EddPKPKdPKPdEv13rocblas_fill_18rocblas_operation_17rocblas_diagonal_iiT3_T4_lilT5_lili
    .private_segment_fixed_size: 0
    .sgpr_count:     33
    .sgpr_spill_count: 0
    .symbol:         _ZL30rocblas_trsm_small_left_deviceILi24ELi24ELb0EddPKPKdPKPdEv13rocblas_fill_18rocblas_operation_17rocblas_diagonal_iiT3_T4_lilT5_lili.kd
    .uniform_work_group_size: 1
    .uses_dynamic_stack: false
    .vgpr_count:     72
    .vgpr_spill_count: 0
    .wavefront_size: 64
  - .agpr_count:     0
    .args:
      - .offset:         0
        .size:           4
        .value_kind:     by_value
      - .offset:         4
        .size:           4
        .value_kind:     by_value
      - .offset:         8
        .size:           4
        .value_kind:     by_value
      - .offset:         12
        .size:           4
        .value_kind:     by_value
      - .offset:         16
        .size:           4
        .value_kind:     by_value
      - .offset:         24
        .size:           8
        .value_kind:     by_value
      - .address_space:  global
        .offset:         32
        .size:           8
        .value_kind:     global_buffer
      - .offset:         40
        .size:           8
        .value_kind:     by_value
      - .offset:         48
        .size:           4
        .value_kind:     by_value
      - .offset:         56
        .size:           8
        .value_kind:     by_value
      - .address_space:  global
        .offset:         64
        .size:           8
        .value_kind:     global_buffer
      - .offset:         72
        .size:           8
        .value_kind:     by_value
      - .offset:         80
        .size:           4
        .value_kind:     by_value
      - .offset:         88
        .size:           8
        .value_kind:     by_value
      - .offset:         96
        .size:           4
        .value_kind:     by_value
      - .offset:         104
        .size:           4
        .value_kind:     hidden_block_count_x
      - .offset:         108
        .size:           4
        .value_kind:     hidden_block_count_y
      - .offset:         112
        .size:           4
        .value_kind:     hidden_block_count_z
      - .offset:         116
        .size:           2
        .value_kind:     hidden_group_size_x
      - .offset:         118
        .size:           2
        .value_kind:     hidden_group_size_y
      - .offset:         120
        .size:           2
        .value_kind:     hidden_group_size_z
      - .offset:         122
        .size:           2
        .value_kind:     hidden_remainder_x
      - .offset:         124
        .size:           2
        .value_kind:     hidden_remainder_y
      - .offset:         126
        .size:           2
        .value_kind:     hidden_remainder_z
      - .offset:         144
        .size:           8
        .value_kind:     hidden_global_offset_x
      - .offset:         152
        .size:           8
        .value_kind:     hidden_global_offset_y
      - .offset:         160
        .size:           8
        .value_kind:     hidden_global_offset_z
      - .offset:         168
        .size:           2
        .value_kind:     hidden_grid_dims
    .group_segment_fixed_size: 9216
    .kernarg_segment_align: 8
    .kernarg_segment_size: 360
    .language:       OpenCL C
    .language_version:
      - 2
      - 0
    .max_flat_workgroup_size: 24
    .name:           _ZL38rocblas_trsm_small_left_device_sharedBILi24ELi24ELb1EddPKPKdPKPdEv13rocblas_fill_18rocblas_operation_17rocblas_diagonal_iiT3_T4_lilT5_lili
    .private_segment_fixed_size: 0
    .sgpr_count:     32
    .sgpr_spill_count: 0
    .symbol:         _ZL38rocblas_trsm_small_left_device_sharedBILi24ELi24ELb1EddPKPKdPKPdEv13rocblas_fill_18rocblas_operation_17rocblas_diagonal_iiT3_T4_lilT5_lili.kd
    .uniform_work_group_size: 1
    .uses_dynamic_stack: false
    .vgpr_count:     120
    .vgpr_spill_count: 0
    .wavefront_size: 64
  - .agpr_count:     0
    .args:
      - .offset:         0
        .size:           4
        .value_kind:     by_value
      - .offset:         4
        .size:           4
        .value_kind:     by_value
      - .offset:         8
        .size:           4
        .value_kind:     by_value
      - .offset:         12
        .size:           4
        .value_kind:     by_value
      - .offset:         16
        .size:           4
        .value_kind:     by_value
      - .offset:         24
        .size:           8
        .value_kind:     by_value
      - .address_space:  global
        .offset:         32
        .size:           8
        .value_kind:     global_buffer
      - .offset:         40
        .size:           8
        .value_kind:     by_value
      - .offset:         48
        .size:           4
        .value_kind:     by_value
      - .offset:         56
        .size:           8
        .value_kind:     by_value
      - .address_space:  global
        .offset:         64
        .size:           8
        .value_kind:     global_buffer
      - .offset:         72
        .size:           8
        .value_kind:     by_value
      - .offset:         80
        .size:           4
        .value_kind:     by_value
      - .offset:         88
        .size:           8
        .value_kind:     by_value
      - .offset:         96
        .size:           4
        .value_kind:     by_value
      - .offset:         104
        .size:           4
        .value_kind:     hidden_block_count_x
      - .offset:         108
        .size:           4
        .value_kind:     hidden_block_count_y
      - .offset:         112
        .size:           4
        .value_kind:     hidden_block_count_z
      - .offset:         116
        .size:           2
        .value_kind:     hidden_group_size_x
      - .offset:         118
        .size:           2
        .value_kind:     hidden_group_size_y
      - .offset:         120
        .size:           2
        .value_kind:     hidden_group_size_z
      - .offset:         122
        .size:           2
        .value_kind:     hidden_remainder_x
      - .offset:         124
        .size:           2
        .value_kind:     hidden_remainder_y
      - .offset:         126
        .size:           2
        .value_kind:     hidden_remainder_z
      - .offset:         144
        .size:           8
        .value_kind:     hidden_global_offset_x
      - .offset:         152
        .size:           8
        .value_kind:     hidden_global_offset_y
      - .offset:         160
        .size:           8
        .value_kind:     hidden_global_offset_z
      - .offset:         168
        .size:           2
        .value_kind:     hidden_grid_dims
    .group_segment_fixed_size: 4608
    .kernarg_segment_align: 8
    .kernarg_segment_size: 360
    .language:       OpenCL C
    .language_version:
      - 2
      - 0
    .max_flat_workgroup_size: 24
    .name:           _ZL30rocblas_trsm_small_left_deviceILi24ELi24ELb1EddPKPKdPKPdEv13rocblas_fill_18rocblas_operation_17rocblas_diagonal_iiT3_T4_lilT5_lili
    .private_segment_fixed_size: 0
    .sgpr_count:     32
    .sgpr_spill_count: 0
    .symbol:         _ZL30rocblas_trsm_small_left_deviceILi24ELi24ELb1EddPKPKdPKPdEv13rocblas_fill_18rocblas_operation_17rocblas_diagonal_iiT3_T4_lilT5_lili.kd
    .uniform_work_group_size: 1
    .uses_dynamic_stack: false
    .vgpr_count:     71
    .vgpr_spill_count: 0
    .wavefront_size: 64
  - .agpr_count:     0
    .args:
      - .offset:         0
        .size:           4
        .value_kind:     by_value
      - .offset:         4
        .size:           4
        .value_kind:     by_value
      - .offset:         8
        .size:           4
        .value_kind:     by_value
      - .offset:         12
        .size:           4
        .value_kind:     by_value
      - .offset:         16
        .size:           4
        .value_kind:     by_value
      - .offset:         24
        .size:           8
        .value_kind:     by_value
      - .address_space:  global
        .offset:         32
        .size:           8
        .value_kind:     global_buffer
      - .offset:         40
        .size:           8
        .value_kind:     by_value
      - .offset:         48
        .size:           4
        .value_kind:     by_value
      - .offset:         56
        .size:           8
        .value_kind:     by_value
      - .address_space:  global
        .offset:         64
        .size:           8
        .value_kind:     global_buffer
      - .offset:         72
        .size:           8
        .value_kind:     by_value
      - .offset:         80
        .size:           4
        .value_kind:     by_value
      - .offset:         88
        .size:           8
        .value_kind:     by_value
      - .offset:         96
        .size:           4
        .value_kind:     by_value
      - .offset:         104
        .size:           4
        .value_kind:     hidden_block_count_x
      - .offset:         108
        .size:           4
        .value_kind:     hidden_block_count_y
      - .offset:         112
        .size:           4
        .value_kind:     hidden_block_count_z
      - .offset:         116
        .size:           2
        .value_kind:     hidden_group_size_x
      - .offset:         118
        .size:           2
        .value_kind:     hidden_group_size_y
      - .offset:         120
        .size:           2
        .value_kind:     hidden_group_size_z
      - .offset:         122
        .size:           2
        .value_kind:     hidden_remainder_x
      - .offset:         124
        .size:           2
        .value_kind:     hidden_remainder_y
      - .offset:         126
        .size:           2
        .value_kind:     hidden_remainder_z
      - .offset:         144
        .size:           8
        .value_kind:     hidden_global_offset_x
      - .offset:         152
        .size:           8
        .value_kind:     hidden_global_offset_y
      - .offset:         160
        .size:           8
        .value_kind:     hidden_global_offset_z
      - .offset:         168
        .size:           2
        .value_kind:     hidden_grid_dims
    .group_segment_fixed_size: 9216
    .kernarg_segment_align: 8
    .kernarg_segment_size: 360
    .language:       OpenCL C
    .language_version:
      - 2
      - 0
    .max_flat_workgroup_size: 24
    .name:           _ZL31rocblas_trsm_small_right_deviceIddPKPKdPKPdLi24EEv13rocblas_fill_18rocblas_operation_17rocblas_diagonal_iiT0_T1_lilT2_lili
    .private_segment_fixed_size: 0
    .sgpr_count:     32
    .sgpr_spill_count: 0
    .symbol:         _ZL31rocblas_trsm_small_right_deviceIddPKPKdPKPdLi24EEv13rocblas_fill_18rocblas_operation_17rocblas_diagonal_iiT0_T1_lilT2_lili.kd
    .uniform_work_group_size: 1
    .uses_dynamic_stack: false
    .vgpr_count:     38
    .vgpr_spill_count: 0
    .wavefront_size: 64
  - .agpr_count:     0
    .args:
      - .offset:         0
        .size:           4
        .value_kind:     by_value
      - .offset:         4
        .size:           4
        .value_kind:     by_value
      - .offset:         8
        .size:           4
        .value_kind:     by_value
      - .offset:         12
        .size:           4
        .value_kind:     by_value
      - .offset:         16
        .size:           4
        .value_kind:     by_value
      - .offset:         24
        .size:           8
        .value_kind:     by_value
      - .address_space:  global
        .offset:         32
        .size:           8
        .value_kind:     global_buffer
      - .offset:         40
        .size:           8
        .value_kind:     by_value
      - .offset:         48
        .size:           4
        .value_kind:     by_value
      - .offset:         56
        .size:           8
        .value_kind:     by_value
      - .address_space:  global
        .offset:         64
        .size:           8
        .value_kind:     global_buffer
      - .offset:         72
        .size:           8
        .value_kind:     by_value
      - .offset:         80
        .size:           4
        .value_kind:     by_value
      - .offset:         88
        .size:           8
        .value_kind:     by_value
      - .offset:         96
        .size:           4
        .value_kind:     by_value
      - .offset:         104
        .size:           4
        .value_kind:     hidden_block_count_x
      - .offset:         108
        .size:           4
        .value_kind:     hidden_block_count_y
      - .offset:         112
        .size:           4
        .value_kind:     hidden_block_count_z
      - .offset:         116
        .size:           2
        .value_kind:     hidden_group_size_x
      - .offset:         118
        .size:           2
        .value_kind:     hidden_group_size_y
      - .offset:         120
        .size:           2
        .value_kind:     hidden_group_size_z
      - .offset:         122
        .size:           2
        .value_kind:     hidden_remainder_x
      - .offset:         124
        .size:           2
        .value_kind:     hidden_remainder_y
      - .offset:         126
        .size:           2
        .value_kind:     hidden_remainder_z
      - .offset:         144
        .size:           8
        .value_kind:     hidden_global_offset_x
      - .offset:         152
        .size:           8
        .value_kind:     hidden_global_offset_y
      - .offset:         160
        .size:           8
        .value_kind:     hidden_global_offset_z
      - .offset:         168
        .size:           2
        .value_kind:     hidden_grid_dims
    .group_segment_fixed_size: 12544
    .kernarg_segment_align: 8
    .kernarg_segment_size: 360
    .language:       OpenCL C
    .language_version:
      - 2
      - 0
    .max_flat_workgroup_size: 28
    .name:           _ZL38rocblas_trsm_small_left_device_sharedBILi28ELi28ELb0EddPKPKdPKPdEv13rocblas_fill_18rocblas_operation_17rocblas_diagonal_iiT3_T4_lilT5_lili
    .private_segment_fixed_size: 0
    .sgpr_count:     41
    .sgpr_spill_count: 0
    .symbol:         _ZL38rocblas_trsm_small_left_device_sharedBILi28ELi28ELb0EddPKPKdPKPdEv13rocblas_fill_18rocblas_operation_17rocblas_diagonal_iiT3_T4_lilT5_lili.kd
    .uniform_work_group_size: 1
    .uses_dynamic_stack: false
    .vgpr_count:     132
    .vgpr_spill_count: 0
    .wavefront_size: 64
  - .agpr_count:     0
    .args:
      - .offset:         0
        .size:           4
        .value_kind:     by_value
      - .offset:         4
        .size:           4
        .value_kind:     by_value
      - .offset:         8
        .size:           4
        .value_kind:     by_value
      - .offset:         12
        .size:           4
        .value_kind:     by_value
      - .offset:         16
        .size:           4
        .value_kind:     by_value
      - .offset:         24
        .size:           8
        .value_kind:     by_value
      - .address_space:  global
        .offset:         32
        .size:           8
        .value_kind:     global_buffer
      - .offset:         40
        .size:           8
        .value_kind:     by_value
      - .offset:         48
        .size:           4
        .value_kind:     by_value
      - .offset:         56
        .size:           8
        .value_kind:     by_value
      - .address_space:  global
        .offset:         64
        .size:           8
        .value_kind:     global_buffer
      - .offset:         72
        .size:           8
        .value_kind:     by_value
      - .offset:         80
        .size:           4
        .value_kind:     by_value
      - .offset:         88
        .size:           8
        .value_kind:     by_value
      - .offset:         96
        .size:           4
        .value_kind:     by_value
      - .offset:         104
        .size:           4
        .value_kind:     hidden_block_count_x
      - .offset:         108
        .size:           4
        .value_kind:     hidden_block_count_y
      - .offset:         112
        .size:           4
        .value_kind:     hidden_block_count_z
      - .offset:         116
        .size:           2
        .value_kind:     hidden_group_size_x
      - .offset:         118
        .size:           2
        .value_kind:     hidden_group_size_y
      - .offset:         120
        .size:           2
        .value_kind:     hidden_group_size_z
      - .offset:         122
        .size:           2
        .value_kind:     hidden_remainder_x
      - .offset:         124
        .size:           2
        .value_kind:     hidden_remainder_y
      - .offset:         126
        .size:           2
        .value_kind:     hidden_remainder_z
      - .offset:         144
        .size:           8
        .value_kind:     hidden_global_offset_x
      - .offset:         152
        .size:           8
        .value_kind:     hidden_global_offset_y
      - .offset:         160
        .size:           8
        .value_kind:     hidden_global_offset_z
      - .offset:         168
        .size:           2
        .value_kind:     hidden_grid_dims
    .group_segment_fixed_size: 6272
    .kernarg_segment_align: 8
    .kernarg_segment_size: 360
    .language:       OpenCL C
    .language_version:
      - 2
      - 0
    .max_flat_workgroup_size: 28
    .name:           _ZL30rocblas_trsm_small_left_deviceILi28ELi28ELb0EddPKPKdPKPdEv13rocblas_fill_18rocblas_operation_17rocblas_diagonal_iiT3_T4_lilT5_lili
    .private_segment_fixed_size: 0
    .sgpr_count:     37
    .sgpr_spill_count: 0
    .symbol:         _ZL30rocblas_trsm_small_left_deviceILi28ELi28ELb0EddPKPKdPKPdEv13rocblas_fill_18rocblas_operation_17rocblas_diagonal_iiT3_T4_lilT5_lili.kd
    .uniform_work_group_size: 1
    .uses_dynamic_stack: false
    .vgpr_count:     86
    .vgpr_spill_count: 0
    .wavefront_size: 64
  - .agpr_count:     0
    .args:
      - .offset:         0
        .size:           4
        .value_kind:     by_value
      - .offset:         4
        .size:           4
        .value_kind:     by_value
      - .offset:         8
        .size:           4
        .value_kind:     by_value
      - .offset:         12
        .size:           4
        .value_kind:     by_value
      - .offset:         16
        .size:           4
        .value_kind:     by_value
      - .offset:         24
        .size:           8
        .value_kind:     by_value
      - .address_space:  global
        .offset:         32
        .size:           8
        .value_kind:     global_buffer
      - .offset:         40
        .size:           8
        .value_kind:     by_value
      - .offset:         48
        .size:           4
        .value_kind:     by_value
      - .offset:         56
        .size:           8
        .value_kind:     by_value
      - .address_space:  global
        .offset:         64
        .size:           8
        .value_kind:     global_buffer
      - .offset:         72
        .size:           8
        .value_kind:     by_value
      - .offset:         80
        .size:           4
        .value_kind:     by_value
      - .offset:         88
        .size:           8
        .value_kind:     by_value
      - .offset:         96
        .size:           4
        .value_kind:     by_value
      - .offset:         104
        .size:           4
        .value_kind:     hidden_block_count_x
      - .offset:         108
        .size:           4
        .value_kind:     hidden_block_count_y
      - .offset:         112
        .size:           4
        .value_kind:     hidden_block_count_z
      - .offset:         116
        .size:           2
        .value_kind:     hidden_group_size_x
      - .offset:         118
        .size:           2
        .value_kind:     hidden_group_size_y
      - .offset:         120
        .size:           2
        .value_kind:     hidden_group_size_z
      - .offset:         122
        .size:           2
        .value_kind:     hidden_remainder_x
      - .offset:         124
        .size:           2
        .value_kind:     hidden_remainder_y
      - .offset:         126
        .size:           2
        .value_kind:     hidden_remainder_z
      - .offset:         144
        .size:           8
        .value_kind:     hidden_global_offset_x
      - .offset:         152
        .size:           8
        .value_kind:     hidden_global_offset_y
      - .offset:         160
        .size:           8
        .value_kind:     hidden_global_offset_z
      - .offset:         168
        .size:           2
        .value_kind:     hidden_grid_dims
    .group_segment_fixed_size: 12544
    .kernarg_segment_align: 8
    .kernarg_segment_size: 360
    .language:       OpenCL C
    .language_version:
      - 2
      - 0
    .max_flat_workgroup_size: 28
    .name:           _ZL38rocblas_trsm_small_left_device_sharedBILi28ELi28ELb1EddPKPKdPKPdEv13rocblas_fill_18rocblas_operation_17rocblas_diagonal_iiT3_T4_lilT5_lili
    .private_segment_fixed_size: 0
    .sgpr_count:     32
    .sgpr_spill_count: 0
    .symbol:         _ZL38rocblas_trsm_small_left_device_sharedBILi28ELi28ELb1EddPKPKdPKPdEv13rocblas_fill_18rocblas_operation_17rocblas_diagonal_iiT3_T4_lilT5_lili.kd
    .uniform_work_group_size: 1
    .uses_dynamic_stack: false
    .vgpr_count:     130
    .vgpr_spill_count: 0
    .wavefront_size: 64
  - .agpr_count:     0
    .args:
      - .offset:         0
        .size:           4
        .value_kind:     by_value
      - .offset:         4
        .size:           4
        .value_kind:     by_value
      - .offset:         8
        .size:           4
        .value_kind:     by_value
      - .offset:         12
        .size:           4
        .value_kind:     by_value
      - .offset:         16
        .size:           4
        .value_kind:     by_value
      - .offset:         24
        .size:           8
        .value_kind:     by_value
      - .address_space:  global
        .offset:         32
        .size:           8
        .value_kind:     global_buffer
      - .offset:         40
        .size:           8
        .value_kind:     by_value
      - .offset:         48
        .size:           4
        .value_kind:     by_value
      - .offset:         56
        .size:           8
        .value_kind:     by_value
      - .address_space:  global
        .offset:         64
        .size:           8
        .value_kind:     global_buffer
      - .offset:         72
        .size:           8
        .value_kind:     by_value
      - .offset:         80
        .size:           4
        .value_kind:     by_value
      - .offset:         88
        .size:           8
        .value_kind:     by_value
      - .offset:         96
        .size:           4
        .value_kind:     by_value
      - .offset:         104
        .size:           4
        .value_kind:     hidden_block_count_x
      - .offset:         108
        .size:           4
        .value_kind:     hidden_block_count_y
      - .offset:         112
        .size:           4
        .value_kind:     hidden_block_count_z
      - .offset:         116
        .size:           2
        .value_kind:     hidden_group_size_x
      - .offset:         118
        .size:           2
        .value_kind:     hidden_group_size_y
      - .offset:         120
        .size:           2
        .value_kind:     hidden_group_size_z
      - .offset:         122
        .size:           2
        .value_kind:     hidden_remainder_x
      - .offset:         124
        .size:           2
        .value_kind:     hidden_remainder_y
      - .offset:         126
        .size:           2
        .value_kind:     hidden_remainder_z
      - .offset:         144
        .size:           8
        .value_kind:     hidden_global_offset_x
      - .offset:         152
        .size:           8
        .value_kind:     hidden_global_offset_y
      - .offset:         160
        .size:           8
        .value_kind:     hidden_global_offset_z
      - .offset:         168
        .size:           2
        .value_kind:     hidden_grid_dims
    .group_segment_fixed_size: 6272
    .kernarg_segment_align: 8
    .kernarg_segment_size: 360
    .language:       OpenCL C
    .language_version:
      - 2
      - 0
    .max_flat_workgroup_size: 28
    .name:           _ZL30rocblas_trsm_small_left_deviceILi28ELi28ELb1EddPKPKdPKPdEv13rocblas_fill_18rocblas_operation_17rocblas_diagonal_iiT3_T4_lilT5_lili
    .private_segment_fixed_size: 0
    .sgpr_count:     32
    .sgpr_spill_count: 0
    .symbol:         _ZL30rocblas_trsm_small_left_deviceILi28ELi28ELb1EddPKPKdPKPdEv13rocblas_fill_18rocblas_operation_17rocblas_diagonal_iiT3_T4_lilT5_lili.kd
    .uniform_work_group_size: 1
    .uses_dynamic_stack: false
    .vgpr_count:     82
    .vgpr_spill_count: 0
    .wavefront_size: 64
  - .agpr_count:     0
    .args:
      - .offset:         0
        .size:           4
        .value_kind:     by_value
      - .offset:         4
        .size:           4
        .value_kind:     by_value
      - .offset:         8
        .size:           4
        .value_kind:     by_value
      - .offset:         12
        .size:           4
        .value_kind:     by_value
      - .offset:         16
        .size:           4
        .value_kind:     by_value
      - .offset:         24
        .size:           8
        .value_kind:     by_value
      - .address_space:  global
        .offset:         32
        .size:           8
        .value_kind:     global_buffer
      - .offset:         40
        .size:           8
        .value_kind:     by_value
      - .offset:         48
        .size:           4
        .value_kind:     by_value
      - .offset:         56
        .size:           8
        .value_kind:     by_value
      - .address_space:  global
        .offset:         64
        .size:           8
        .value_kind:     global_buffer
      - .offset:         72
        .size:           8
        .value_kind:     by_value
      - .offset:         80
        .size:           4
        .value_kind:     by_value
      - .offset:         88
        .size:           8
        .value_kind:     by_value
      - .offset:         96
        .size:           4
        .value_kind:     by_value
      - .offset:         104
        .size:           4
        .value_kind:     hidden_block_count_x
      - .offset:         108
        .size:           4
        .value_kind:     hidden_block_count_y
      - .offset:         112
        .size:           4
        .value_kind:     hidden_block_count_z
      - .offset:         116
        .size:           2
        .value_kind:     hidden_group_size_x
      - .offset:         118
        .size:           2
        .value_kind:     hidden_group_size_y
      - .offset:         120
        .size:           2
        .value_kind:     hidden_group_size_z
      - .offset:         122
        .size:           2
        .value_kind:     hidden_remainder_x
      - .offset:         124
        .size:           2
        .value_kind:     hidden_remainder_y
      - .offset:         126
        .size:           2
        .value_kind:     hidden_remainder_z
      - .offset:         144
        .size:           8
        .value_kind:     hidden_global_offset_x
      - .offset:         152
        .size:           8
        .value_kind:     hidden_global_offset_y
      - .offset:         160
        .size:           8
        .value_kind:     hidden_global_offset_z
      - .offset:         168
        .size:           2
        .value_kind:     hidden_grid_dims
    .group_segment_fixed_size: 12544
    .kernarg_segment_align: 8
    .kernarg_segment_size: 360
    .language:       OpenCL C
    .language_version:
      - 2
      - 0
    .max_flat_workgroup_size: 28
    .name:           _ZL31rocblas_trsm_small_right_deviceIddPKPKdPKPdLi28EEv13rocblas_fill_18rocblas_operation_17rocblas_diagonal_iiT0_T1_lilT2_lili
    .private_segment_fixed_size: 0
    .sgpr_count:     32
    .sgpr_spill_count: 0
    .symbol:         _ZL31rocblas_trsm_small_right_deviceIddPKPKdPKPdLi28EEv13rocblas_fill_18rocblas_operation_17rocblas_diagonal_iiT0_T1_lilT2_lili.kd
    .uniform_work_group_size: 1
    .uses_dynamic_stack: false
    .vgpr_count:     38
    .vgpr_spill_count: 0
    .wavefront_size: 64
  - .agpr_count:     0
    .args:
      - .offset:         0
        .size:           4
        .value_kind:     by_value
      - .offset:         4
        .size:           4
        .value_kind:     by_value
      - .offset:         8
        .size:           4
        .value_kind:     by_value
      - .offset:         12
        .size:           4
        .value_kind:     by_value
      - .offset:         16
        .size:           4
        .value_kind:     by_value
      - .offset:         24
        .size:           8
        .value_kind:     by_value
      - .address_space:  global
        .offset:         32
        .size:           8
        .value_kind:     global_buffer
      - .offset:         40
        .size:           8
        .value_kind:     by_value
      - .offset:         48
        .size:           4
        .value_kind:     by_value
      - .offset:         56
        .size:           8
        .value_kind:     by_value
      - .address_space:  global
        .offset:         64
        .size:           8
        .value_kind:     global_buffer
      - .offset:         72
        .size:           8
        .value_kind:     by_value
      - .offset:         80
        .size:           4
        .value_kind:     by_value
      - .offset:         88
        .size:           8
        .value_kind:     by_value
      - .offset:         96
        .size:           4
        .value_kind:     by_value
      - .offset:         104
        .size:           4
        .value_kind:     hidden_block_count_x
      - .offset:         108
        .size:           4
        .value_kind:     hidden_block_count_y
      - .offset:         112
        .size:           4
        .value_kind:     hidden_block_count_z
      - .offset:         116
        .size:           2
        .value_kind:     hidden_group_size_x
      - .offset:         118
        .size:           2
        .value_kind:     hidden_group_size_y
      - .offset:         120
        .size:           2
        .value_kind:     hidden_group_size_z
      - .offset:         122
        .size:           2
        .value_kind:     hidden_remainder_x
      - .offset:         124
        .size:           2
        .value_kind:     hidden_remainder_y
      - .offset:         126
        .size:           2
        .value_kind:     hidden_remainder_z
      - .offset:         144
        .size:           8
        .value_kind:     hidden_global_offset_x
      - .offset:         152
        .size:           8
        .value_kind:     hidden_global_offset_y
      - .offset:         160
        .size:           8
        .value_kind:     hidden_global_offset_z
      - .offset:         168
        .size:           2
        .value_kind:     hidden_grid_dims
    .group_segment_fixed_size: 16384
    .kernarg_segment_align: 8
    .kernarg_segment_size: 360
    .language:       OpenCL C
    .language_version:
      - 2
      - 0
    .max_flat_workgroup_size: 32
    .name:           _ZL38rocblas_trsm_small_left_device_sharedBILi32ELi32ELb0EddPKPKdPKPdEv13rocblas_fill_18rocblas_operation_17rocblas_diagonal_iiT3_T4_lilT5_lili
    .private_segment_fixed_size: 0
    .sgpr_count:     47
    .sgpr_spill_count: 0
    .symbol:         _ZL38rocblas_trsm_small_left_device_sharedBILi32ELi32ELb0EddPKPKdPKPdEv13rocblas_fill_18rocblas_operation_17rocblas_diagonal_iiT3_T4_lilT5_lili.kd
    .uniform_work_group_size: 1
    .uses_dynamic_stack: false
    .vgpr_count:     174
    .vgpr_spill_count: 0
    .wavefront_size: 64
  - .agpr_count:     0
    .args:
      - .offset:         0
        .size:           4
        .value_kind:     by_value
      - .offset:         4
        .size:           4
        .value_kind:     by_value
      - .offset:         8
        .size:           4
        .value_kind:     by_value
      - .offset:         12
        .size:           4
        .value_kind:     by_value
      - .offset:         16
        .size:           4
        .value_kind:     by_value
      - .offset:         24
        .size:           8
        .value_kind:     by_value
      - .address_space:  global
        .offset:         32
        .size:           8
        .value_kind:     global_buffer
      - .offset:         40
        .size:           8
        .value_kind:     by_value
      - .offset:         48
        .size:           4
        .value_kind:     by_value
      - .offset:         56
        .size:           8
        .value_kind:     by_value
      - .address_space:  global
        .offset:         64
        .size:           8
        .value_kind:     global_buffer
      - .offset:         72
        .size:           8
        .value_kind:     by_value
      - .offset:         80
        .size:           4
        .value_kind:     by_value
      - .offset:         88
        .size:           8
        .value_kind:     by_value
      - .offset:         96
        .size:           4
        .value_kind:     by_value
      - .offset:         104
        .size:           4
        .value_kind:     hidden_block_count_x
      - .offset:         108
        .size:           4
        .value_kind:     hidden_block_count_y
      - .offset:         112
        .size:           4
        .value_kind:     hidden_block_count_z
      - .offset:         116
        .size:           2
        .value_kind:     hidden_group_size_x
      - .offset:         118
        .size:           2
        .value_kind:     hidden_group_size_y
      - .offset:         120
        .size:           2
        .value_kind:     hidden_group_size_z
      - .offset:         122
        .size:           2
        .value_kind:     hidden_remainder_x
      - .offset:         124
        .size:           2
        .value_kind:     hidden_remainder_y
      - .offset:         126
        .size:           2
        .value_kind:     hidden_remainder_z
      - .offset:         144
        .size:           8
        .value_kind:     hidden_global_offset_x
      - .offset:         152
        .size:           8
        .value_kind:     hidden_global_offset_y
      - .offset:         160
        .size:           8
        .value_kind:     hidden_global_offset_z
      - .offset:         168
        .size:           2
        .value_kind:     hidden_grid_dims
    .group_segment_fixed_size: 8192
    .kernarg_segment_align: 8
    .kernarg_segment_size: 360
    .language:       OpenCL C
    .language_version:
      - 2
      - 0
    .max_flat_workgroup_size: 32
    .name:           _ZL30rocblas_trsm_small_left_deviceILi32ELi32ELb0EddPKPKdPKPdEv13rocblas_fill_18rocblas_operation_17rocblas_diagonal_iiT3_T4_lilT5_lili
    .private_segment_fixed_size: 0
    .sgpr_count:     43
    .sgpr_spill_count: 0
    .symbol:         _ZL30rocblas_trsm_small_left_deviceILi32ELi32ELb0EddPKPKdPKPdEv13rocblas_fill_18rocblas_operation_17rocblas_diagonal_iiT3_T4_lilT5_lili.kd
    .uniform_work_group_size: 1
    .uses_dynamic_stack: false
    .vgpr_count:     100
    .vgpr_spill_count: 0
    .wavefront_size: 64
  - .agpr_count:     0
    .args:
      - .offset:         0
        .size:           4
        .value_kind:     by_value
      - .offset:         4
        .size:           4
        .value_kind:     by_value
      - .offset:         8
        .size:           4
        .value_kind:     by_value
      - .offset:         12
        .size:           4
        .value_kind:     by_value
      - .offset:         16
        .size:           4
        .value_kind:     by_value
      - .offset:         24
        .size:           8
        .value_kind:     by_value
      - .address_space:  global
        .offset:         32
        .size:           8
        .value_kind:     global_buffer
      - .offset:         40
        .size:           8
        .value_kind:     by_value
      - .offset:         48
        .size:           4
        .value_kind:     by_value
      - .offset:         56
        .size:           8
        .value_kind:     by_value
      - .address_space:  global
        .offset:         64
        .size:           8
        .value_kind:     global_buffer
      - .offset:         72
        .size:           8
        .value_kind:     by_value
      - .offset:         80
        .size:           4
        .value_kind:     by_value
      - .offset:         88
        .size:           8
        .value_kind:     by_value
      - .offset:         96
        .size:           4
        .value_kind:     by_value
      - .offset:         104
        .size:           4
        .value_kind:     hidden_block_count_x
      - .offset:         108
        .size:           4
        .value_kind:     hidden_block_count_y
      - .offset:         112
        .size:           4
        .value_kind:     hidden_block_count_z
      - .offset:         116
        .size:           2
        .value_kind:     hidden_group_size_x
      - .offset:         118
        .size:           2
        .value_kind:     hidden_group_size_y
      - .offset:         120
        .size:           2
        .value_kind:     hidden_group_size_z
      - .offset:         122
        .size:           2
        .value_kind:     hidden_remainder_x
      - .offset:         124
        .size:           2
        .value_kind:     hidden_remainder_y
      - .offset:         126
        .size:           2
        .value_kind:     hidden_remainder_z
      - .offset:         144
        .size:           8
        .value_kind:     hidden_global_offset_x
      - .offset:         152
        .size:           8
        .value_kind:     hidden_global_offset_y
      - .offset:         160
        .size:           8
        .value_kind:     hidden_global_offset_z
      - .offset:         168
        .size:           2
        .value_kind:     hidden_grid_dims
    .group_segment_fixed_size: 16384
    .kernarg_segment_align: 8
    .kernarg_segment_size: 360
    .language:       OpenCL C
    .language_version:
      - 2
      - 0
    .max_flat_workgroup_size: 32
    .name:           _ZL38rocblas_trsm_small_left_device_sharedBILi32ELi32ELb1EddPKPKdPKPdEv13rocblas_fill_18rocblas_operation_17rocblas_diagonal_iiT3_T4_lilT5_lili
    .private_segment_fixed_size: 0
    .sgpr_count:     32
    .sgpr_spill_count: 0
    .symbol:         _ZL38rocblas_trsm_small_left_device_sharedBILi32ELi32ELb1EddPKPKdPKPdEv13rocblas_fill_18rocblas_operation_17rocblas_diagonal_iiT3_T4_lilT5_lili.kd
    .uniform_work_group_size: 1
    .uses_dynamic_stack: false
    .vgpr_count:     153
    .vgpr_spill_count: 0
    .wavefront_size: 64
  - .agpr_count:     0
    .args:
      - .offset:         0
        .size:           4
        .value_kind:     by_value
      - .offset:         4
        .size:           4
        .value_kind:     by_value
      - .offset:         8
        .size:           4
        .value_kind:     by_value
      - .offset:         12
        .size:           4
        .value_kind:     by_value
      - .offset:         16
        .size:           4
        .value_kind:     by_value
      - .offset:         24
        .size:           8
        .value_kind:     by_value
      - .address_space:  global
        .offset:         32
        .size:           8
        .value_kind:     global_buffer
      - .offset:         40
        .size:           8
        .value_kind:     by_value
      - .offset:         48
        .size:           4
        .value_kind:     by_value
      - .offset:         56
        .size:           8
        .value_kind:     by_value
      - .address_space:  global
        .offset:         64
        .size:           8
        .value_kind:     global_buffer
      - .offset:         72
        .size:           8
        .value_kind:     by_value
      - .offset:         80
        .size:           4
        .value_kind:     by_value
      - .offset:         88
        .size:           8
        .value_kind:     by_value
      - .offset:         96
        .size:           4
        .value_kind:     by_value
      - .offset:         104
        .size:           4
        .value_kind:     hidden_block_count_x
      - .offset:         108
        .size:           4
        .value_kind:     hidden_block_count_y
      - .offset:         112
        .size:           4
        .value_kind:     hidden_block_count_z
      - .offset:         116
        .size:           2
        .value_kind:     hidden_group_size_x
      - .offset:         118
        .size:           2
        .value_kind:     hidden_group_size_y
      - .offset:         120
        .size:           2
        .value_kind:     hidden_group_size_z
      - .offset:         122
        .size:           2
        .value_kind:     hidden_remainder_x
      - .offset:         124
        .size:           2
        .value_kind:     hidden_remainder_y
      - .offset:         126
        .size:           2
        .value_kind:     hidden_remainder_z
      - .offset:         144
        .size:           8
        .value_kind:     hidden_global_offset_x
      - .offset:         152
        .size:           8
        .value_kind:     hidden_global_offset_y
      - .offset:         160
        .size:           8
        .value_kind:     hidden_global_offset_z
      - .offset:         168
        .size:           2
        .value_kind:     hidden_grid_dims
    .group_segment_fixed_size: 8192
    .kernarg_segment_align: 8
    .kernarg_segment_size: 360
    .language:       OpenCL C
    .language_version:
      - 2
      - 0
    .max_flat_workgroup_size: 32
    .name:           _ZL30rocblas_trsm_small_left_deviceILi32ELi32ELb1EddPKPKdPKPdEv13rocblas_fill_18rocblas_operation_17rocblas_diagonal_iiT3_T4_lilT5_lili
    .private_segment_fixed_size: 0
    .sgpr_count:     32
    .sgpr_spill_count: 0
    .symbol:         _ZL30rocblas_trsm_small_left_deviceILi32ELi32ELb1EddPKPKdPKPdEv13rocblas_fill_18rocblas_operation_17rocblas_diagonal_iiT3_T4_lilT5_lili.kd
    .uniform_work_group_size: 1
    .uses_dynamic_stack: false
    .vgpr_count:     89
    .vgpr_spill_count: 0
    .wavefront_size: 64
  - .agpr_count:     0
    .args:
      - .offset:         0
        .size:           4
        .value_kind:     by_value
      - .offset:         4
        .size:           4
        .value_kind:     by_value
      - .offset:         8
        .size:           4
        .value_kind:     by_value
      - .offset:         12
        .size:           4
        .value_kind:     by_value
      - .offset:         16
        .size:           4
        .value_kind:     by_value
      - .offset:         24
        .size:           8
        .value_kind:     by_value
      - .address_space:  global
        .offset:         32
        .size:           8
        .value_kind:     global_buffer
      - .offset:         40
        .size:           8
        .value_kind:     by_value
      - .offset:         48
        .size:           4
        .value_kind:     by_value
      - .offset:         56
        .size:           8
        .value_kind:     by_value
      - .address_space:  global
        .offset:         64
        .size:           8
        .value_kind:     global_buffer
      - .offset:         72
        .size:           8
        .value_kind:     by_value
      - .offset:         80
        .size:           4
        .value_kind:     by_value
      - .offset:         88
        .size:           8
        .value_kind:     by_value
      - .offset:         96
        .size:           4
        .value_kind:     by_value
      - .offset:         104
        .size:           4
        .value_kind:     hidden_block_count_x
      - .offset:         108
        .size:           4
        .value_kind:     hidden_block_count_y
      - .offset:         112
        .size:           4
        .value_kind:     hidden_block_count_z
      - .offset:         116
        .size:           2
        .value_kind:     hidden_group_size_x
      - .offset:         118
        .size:           2
        .value_kind:     hidden_group_size_y
      - .offset:         120
        .size:           2
        .value_kind:     hidden_group_size_z
      - .offset:         122
        .size:           2
        .value_kind:     hidden_remainder_x
      - .offset:         124
        .size:           2
        .value_kind:     hidden_remainder_y
      - .offset:         126
        .size:           2
        .value_kind:     hidden_remainder_z
      - .offset:         144
        .size:           8
        .value_kind:     hidden_global_offset_x
      - .offset:         152
        .size:           8
        .value_kind:     hidden_global_offset_y
      - .offset:         160
        .size:           8
        .value_kind:     hidden_global_offset_z
      - .offset:         168
        .size:           2
        .value_kind:     hidden_grid_dims
    .group_segment_fixed_size: 16384
    .kernarg_segment_align: 8
    .kernarg_segment_size: 360
    .language:       OpenCL C
    .language_version:
      - 2
      - 0
    .max_flat_workgroup_size: 32
    .name:           _ZL31rocblas_trsm_small_right_deviceIddPKPKdPKPdLi32EEv13rocblas_fill_18rocblas_operation_17rocblas_diagonal_iiT0_T1_lilT2_lili
    .private_segment_fixed_size: 0
    .sgpr_count:     32
    .sgpr_spill_count: 0
    .symbol:         _ZL31rocblas_trsm_small_right_deviceIddPKPKdPKPdLi32EEv13rocblas_fill_18rocblas_operation_17rocblas_diagonal_iiT0_T1_lilT2_lili.kd
    .uniform_work_group_size: 1
    .uses_dynamic_stack: false
    .vgpr_count:     40
    .vgpr_spill_count: 0
    .wavefront_size: 64
  - .agpr_count:     0
    .args:
      - .offset:         0
        .size:           4
        .value_kind:     by_value
      - .offset:         4
        .size:           4
        .value_kind:     by_value
      - .offset:         8
        .size:           4
        .value_kind:     by_value
      - .offset:         12
        .size:           4
        .value_kind:     by_value
      - .offset:         16
        .size:           4
        .value_kind:     by_value
      - .offset:         24
        .size:           8
        .value_kind:     by_value
      - .address_space:  global
        .offset:         32
        .size:           8
        .value_kind:     global_buffer
      - .offset:         40
        .size:           8
        .value_kind:     by_value
      - .offset:         48
        .size:           4
        .value_kind:     by_value
      - .offset:         56
        .size:           8
        .value_kind:     by_value
      - .address_space:  global
        .offset:         64
        .size:           8
        .value_kind:     global_buffer
      - .offset:         72
        .size:           8
        .value_kind:     by_value
      - .offset:         80
        .size:           4
        .value_kind:     by_value
      - .offset:         88
        .size:           8
        .value_kind:     by_value
      - .offset:         96
        .size:           4
        .value_kind:     by_value
      - .offset:         104
        .size:           4
        .value_kind:     hidden_block_count_x
      - .offset:         108
        .size:           4
        .value_kind:     hidden_block_count_y
      - .offset:         112
        .size:           4
        .value_kind:     hidden_block_count_z
      - .offset:         116
        .size:           2
        .value_kind:     hidden_group_size_x
      - .offset:         118
        .size:           2
        .value_kind:     hidden_group_size_y
      - .offset:         120
        .size:           2
        .value_kind:     hidden_group_size_z
      - .offset:         122
        .size:           2
        .value_kind:     hidden_remainder_x
      - .offset:         124
        .size:           2
        .value_kind:     hidden_remainder_y
      - .offset:         126
        .size:           2
        .value_kind:     hidden_remainder_z
      - .offset:         144
        .size:           8
        .value_kind:     hidden_global_offset_x
      - .offset:         152
        .size:           8
        .value_kind:     hidden_global_offset_y
      - .offset:         160
        .size:           8
        .value_kind:     hidden_global_offset_z
      - .offset:         168
        .size:           2
        .value_kind:     hidden_grid_dims
    .group_segment_fixed_size: 65536
    .kernarg_segment_align: 8
    .kernarg_segment_size: 360
    .language:       OpenCL C
    .language_version:
      - 2
      - 0
    .max_flat_workgroup_size: 64
    .name:           _ZL38rocblas_trsm_small_left_device_sharedBILi64ELi32ELb0EddPKPKdPKPdEv13rocblas_fill_18rocblas_operation_17rocblas_diagonal_iiT3_T4_lilT5_lili
    .private_segment_fixed_size: 0
    .sgpr_count:     52
    .sgpr_spill_count: 0
    .symbol:         _ZL38rocblas_trsm_small_left_device_sharedBILi64ELi32ELb0EddPKPKdPKPdEv13rocblas_fill_18rocblas_operation_17rocblas_diagonal_iiT3_T4_lilT5_lili.kd
    .uniform_work_group_size: 1
    .uses_dynamic_stack: false
    .vgpr_count:     202
    .vgpr_spill_count: 0
    .wavefront_size: 64
  - .agpr_count:     0
    .args:
      - .offset:         0
        .size:           4
        .value_kind:     by_value
      - .offset:         4
        .size:           4
        .value_kind:     by_value
      - .offset:         8
        .size:           4
        .value_kind:     by_value
      - .offset:         12
        .size:           4
        .value_kind:     by_value
      - .offset:         16
        .size:           4
        .value_kind:     by_value
      - .offset:         24
        .size:           8
        .value_kind:     by_value
      - .address_space:  global
        .offset:         32
        .size:           8
        .value_kind:     global_buffer
      - .offset:         40
        .size:           8
        .value_kind:     by_value
      - .offset:         48
        .size:           4
        .value_kind:     by_value
      - .offset:         56
        .size:           8
        .value_kind:     by_value
      - .address_space:  global
        .offset:         64
        .size:           8
        .value_kind:     global_buffer
      - .offset:         72
        .size:           8
        .value_kind:     by_value
      - .offset:         80
        .size:           4
        .value_kind:     by_value
      - .offset:         88
        .size:           8
        .value_kind:     by_value
      - .offset:         96
        .size:           4
        .value_kind:     by_value
      - .offset:         104
        .size:           4
        .value_kind:     hidden_block_count_x
      - .offset:         108
        .size:           4
        .value_kind:     hidden_block_count_y
      - .offset:         112
        .size:           4
        .value_kind:     hidden_block_count_z
      - .offset:         116
        .size:           2
        .value_kind:     hidden_group_size_x
      - .offset:         118
        .size:           2
        .value_kind:     hidden_group_size_y
      - .offset:         120
        .size:           2
        .value_kind:     hidden_group_size_z
      - .offset:         122
        .size:           2
        .value_kind:     hidden_remainder_x
      - .offset:         124
        .size:           2
        .value_kind:     hidden_remainder_y
      - .offset:         126
        .size:           2
        .value_kind:     hidden_remainder_z
      - .offset:         144
        .size:           8
        .value_kind:     hidden_global_offset_x
      - .offset:         152
        .size:           8
        .value_kind:     hidden_global_offset_y
      - .offset:         160
        .size:           8
        .value_kind:     hidden_global_offset_z
      - .offset:         168
        .size:           2
        .value_kind:     hidden_grid_dims
    .group_segment_fixed_size: 32768
    .kernarg_segment_align: 8
    .kernarg_segment_size: 360
    .language:       OpenCL C
    .language_version:
      - 2
      - 0
    .max_flat_workgroup_size: 64
    .name:           _ZL30rocblas_trsm_small_left_deviceILi64ELi32ELb0EddPKPKdPKPdEv13rocblas_fill_18rocblas_operation_17rocblas_diagonal_iiT3_T4_lilT5_lili
    .private_segment_fixed_size: 0
    .sgpr_count:     49
    .sgpr_spill_count: 0
    .symbol:         _ZL30rocblas_trsm_small_left_deviceILi64ELi32ELb0EddPKPKdPKPdEv13rocblas_fill_18rocblas_operation_17rocblas_diagonal_iiT3_T4_lilT5_lili.kd
    .uniform_work_group_size: 1
    .uses_dynamic_stack: false
    .vgpr_count:     204
    .vgpr_spill_count: 0
    .wavefront_size: 64
  - .agpr_count:     0
    .args:
      - .offset:         0
        .size:           4
        .value_kind:     by_value
      - .offset:         4
        .size:           4
        .value_kind:     by_value
      - .offset:         8
        .size:           4
        .value_kind:     by_value
      - .offset:         12
        .size:           4
        .value_kind:     by_value
      - .offset:         16
        .size:           4
        .value_kind:     by_value
      - .offset:         24
        .size:           8
        .value_kind:     by_value
      - .address_space:  global
        .offset:         32
        .size:           8
        .value_kind:     global_buffer
      - .offset:         40
        .size:           8
        .value_kind:     by_value
      - .offset:         48
        .size:           4
        .value_kind:     by_value
      - .offset:         56
        .size:           8
        .value_kind:     by_value
      - .address_space:  global
        .offset:         64
        .size:           8
        .value_kind:     global_buffer
      - .offset:         72
        .size:           8
        .value_kind:     by_value
      - .offset:         80
        .size:           4
        .value_kind:     by_value
      - .offset:         88
        .size:           8
        .value_kind:     by_value
      - .offset:         96
        .size:           4
        .value_kind:     by_value
      - .offset:         104
        .size:           4
        .value_kind:     hidden_block_count_x
      - .offset:         108
        .size:           4
        .value_kind:     hidden_block_count_y
      - .offset:         112
        .size:           4
        .value_kind:     hidden_block_count_z
      - .offset:         116
        .size:           2
        .value_kind:     hidden_group_size_x
      - .offset:         118
        .size:           2
        .value_kind:     hidden_group_size_y
      - .offset:         120
        .size:           2
        .value_kind:     hidden_group_size_z
      - .offset:         122
        .size:           2
        .value_kind:     hidden_remainder_x
      - .offset:         124
        .size:           2
        .value_kind:     hidden_remainder_y
      - .offset:         126
        .size:           2
        .value_kind:     hidden_remainder_z
      - .offset:         144
        .size:           8
        .value_kind:     hidden_global_offset_x
      - .offset:         152
        .size:           8
        .value_kind:     hidden_global_offset_y
      - .offset:         160
        .size:           8
        .value_kind:     hidden_global_offset_z
      - .offset:         168
        .size:           2
        .value_kind:     hidden_grid_dims
    .group_segment_fixed_size: 65536
    .kernarg_segment_align: 8
    .kernarg_segment_size: 360
    .language:       OpenCL C
    .language_version:
      - 2
      - 0
    .max_flat_workgroup_size: 64
    .name:           _ZL38rocblas_trsm_small_left_device_sharedBILi64ELi32ELb1EddPKPKdPKPdEv13rocblas_fill_18rocblas_operation_17rocblas_diagonal_iiT3_T4_lilT5_lili
    .private_segment_fixed_size: 0
    .sgpr_count:     32
    .sgpr_spill_count: 0
    .symbol:         _ZL38rocblas_trsm_small_left_device_sharedBILi64ELi32ELb1EddPKPKdPKPdEv13rocblas_fill_18rocblas_operation_17rocblas_diagonal_iiT3_T4_lilT5_lili.kd
    .uniform_work_group_size: 1
    .uses_dynamic_stack: false
    .vgpr_count:     254
    .vgpr_spill_count: 0
    .wavefront_size: 64
  - .agpr_count:     0
    .args:
      - .offset:         0
        .size:           4
        .value_kind:     by_value
      - .offset:         4
        .size:           4
        .value_kind:     by_value
      - .offset:         8
        .size:           4
        .value_kind:     by_value
      - .offset:         12
        .size:           4
        .value_kind:     by_value
      - .offset:         16
        .size:           4
        .value_kind:     by_value
      - .offset:         24
        .size:           8
        .value_kind:     by_value
      - .address_space:  global
        .offset:         32
        .size:           8
        .value_kind:     global_buffer
      - .offset:         40
        .size:           8
        .value_kind:     by_value
      - .offset:         48
        .size:           4
        .value_kind:     by_value
      - .offset:         56
        .size:           8
        .value_kind:     by_value
      - .address_space:  global
        .offset:         64
        .size:           8
        .value_kind:     global_buffer
      - .offset:         72
        .size:           8
        .value_kind:     by_value
      - .offset:         80
        .size:           4
        .value_kind:     by_value
      - .offset:         88
        .size:           8
        .value_kind:     by_value
      - .offset:         96
        .size:           4
        .value_kind:     by_value
      - .offset:         104
        .size:           4
        .value_kind:     hidden_block_count_x
      - .offset:         108
        .size:           4
        .value_kind:     hidden_block_count_y
      - .offset:         112
        .size:           4
        .value_kind:     hidden_block_count_z
      - .offset:         116
        .size:           2
        .value_kind:     hidden_group_size_x
      - .offset:         118
        .size:           2
        .value_kind:     hidden_group_size_y
      - .offset:         120
        .size:           2
        .value_kind:     hidden_group_size_z
      - .offset:         122
        .size:           2
        .value_kind:     hidden_remainder_x
      - .offset:         124
        .size:           2
        .value_kind:     hidden_remainder_y
      - .offset:         126
        .size:           2
        .value_kind:     hidden_remainder_z
      - .offset:         144
        .size:           8
        .value_kind:     hidden_global_offset_x
      - .offset:         152
        .size:           8
        .value_kind:     hidden_global_offset_y
      - .offset:         160
        .size:           8
        .value_kind:     hidden_global_offset_z
      - .offset:         168
        .size:           2
        .value_kind:     hidden_grid_dims
    .group_segment_fixed_size: 32768
    .kernarg_segment_align: 8
    .kernarg_segment_size: 360
    .language:       OpenCL C
    .language_version:
      - 2
      - 0
    .max_flat_workgroup_size: 64
    .name:           _ZL30rocblas_trsm_small_left_deviceILi64ELi32ELb1EddPKPKdPKPdEv13rocblas_fill_18rocblas_operation_17rocblas_diagonal_iiT3_T4_lilT5_lili
    .private_segment_fixed_size: 0
    .sgpr_count:     32
    .sgpr_spill_count: 0
    .symbol:         _ZL30rocblas_trsm_small_left_deviceILi64ELi32ELb1EddPKPKdPKPdEv13rocblas_fill_18rocblas_operation_17rocblas_diagonal_iiT3_T4_lilT5_lili.kd
    .uniform_work_group_size: 1
    .uses_dynamic_stack: false
    .vgpr_count:     136
    .vgpr_spill_count: 0
    .wavefront_size: 64
  - .agpr_count:     0
    .args:
      - .offset:         0
        .size:           4
        .value_kind:     by_value
      - .offset:         4
        .size:           4
        .value_kind:     by_value
      - .offset:         8
        .size:           4
        .value_kind:     by_value
      - .offset:         12
        .size:           4
        .value_kind:     by_value
      - .offset:         16
        .size:           4
        .value_kind:     by_value
      - .offset:         24
        .size:           8
        .value_kind:     by_value
      - .address_space:  global
        .offset:         32
        .size:           8
        .value_kind:     global_buffer
      - .offset:         40
        .size:           8
        .value_kind:     by_value
      - .offset:         48
        .size:           4
        .value_kind:     by_value
      - .offset:         56
        .size:           8
        .value_kind:     by_value
      - .address_space:  global
        .offset:         64
        .size:           8
        .value_kind:     global_buffer
      - .offset:         72
        .size:           8
        .value_kind:     by_value
      - .offset:         80
        .size:           4
        .value_kind:     by_value
      - .offset:         88
        .size:           8
        .value_kind:     by_value
      - .offset:         96
        .size:           4
        .value_kind:     by_value
      - .offset:         104
        .size:           4
        .value_kind:     hidden_block_count_x
      - .offset:         108
        .size:           4
        .value_kind:     hidden_block_count_y
      - .offset:         112
        .size:           4
        .value_kind:     hidden_block_count_z
      - .offset:         116
        .size:           2
        .value_kind:     hidden_group_size_x
      - .offset:         118
        .size:           2
        .value_kind:     hidden_group_size_y
      - .offset:         120
        .size:           2
        .value_kind:     hidden_group_size_z
      - .offset:         122
        .size:           2
        .value_kind:     hidden_remainder_x
      - .offset:         124
        .size:           2
        .value_kind:     hidden_remainder_y
      - .offset:         126
        .size:           2
        .value_kind:     hidden_remainder_z
      - .offset:         144
        .size:           8
        .value_kind:     hidden_global_offset_x
      - .offset:         152
        .size:           8
        .value_kind:     hidden_global_offset_y
      - .offset:         160
        .size:           8
        .value_kind:     hidden_global_offset_z
      - .offset:         168
        .size:           2
        .value_kind:     hidden_grid_dims
    .group_segment_fixed_size: 65536
    .kernarg_segment_align: 8
    .kernarg_segment_size: 360
    .language:       OpenCL C
    .language_version:
      - 2
      - 0
    .max_flat_workgroup_size: 64
    .name:           _ZL31rocblas_trsm_small_right_deviceIddPKPKdPKPdLi64EEv13rocblas_fill_18rocblas_operation_17rocblas_diagonal_iiT0_T1_lilT2_lili
    .private_segment_fixed_size: 0
    .sgpr_count:     32
    .sgpr_spill_count: 0
    .symbol:         _ZL31rocblas_trsm_small_right_deviceIddPKPKdPKPdLi64EEv13rocblas_fill_18rocblas_operation_17rocblas_diagonal_iiT0_T1_lilT2_lili.kd
    .uniform_work_group_size: 1
    .uses_dynamic_stack: false
    .vgpr_count:     40
    .vgpr_spill_count: 0
    .wavefront_size: 64
  - .agpr_count:     0
    .args:
      - .offset:         0
        .size:           4
        .value_kind:     by_value
      - .offset:         8
        .size:           8
        .value_kind:     by_value
      - .offset:         16
        .size:           8
        .value_kind:     by_value
      - .offset:         24
        .size:           8
        .value_kind:     by_value
      - .address_space:  global
        .offset:         32
        .size:           8
        .value_kind:     global_buffer
      - .offset:         40
        .size:           8
        .value_kind:     by_value
      - .offset:         48
        .size:           8
        .value_kind:     by_value
      - .offset:         56
        .size:           8
        .value_kind:     by_value
      - .address_space:  global
        .offset:         64
        .size:           8
        .value_kind:     global_buffer
      - .offset:         72
        .size:           8
        .value_kind:     by_value
      - .offset:         80
        .size:           8
        .value_kind:     by_value
      - .offset:         88
        .size:           8
        .value_kind:     by_value
      - .offset:         96
        .size:           4
        .value_kind:     by_value
      - .offset:         100
        .size:           1
        .value_kind:     by_value
      - .offset:         104
        .size:           4
        .value_kind:     hidden_block_count_x
      - .offset:         108
        .size:           4
        .value_kind:     hidden_block_count_y
      - .offset:         112
        .size:           4
        .value_kind:     hidden_block_count_z
      - .offset:         116
        .size:           2
        .value_kind:     hidden_group_size_x
      - .offset:         118
        .size:           2
        .value_kind:     hidden_group_size_y
      - .offset:         120
        .size:           2
        .value_kind:     hidden_group_size_z
      - .offset:         122
        .size:           2
        .value_kind:     hidden_remainder_x
      - .offset:         124
        .size:           2
        .value_kind:     hidden_remainder_y
      - .offset:         126
        .size:           2
        .value_kind:     hidden_remainder_z
      - .offset:         144
        .size:           8
        .value_kind:     hidden_global_offset_x
      - .offset:         152
        .size:           8
        .value_kind:     hidden_global_offset_y
      - .offset:         160
        .size:           8
        .value_kind:     hidden_global_offset_z
      - .offset:         168
        .size:           2
        .value_kind:     hidden_grid_dims
      - .offset:         224
        .size:           4
        .value_kind:     hidden_dynamic_lds_size
    .group_segment_fixed_size: 0
    .kernarg_segment_align: 8
    .kernarg_segment_size: 360
    .language:       OpenCL C
    .language_version:
      - 2
      - 0
    .max_flat_workgroup_size: 1024
    .name:           _ZL39rocblas_trsm_block_forward_substitutionIddPKPKdPKPdLb0ELb0ELb0EEv18rocblas_operation_llT0_T1_lllT2_lllib
    .private_segment_fixed_size: 0
    .sgpr_count:     42
    .sgpr_spill_count: 0
    .symbol:         _ZL39rocblas_trsm_block_forward_substitutionIddPKPKdPKPdLb0ELb0ELb0EEv18rocblas_operation_llT0_T1_lllT2_lllib.kd
    .uniform_work_group_size: 1
    .uses_dynamic_stack: false
    .vgpr_count:     22
    .vgpr_spill_count: 0
    .wavefront_size: 64
  - .agpr_count:     0
    .args:
      - .offset:         0
        .size:           4
        .value_kind:     by_value
      - .offset:         8
        .size:           8
        .value_kind:     by_value
      - .offset:         16
        .size:           8
        .value_kind:     by_value
      - .offset:         24
        .size:           8
        .value_kind:     by_value
      - .address_space:  global
        .offset:         32
        .size:           8
        .value_kind:     global_buffer
      - .offset:         40
        .size:           8
        .value_kind:     by_value
      - .offset:         48
        .size:           8
        .value_kind:     by_value
      - .offset:         56
        .size:           8
        .value_kind:     by_value
      - .address_space:  global
        .offset:         64
        .size:           8
        .value_kind:     global_buffer
      - .offset:         72
        .size:           8
        .value_kind:     by_value
      - .offset:         80
        .size:           8
        .value_kind:     by_value
      - .offset:         88
        .size:           8
        .value_kind:     by_value
      - .offset:         96
        .size:           4
        .value_kind:     by_value
      - .offset:         100
        .size:           1
        .value_kind:     by_value
      - .offset:         104
        .size:           4
        .value_kind:     hidden_block_count_x
      - .offset:         108
        .size:           4
        .value_kind:     hidden_block_count_y
      - .offset:         112
        .size:           4
        .value_kind:     hidden_block_count_z
      - .offset:         116
        .size:           2
        .value_kind:     hidden_group_size_x
      - .offset:         118
        .size:           2
        .value_kind:     hidden_group_size_y
      - .offset:         120
        .size:           2
        .value_kind:     hidden_group_size_z
      - .offset:         122
        .size:           2
        .value_kind:     hidden_remainder_x
      - .offset:         124
        .size:           2
        .value_kind:     hidden_remainder_y
      - .offset:         126
        .size:           2
        .value_kind:     hidden_remainder_z
      - .offset:         144
        .size:           8
        .value_kind:     hidden_global_offset_x
      - .offset:         152
        .size:           8
        .value_kind:     hidden_global_offset_y
      - .offset:         160
        .size:           8
        .value_kind:     hidden_global_offset_z
      - .offset:         168
        .size:           2
        .value_kind:     hidden_grid_dims
      - .offset:         224
        .size:           4
        .value_kind:     hidden_dynamic_lds_size
    .group_segment_fixed_size: 0
    .kernarg_segment_align: 8
    .kernarg_segment_size: 360
    .language:       OpenCL C
    .language_version:
      - 2
      - 0
    .max_flat_workgroup_size: 1024
    .name:           _ZL40rocblas_trsm_block_backward_substitutionIddPKPKdPKPdLb0ELb0ELb0EEv18rocblas_operation_llT0_T1_lllT2_lllib
    .private_segment_fixed_size: 0
    .sgpr_count:     46
    .sgpr_spill_count: 0
    .symbol:         _ZL40rocblas_trsm_block_backward_substitutionIddPKPKdPKPdLb0ELb0ELb0EEv18rocblas_operation_llT0_T1_lllT2_lllib.kd
    .uniform_work_group_size: 1
    .uses_dynamic_stack: false
    .vgpr_count:     22
    .vgpr_spill_count: 0
    .wavefront_size: 64
  - .agpr_count:     0
    .args:
      - .offset:         0
        .size:           4
        .value_kind:     by_value
      - .offset:         8
        .size:           8
        .value_kind:     by_value
      - .offset:         16
        .size:           8
        .value_kind:     by_value
      - .offset:         24
        .size:           8
        .value_kind:     by_value
      - .address_space:  global
        .offset:         32
        .size:           8
        .value_kind:     global_buffer
      - .offset:         40
        .size:           8
        .value_kind:     by_value
      - .offset:         48
        .size:           8
        .value_kind:     by_value
      - .offset:         56
        .size:           8
        .value_kind:     by_value
      - .address_space:  global
        .offset:         64
        .size:           8
        .value_kind:     global_buffer
      - .offset:         72
        .size:           8
        .value_kind:     by_value
      - .offset:         80
        .size:           8
        .value_kind:     by_value
      - .offset:         88
        .size:           8
        .value_kind:     by_value
      - .offset:         96
        .size:           4
        .value_kind:     by_value
      - .offset:         100
        .size:           1
        .value_kind:     by_value
      - .offset:         104
        .size:           4
        .value_kind:     hidden_block_count_x
      - .offset:         108
        .size:           4
        .value_kind:     hidden_block_count_y
      - .offset:         112
        .size:           4
        .value_kind:     hidden_block_count_z
      - .offset:         116
        .size:           2
        .value_kind:     hidden_group_size_x
      - .offset:         118
        .size:           2
        .value_kind:     hidden_group_size_y
      - .offset:         120
        .size:           2
        .value_kind:     hidden_group_size_z
      - .offset:         122
        .size:           2
        .value_kind:     hidden_remainder_x
      - .offset:         124
        .size:           2
        .value_kind:     hidden_remainder_y
      - .offset:         126
        .size:           2
        .value_kind:     hidden_remainder_z
      - .offset:         144
        .size:           8
        .value_kind:     hidden_global_offset_x
      - .offset:         152
        .size:           8
        .value_kind:     hidden_global_offset_y
      - .offset:         160
        .size:           8
        .value_kind:     hidden_global_offset_z
      - .offset:         168
        .size:           2
        .value_kind:     hidden_grid_dims
      - .offset:         224
        .size:           4
        .value_kind:     hidden_dynamic_lds_size
    .group_segment_fixed_size: 0
    .kernarg_segment_align: 8
    .kernarg_segment_size: 360
    .language:       OpenCL C
    .language_version:
      - 2
      - 0
    .max_flat_workgroup_size: 1024
    .name:           _ZL39rocblas_trsm_block_forward_substitutionIddPKPKdPKPdLb0ELb0ELb1EEv18rocblas_operation_llT0_T1_lllT2_lllib
    .private_segment_fixed_size: 0
    .sgpr_count:     32
    .sgpr_spill_count: 0
    .symbol:         _ZL39rocblas_trsm_block_forward_substitutionIddPKPKdPKPdLb0ELb0ELb1EEv18rocblas_operation_llT0_T1_lllT2_lllib.kd
    .uniform_work_group_size: 1
    .uses_dynamic_stack: false
    .vgpr_count:     14
    .vgpr_spill_count: 0
    .wavefront_size: 64
  - .agpr_count:     0
    .args:
      - .offset:         0
        .size:           4
        .value_kind:     by_value
      - .offset:         8
        .size:           8
        .value_kind:     by_value
      - .offset:         16
        .size:           8
        .value_kind:     by_value
      - .offset:         24
        .size:           8
        .value_kind:     by_value
      - .address_space:  global
        .offset:         32
        .size:           8
        .value_kind:     global_buffer
      - .offset:         40
        .size:           8
        .value_kind:     by_value
      - .offset:         48
        .size:           8
        .value_kind:     by_value
      - .offset:         56
        .size:           8
        .value_kind:     by_value
      - .address_space:  global
        .offset:         64
        .size:           8
        .value_kind:     global_buffer
      - .offset:         72
        .size:           8
        .value_kind:     by_value
      - .offset:         80
        .size:           8
        .value_kind:     by_value
      - .offset:         88
        .size:           8
        .value_kind:     by_value
      - .offset:         96
        .size:           4
        .value_kind:     by_value
      - .offset:         100
        .size:           1
        .value_kind:     by_value
      - .offset:         104
        .size:           4
        .value_kind:     hidden_block_count_x
      - .offset:         108
        .size:           4
        .value_kind:     hidden_block_count_y
      - .offset:         112
        .size:           4
        .value_kind:     hidden_block_count_z
      - .offset:         116
        .size:           2
        .value_kind:     hidden_group_size_x
      - .offset:         118
        .size:           2
        .value_kind:     hidden_group_size_y
      - .offset:         120
        .size:           2
        .value_kind:     hidden_group_size_z
      - .offset:         122
        .size:           2
        .value_kind:     hidden_remainder_x
      - .offset:         124
        .size:           2
        .value_kind:     hidden_remainder_y
      - .offset:         126
        .size:           2
        .value_kind:     hidden_remainder_z
      - .offset:         144
        .size:           8
        .value_kind:     hidden_global_offset_x
      - .offset:         152
        .size:           8
        .value_kind:     hidden_global_offset_y
      - .offset:         160
        .size:           8
        .value_kind:     hidden_global_offset_z
      - .offset:         168
        .size:           2
        .value_kind:     hidden_grid_dims
      - .offset:         224
        .size:           4
        .value_kind:     hidden_dynamic_lds_size
    .group_segment_fixed_size: 0
    .kernarg_segment_align: 8
    .kernarg_segment_size: 360
    .language:       OpenCL C
    .language_version:
      - 2
      - 0
    .max_flat_workgroup_size: 1024
    .name:           _ZL40rocblas_trsm_block_backward_substitutionIddPKPKdPKPdLb0ELb0ELb1EEv18rocblas_operation_llT0_T1_lllT2_lllib
    .private_segment_fixed_size: 0
    .sgpr_count:     34
    .sgpr_spill_count: 0
    .symbol:         _ZL40rocblas_trsm_block_backward_substitutionIddPKPKdPKPdLb0ELb0ELb1EEv18rocblas_operation_llT0_T1_lllT2_lllib.kd
    .uniform_work_group_size: 1
    .uses_dynamic_stack: false
    .vgpr_count:     14
    .vgpr_spill_count: 0
    .wavefront_size: 64
  - .agpr_count:     0
    .args:
      - .offset:         0
        .size:           4
        .value_kind:     by_value
      - .offset:         8
        .size:           8
        .value_kind:     by_value
      - .offset:         16
        .size:           8
        .value_kind:     by_value
      - .offset:         24
        .size:           8
        .value_kind:     by_value
      - .address_space:  global
        .offset:         32
        .size:           8
        .value_kind:     global_buffer
      - .offset:         40
        .size:           8
        .value_kind:     by_value
      - .offset:         48
        .size:           8
        .value_kind:     by_value
      - .offset:         56
        .size:           8
        .value_kind:     by_value
      - .address_space:  global
        .offset:         64
        .size:           8
        .value_kind:     global_buffer
      - .offset:         72
        .size:           8
        .value_kind:     by_value
      - .offset:         80
        .size:           8
        .value_kind:     by_value
      - .offset:         88
        .size:           8
        .value_kind:     by_value
      - .offset:         96
        .size:           4
        .value_kind:     by_value
      - .offset:         100
        .size:           1
        .value_kind:     by_value
      - .offset:         104
        .size:           4
        .value_kind:     hidden_block_count_x
      - .offset:         108
        .size:           4
        .value_kind:     hidden_block_count_y
      - .offset:         112
        .size:           4
        .value_kind:     hidden_block_count_z
      - .offset:         116
        .size:           2
        .value_kind:     hidden_group_size_x
      - .offset:         118
        .size:           2
        .value_kind:     hidden_group_size_y
      - .offset:         120
        .size:           2
        .value_kind:     hidden_group_size_z
      - .offset:         122
        .size:           2
        .value_kind:     hidden_remainder_x
      - .offset:         124
        .size:           2
        .value_kind:     hidden_remainder_y
      - .offset:         126
        .size:           2
        .value_kind:     hidden_remainder_z
      - .offset:         144
        .size:           8
        .value_kind:     hidden_global_offset_x
      - .offset:         152
        .size:           8
        .value_kind:     hidden_global_offset_y
      - .offset:         160
        .size:           8
        .value_kind:     hidden_global_offset_z
      - .offset:         168
        .size:           2
        .value_kind:     hidden_grid_dims
      - .offset:         224
        .size:           4
        .value_kind:     hidden_dynamic_lds_size
    .group_segment_fixed_size: 0
    .kernarg_segment_align: 8
    .kernarg_segment_size: 360
    .language:       OpenCL C
    .language_version:
      - 2
      - 0
    .max_flat_workgroup_size: 1024
    .name:           _ZL39rocblas_trsm_block_forward_substitutionIddPKPKdPKPdLb0ELb1ELb0EEv18rocblas_operation_llT0_T1_lllT2_lllib
    .private_segment_fixed_size: 0
    .sgpr_count:     42
    .sgpr_spill_count: 0
    .symbol:         _ZL39rocblas_trsm_block_forward_substitutionIddPKPKdPKPdLb0ELb1ELb0EEv18rocblas_operation_llT0_T1_lllT2_lllib.kd
    .uniform_work_group_size: 1
    .uses_dynamic_stack: false
    .vgpr_count:     22
    .vgpr_spill_count: 0
    .wavefront_size: 64
  - .agpr_count:     0
    .args:
      - .offset:         0
        .size:           4
        .value_kind:     by_value
      - .offset:         8
        .size:           8
        .value_kind:     by_value
      - .offset:         16
        .size:           8
        .value_kind:     by_value
      - .offset:         24
        .size:           8
        .value_kind:     by_value
      - .address_space:  global
        .offset:         32
        .size:           8
        .value_kind:     global_buffer
      - .offset:         40
        .size:           8
        .value_kind:     by_value
      - .offset:         48
        .size:           8
        .value_kind:     by_value
      - .offset:         56
        .size:           8
        .value_kind:     by_value
      - .address_space:  global
        .offset:         64
        .size:           8
        .value_kind:     global_buffer
      - .offset:         72
        .size:           8
        .value_kind:     by_value
      - .offset:         80
        .size:           8
        .value_kind:     by_value
      - .offset:         88
        .size:           8
        .value_kind:     by_value
      - .offset:         96
        .size:           4
        .value_kind:     by_value
      - .offset:         100
        .size:           1
        .value_kind:     by_value
      - .offset:         104
        .size:           4
        .value_kind:     hidden_block_count_x
      - .offset:         108
        .size:           4
        .value_kind:     hidden_block_count_y
      - .offset:         112
        .size:           4
        .value_kind:     hidden_block_count_z
      - .offset:         116
        .size:           2
        .value_kind:     hidden_group_size_x
      - .offset:         118
        .size:           2
        .value_kind:     hidden_group_size_y
      - .offset:         120
        .size:           2
        .value_kind:     hidden_group_size_z
      - .offset:         122
        .size:           2
        .value_kind:     hidden_remainder_x
      - .offset:         124
        .size:           2
        .value_kind:     hidden_remainder_y
      - .offset:         126
        .size:           2
        .value_kind:     hidden_remainder_z
      - .offset:         144
        .size:           8
        .value_kind:     hidden_global_offset_x
      - .offset:         152
        .size:           8
        .value_kind:     hidden_global_offset_y
      - .offset:         160
        .size:           8
        .value_kind:     hidden_global_offset_z
      - .offset:         168
        .size:           2
        .value_kind:     hidden_grid_dims
      - .offset:         224
        .size:           4
        .value_kind:     hidden_dynamic_lds_size
    .group_segment_fixed_size: 0
    .kernarg_segment_align: 8
    .kernarg_segment_size: 360
    .language:       OpenCL C
    .language_version:
      - 2
      - 0
    .max_flat_workgroup_size: 1024
    .name:           _ZL40rocblas_trsm_block_backward_substitutionIddPKPKdPKPdLb0ELb1ELb0EEv18rocblas_operation_llT0_T1_lllT2_lllib
    .private_segment_fixed_size: 0
    .sgpr_count:     46
    .sgpr_spill_count: 0
    .symbol:         _ZL40rocblas_trsm_block_backward_substitutionIddPKPKdPKPdLb0ELb1ELb0EEv18rocblas_operation_llT0_T1_lllT2_lllib.kd
    .uniform_work_group_size: 1
    .uses_dynamic_stack: false
    .vgpr_count:     22
    .vgpr_spill_count: 0
    .wavefront_size: 64
  - .agpr_count:     0
    .args:
      - .offset:         0
        .size:           4
        .value_kind:     by_value
      - .offset:         8
        .size:           8
        .value_kind:     by_value
      - .offset:         16
        .size:           8
        .value_kind:     by_value
      - .offset:         24
        .size:           8
        .value_kind:     by_value
      - .address_space:  global
        .offset:         32
        .size:           8
        .value_kind:     global_buffer
      - .offset:         40
        .size:           8
        .value_kind:     by_value
      - .offset:         48
        .size:           8
        .value_kind:     by_value
      - .offset:         56
        .size:           8
        .value_kind:     by_value
      - .address_space:  global
        .offset:         64
        .size:           8
        .value_kind:     global_buffer
      - .offset:         72
        .size:           8
        .value_kind:     by_value
      - .offset:         80
        .size:           8
        .value_kind:     by_value
      - .offset:         88
        .size:           8
        .value_kind:     by_value
      - .offset:         96
        .size:           4
        .value_kind:     by_value
      - .offset:         100
        .size:           1
        .value_kind:     by_value
      - .offset:         104
        .size:           4
        .value_kind:     hidden_block_count_x
      - .offset:         108
        .size:           4
        .value_kind:     hidden_block_count_y
      - .offset:         112
        .size:           4
        .value_kind:     hidden_block_count_z
      - .offset:         116
        .size:           2
        .value_kind:     hidden_group_size_x
      - .offset:         118
        .size:           2
        .value_kind:     hidden_group_size_y
      - .offset:         120
        .size:           2
        .value_kind:     hidden_group_size_z
      - .offset:         122
        .size:           2
        .value_kind:     hidden_remainder_x
      - .offset:         124
        .size:           2
        .value_kind:     hidden_remainder_y
      - .offset:         126
        .size:           2
        .value_kind:     hidden_remainder_z
      - .offset:         144
        .size:           8
        .value_kind:     hidden_global_offset_x
      - .offset:         152
        .size:           8
        .value_kind:     hidden_global_offset_y
      - .offset:         160
        .size:           8
        .value_kind:     hidden_global_offset_z
      - .offset:         168
        .size:           2
        .value_kind:     hidden_grid_dims
      - .offset:         224
        .size:           4
        .value_kind:     hidden_dynamic_lds_size
    .group_segment_fixed_size: 0
    .kernarg_segment_align: 8
    .kernarg_segment_size: 360
    .language:       OpenCL C
    .language_version:
      - 2
      - 0
    .max_flat_workgroup_size: 1024
    .name:           _ZL39rocblas_trsm_block_forward_substitutionIddPKPKdPKPdLb0ELb1ELb1EEv18rocblas_operation_llT0_T1_lllT2_lllib
    .private_segment_fixed_size: 0
    .sgpr_count:     32
    .sgpr_spill_count: 0
    .symbol:         _ZL39rocblas_trsm_block_forward_substitutionIddPKPKdPKPdLb0ELb1ELb1EEv18rocblas_operation_llT0_T1_lllT2_lllib.kd
    .uniform_work_group_size: 1
    .uses_dynamic_stack: false
    .vgpr_count:     14
    .vgpr_spill_count: 0
    .wavefront_size: 64
  - .agpr_count:     0
    .args:
      - .offset:         0
        .size:           4
        .value_kind:     by_value
      - .offset:         8
        .size:           8
        .value_kind:     by_value
      - .offset:         16
        .size:           8
        .value_kind:     by_value
      - .offset:         24
        .size:           8
        .value_kind:     by_value
      - .address_space:  global
        .offset:         32
        .size:           8
        .value_kind:     global_buffer
      - .offset:         40
        .size:           8
        .value_kind:     by_value
      - .offset:         48
        .size:           8
        .value_kind:     by_value
      - .offset:         56
        .size:           8
        .value_kind:     by_value
      - .address_space:  global
        .offset:         64
        .size:           8
        .value_kind:     global_buffer
      - .offset:         72
        .size:           8
        .value_kind:     by_value
      - .offset:         80
        .size:           8
        .value_kind:     by_value
      - .offset:         88
        .size:           8
        .value_kind:     by_value
      - .offset:         96
        .size:           4
        .value_kind:     by_value
      - .offset:         100
        .size:           1
        .value_kind:     by_value
      - .offset:         104
        .size:           4
        .value_kind:     hidden_block_count_x
      - .offset:         108
        .size:           4
        .value_kind:     hidden_block_count_y
      - .offset:         112
        .size:           4
        .value_kind:     hidden_block_count_z
      - .offset:         116
        .size:           2
        .value_kind:     hidden_group_size_x
      - .offset:         118
        .size:           2
        .value_kind:     hidden_group_size_y
      - .offset:         120
        .size:           2
        .value_kind:     hidden_group_size_z
      - .offset:         122
        .size:           2
        .value_kind:     hidden_remainder_x
      - .offset:         124
        .size:           2
        .value_kind:     hidden_remainder_y
      - .offset:         126
        .size:           2
        .value_kind:     hidden_remainder_z
      - .offset:         144
        .size:           8
        .value_kind:     hidden_global_offset_x
      - .offset:         152
        .size:           8
        .value_kind:     hidden_global_offset_y
      - .offset:         160
        .size:           8
        .value_kind:     hidden_global_offset_z
      - .offset:         168
        .size:           2
        .value_kind:     hidden_grid_dims
      - .offset:         224
        .size:           4
        .value_kind:     hidden_dynamic_lds_size
    .group_segment_fixed_size: 0
    .kernarg_segment_align: 8
    .kernarg_segment_size: 360
    .language:       OpenCL C
    .language_version:
      - 2
      - 0
    .max_flat_workgroup_size: 1024
    .name:           _ZL40rocblas_trsm_block_backward_substitutionIddPKPKdPKPdLb0ELb1ELb1EEv18rocblas_operation_llT0_T1_lllT2_lllib
    .private_segment_fixed_size: 0
    .sgpr_count:     34
    .sgpr_spill_count: 0
    .symbol:         _ZL40rocblas_trsm_block_backward_substitutionIddPKPKdPKPdLb0ELb1ELb1EEv18rocblas_operation_llT0_T1_lllT2_lllib.kd
    .uniform_work_group_size: 1
    .uses_dynamic_stack: false
    .vgpr_count:     14
    .vgpr_spill_count: 0
    .wavefront_size: 64
  - .agpr_count:     0
    .args:
      - .offset:         0
        .size:           4
        .value_kind:     by_value
      - .offset:         8
        .size:           8
        .value_kind:     by_value
      - .offset:         16
        .size:           8
        .value_kind:     by_value
      - .offset:         24
        .size:           8
        .value_kind:     by_value
      - .address_space:  global
        .offset:         32
        .size:           8
        .value_kind:     global_buffer
      - .offset:         40
        .size:           8
        .value_kind:     by_value
      - .offset:         48
        .size:           8
        .value_kind:     by_value
      - .offset:         56
        .size:           8
        .value_kind:     by_value
      - .address_space:  global
        .offset:         64
        .size:           8
        .value_kind:     global_buffer
      - .offset:         72
        .size:           8
        .value_kind:     by_value
      - .offset:         80
        .size:           8
        .value_kind:     by_value
      - .offset:         88
        .size:           8
        .value_kind:     by_value
      - .offset:         96
        .size:           4
        .value_kind:     by_value
      - .offset:         100
        .size:           1
        .value_kind:     by_value
      - .offset:         104
        .size:           4
        .value_kind:     hidden_block_count_x
      - .offset:         108
        .size:           4
        .value_kind:     hidden_block_count_y
      - .offset:         112
        .size:           4
        .value_kind:     hidden_block_count_z
      - .offset:         116
        .size:           2
        .value_kind:     hidden_group_size_x
      - .offset:         118
        .size:           2
        .value_kind:     hidden_group_size_y
      - .offset:         120
        .size:           2
        .value_kind:     hidden_group_size_z
      - .offset:         122
        .size:           2
        .value_kind:     hidden_remainder_x
      - .offset:         124
        .size:           2
        .value_kind:     hidden_remainder_y
      - .offset:         126
        .size:           2
        .value_kind:     hidden_remainder_z
      - .offset:         144
        .size:           8
        .value_kind:     hidden_global_offset_x
      - .offset:         152
        .size:           8
        .value_kind:     hidden_global_offset_y
      - .offset:         160
        .size:           8
        .value_kind:     hidden_global_offset_z
      - .offset:         168
        .size:           2
        .value_kind:     hidden_grid_dims
      - .offset:         224
        .size:           4
        .value_kind:     hidden_dynamic_lds_size
    .group_segment_fixed_size: 0
    .kernarg_segment_align: 8
    .kernarg_segment_size: 360
    .language:       OpenCL C
    .language_version:
      - 2
      - 0
    .max_flat_workgroup_size: 1024
    .name:           _ZL39rocblas_trsm_block_forward_substitutionIddPKPKdPKPdLb1ELb1ELb0EEv18rocblas_operation_llT0_T1_lllT2_lllib
    .private_segment_fixed_size: 0
    .sgpr_count:     42
    .sgpr_spill_count: 0
    .symbol:         _ZL39rocblas_trsm_block_forward_substitutionIddPKPKdPKPdLb1ELb1ELb0EEv18rocblas_operation_llT0_T1_lllT2_lllib.kd
    .uniform_work_group_size: 1
    .uses_dynamic_stack: false
    .vgpr_count:     22
    .vgpr_spill_count: 0
    .wavefront_size: 64
  - .agpr_count:     0
    .args:
      - .offset:         0
        .size:           4
        .value_kind:     by_value
      - .offset:         8
        .size:           8
        .value_kind:     by_value
      - .offset:         16
        .size:           8
        .value_kind:     by_value
      - .offset:         24
        .size:           8
        .value_kind:     by_value
      - .address_space:  global
        .offset:         32
        .size:           8
        .value_kind:     global_buffer
      - .offset:         40
        .size:           8
        .value_kind:     by_value
      - .offset:         48
        .size:           8
        .value_kind:     by_value
      - .offset:         56
        .size:           8
        .value_kind:     by_value
      - .address_space:  global
        .offset:         64
        .size:           8
        .value_kind:     global_buffer
      - .offset:         72
        .size:           8
        .value_kind:     by_value
      - .offset:         80
        .size:           8
        .value_kind:     by_value
      - .offset:         88
        .size:           8
        .value_kind:     by_value
      - .offset:         96
        .size:           4
        .value_kind:     by_value
      - .offset:         100
        .size:           1
        .value_kind:     by_value
      - .offset:         104
        .size:           4
        .value_kind:     hidden_block_count_x
      - .offset:         108
        .size:           4
        .value_kind:     hidden_block_count_y
      - .offset:         112
        .size:           4
        .value_kind:     hidden_block_count_z
      - .offset:         116
        .size:           2
        .value_kind:     hidden_group_size_x
      - .offset:         118
        .size:           2
        .value_kind:     hidden_group_size_y
      - .offset:         120
        .size:           2
        .value_kind:     hidden_group_size_z
      - .offset:         122
        .size:           2
        .value_kind:     hidden_remainder_x
      - .offset:         124
        .size:           2
        .value_kind:     hidden_remainder_y
      - .offset:         126
        .size:           2
        .value_kind:     hidden_remainder_z
      - .offset:         144
        .size:           8
        .value_kind:     hidden_global_offset_x
      - .offset:         152
        .size:           8
        .value_kind:     hidden_global_offset_y
      - .offset:         160
        .size:           8
        .value_kind:     hidden_global_offset_z
      - .offset:         168
        .size:           2
        .value_kind:     hidden_grid_dims
      - .offset:         224
        .size:           4
        .value_kind:     hidden_dynamic_lds_size
    .group_segment_fixed_size: 0
    .kernarg_segment_align: 8
    .kernarg_segment_size: 360
    .language:       OpenCL C
    .language_version:
      - 2
      - 0
    .max_flat_workgroup_size: 1024
    .name:           _ZL40rocblas_trsm_block_backward_substitutionIddPKPKdPKPdLb1ELb1ELb0EEv18rocblas_operation_llT0_T1_lllT2_lllib
    .private_segment_fixed_size: 0
    .sgpr_count:     46
    .sgpr_spill_count: 0
    .symbol:         _ZL40rocblas_trsm_block_backward_substitutionIddPKPKdPKPdLb1ELb1ELb0EEv18rocblas_operation_llT0_T1_lllT2_lllib.kd
    .uniform_work_group_size: 1
    .uses_dynamic_stack: false
    .vgpr_count:     22
    .vgpr_spill_count: 0
    .wavefront_size: 64
  - .agpr_count:     0
    .args:
      - .offset:         0
        .size:           4
        .value_kind:     by_value
      - .offset:         8
        .size:           8
        .value_kind:     by_value
      - .offset:         16
        .size:           8
        .value_kind:     by_value
      - .offset:         24
        .size:           8
        .value_kind:     by_value
      - .address_space:  global
        .offset:         32
        .size:           8
        .value_kind:     global_buffer
      - .offset:         40
        .size:           8
        .value_kind:     by_value
      - .offset:         48
        .size:           8
        .value_kind:     by_value
      - .offset:         56
        .size:           8
        .value_kind:     by_value
      - .address_space:  global
        .offset:         64
        .size:           8
        .value_kind:     global_buffer
      - .offset:         72
        .size:           8
        .value_kind:     by_value
      - .offset:         80
        .size:           8
        .value_kind:     by_value
      - .offset:         88
        .size:           8
        .value_kind:     by_value
      - .offset:         96
        .size:           4
        .value_kind:     by_value
      - .offset:         100
        .size:           1
        .value_kind:     by_value
      - .offset:         104
        .size:           4
        .value_kind:     hidden_block_count_x
      - .offset:         108
        .size:           4
        .value_kind:     hidden_block_count_y
      - .offset:         112
        .size:           4
        .value_kind:     hidden_block_count_z
      - .offset:         116
        .size:           2
        .value_kind:     hidden_group_size_x
      - .offset:         118
        .size:           2
        .value_kind:     hidden_group_size_y
      - .offset:         120
        .size:           2
        .value_kind:     hidden_group_size_z
      - .offset:         122
        .size:           2
        .value_kind:     hidden_remainder_x
      - .offset:         124
        .size:           2
        .value_kind:     hidden_remainder_y
      - .offset:         126
        .size:           2
        .value_kind:     hidden_remainder_z
      - .offset:         144
        .size:           8
        .value_kind:     hidden_global_offset_x
      - .offset:         152
        .size:           8
        .value_kind:     hidden_global_offset_y
      - .offset:         160
        .size:           8
        .value_kind:     hidden_global_offset_z
      - .offset:         168
        .size:           2
        .value_kind:     hidden_grid_dims
      - .offset:         224
        .size:           4
        .value_kind:     hidden_dynamic_lds_size
    .group_segment_fixed_size: 0
    .kernarg_segment_align: 8
    .kernarg_segment_size: 360
    .language:       OpenCL C
    .language_version:
      - 2
      - 0
    .max_flat_workgroup_size: 1024
    .name:           _ZL39rocblas_trsm_block_forward_substitutionIddPKPKdPKPdLb1ELb1ELb1EEv18rocblas_operation_llT0_T1_lllT2_lllib
    .private_segment_fixed_size: 0
    .sgpr_count:     34
    .sgpr_spill_count: 0
    .symbol:         _ZL39rocblas_trsm_block_forward_substitutionIddPKPKdPKPdLb1ELb1ELb1EEv18rocblas_operation_llT0_T1_lllT2_lllib.kd
    .uniform_work_group_size: 1
    .uses_dynamic_stack: false
    .vgpr_count:     14
    .vgpr_spill_count: 0
    .wavefront_size: 64
  - .agpr_count:     0
    .args:
      - .offset:         0
        .size:           4
        .value_kind:     by_value
      - .offset:         8
        .size:           8
        .value_kind:     by_value
      - .offset:         16
        .size:           8
        .value_kind:     by_value
      - .offset:         24
        .size:           8
        .value_kind:     by_value
      - .address_space:  global
        .offset:         32
        .size:           8
        .value_kind:     global_buffer
      - .offset:         40
        .size:           8
        .value_kind:     by_value
      - .offset:         48
        .size:           8
        .value_kind:     by_value
      - .offset:         56
        .size:           8
        .value_kind:     by_value
      - .address_space:  global
        .offset:         64
        .size:           8
        .value_kind:     global_buffer
      - .offset:         72
        .size:           8
        .value_kind:     by_value
      - .offset:         80
        .size:           8
        .value_kind:     by_value
      - .offset:         88
        .size:           8
        .value_kind:     by_value
      - .offset:         96
        .size:           4
        .value_kind:     by_value
      - .offset:         100
        .size:           1
        .value_kind:     by_value
      - .offset:         104
        .size:           4
        .value_kind:     hidden_block_count_x
      - .offset:         108
        .size:           4
        .value_kind:     hidden_block_count_y
      - .offset:         112
        .size:           4
        .value_kind:     hidden_block_count_z
      - .offset:         116
        .size:           2
        .value_kind:     hidden_group_size_x
      - .offset:         118
        .size:           2
        .value_kind:     hidden_group_size_y
      - .offset:         120
        .size:           2
        .value_kind:     hidden_group_size_z
      - .offset:         122
        .size:           2
        .value_kind:     hidden_remainder_x
      - .offset:         124
        .size:           2
        .value_kind:     hidden_remainder_y
      - .offset:         126
        .size:           2
        .value_kind:     hidden_remainder_z
      - .offset:         144
        .size:           8
        .value_kind:     hidden_global_offset_x
      - .offset:         152
        .size:           8
        .value_kind:     hidden_global_offset_y
      - .offset:         160
        .size:           8
        .value_kind:     hidden_global_offset_z
      - .offset:         168
        .size:           2
        .value_kind:     hidden_grid_dims
      - .offset:         224
        .size:           4
        .value_kind:     hidden_dynamic_lds_size
    .group_segment_fixed_size: 0
    .kernarg_segment_align: 8
    .kernarg_segment_size: 360
    .language:       OpenCL C
    .language_version:
      - 2
      - 0
    .max_flat_workgroup_size: 1024
    .name:           _ZL40rocblas_trsm_block_backward_substitutionIddPKPKdPKPdLb1ELb1ELb1EEv18rocblas_operation_llT0_T1_lllT2_lllib
    .private_segment_fixed_size: 0
    .sgpr_count:     34
    .sgpr_spill_count: 0
    .symbol:         _ZL40rocblas_trsm_block_backward_substitutionIddPKPKdPKPdLb1ELb1ELb1EEv18rocblas_operation_llT0_T1_lllT2_lllib.kd
    .uniform_work_group_size: 1
    .uses_dynamic_stack: false
    .vgpr_count:     14
    .vgpr_spill_count: 0
    .wavefront_size: 64
  - .agpr_count:     0
    .args:
      - .offset:         0
        .size:           4
        .value_kind:     by_value
      - .offset:         8
        .size:           8
        .value_kind:     by_value
      - .offset:         16
        .size:           8
        .value_kind:     by_value
      - .offset:         24
        .size:           8
        .value_kind:     by_value
      - .address_space:  global
        .offset:         32
        .size:           8
        .value_kind:     global_buffer
      - .offset:         40
        .size:           8
        .value_kind:     by_value
      - .offset:         48
        .size:           8
        .value_kind:     by_value
      - .offset:         56
        .size:           8
        .value_kind:     by_value
      - .address_space:  global
        .offset:         64
        .size:           8
        .value_kind:     global_buffer
      - .offset:         72
        .size:           8
        .value_kind:     by_value
      - .offset:         80
        .size:           8
        .value_kind:     by_value
      - .offset:         88
        .size:           8
        .value_kind:     by_value
      - .offset:         96
        .size:           4
        .value_kind:     by_value
      - .offset:         100
        .size:           1
        .value_kind:     by_value
      - .offset:         104
        .size:           4
        .value_kind:     hidden_block_count_x
      - .offset:         108
        .size:           4
        .value_kind:     hidden_block_count_y
      - .offset:         112
        .size:           4
        .value_kind:     hidden_block_count_z
      - .offset:         116
        .size:           2
        .value_kind:     hidden_group_size_x
      - .offset:         118
        .size:           2
        .value_kind:     hidden_group_size_y
      - .offset:         120
        .size:           2
        .value_kind:     hidden_group_size_z
      - .offset:         122
        .size:           2
        .value_kind:     hidden_remainder_x
      - .offset:         124
        .size:           2
        .value_kind:     hidden_remainder_y
      - .offset:         126
        .size:           2
        .value_kind:     hidden_remainder_z
      - .offset:         144
        .size:           8
        .value_kind:     hidden_global_offset_x
      - .offset:         152
        .size:           8
        .value_kind:     hidden_global_offset_y
      - .offset:         160
        .size:           8
        .value_kind:     hidden_global_offset_z
      - .offset:         168
        .size:           2
        .value_kind:     hidden_grid_dims
      - .offset:         224
        .size:           4
        .value_kind:     hidden_dynamic_lds_size
    .group_segment_fixed_size: 0
    .kernarg_segment_align: 8
    .kernarg_segment_size: 360
    .language:       OpenCL C
    .language_version:
      - 2
      - 0
    .max_flat_workgroup_size: 1024
    .name:           _ZL39rocblas_trsm_block_forward_substitutionIddPKPKdPKPdLb1ELb0ELb0EEv18rocblas_operation_llT0_T1_lllT2_lllib
    .private_segment_fixed_size: 0
    .sgpr_count:     42
    .sgpr_spill_count: 0
    .symbol:         _ZL39rocblas_trsm_block_forward_substitutionIddPKPKdPKPdLb1ELb0ELb0EEv18rocblas_operation_llT0_T1_lllT2_lllib.kd
    .uniform_work_group_size: 1
    .uses_dynamic_stack: false
    .vgpr_count:     22
    .vgpr_spill_count: 0
    .wavefront_size: 64
  - .agpr_count:     0
    .args:
      - .offset:         0
        .size:           4
        .value_kind:     by_value
      - .offset:         8
        .size:           8
        .value_kind:     by_value
      - .offset:         16
        .size:           8
        .value_kind:     by_value
      - .offset:         24
        .size:           8
        .value_kind:     by_value
      - .address_space:  global
        .offset:         32
        .size:           8
        .value_kind:     global_buffer
      - .offset:         40
        .size:           8
        .value_kind:     by_value
      - .offset:         48
        .size:           8
        .value_kind:     by_value
      - .offset:         56
        .size:           8
        .value_kind:     by_value
      - .address_space:  global
        .offset:         64
        .size:           8
        .value_kind:     global_buffer
      - .offset:         72
        .size:           8
        .value_kind:     by_value
      - .offset:         80
        .size:           8
        .value_kind:     by_value
      - .offset:         88
        .size:           8
        .value_kind:     by_value
      - .offset:         96
        .size:           4
        .value_kind:     by_value
      - .offset:         100
        .size:           1
        .value_kind:     by_value
      - .offset:         104
        .size:           4
        .value_kind:     hidden_block_count_x
      - .offset:         108
        .size:           4
        .value_kind:     hidden_block_count_y
      - .offset:         112
        .size:           4
        .value_kind:     hidden_block_count_z
      - .offset:         116
        .size:           2
        .value_kind:     hidden_group_size_x
      - .offset:         118
        .size:           2
        .value_kind:     hidden_group_size_y
      - .offset:         120
        .size:           2
        .value_kind:     hidden_group_size_z
      - .offset:         122
        .size:           2
        .value_kind:     hidden_remainder_x
      - .offset:         124
        .size:           2
        .value_kind:     hidden_remainder_y
      - .offset:         126
        .size:           2
        .value_kind:     hidden_remainder_z
      - .offset:         144
        .size:           8
        .value_kind:     hidden_global_offset_x
      - .offset:         152
        .size:           8
        .value_kind:     hidden_global_offset_y
      - .offset:         160
        .size:           8
        .value_kind:     hidden_global_offset_z
      - .offset:         168
        .size:           2
        .value_kind:     hidden_grid_dims
      - .offset:         224
        .size:           4
        .value_kind:     hidden_dynamic_lds_size
    .group_segment_fixed_size: 0
    .kernarg_segment_align: 8
    .kernarg_segment_size: 360
    .language:       OpenCL C
    .language_version:
      - 2
      - 0
    .max_flat_workgroup_size: 1024
    .name:           _ZL40rocblas_trsm_block_backward_substitutionIddPKPKdPKPdLb1ELb0ELb0EEv18rocblas_operation_llT0_T1_lllT2_lllib
    .private_segment_fixed_size: 0
    .sgpr_count:     46
    .sgpr_spill_count: 0
    .symbol:         _ZL40rocblas_trsm_block_backward_substitutionIddPKPKdPKPdLb1ELb0ELb0EEv18rocblas_operation_llT0_T1_lllT2_lllib.kd
    .uniform_work_group_size: 1
    .uses_dynamic_stack: false
    .vgpr_count:     22
    .vgpr_spill_count: 0
    .wavefront_size: 64
  - .agpr_count:     0
    .args:
      - .offset:         0
        .size:           4
        .value_kind:     by_value
      - .offset:         8
        .size:           8
        .value_kind:     by_value
      - .offset:         16
        .size:           8
        .value_kind:     by_value
      - .offset:         24
        .size:           8
        .value_kind:     by_value
      - .address_space:  global
        .offset:         32
        .size:           8
        .value_kind:     global_buffer
      - .offset:         40
        .size:           8
        .value_kind:     by_value
      - .offset:         48
        .size:           8
        .value_kind:     by_value
      - .offset:         56
        .size:           8
        .value_kind:     by_value
      - .address_space:  global
        .offset:         64
        .size:           8
        .value_kind:     global_buffer
      - .offset:         72
        .size:           8
        .value_kind:     by_value
      - .offset:         80
        .size:           8
        .value_kind:     by_value
      - .offset:         88
        .size:           8
        .value_kind:     by_value
      - .offset:         96
        .size:           4
        .value_kind:     by_value
      - .offset:         100
        .size:           1
        .value_kind:     by_value
      - .offset:         104
        .size:           4
        .value_kind:     hidden_block_count_x
      - .offset:         108
        .size:           4
        .value_kind:     hidden_block_count_y
      - .offset:         112
        .size:           4
        .value_kind:     hidden_block_count_z
      - .offset:         116
        .size:           2
        .value_kind:     hidden_group_size_x
      - .offset:         118
        .size:           2
        .value_kind:     hidden_group_size_y
      - .offset:         120
        .size:           2
        .value_kind:     hidden_group_size_z
      - .offset:         122
        .size:           2
        .value_kind:     hidden_remainder_x
      - .offset:         124
        .size:           2
        .value_kind:     hidden_remainder_y
      - .offset:         126
        .size:           2
        .value_kind:     hidden_remainder_z
      - .offset:         144
        .size:           8
        .value_kind:     hidden_global_offset_x
      - .offset:         152
        .size:           8
        .value_kind:     hidden_global_offset_y
      - .offset:         160
        .size:           8
        .value_kind:     hidden_global_offset_z
      - .offset:         168
        .size:           2
        .value_kind:     hidden_grid_dims
      - .offset:         224
        .size:           4
        .value_kind:     hidden_dynamic_lds_size
    .group_segment_fixed_size: 0
    .kernarg_segment_align: 8
    .kernarg_segment_size: 360
    .language:       OpenCL C
    .language_version:
      - 2
      - 0
    .max_flat_workgroup_size: 1024
    .name:           _ZL39rocblas_trsm_block_forward_substitutionIddPKPKdPKPdLb1ELb0ELb1EEv18rocblas_operation_llT0_T1_lllT2_lllib
    .private_segment_fixed_size: 0
    .sgpr_count:     34
    .sgpr_spill_count: 0
    .symbol:         _ZL39rocblas_trsm_block_forward_substitutionIddPKPKdPKPdLb1ELb0ELb1EEv18rocblas_operation_llT0_T1_lllT2_lllib.kd
    .uniform_work_group_size: 1
    .uses_dynamic_stack: false
    .vgpr_count:     14
    .vgpr_spill_count: 0
    .wavefront_size: 64
  - .agpr_count:     0
    .args:
      - .offset:         0
        .size:           4
        .value_kind:     by_value
      - .offset:         8
        .size:           8
        .value_kind:     by_value
      - .offset:         16
        .size:           8
        .value_kind:     by_value
      - .offset:         24
        .size:           8
        .value_kind:     by_value
      - .address_space:  global
        .offset:         32
        .size:           8
        .value_kind:     global_buffer
      - .offset:         40
        .size:           8
        .value_kind:     by_value
      - .offset:         48
        .size:           8
        .value_kind:     by_value
      - .offset:         56
        .size:           8
        .value_kind:     by_value
      - .address_space:  global
        .offset:         64
        .size:           8
        .value_kind:     global_buffer
      - .offset:         72
        .size:           8
        .value_kind:     by_value
      - .offset:         80
        .size:           8
        .value_kind:     by_value
      - .offset:         88
        .size:           8
        .value_kind:     by_value
      - .offset:         96
        .size:           4
        .value_kind:     by_value
      - .offset:         100
        .size:           1
        .value_kind:     by_value
      - .offset:         104
        .size:           4
        .value_kind:     hidden_block_count_x
      - .offset:         108
        .size:           4
        .value_kind:     hidden_block_count_y
      - .offset:         112
        .size:           4
        .value_kind:     hidden_block_count_z
      - .offset:         116
        .size:           2
        .value_kind:     hidden_group_size_x
      - .offset:         118
        .size:           2
        .value_kind:     hidden_group_size_y
      - .offset:         120
        .size:           2
        .value_kind:     hidden_group_size_z
      - .offset:         122
        .size:           2
        .value_kind:     hidden_remainder_x
      - .offset:         124
        .size:           2
        .value_kind:     hidden_remainder_y
      - .offset:         126
        .size:           2
        .value_kind:     hidden_remainder_z
      - .offset:         144
        .size:           8
        .value_kind:     hidden_global_offset_x
      - .offset:         152
        .size:           8
        .value_kind:     hidden_global_offset_y
      - .offset:         160
        .size:           8
        .value_kind:     hidden_global_offset_z
      - .offset:         168
        .size:           2
        .value_kind:     hidden_grid_dims
      - .offset:         224
        .size:           4
        .value_kind:     hidden_dynamic_lds_size
    .group_segment_fixed_size: 0
    .kernarg_segment_align: 8
    .kernarg_segment_size: 360
    .language:       OpenCL C
    .language_version:
      - 2
      - 0
    .max_flat_workgroup_size: 1024
    .name:           _ZL40rocblas_trsm_block_backward_substitutionIddPKPKdPKPdLb1ELb0ELb1EEv18rocblas_operation_llT0_T1_lllT2_lllib
    .private_segment_fixed_size: 0
    .sgpr_count:     34
    .sgpr_spill_count: 0
    .symbol:         _ZL40rocblas_trsm_block_backward_substitutionIddPKPKdPKPdLb1ELb0ELb1EEv18rocblas_operation_llT0_T1_lllT2_lllib.kd
    .uniform_work_group_size: 1
    .uses_dynamic_stack: false
    .vgpr_count:     14
    .vgpr_spill_count: 0
    .wavefront_size: 64
  - .agpr_count:     0
    .args:
      - .address_space:  global
        .offset:         0
        .size:           8
        .value_kind:     global_buffer
      - .offset:         8
        .size:           8
        .value_kind:     by_value
      - .address_space:  global
        .offset:         16
        .size:           8
        .value_kind:     global_buffer
    .group_segment_fixed_size: 0
    .kernarg_segment_align: 8
    .kernarg_segment_size: 24
    .language:       OpenCL C
    .language_version:
      - 2
      - 0
    .max_flat_workgroup_size: 128
    .name:           _ZL26setup_batched_array_kernelILi128EdEvPT0_lPS1_
    .private_segment_fixed_size: 0
    .sgpr_count:     15
    .sgpr_spill_count: 0
    .symbol:         _ZL26setup_batched_array_kernelILi128EdEvPT0_lPS1_.kd
    .uniform_work_group_size: 1
    .uses_dynamic_stack: false
    .vgpr_count:     4
    .vgpr_spill_count: 0
    .wavefront_size: 64
  - .agpr_count:     0
    .args:
      - .offset:         0
        .size:           4
        .value_kind:     by_value
      - .offset:         4
        .size:           4
        .value_kind:     by_value
      - .address_space:  global
        .offset:         8
        .size:           8
        .value_kind:     global_buffer
      - .offset:         16
        .size:           8
        .value_kind:     by_value
      - .offset:         24
        .size:           4
        .value_kind:     by_value
      - .offset:         32
        .size:           8
        .value_kind:     by_value
      - .address_space:  global
        .offset:         40
        .size:           8
        .value_kind:     global_buffer
      - .offset:         48
        .size:           8
        .value_kind:     by_value
      - .offset:         56
        .size:           8
        .value_kind:     by_value
      - .offset:         64
        .size:           4
        .value_kind:     by_value
    .group_segment_fixed_size: 8192
    .kernarg_segment_align: 8
    .kernarg_segment_size: 68
    .language:       OpenCL C
    .language_version:
      - 2
      - 0
    .max_flat_workgroup_size: 256
    .name:           _ZL25rocblas_trtri_trsm_kernelILi128ELi16ELi8EdPKPKdPKPdEv13rocblas_fill_17rocblas_diagonal_T3_lilT4_lli
    .private_segment_fixed_size: 0
    .sgpr_count:     32
    .sgpr_spill_count: 0
    .symbol:         _ZL25rocblas_trtri_trsm_kernelILi128ELi16ELi8EdPKPKdPKPdEv13rocblas_fill_17rocblas_diagonal_T3_lilT4_lli.kd
    .uniform_work_group_size: 1
    .uses_dynamic_stack: false
    .vgpr_count:     18
    .vgpr_spill_count: 0
    .wavefront_size: 64
  - .agpr_count:     0
    .args:
      - .address_space:  global
        .offset:         0
        .size:           8
        .value_kind:     global_buffer
      - .offset:         8
        .size:           4
        .value_kind:     by_value
      - .offset:         12
        .size:           4
        .value_kind:     by_value
      - .offset:         16
        .size:           8
        .value_kind:     by_value
      - .offset:         24
        .size:           4
        .value_kind:     by_value
      - .offset:         32
        .size:           8
        .value_kind:     by_value
      - .address_space:  global
        .offset:         40
        .size:           8
        .value_kind:     global_buffer
      - .offset:         48
        .size:           8
        .value_kind:     by_value
      - .offset:         56
        .size:           8
        .value_kind:     by_value
      - .offset:         64
        .size:           4
        .value_kind:     by_value
      - .offset:         68
        .size:           4
        .value_kind:     by_value
      - .offset:         72
        .size:           4
        .value_kind:     hidden_block_count_x
      - .offset:         76
        .size:           4
        .value_kind:     hidden_block_count_y
      - .offset:         80
        .size:           4
        .value_kind:     hidden_block_count_z
      - .offset:         84
        .size:           2
        .value_kind:     hidden_group_size_x
      - .offset:         86
        .size:           2
        .value_kind:     hidden_group_size_y
      - .offset:         88
        .size:           2
        .value_kind:     hidden_group_size_z
      - .offset:         90
        .size:           2
        .value_kind:     hidden_remainder_x
      - .offset:         92
        .size:           2
        .value_kind:     hidden_remainder_y
      - .offset:         94
        .size:           2
        .value_kind:     hidden_remainder_z
      - .offset:         112
        .size:           8
        .value_kind:     hidden_global_offset_x
      - .offset:         120
        .size:           8
        .value_kind:     hidden_global_offset_y
      - .offset:         128
        .size:           8
        .value_kind:     hidden_global_offset_z
      - .offset:         136
        .size:           2
        .value_kind:     hidden_grid_dims
    .group_segment_fixed_size: 0
    .kernarg_segment_align: 8
    .kernarg_segment_size: 328
    .language:       OpenCL C
    .language_version:
      - 2
      - 0
    .max_flat_workgroup_size: 128
    .name:           _ZL18rocblas_trtri_fillILi128EdPKPdEvP15_rocblas_handle13rocblas_fill_ililT1_llii
    .private_segment_fixed_size: 0
    .sgpr_count:     43
    .sgpr_spill_count: 0
    .symbol:         _ZL18rocblas_trtri_fillILi128EdPKPdEvP15_rocblas_handle13rocblas_fill_ililT1_llii.kd
    .uniform_work_group_size: 1
    .uses_dynamic_stack: false
    .vgpr_count:     29
    .vgpr_spill_count: 0
    .wavefront_size: 64
  - .agpr_count:     0
    .args:
      - .offset:         0
        .size:           4
        .value_kind:     by_value
      - .offset:         4
        .size:           4
        .value_kind:     by_value
      - .offset:         8
        .size:           4
        .value_kind:     by_value
      - .address_space:  global
        .offset:         16
        .size:           8
        .value_kind:     global_buffer
      - .offset:         24
        .size:           4
        .value_kind:     by_value
      - .offset:         32
        .size:           8
        .value_kind:     by_value
      - .address_space:  global
        .offset:         40
        .size:           8
        .value_kind:     global_buffer
      - .offset:         48
        .size:           4
        .value_kind:     by_value
      - .offset:         56
        .size:           8
        .value_kind:     by_value
      - .offset:         64
        .size:           8
        .value_kind:     by_value
      - .offset:         72
        .size:           8
        .value_kind:     by_value
      - .offset:         80
        .size:           4
        .value_kind:     by_value
      - .offset:         88
        .size:           4
        .value_kind:     hidden_block_count_x
      - .offset:         92
        .size:           4
        .value_kind:     hidden_block_count_y
      - .offset:         96
        .size:           4
        .value_kind:     hidden_block_count_z
      - .offset:         100
        .size:           2
        .value_kind:     hidden_group_size_x
      - .offset:         102
        .size:           2
        .value_kind:     hidden_group_size_y
      - .offset:         104
        .size:           2
        .value_kind:     hidden_group_size_z
      - .offset:         106
        .size:           2
        .value_kind:     hidden_remainder_x
      - .offset:         108
        .size:           2
        .value_kind:     hidden_remainder_y
      - .offset:         110
        .size:           2
        .value_kind:     hidden_remainder_z
      - .offset:         128
        .size:           8
        .value_kind:     hidden_global_offset_x
      - .offset:         136
        .size:           8
        .value_kind:     hidden_global_offset_y
      - .offset:         144
        .size:           8
        .value_kind:     hidden_global_offset_z
      - .offset:         152
        .size:           2
        .value_kind:     hidden_grid_dims
    .group_segment_fixed_size: 0
    .kernarg_segment_align: 8
    .kernarg_segment_size: 344
    .language:       OpenCL C
    .language_version:
      - 2
      - 0
    .max_flat_workgroup_size: 1024
    .name:           _ZL24rocblas_copy_matrix_trsmILi128ELi8EdPKPKdPKPdEviiiT2_ilT3_illli
    .private_segment_fixed_size: 0
    .sgpr_count:     28
    .sgpr_spill_count: 0
    .symbol:         _ZL24rocblas_copy_matrix_trsmILi128ELi8EdPKPKdPKPdEviiiT2_ilT3_illli.kd
    .uniform_work_group_size: 1
    .uses_dynamic_stack: false
    .vgpr_count:     10
    .vgpr_spill_count: 0
    .wavefront_size: 64
  - .agpr_count:     0
    .args:
      - .offset:         0
        .size:           8
        .value_kind:     by_value
      - .offset:         8
        .size:           8
        .value_kind:     by_value
      - .offset:         16
        .size:           4
        .value_kind:     by_value
      - .address_space:  global
        .offset:         24
        .size:           8
        .value_kind:     global_buffer
      - .offset:         32
        .size:           8
        .value_kind:     by_value
      - .offset:         40
        .size:           8
        .value_kind:     by_value
      - .offset:         48
        .size:           8
        .value_kind:     by_value
      - .offset:         56
        .size:           8
        .value_kind:     by_value
      - .offset:         64
        .size:           4
        .value_kind:     by_value
    .group_segment_fixed_size: 0
    .kernarg_segment_align: 8
    .kernarg_segment_size: 68
    .language:       OpenCL C
    .language_version:
      - 2
      - 0
    .max_flat_workgroup_size: 1024
    .name:           _ZL23rocblas_set_matrix_trsmILi128ELi8E19rocblas_complex_numIfEPKPS1_EvlliT2_llT1_li
    .private_segment_fixed_size: 0
    .sgpr_count:     18
    .sgpr_spill_count: 0
    .symbol:         _ZL23rocblas_set_matrix_trsmILi128ELi8E19rocblas_complex_numIfEPKPS1_EvlliT2_llT1_li.kd
    .uniform_work_group_size: 1
    .uses_dynamic_stack: false
    .vgpr_count:     8
    .vgpr_spill_count: 0
    .wavefront_size: 64
  - .agpr_count:     0
    .args:
      - .offset:         0
        .size:           4
        .value_kind:     by_value
      - .offset:         4
        .size:           4
        .value_kind:     by_value
      - .offset:         8
        .size:           4
        .value_kind:     by_value
      - .offset:         12
        .size:           4
        .value_kind:     by_value
      - .offset:         16
        .size:           4
        .value_kind:     by_value
      - .offset:         20
        .size:           8
        .value_kind:     by_value
      - .address_space:  global
        .offset:         32
        .size:           8
        .value_kind:     global_buffer
      - .offset:         40
        .size:           8
        .value_kind:     by_value
      - .offset:         48
        .size:           4
        .value_kind:     by_value
      - .offset:         56
        .size:           8
        .value_kind:     by_value
      - .address_space:  global
        .offset:         64
        .size:           8
        .value_kind:     global_buffer
      - .offset:         72
        .size:           8
        .value_kind:     by_value
      - .offset:         80
        .size:           4
        .value_kind:     by_value
      - .offset:         88
        .size:           8
        .value_kind:     by_value
      - .offset:         96
        .size:           4
        .value_kind:     by_value
      - .offset:         104
        .size:           4
        .value_kind:     hidden_block_count_x
      - .offset:         108
        .size:           4
        .value_kind:     hidden_block_count_y
      - .offset:         112
        .size:           4
        .value_kind:     hidden_block_count_z
      - .offset:         116
        .size:           2
        .value_kind:     hidden_group_size_x
      - .offset:         118
        .size:           2
        .value_kind:     hidden_group_size_y
      - .offset:         120
        .size:           2
        .value_kind:     hidden_group_size_z
      - .offset:         122
        .size:           2
        .value_kind:     hidden_remainder_x
      - .offset:         124
        .size:           2
        .value_kind:     hidden_remainder_y
      - .offset:         126
        .size:           2
        .value_kind:     hidden_remainder_z
      - .offset:         144
        .size:           8
        .value_kind:     hidden_global_offset_x
      - .offset:         152
        .size:           8
        .value_kind:     hidden_global_offset_y
      - .offset:         160
        .size:           8
        .value_kind:     hidden_global_offset_z
      - .offset:         168
        .size:           2
        .value_kind:     hidden_grid_dims
    .group_segment_fixed_size: 256
    .kernarg_segment_align: 8
    .kernarg_segment_size: 360
    .language:       OpenCL C
    .language_version:
      - 2
      - 0
    .max_flat_workgroup_size: 4
    .name:           _ZL38rocblas_trsm_small_left_device_sharedBILi4ELi4ELb0E19rocblas_complex_numIfES1_PKPKS1_PKPS1_Ev13rocblas_fill_18rocblas_operation_17rocblas_diagonal_iiT3_T4_lilT5_lili
    .private_segment_fixed_size: 0
    .sgpr_count:     34
    .sgpr_spill_count: 0
    .symbol:         _ZL38rocblas_trsm_small_left_device_sharedBILi4ELi4ELb0E19rocblas_complex_numIfES1_PKPKS1_PKPS1_Ev13rocblas_fill_18rocblas_operation_17rocblas_diagonal_iiT3_T4_lilT5_lili.kd
    .uniform_work_group_size: 1
    .uses_dynamic_stack: false
    .vgpr_count:     29
    .vgpr_spill_count: 0
    .wavefront_size: 64
  - .agpr_count:     0
    .args:
      - .offset:         0
        .size:           4
        .value_kind:     by_value
      - .offset:         4
        .size:           4
        .value_kind:     by_value
      - .offset:         8
        .size:           4
        .value_kind:     by_value
      - .offset:         12
        .size:           4
        .value_kind:     by_value
      - .offset:         16
        .size:           4
        .value_kind:     by_value
      - .offset:         20
        .size:           8
        .value_kind:     by_value
      - .address_space:  global
        .offset:         32
        .size:           8
        .value_kind:     global_buffer
      - .offset:         40
        .size:           8
        .value_kind:     by_value
      - .offset:         48
        .size:           4
        .value_kind:     by_value
      - .offset:         56
        .size:           8
        .value_kind:     by_value
      - .address_space:  global
        .offset:         64
        .size:           8
        .value_kind:     global_buffer
      - .offset:         72
        .size:           8
        .value_kind:     by_value
      - .offset:         80
        .size:           4
        .value_kind:     by_value
      - .offset:         88
        .size:           8
        .value_kind:     by_value
      - .offset:         96
        .size:           4
        .value_kind:     by_value
      - .offset:         104
        .size:           4
        .value_kind:     hidden_block_count_x
      - .offset:         108
        .size:           4
        .value_kind:     hidden_block_count_y
      - .offset:         112
        .size:           4
        .value_kind:     hidden_block_count_z
      - .offset:         116
        .size:           2
        .value_kind:     hidden_group_size_x
      - .offset:         118
        .size:           2
        .value_kind:     hidden_group_size_y
      - .offset:         120
        .size:           2
        .value_kind:     hidden_group_size_z
      - .offset:         122
        .size:           2
        .value_kind:     hidden_remainder_x
      - .offset:         124
        .size:           2
        .value_kind:     hidden_remainder_y
      - .offset:         126
        .size:           2
        .value_kind:     hidden_remainder_z
      - .offset:         144
        .size:           8
        .value_kind:     hidden_global_offset_x
      - .offset:         152
        .size:           8
        .value_kind:     hidden_global_offset_y
      - .offset:         160
        .size:           8
        .value_kind:     hidden_global_offset_z
      - .offset:         168
        .size:           2
        .value_kind:     hidden_grid_dims
    .group_segment_fixed_size: 256
    .kernarg_segment_align: 8
    .kernarg_segment_size: 360
    .language:       OpenCL C
    .language_version:
      - 2
      - 0
    .max_flat_workgroup_size: 4
    .name:           _ZL30rocblas_trsm_small_left_deviceILi4ELi4ELb0E19rocblas_complex_numIfES1_PKPKS1_PKPS1_Ev13rocblas_fill_18rocblas_operation_17rocblas_diagonal_iiT3_T4_lilT5_lili
    .private_segment_fixed_size: 0
    .sgpr_count:     47
    .sgpr_spill_count: 0
    .symbol:         _ZL30rocblas_trsm_small_left_deviceILi4ELi4ELb0E19rocblas_complex_numIfES1_PKPKS1_PKPS1_Ev13rocblas_fill_18rocblas_operation_17rocblas_diagonal_iiT3_T4_lilT5_lili.kd
    .uniform_work_group_size: 1
    .uses_dynamic_stack: false
    .vgpr_count:     28
    .vgpr_spill_count: 0
    .wavefront_size: 64
  - .agpr_count:     0
    .args:
      - .offset:         0
        .size:           4
        .value_kind:     by_value
      - .offset:         4
        .size:           4
        .value_kind:     by_value
      - .offset:         8
        .size:           4
        .value_kind:     by_value
      - .offset:         12
        .size:           4
        .value_kind:     by_value
      - .offset:         16
        .size:           4
        .value_kind:     by_value
      - .offset:         20
        .size:           8
        .value_kind:     by_value
      - .address_space:  global
        .offset:         32
        .size:           8
        .value_kind:     global_buffer
      - .offset:         40
        .size:           8
        .value_kind:     by_value
      - .offset:         48
        .size:           4
        .value_kind:     by_value
      - .offset:         56
        .size:           8
        .value_kind:     by_value
      - .address_space:  global
        .offset:         64
        .size:           8
        .value_kind:     global_buffer
      - .offset:         72
        .size:           8
        .value_kind:     by_value
      - .offset:         80
        .size:           4
        .value_kind:     by_value
      - .offset:         88
        .size:           8
        .value_kind:     by_value
      - .offset:         96
        .size:           4
        .value_kind:     by_value
      - .offset:         104
        .size:           4
        .value_kind:     hidden_block_count_x
      - .offset:         108
        .size:           4
        .value_kind:     hidden_block_count_y
      - .offset:         112
        .size:           4
        .value_kind:     hidden_block_count_z
      - .offset:         116
        .size:           2
        .value_kind:     hidden_group_size_x
      - .offset:         118
        .size:           2
        .value_kind:     hidden_group_size_y
      - .offset:         120
        .size:           2
        .value_kind:     hidden_group_size_z
      - .offset:         122
        .size:           2
        .value_kind:     hidden_remainder_x
      - .offset:         124
        .size:           2
        .value_kind:     hidden_remainder_y
      - .offset:         126
        .size:           2
        .value_kind:     hidden_remainder_z
      - .offset:         144
        .size:           8
        .value_kind:     hidden_global_offset_x
      - .offset:         152
        .size:           8
        .value_kind:     hidden_global_offset_y
      - .offset:         160
        .size:           8
        .value_kind:     hidden_global_offset_z
      - .offset:         168
        .size:           2
        .value_kind:     hidden_grid_dims
    .group_segment_fixed_size: 256
    .kernarg_segment_align: 8
    .kernarg_segment_size: 360
    .language:       OpenCL C
    .language_version:
      - 2
      - 0
    .max_flat_workgroup_size: 4
    .name:           _ZL38rocblas_trsm_small_left_device_sharedBILi4ELi4ELb1E19rocblas_complex_numIfES1_PKPKS1_PKPS1_Ev13rocblas_fill_18rocblas_operation_17rocblas_diagonal_iiT3_T4_lilT5_lili
    .private_segment_fixed_size: 0
    .sgpr_count:     34
    .sgpr_spill_count: 0
    .symbol:         _ZL38rocblas_trsm_small_left_device_sharedBILi4ELi4ELb1E19rocblas_complex_numIfES1_PKPKS1_PKPS1_Ev13rocblas_fill_18rocblas_operation_17rocblas_diagonal_iiT3_T4_lilT5_lili.kd
    .uniform_work_group_size: 1
    .uses_dynamic_stack: false
    .vgpr_count:     30
    .vgpr_spill_count: 0
    .wavefront_size: 64
  - .agpr_count:     0
    .args:
      - .offset:         0
        .size:           4
        .value_kind:     by_value
      - .offset:         4
        .size:           4
        .value_kind:     by_value
      - .offset:         8
        .size:           4
        .value_kind:     by_value
      - .offset:         12
        .size:           4
        .value_kind:     by_value
      - .offset:         16
        .size:           4
        .value_kind:     by_value
      - .offset:         20
        .size:           8
        .value_kind:     by_value
      - .address_space:  global
        .offset:         32
        .size:           8
        .value_kind:     global_buffer
      - .offset:         40
        .size:           8
        .value_kind:     by_value
      - .offset:         48
        .size:           4
        .value_kind:     by_value
      - .offset:         56
        .size:           8
        .value_kind:     by_value
      - .address_space:  global
        .offset:         64
        .size:           8
        .value_kind:     global_buffer
      - .offset:         72
        .size:           8
        .value_kind:     by_value
      - .offset:         80
        .size:           4
        .value_kind:     by_value
      - .offset:         88
        .size:           8
        .value_kind:     by_value
      - .offset:         96
        .size:           4
        .value_kind:     by_value
      - .offset:         104
        .size:           4
        .value_kind:     hidden_block_count_x
      - .offset:         108
        .size:           4
        .value_kind:     hidden_block_count_y
      - .offset:         112
        .size:           4
        .value_kind:     hidden_block_count_z
      - .offset:         116
        .size:           2
        .value_kind:     hidden_group_size_x
      - .offset:         118
        .size:           2
        .value_kind:     hidden_group_size_y
      - .offset:         120
        .size:           2
        .value_kind:     hidden_group_size_z
      - .offset:         122
        .size:           2
        .value_kind:     hidden_remainder_x
      - .offset:         124
        .size:           2
        .value_kind:     hidden_remainder_y
      - .offset:         126
        .size:           2
        .value_kind:     hidden_remainder_z
      - .offset:         144
        .size:           8
        .value_kind:     hidden_global_offset_x
      - .offset:         152
        .size:           8
        .value_kind:     hidden_global_offset_y
      - .offset:         160
        .size:           8
        .value_kind:     hidden_global_offset_z
      - .offset:         168
        .size:           2
        .value_kind:     hidden_grid_dims
    .group_segment_fixed_size: 256
    .kernarg_segment_align: 8
    .kernarg_segment_size: 360
    .language:       OpenCL C
    .language_version:
      - 2
      - 0
    .max_flat_workgroup_size: 4
    .name:           _ZL30rocblas_trsm_small_left_deviceILi4ELi4ELb1E19rocblas_complex_numIfES1_PKPKS1_PKPS1_Ev13rocblas_fill_18rocblas_operation_17rocblas_diagonal_iiT3_T4_lilT5_lili
    .private_segment_fixed_size: 0
    .sgpr_count:     50
    .sgpr_spill_count: 0
    .symbol:         _ZL30rocblas_trsm_small_left_deviceILi4ELi4ELb1E19rocblas_complex_numIfES1_PKPKS1_PKPS1_Ev13rocblas_fill_18rocblas_operation_17rocblas_diagonal_iiT3_T4_lilT5_lili.kd
    .uniform_work_group_size: 1
    .uses_dynamic_stack: false
    .vgpr_count:     28
    .vgpr_spill_count: 0
    .wavefront_size: 64
  - .agpr_count:     0
    .args:
      - .offset:         0
        .size:           4
        .value_kind:     by_value
      - .offset:         4
        .size:           4
        .value_kind:     by_value
      - .offset:         8
        .size:           4
        .value_kind:     by_value
      - .offset:         12
        .size:           4
        .value_kind:     by_value
      - .offset:         16
        .size:           4
        .value_kind:     by_value
      - .offset:         20
        .size:           8
        .value_kind:     by_value
      - .address_space:  global
        .offset:         32
        .size:           8
        .value_kind:     global_buffer
      - .offset:         40
        .size:           8
        .value_kind:     by_value
      - .offset:         48
        .size:           4
        .value_kind:     by_value
      - .offset:         56
        .size:           8
        .value_kind:     by_value
      - .address_space:  global
        .offset:         64
        .size:           8
        .value_kind:     global_buffer
      - .offset:         72
        .size:           8
        .value_kind:     by_value
      - .offset:         80
        .size:           4
        .value_kind:     by_value
      - .offset:         88
        .size:           8
        .value_kind:     by_value
      - .offset:         96
        .size:           4
        .value_kind:     by_value
      - .offset:         104
        .size:           4
        .value_kind:     hidden_block_count_x
      - .offset:         108
        .size:           4
        .value_kind:     hidden_block_count_y
      - .offset:         112
        .size:           4
        .value_kind:     hidden_block_count_z
      - .offset:         116
        .size:           2
        .value_kind:     hidden_group_size_x
      - .offset:         118
        .size:           2
        .value_kind:     hidden_group_size_y
      - .offset:         120
        .size:           2
        .value_kind:     hidden_group_size_z
      - .offset:         122
        .size:           2
        .value_kind:     hidden_remainder_x
      - .offset:         124
        .size:           2
        .value_kind:     hidden_remainder_y
      - .offset:         126
        .size:           2
        .value_kind:     hidden_remainder_z
      - .offset:         144
        .size:           8
        .value_kind:     hidden_global_offset_x
      - .offset:         152
        .size:           8
        .value_kind:     hidden_global_offset_y
      - .offset:         160
        .size:           8
        .value_kind:     hidden_global_offset_z
      - .offset:         168
        .size:           2
        .value_kind:     hidden_grid_dims
    .group_segment_fixed_size: 256
    .kernarg_segment_align: 8
    .kernarg_segment_size: 360
    .language:       OpenCL C
    .language_version:
      - 2
      - 0
    .max_flat_workgroup_size: 4
    .name:           _ZL31rocblas_trsm_small_right_deviceI19rocblas_complex_numIfES1_PKPKS1_PKPS1_Li4EEv13rocblas_fill_18rocblas_operation_17rocblas_diagonal_iiT0_T1_lilT2_lili
    .private_segment_fixed_size: 0
    .sgpr_count:     36
    .sgpr_spill_count: 0
    .symbol:         _ZL31rocblas_trsm_small_right_deviceI19rocblas_complex_numIfES1_PKPKS1_PKPS1_Li4EEv13rocblas_fill_18rocblas_operation_17rocblas_diagonal_iiT0_T1_lilT2_lili.kd
    .uniform_work_group_size: 1
    .uses_dynamic_stack: false
    .vgpr_count:     24
    .vgpr_spill_count: 0
    .wavefront_size: 64
  - .agpr_count:     0
    .args:
      - .offset:         0
        .size:           4
        .value_kind:     by_value
      - .offset:         4
        .size:           4
        .value_kind:     by_value
      - .offset:         8
        .size:           4
        .value_kind:     by_value
      - .offset:         12
        .size:           4
        .value_kind:     by_value
      - .offset:         16
        .size:           4
        .value_kind:     by_value
      - .offset:         20
        .size:           8
        .value_kind:     by_value
      - .address_space:  global
        .offset:         32
        .size:           8
        .value_kind:     global_buffer
      - .offset:         40
        .size:           8
        .value_kind:     by_value
      - .offset:         48
        .size:           4
        .value_kind:     by_value
      - .offset:         56
        .size:           8
        .value_kind:     by_value
      - .address_space:  global
        .offset:         64
        .size:           8
        .value_kind:     global_buffer
      - .offset:         72
        .size:           8
        .value_kind:     by_value
      - .offset:         80
        .size:           4
        .value_kind:     by_value
      - .offset:         88
        .size:           8
        .value_kind:     by_value
      - .offset:         96
        .size:           4
        .value_kind:     by_value
      - .offset:         104
        .size:           4
        .value_kind:     hidden_block_count_x
      - .offset:         108
        .size:           4
        .value_kind:     hidden_block_count_y
      - .offset:         112
        .size:           4
        .value_kind:     hidden_block_count_z
      - .offset:         116
        .size:           2
        .value_kind:     hidden_group_size_x
      - .offset:         118
        .size:           2
        .value_kind:     hidden_group_size_y
      - .offset:         120
        .size:           2
        .value_kind:     hidden_group_size_z
      - .offset:         122
        .size:           2
        .value_kind:     hidden_remainder_x
      - .offset:         124
        .size:           2
        .value_kind:     hidden_remainder_y
      - .offset:         126
        .size:           2
        .value_kind:     hidden_remainder_z
      - .offset:         144
        .size:           8
        .value_kind:     hidden_global_offset_x
      - .offset:         152
        .size:           8
        .value_kind:     hidden_global_offset_y
      - .offset:         160
        .size:           8
        .value_kind:     hidden_global_offset_z
      - .offset:         168
        .size:           2
        .value_kind:     hidden_grid_dims
    .group_segment_fixed_size: 1024
    .kernarg_segment_align: 8
    .kernarg_segment_size: 360
    .language:       OpenCL C
    .language_version:
      - 2
      - 0
    .max_flat_workgroup_size: 8
    .name:           _ZL38rocblas_trsm_small_left_device_sharedBILi8ELi8ELb0E19rocblas_complex_numIfES1_PKPKS1_PKPS1_Ev13rocblas_fill_18rocblas_operation_17rocblas_diagonal_iiT3_T4_lilT5_lili
    .private_segment_fixed_size: 0
    .sgpr_count:     34
    .sgpr_spill_count: 0
    .symbol:         _ZL38rocblas_trsm_small_left_device_sharedBILi8ELi8ELb0E19rocblas_complex_numIfES1_PKPKS1_PKPS1_Ev13rocblas_fill_18rocblas_operation_17rocblas_diagonal_iiT3_T4_lilT5_lili.kd
    .uniform_work_group_size: 1
    .uses_dynamic_stack: false
    .vgpr_count:     82
    .vgpr_spill_count: 0
    .wavefront_size: 64
  - .agpr_count:     0
    .args:
      - .offset:         0
        .size:           4
        .value_kind:     by_value
      - .offset:         4
        .size:           4
        .value_kind:     by_value
      - .offset:         8
        .size:           4
        .value_kind:     by_value
      - .offset:         12
        .size:           4
        .value_kind:     by_value
      - .offset:         16
        .size:           4
        .value_kind:     by_value
      - .offset:         20
        .size:           8
        .value_kind:     by_value
      - .address_space:  global
        .offset:         32
        .size:           8
        .value_kind:     global_buffer
      - .offset:         40
        .size:           8
        .value_kind:     by_value
      - .offset:         48
        .size:           4
        .value_kind:     by_value
      - .offset:         56
        .size:           8
        .value_kind:     by_value
      - .address_space:  global
        .offset:         64
        .size:           8
        .value_kind:     global_buffer
      - .offset:         72
        .size:           8
        .value_kind:     by_value
      - .offset:         80
        .size:           4
        .value_kind:     by_value
      - .offset:         88
        .size:           8
        .value_kind:     by_value
      - .offset:         96
        .size:           4
        .value_kind:     by_value
      - .offset:         104
        .size:           4
        .value_kind:     hidden_block_count_x
      - .offset:         108
        .size:           4
        .value_kind:     hidden_block_count_y
      - .offset:         112
        .size:           4
        .value_kind:     hidden_block_count_z
      - .offset:         116
        .size:           2
        .value_kind:     hidden_group_size_x
      - .offset:         118
        .size:           2
        .value_kind:     hidden_group_size_y
      - .offset:         120
        .size:           2
        .value_kind:     hidden_group_size_z
      - .offset:         122
        .size:           2
        .value_kind:     hidden_remainder_x
      - .offset:         124
        .size:           2
        .value_kind:     hidden_remainder_y
      - .offset:         126
        .size:           2
        .value_kind:     hidden_remainder_z
      - .offset:         144
        .size:           8
        .value_kind:     hidden_global_offset_x
      - .offset:         152
        .size:           8
        .value_kind:     hidden_global_offset_y
      - .offset:         160
        .size:           8
        .value_kind:     hidden_global_offset_z
      - .offset:         168
        .size:           2
        .value_kind:     hidden_grid_dims
    .group_segment_fixed_size: 1024
    .kernarg_segment_align: 8
    .kernarg_segment_size: 360
    .language:       OpenCL C
    .language_version:
      - 2
      - 0
    .max_flat_workgroup_size: 8
    .name:           _ZL30rocblas_trsm_small_left_deviceILi8ELi8ELb0E19rocblas_complex_numIfES1_PKPKS1_PKPS1_Ev13rocblas_fill_18rocblas_operation_17rocblas_diagonal_iiT3_T4_lilT5_lili
    .private_segment_fixed_size: 0
    .sgpr_count:     47
    .sgpr_spill_count: 0
    .symbol:         _ZL30rocblas_trsm_small_left_deviceILi8ELi8ELb0E19rocblas_complex_numIfES1_PKPKS1_PKPS1_Ev13rocblas_fill_18rocblas_operation_17rocblas_diagonal_iiT3_T4_lilT5_lili.kd
    .uniform_work_group_size: 1
    .uses_dynamic_stack: false
    .vgpr_count:     28
    .vgpr_spill_count: 0
    .wavefront_size: 64
  - .agpr_count:     0
    .args:
      - .offset:         0
        .size:           4
        .value_kind:     by_value
      - .offset:         4
        .size:           4
        .value_kind:     by_value
      - .offset:         8
        .size:           4
        .value_kind:     by_value
      - .offset:         12
        .size:           4
        .value_kind:     by_value
      - .offset:         16
        .size:           4
        .value_kind:     by_value
      - .offset:         20
        .size:           8
        .value_kind:     by_value
      - .address_space:  global
        .offset:         32
        .size:           8
        .value_kind:     global_buffer
      - .offset:         40
        .size:           8
        .value_kind:     by_value
      - .offset:         48
        .size:           4
        .value_kind:     by_value
      - .offset:         56
        .size:           8
        .value_kind:     by_value
      - .address_space:  global
        .offset:         64
        .size:           8
        .value_kind:     global_buffer
      - .offset:         72
        .size:           8
        .value_kind:     by_value
      - .offset:         80
        .size:           4
        .value_kind:     by_value
      - .offset:         88
        .size:           8
        .value_kind:     by_value
      - .offset:         96
        .size:           4
        .value_kind:     by_value
      - .offset:         104
        .size:           4
        .value_kind:     hidden_block_count_x
      - .offset:         108
        .size:           4
        .value_kind:     hidden_block_count_y
      - .offset:         112
        .size:           4
        .value_kind:     hidden_block_count_z
      - .offset:         116
        .size:           2
        .value_kind:     hidden_group_size_x
      - .offset:         118
        .size:           2
        .value_kind:     hidden_group_size_y
      - .offset:         120
        .size:           2
        .value_kind:     hidden_group_size_z
      - .offset:         122
        .size:           2
        .value_kind:     hidden_remainder_x
      - .offset:         124
        .size:           2
        .value_kind:     hidden_remainder_y
      - .offset:         126
        .size:           2
        .value_kind:     hidden_remainder_z
      - .offset:         144
        .size:           8
        .value_kind:     hidden_global_offset_x
      - .offset:         152
        .size:           8
        .value_kind:     hidden_global_offset_y
      - .offset:         160
        .size:           8
        .value_kind:     hidden_global_offset_z
      - .offset:         168
        .size:           2
        .value_kind:     hidden_grid_dims
    .group_segment_fixed_size: 1024
    .kernarg_segment_align: 8
    .kernarg_segment_size: 360
    .language:       OpenCL C
    .language_version:
      - 2
      - 0
    .max_flat_workgroup_size: 8
    .name:           _ZL38rocblas_trsm_small_left_device_sharedBILi8ELi8ELb1E19rocblas_complex_numIfES1_PKPKS1_PKPS1_Ev13rocblas_fill_18rocblas_operation_17rocblas_diagonal_iiT3_T4_lilT5_lili
    .private_segment_fixed_size: 0
    .sgpr_count:     34
    .sgpr_spill_count: 0
    .symbol:         _ZL38rocblas_trsm_small_left_device_sharedBILi8ELi8ELb1E19rocblas_complex_numIfES1_PKPKS1_PKPS1_Ev13rocblas_fill_18rocblas_operation_17rocblas_diagonal_iiT3_T4_lilT5_lili.kd
    .uniform_work_group_size: 1
    .uses_dynamic_stack: false
    .vgpr_count:     57
    .vgpr_spill_count: 0
    .wavefront_size: 64
  - .agpr_count:     0
    .args:
      - .offset:         0
        .size:           4
        .value_kind:     by_value
      - .offset:         4
        .size:           4
        .value_kind:     by_value
      - .offset:         8
        .size:           4
        .value_kind:     by_value
      - .offset:         12
        .size:           4
        .value_kind:     by_value
      - .offset:         16
        .size:           4
        .value_kind:     by_value
      - .offset:         20
        .size:           8
        .value_kind:     by_value
      - .address_space:  global
        .offset:         32
        .size:           8
        .value_kind:     global_buffer
      - .offset:         40
        .size:           8
        .value_kind:     by_value
      - .offset:         48
        .size:           4
        .value_kind:     by_value
      - .offset:         56
        .size:           8
        .value_kind:     by_value
      - .address_space:  global
        .offset:         64
        .size:           8
        .value_kind:     global_buffer
      - .offset:         72
        .size:           8
        .value_kind:     by_value
      - .offset:         80
        .size:           4
        .value_kind:     by_value
      - .offset:         88
        .size:           8
        .value_kind:     by_value
      - .offset:         96
        .size:           4
        .value_kind:     by_value
      - .offset:         104
        .size:           4
        .value_kind:     hidden_block_count_x
      - .offset:         108
        .size:           4
        .value_kind:     hidden_block_count_y
      - .offset:         112
        .size:           4
        .value_kind:     hidden_block_count_z
      - .offset:         116
        .size:           2
        .value_kind:     hidden_group_size_x
      - .offset:         118
        .size:           2
        .value_kind:     hidden_group_size_y
      - .offset:         120
        .size:           2
        .value_kind:     hidden_group_size_z
      - .offset:         122
        .size:           2
        .value_kind:     hidden_remainder_x
      - .offset:         124
        .size:           2
        .value_kind:     hidden_remainder_y
      - .offset:         126
        .size:           2
        .value_kind:     hidden_remainder_z
      - .offset:         144
        .size:           8
        .value_kind:     hidden_global_offset_x
      - .offset:         152
        .size:           8
        .value_kind:     hidden_global_offset_y
      - .offset:         160
        .size:           8
        .value_kind:     hidden_global_offset_z
      - .offset:         168
        .size:           2
        .value_kind:     hidden_grid_dims
    .group_segment_fixed_size: 1024
    .kernarg_segment_align: 8
    .kernarg_segment_size: 360
    .language:       OpenCL C
    .language_version:
      - 2
      - 0
    .max_flat_workgroup_size: 8
    .name:           _ZL30rocblas_trsm_small_left_deviceILi8ELi8ELb1E19rocblas_complex_numIfES1_PKPKS1_PKPS1_Ev13rocblas_fill_18rocblas_operation_17rocblas_diagonal_iiT3_T4_lilT5_lili
    .private_segment_fixed_size: 0
    .sgpr_count:     50
    .sgpr_spill_count: 0
    .symbol:         _ZL30rocblas_trsm_small_left_deviceILi8ELi8ELb1E19rocblas_complex_numIfES1_PKPKS1_PKPS1_Ev13rocblas_fill_18rocblas_operation_17rocblas_diagonal_iiT3_T4_lilT5_lili.kd
    .uniform_work_group_size: 1
    .uses_dynamic_stack: false
    .vgpr_count:     28
    .vgpr_spill_count: 0
    .wavefront_size: 64
  - .agpr_count:     0
    .args:
      - .offset:         0
        .size:           4
        .value_kind:     by_value
      - .offset:         4
        .size:           4
        .value_kind:     by_value
      - .offset:         8
        .size:           4
        .value_kind:     by_value
      - .offset:         12
        .size:           4
        .value_kind:     by_value
      - .offset:         16
        .size:           4
        .value_kind:     by_value
      - .offset:         20
        .size:           8
        .value_kind:     by_value
      - .address_space:  global
        .offset:         32
        .size:           8
        .value_kind:     global_buffer
      - .offset:         40
        .size:           8
        .value_kind:     by_value
      - .offset:         48
        .size:           4
        .value_kind:     by_value
      - .offset:         56
        .size:           8
        .value_kind:     by_value
      - .address_space:  global
        .offset:         64
        .size:           8
        .value_kind:     global_buffer
      - .offset:         72
        .size:           8
        .value_kind:     by_value
      - .offset:         80
        .size:           4
        .value_kind:     by_value
      - .offset:         88
        .size:           8
        .value_kind:     by_value
      - .offset:         96
        .size:           4
        .value_kind:     by_value
      - .offset:         104
        .size:           4
        .value_kind:     hidden_block_count_x
      - .offset:         108
        .size:           4
        .value_kind:     hidden_block_count_y
      - .offset:         112
        .size:           4
        .value_kind:     hidden_block_count_z
      - .offset:         116
        .size:           2
        .value_kind:     hidden_group_size_x
      - .offset:         118
        .size:           2
        .value_kind:     hidden_group_size_y
      - .offset:         120
        .size:           2
        .value_kind:     hidden_group_size_z
      - .offset:         122
        .size:           2
        .value_kind:     hidden_remainder_x
      - .offset:         124
        .size:           2
        .value_kind:     hidden_remainder_y
      - .offset:         126
        .size:           2
        .value_kind:     hidden_remainder_z
      - .offset:         144
        .size:           8
        .value_kind:     hidden_global_offset_x
      - .offset:         152
        .size:           8
        .value_kind:     hidden_global_offset_y
      - .offset:         160
        .size:           8
        .value_kind:     hidden_global_offset_z
      - .offset:         168
        .size:           2
        .value_kind:     hidden_grid_dims
    .group_segment_fixed_size: 1024
    .kernarg_segment_align: 8
    .kernarg_segment_size: 360
    .language:       OpenCL C
    .language_version:
      - 2
      - 0
    .max_flat_workgroup_size: 8
    .name:           _ZL31rocblas_trsm_small_right_deviceI19rocblas_complex_numIfES1_PKPKS1_PKPS1_Li8EEv13rocblas_fill_18rocblas_operation_17rocblas_diagonal_iiT0_T1_lilT2_lili
    .private_segment_fixed_size: 0
    .sgpr_count:     36
    .sgpr_spill_count: 0
    .symbol:         _ZL31rocblas_trsm_small_right_deviceI19rocblas_complex_numIfES1_PKPKS1_PKPS1_Li8EEv13rocblas_fill_18rocblas_operation_17rocblas_diagonal_iiT0_T1_lilT2_lili.kd
    .uniform_work_group_size: 1
    .uses_dynamic_stack: false
    .vgpr_count:     34
    .vgpr_spill_count: 0
    .wavefront_size: 64
  - .agpr_count:     0
    .args:
      - .offset:         0
        .size:           4
        .value_kind:     by_value
      - .offset:         4
        .size:           4
        .value_kind:     by_value
      - .offset:         8
        .size:           4
        .value_kind:     by_value
      - .offset:         12
        .size:           4
        .value_kind:     by_value
      - .offset:         16
        .size:           4
        .value_kind:     by_value
      - .offset:         20
        .size:           8
        .value_kind:     by_value
      - .address_space:  global
        .offset:         32
        .size:           8
        .value_kind:     global_buffer
      - .offset:         40
        .size:           8
        .value_kind:     by_value
      - .offset:         48
        .size:           4
        .value_kind:     by_value
      - .offset:         56
        .size:           8
        .value_kind:     by_value
      - .address_space:  global
        .offset:         64
        .size:           8
        .value_kind:     global_buffer
      - .offset:         72
        .size:           8
        .value_kind:     by_value
      - .offset:         80
        .size:           4
        .value_kind:     by_value
      - .offset:         88
        .size:           8
        .value_kind:     by_value
      - .offset:         96
        .size:           4
        .value_kind:     by_value
      - .offset:         104
        .size:           4
        .value_kind:     hidden_block_count_x
      - .offset:         108
        .size:           4
        .value_kind:     hidden_block_count_y
      - .offset:         112
        .size:           4
        .value_kind:     hidden_block_count_z
      - .offset:         116
        .size:           2
        .value_kind:     hidden_group_size_x
      - .offset:         118
        .size:           2
        .value_kind:     hidden_group_size_y
      - .offset:         120
        .size:           2
        .value_kind:     hidden_group_size_z
      - .offset:         122
        .size:           2
        .value_kind:     hidden_remainder_x
      - .offset:         124
        .size:           2
        .value_kind:     hidden_remainder_y
      - .offset:         126
        .size:           2
        .value_kind:     hidden_remainder_z
      - .offset:         144
        .size:           8
        .value_kind:     hidden_global_offset_x
      - .offset:         152
        .size:           8
        .value_kind:     hidden_global_offset_y
      - .offset:         160
        .size:           8
        .value_kind:     hidden_global_offset_z
      - .offset:         168
        .size:           2
        .value_kind:     hidden_grid_dims
    .group_segment_fixed_size: 3456
    .kernarg_segment_align: 8
    .kernarg_segment_size: 360
    .language:       OpenCL C
    .language_version:
      - 2
      - 0
    .max_flat_workgroup_size: 12
    .name:           _ZL38rocblas_trsm_small_left_device_sharedBILi12ELi12ELb0E19rocblas_complex_numIfES1_PKPKS1_PKPS1_Ev13rocblas_fill_18rocblas_operation_17rocblas_diagonal_iiT3_T4_lilT5_lili
    .private_segment_fixed_size: 0
    .sgpr_count:     42
    .sgpr_spill_count: 0
    .symbol:         _ZL38rocblas_trsm_small_left_device_sharedBILi12ELi12ELb0E19rocblas_complex_numIfES1_PKPKS1_PKPS1_Ev13rocblas_fill_18rocblas_operation_17rocblas_diagonal_iiT3_T4_lilT5_lili.kd
    .uniform_work_group_size: 1
    .uses_dynamic_stack: false
    .vgpr_count:     24
    .vgpr_spill_count: 0
    .wavefront_size: 64
  - .agpr_count:     0
    .args:
      - .offset:         0
        .size:           4
        .value_kind:     by_value
      - .offset:         4
        .size:           4
        .value_kind:     by_value
      - .offset:         8
        .size:           4
        .value_kind:     by_value
      - .offset:         12
        .size:           4
        .value_kind:     by_value
      - .offset:         16
        .size:           4
        .value_kind:     by_value
      - .offset:         20
        .size:           8
        .value_kind:     by_value
      - .address_space:  global
        .offset:         32
        .size:           8
        .value_kind:     global_buffer
      - .offset:         40
        .size:           8
        .value_kind:     by_value
      - .offset:         48
        .size:           4
        .value_kind:     by_value
      - .offset:         56
        .size:           8
        .value_kind:     by_value
      - .address_space:  global
        .offset:         64
        .size:           8
        .value_kind:     global_buffer
      - .offset:         72
        .size:           8
        .value_kind:     by_value
      - .offset:         80
        .size:           4
        .value_kind:     by_value
      - .offset:         88
        .size:           8
        .value_kind:     by_value
      - .offset:         96
        .size:           4
        .value_kind:     by_value
      - .offset:         104
        .size:           4
        .value_kind:     hidden_block_count_x
      - .offset:         108
        .size:           4
        .value_kind:     hidden_block_count_y
      - .offset:         112
        .size:           4
        .value_kind:     hidden_block_count_z
      - .offset:         116
        .size:           2
        .value_kind:     hidden_group_size_x
      - .offset:         118
        .size:           2
        .value_kind:     hidden_group_size_y
      - .offset:         120
        .size:           2
        .value_kind:     hidden_group_size_z
      - .offset:         122
        .size:           2
        .value_kind:     hidden_remainder_x
      - .offset:         124
        .size:           2
        .value_kind:     hidden_remainder_y
      - .offset:         126
        .size:           2
        .value_kind:     hidden_remainder_z
      - .offset:         144
        .size:           8
        .value_kind:     hidden_global_offset_x
      - .offset:         152
        .size:           8
        .value_kind:     hidden_global_offset_y
      - .offset:         160
        .size:           8
        .value_kind:     hidden_global_offset_z
      - .offset:         168
        .size:           2
        .value_kind:     hidden_grid_dims
    .group_segment_fixed_size: 2304
    .kernarg_segment_align: 8
    .kernarg_segment_size: 360
    .language:       OpenCL C
    .language_version:
      - 2
      - 0
    .max_flat_workgroup_size: 12
    .name:           _ZL30rocblas_trsm_small_left_deviceILi12ELi12ELb0E19rocblas_complex_numIfES1_PKPKS1_PKPS1_Ev13rocblas_fill_18rocblas_operation_17rocblas_diagonal_iiT3_T4_lilT5_lili
    .private_segment_fixed_size: 0
    .sgpr_count:     47
    .sgpr_spill_count: 0
    .symbol:         _ZL30rocblas_trsm_small_left_deviceILi12ELi12ELb0E19rocblas_complex_numIfES1_PKPKS1_PKPS1_Ev13rocblas_fill_18rocblas_operation_17rocblas_diagonal_iiT3_T4_lilT5_lili.kd
    .uniform_work_group_size: 1
    .uses_dynamic_stack: false
    .vgpr_count:     28
    .vgpr_spill_count: 0
    .wavefront_size: 64
  - .agpr_count:     0
    .args:
      - .offset:         0
        .size:           4
        .value_kind:     by_value
      - .offset:         4
        .size:           4
        .value_kind:     by_value
      - .offset:         8
        .size:           4
        .value_kind:     by_value
      - .offset:         12
        .size:           4
        .value_kind:     by_value
      - .offset:         16
        .size:           4
        .value_kind:     by_value
      - .offset:         20
        .size:           8
        .value_kind:     by_value
      - .address_space:  global
        .offset:         32
        .size:           8
        .value_kind:     global_buffer
      - .offset:         40
        .size:           8
        .value_kind:     by_value
      - .offset:         48
        .size:           4
        .value_kind:     by_value
      - .offset:         56
        .size:           8
        .value_kind:     by_value
      - .address_space:  global
        .offset:         64
        .size:           8
        .value_kind:     global_buffer
      - .offset:         72
        .size:           8
        .value_kind:     by_value
      - .offset:         80
        .size:           4
        .value_kind:     by_value
      - .offset:         88
        .size:           8
        .value_kind:     by_value
      - .offset:         96
        .size:           4
        .value_kind:     by_value
      - .offset:         104
        .size:           4
        .value_kind:     hidden_block_count_x
      - .offset:         108
        .size:           4
        .value_kind:     hidden_block_count_y
      - .offset:         112
        .size:           4
        .value_kind:     hidden_block_count_z
      - .offset:         116
        .size:           2
        .value_kind:     hidden_group_size_x
      - .offset:         118
        .size:           2
        .value_kind:     hidden_group_size_y
      - .offset:         120
        .size:           2
        .value_kind:     hidden_group_size_z
      - .offset:         122
        .size:           2
        .value_kind:     hidden_remainder_x
      - .offset:         124
        .size:           2
        .value_kind:     hidden_remainder_y
      - .offset:         126
        .size:           2
        .value_kind:     hidden_remainder_z
      - .offset:         144
        .size:           8
        .value_kind:     hidden_global_offset_x
      - .offset:         152
        .size:           8
        .value_kind:     hidden_global_offset_y
      - .offset:         160
        .size:           8
        .value_kind:     hidden_global_offset_z
      - .offset:         168
        .size:           2
        .value_kind:     hidden_grid_dims
    .group_segment_fixed_size: 3456
    .kernarg_segment_align: 8
    .kernarg_segment_size: 360
    .language:       OpenCL C
    .language_version:
      - 2
      - 0
    .max_flat_workgroup_size: 12
    .name:           _ZL38rocblas_trsm_small_left_device_sharedBILi12ELi12ELb1E19rocblas_complex_numIfES1_PKPKS1_PKPS1_Ev13rocblas_fill_18rocblas_operation_17rocblas_diagonal_iiT3_T4_lilT5_lili
    .private_segment_fixed_size: 0
    .sgpr_count:     41
    .sgpr_spill_count: 0
    .symbol:         _ZL38rocblas_trsm_small_left_device_sharedBILi12ELi12ELb1E19rocblas_complex_numIfES1_PKPKS1_PKPS1_Ev13rocblas_fill_18rocblas_operation_17rocblas_diagonal_iiT3_T4_lilT5_lili.kd
    .uniform_work_group_size: 1
    .uses_dynamic_stack: false
    .vgpr_count:     24
    .vgpr_spill_count: 0
    .wavefront_size: 64
  - .agpr_count:     0
    .args:
      - .offset:         0
        .size:           4
        .value_kind:     by_value
      - .offset:         4
        .size:           4
        .value_kind:     by_value
      - .offset:         8
        .size:           4
        .value_kind:     by_value
      - .offset:         12
        .size:           4
        .value_kind:     by_value
      - .offset:         16
        .size:           4
        .value_kind:     by_value
      - .offset:         20
        .size:           8
        .value_kind:     by_value
      - .address_space:  global
        .offset:         32
        .size:           8
        .value_kind:     global_buffer
      - .offset:         40
        .size:           8
        .value_kind:     by_value
      - .offset:         48
        .size:           4
        .value_kind:     by_value
      - .offset:         56
        .size:           8
        .value_kind:     by_value
      - .address_space:  global
        .offset:         64
        .size:           8
        .value_kind:     global_buffer
      - .offset:         72
        .size:           8
        .value_kind:     by_value
      - .offset:         80
        .size:           4
        .value_kind:     by_value
      - .offset:         88
        .size:           8
        .value_kind:     by_value
      - .offset:         96
        .size:           4
        .value_kind:     by_value
      - .offset:         104
        .size:           4
        .value_kind:     hidden_block_count_x
      - .offset:         108
        .size:           4
        .value_kind:     hidden_block_count_y
      - .offset:         112
        .size:           4
        .value_kind:     hidden_block_count_z
      - .offset:         116
        .size:           2
        .value_kind:     hidden_group_size_x
      - .offset:         118
        .size:           2
        .value_kind:     hidden_group_size_y
      - .offset:         120
        .size:           2
        .value_kind:     hidden_group_size_z
      - .offset:         122
        .size:           2
        .value_kind:     hidden_remainder_x
      - .offset:         124
        .size:           2
        .value_kind:     hidden_remainder_y
      - .offset:         126
        .size:           2
        .value_kind:     hidden_remainder_z
      - .offset:         144
        .size:           8
        .value_kind:     hidden_global_offset_x
      - .offset:         152
        .size:           8
        .value_kind:     hidden_global_offset_y
      - .offset:         160
        .size:           8
        .value_kind:     hidden_global_offset_z
      - .offset:         168
        .size:           2
        .value_kind:     hidden_grid_dims
    .group_segment_fixed_size: 2304
    .kernarg_segment_align: 8
    .kernarg_segment_size: 360
    .language:       OpenCL C
    .language_version:
      - 2
      - 0
    .max_flat_workgroup_size: 12
    .name:           _ZL30rocblas_trsm_small_left_deviceILi12ELi12ELb1E19rocblas_complex_numIfES1_PKPKS1_PKPS1_Ev13rocblas_fill_18rocblas_operation_17rocblas_diagonal_iiT3_T4_lilT5_lili
    .private_segment_fixed_size: 0
    .sgpr_count:     50
    .sgpr_spill_count: 0
    .symbol:         _ZL30rocblas_trsm_small_left_deviceILi12ELi12ELb1E19rocblas_complex_numIfES1_PKPKS1_PKPS1_Ev13rocblas_fill_18rocblas_operation_17rocblas_diagonal_iiT3_T4_lilT5_lili.kd
    .uniform_work_group_size: 1
    .uses_dynamic_stack: false
    .vgpr_count:     28
    .vgpr_spill_count: 0
    .wavefront_size: 64
  - .agpr_count:     0
    .args:
      - .offset:         0
        .size:           4
        .value_kind:     by_value
      - .offset:         4
        .size:           4
        .value_kind:     by_value
      - .offset:         8
        .size:           4
        .value_kind:     by_value
      - .offset:         12
        .size:           4
        .value_kind:     by_value
      - .offset:         16
        .size:           4
        .value_kind:     by_value
      - .offset:         20
        .size:           8
        .value_kind:     by_value
      - .address_space:  global
        .offset:         32
        .size:           8
        .value_kind:     global_buffer
      - .offset:         40
        .size:           8
        .value_kind:     by_value
      - .offset:         48
        .size:           4
        .value_kind:     by_value
      - .offset:         56
        .size:           8
        .value_kind:     by_value
      - .address_space:  global
        .offset:         64
        .size:           8
        .value_kind:     global_buffer
      - .offset:         72
        .size:           8
        .value_kind:     by_value
      - .offset:         80
        .size:           4
        .value_kind:     by_value
      - .offset:         88
        .size:           8
        .value_kind:     by_value
      - .offset:         96
        .size:           4
        .value_kind:     by_value
      - .offset:         104
        .size:           4
        .value_kind:     hidden_block_count_x
      - .offset:         108
        .size:           4
        .value_kind:     hidden_block_count_y
      - .offset:         112
        .size:           4
        .value_kind:     hidden_block_count_z
      - .offset:         116
        .size:           2
        .value_kind:     hidden_group_size_x
      - .offset:         118
        .size:           2
        .value_kind:     hidden_group_size_y
      - .offset:         120
        .size:           2
        .value_kind:     hidden_group_size_z
      - .offset:         122
        .size:           2
        .value_kind:     hidden_remainder_x
      - .offset:         124
        .size:           2
        .value_kind:     hidden_remainder_y
      - .offset:         126
        .size:           2
        .value_kind:     hidden_remainder_z
      - .offset:         144
        .size:           8
        .value_kind:     hidden_global_offset_x
      - .offset:         152
        .size:           8
        .value_kind:     hidden_global_offset_y
      - .offset:         160
        .size:           8
        .value_kind:     hidden_global_offset_z
      - .offset:         168
        .size:           2
        .value_kind:     hidden_grid_dims
    .group_segment_fixed_size: 2304
    .kernarg_segment_align: 8
    .kernarg_segment_size: 360
    .language:       OpenCL C
    .language_version:
      - 2
      - 0
    .max_flat_workgroup_size: 12
    .name:           _ZL31rocblas_trsm_small_right_deviceI19rocblas_complex_numIfES1_PKPKS1_PKPS1_Li12EEv13rocblas_fill_18rocblas_operation_17rocblas_diagonal_iiT0_T1_lilT2_lili
    .private_segment_fixed_size: 0
    .sgpr_count:     38
    .sgpr_spill_count: 0
    .symbol:         _ZL31rocblas_trsm_small_right_deviceI19rocblas_complex_numIfES1_PKPKS1_PKPS1_Li12EEv13rocblas_fill_18rocblas_operation_17rocblas_diagonal_iiT0_T1_lilT2_lili.kd
    .uniform_work_group_size: 1
    .uses_dynamic_stack: false
    .vgpr_count:     34
    .vgpr_spill_count: 0
    .wavefront_size: 64
  - .agpr_count:     0
    .args:
      - .offset:         0
        .size:           4
        .value_kind:     by_value
      - .offset:         4
        .size:           4
        .value_kind:     by_value
      - .offset:         8
        .size:           4
        .value_kind:     by_value
      - .offset:         12
        .size:           4
        .value_kind:     by_value
      - .offset:         16
        .size:           4
        .value_kind:     by_value
      - .offset:         20
        .size:           8
        .value_kind:     by_value
      - .address_space:  global
        .offset:         32
        .size:           8
        .value_kind:     global_buffer
      - .offset:         40
        .size:           8
        .value_kind:     by_value
      - .offset:         48
        .size:           4
        .value_kind:     by_value
      - .offset:         56
        .size:           8
        .value_kind:     by_value
      - .address_space:  global
        .offset:         64
        .size:           8
        .value_kind:     global_buffer
      - .offset:         72
        .size:           8
        .value_kind:     by_value
      - .offset:         80
        .size:           4
        .value_kind:     by_value
      - .offset:         88
        .size:           8
        .value_kind:     by_value
      - .offset:         96
        .size:           4
        .value_kind:     by_value
      - .offset:         104
        .size:           4
        .value_kind:     hidden_block_count_x
      - .offset:         108
        .size:           4
        .value_kind:     hidden_block_count_y
      - .offset:         112
        .size:           4
        .value_kind:     hidden_block_count_z
      - .offset:         116
        .size:           2
        .value_kind:     hidden_group_size_x
      - .offset:         118
        .size:           2
        .value_kind:     hidden_group_size_y
      - .offset:         120
        .size:           2
        .value_kind:     hidden_group_size_z
      - .offset:         122
        .size:           2
        .value_kind:     hidden_remainder_x
      - .offset:         124
        .size:           2
        .value_kind:     hidden_remainder_y
      - .offset:         126
        .size:           2
        .value_kind:     hidden_remainder_z
      - .offset:         144
        .size:           8
        .value_kind:     hidden_global_offset_x
      - .offset:         152
        .size:           8
        .value_kind:     hidden_global_offset_y
      - .offset:         160
        .size:           8
        .value_kind:     hidden_global_offset_z
      - .offset:         168
        .size:           2
        .value_kind:     hidden_grid_dims
    .group_segment_fixed_size: 4992
    .kernarg_segment_align: 8
    .kernarg_segment_size: 360
    .language:       OpenCL C
    .language_version:
      - 2
      - 0
    .max_flat_workgroup_size: 16
    .name:           _ZL38rocblas_trsm_small_left_device_sharedBILi16ELi16ELb0E19rocblas_complex_numIfES1_PKPKS1_PKPS1_Ev13rocblas_fill_18rocblas_operation_17rocblas_diagonal_iiT3_T4_lilT5_lili
    .private_segment_fixed_size: 0
    .sgpr_count:     38
    .sgpr_spill_count: 0
    .symbol:         _ZL38rocblas_trsm_small_left_device_sharedBILi16ELi16ELb0E19rocblas_complex_numIfES1_PKPKS1_PKPS1_Ev13rocblas_fill_18rocblas_operation_17rocblas_diagonal_iiT3_T4_lilT5_lili.kd
    .uniform_work_group_size: 1
    .uses_dynamic_stack: false
    .vgpr_count:     114
    .vgpr_spill_count: 0
    .wavefront_size: 64
  - .agpr_count:     0
    .args:
      - .offset:         0
        .size:           4
        .value_kind:     by_value
      - .offset:         4
        .size:           4
        .value_kind:     by_value
      - .offset:         8
        .size:           4
        .value_kind:     by_value
      - .offset:         12
        .size:           4
        .value_kind:     by_value
      - .offset:         16
        .size:           4
        .value_kind:     by_value
      - .offset:         20
        .size:           8
        .value_kind:     by_value
      - .address_space:  global
        .offset:         32
        .size:           8
        .value_kind:     global_buffer
      - .offset:         40
        .size:           8
        .value_kind:     by_value
      - .offset:         48
        .size:           4
        .value_kind:     by_value
      - .offset:         56
        .size:           8
        .value_kind:     by_value
      - .address_space:  global
        .offset:         64
        .size:           8
        .value_kind:     global_buffer
      - .offset:         72
        .size:           8
        .value_kind:     by_value
      - .offset:         80
        .size:           4
        .value_kind:     by_value
      - .offset:         88
        .size:           8
        .value_kind:     by_value
      - .offset:         96
        .size:           4
        .value_kind:     by_value
      - .offset:         104
        .size:           4
        .value_kind:     hidden_block_count_x
      - .offset:         108
        .size:           4
        .value_kind:     hidden_block_count_y
      - .offset:         112
        .size:           4
        .value_kind:     hidden_block_count_z
      - .offset:         116
        .size:           2
        .value_kind:     hidden_group_size_x
      - .offset:         118
        .size:           2
        .value_kind:     hidden_group_size_y
      - .offset:         120
        .size:           2
        .value_kind:     hidden_group_size_z
      - .offset:         122
        .size:           2
        .value_kind:     hidden_remainder_x
      - .offset:         124
        .size:           2
        .value_kind:     hidden_remainder_y
      - .offset:         126
        .size:           2
        .value_kind:     hidden_remainder_z
      - .offset:         144
        .size:           8
        .value_kind:     hidden_global_offset_x
      - .offset:         152
        .size:           8
        .value_kind:     hidden_global_offset_y
      - .offset:         160
        .size:           8
        .value_kind:     hidden_global_offset_z
      - .offset:         168
        .size:           2
        .value_kind:     hidden_grid_dims
    .group_segment_fixed_size: 4096
    .kernarg_segment_align: 8
    .kernarg_segment_size: 360
    .language:       OpenCL C
    .language_version:
      - 2
      - 0
    .max_flat_workgroup_size: 16
    .name:           _ZL30rocblas_trsm_small_left_deviceILi16ELi16ELb0E19rocblas_complex_numIfES1_PKPKS1_PKPS1_Ev13rocblas_fill_18rocblas_operation_17rocblas_diagonal_iiT3_T4_lilT5_lili
    .private_segment_fixed_size: 0
    .sgpr_count:     47
    .sgpr_spill_count: 0
    .symbol:         _ZL30rocblas_trsm_small_left_deviceILi16ELi16ELb0E19rocblas_complex_numIfES1_PKPKS1_PKPS1_Ev13rocblas_fill_18rocblas_operation_17rocblas_diagonal_iiT3_T4_lilT5_lili.kd
    .uniform_work_group_size: 1
    .uses_dynamic_stack: false
    .vgpr_count:     28
    .vgpr_spill_count: 0
    .wavefront_size: 64
  - .agpr_count:     0
    .args:
      - .offset:         0
        .size:           4
        .value_kind:     by_value
      - .offset:         4
        .size:           4
        .value_kind:     by_value
      - .offset:         8
        .size:           4
        .value_kind:     by_value
      - .offset:         12
        .size:           4
        .value_kind:     by_value
      - .offset:         16
        .size:           4
        .value_kind:     by_value
      - .offset:         20
        .size:           8
        .value_kind:     by_value
      - .address_space:  global
        .offset:         32
        .size:           8
        .value_kind:     global_buffer
      - .offset:         40
        .size:           8
        .value_kind:     by_value
      - .offset:         48
        .size:           4
        .value_kind:     by_value
      - .offset:         56
        .size:           8
        .value_kind:     by_value
      - .address_space:  global
        .offset:         64
        .size:           8
        .value_kind:     global_buffer
      - .offset:         72
        .size:           8
        .value_kind:     by_value
      - .offset:         80
        .size:           4
        .value_kind:     by_value
      - .offset:         88
        .size:           8
        .value_kind:     by_value
      - .offset:         96
        .size:           4
        .value_kind:     by_value
      - .offset:         104
        .size:           4
        .value_kind:     hidden_block_count_x
      - .offset:         108
        .size:           4
        .value_kind:     hidden_block_count_y
      - .offset:         112
        .size:           4
        .value_kind:     hidden_block_count_z
      - .offset:         116
        .size:           2
        .value_kind:     hidden_group_size_x
      - .offset:         118
        .size:           2
        .value_kind:     hidden_group_size_y
      - .offset:         120
        .size:           2
        .value_kind:     hidden_group_size_z
      - .offset:         122
        .size:           2
        .value_kind:     hidden_remainder_x
      - .offset:         124
        .size:           2
        .value_kind:     hidden_remainder_y
      - .offset:         126
        .size:           2
        .value_kind:     hidden_remainder_z
      - .offset:         144
        .size:           8
        .value_kind:     hidden_global_offset_x
      - .offset:         152
        .size:           8
        .value_kind:     hidden_global_offset_y
      - .offset:         160
        .size:           8
        .value_kind:     hidden_global_offset_z
      - .offset:         168
        .size:           2
        .value_kind:     hidden_grid_dims
    .group_segment_fixed_size: 4992
    .kernarg_segment_align: 8
    .kernarg_segment_size: 360
    .language:       OpenCL C
    .language_version:
      - 2
      - 0
    .max_flat_workgroup_size: 16
    .name:           _ZL38rocblas_trsm_small_left_device_sharedBILi16ELi16ELb1E19rocblas_complex_numIfES1_PKPKS1_PKPS1_Ev13rocblas_fill_18rocblas_operation_17rocblas_diagonal_iiT3_T4_lilT5_lili
    .private_segment_fixed_size: 0
    .sgpr_count:     38
    .sgpr_spill_count: 0
    .symbol:         _ZL38rocblas_trsm_small_left_device_sharedBILi16ELi16ELb1E19rocblas_complex_numIfES1_PKPKS1_PKPS1_Ev13rocblas_fill_18rocblas_operation_17rocblas_diagonal_iiT3_T4_lilT5_lili.kd
    .uniform_work_group_size: 1
    .uses_dynamic_stack: false
    .vgpr_count:     124
    .vgpr_spill_count: 0
    .wavefront_size: 64
  - .agpr_count:     0
    .args:
      - .offset:         0
        .size:           4
        .value_kind:     by_value
      - .offset:         4
        .size:           4
        .value_kind:     by_value
      - .offset:         8
        .size:           4
        .value_kind:     by_value
      - .offset:         12
        .size:           4
        .value_kind:     by_value
      - .offset:         16
        .size:           4
        .value_kind:     by_value
      - .offset:         20
        .size:           8
        .value_kind:     by_value
      - .address_space:  global
        .offset:         32
        .size:           8
        .value_kind:     global_buffer
      - .offset:         40
        .size:           8
        .value_kind:     by_value
      - .offset:         48
        .size:           4
        .value_kind:     by_value
      - .offset:         56
        .size:           8
        .value_kind:     by_value
      - .address_space:  global
        .offset:         64
        .size:           8
        .value_kind:     global_buffer
      - .offset:         72
        .size:           8
        .value_kind:     by_value
      - .offset:         80
        .size:           4
        .value_kind:     by_value
      - .offset:         88
        .size:           8
        .value_kind:     by_value
      - .offset:         96
        .size:           4
        .value_kind:     by_value
      - .offset:         104
        .size:           4
        .value_kind:     hidden_block_count_x
      - .offset:         108
        .size:           4
        .value_kind:     hidden_block_count_y
      - .offset:         112
        .size:           4
        .value_kind:     hidden_block_count_z
      - .offset:         116
        .size:           2
        .value_kind:     hidden_group_size_x
      - .offset:         118
        .size:           2
        .value_kind:     hidden_group_size_y
      - .offset:         120
        .size:           2
        .value_kind:     hidden_group_size_z
      - .offset:         122
        .size:           2
        .value_kind:     hidden_remainder_x
      - .offset:         124
        .size:           2
        .value_kind:     hidden_remainder_y
      - .offset:         126
        .size:           2
        .value_kind:     hidden_remainder_z
      - .offset:         144
        .size:           8
        .value_kind:     hidden_global_offset_x
      - .offset:         152
        .size:           8
        .value_kind:     hidden_global_offset_y
      - .offset:         160
        .size:           8
        .value_kind:     hidden_global_offset_z
      - .offset:         168
        .size:           2
        .value_kind:     hidden_grid_dims
    .group_segment_fixed_size: 4096
    .kernarg_segment_align: 8
    .kernarg_segment_size: 360
    .language:       OpenCL C
    .language_version:
      - 2
      - 0
    .max_flat_workgroup_size: 16
    .name:           _ZL30rocblas_trsm_small_left_deviceILi16ELi16ELb1E19rocblas_complex_numIfES1_PKPKS1_PKPS1_Ev13rocblas_fill_18rocblas_operation_17rocblas_diagonal_iiT3_T4_lilT5_lili
    .private_segment_fixed_size: 0
    .sgpr_count:     50
    .sgpr_spill_count: 0
    .symbol:         _ZL30rocblas_trsm_small_left_deviceILi16ELi16ELb1E19rocblas_complex_numIfES1_PKPKS1_PKPS1_Ev13rocblas_fill_18rocblas_operation_17rocblas_diagonal_iiT3_T4_lilT5_lili.kd
    .uniform_work_group_size: 1
    .uses_dynamic_stack: false
    .vgpr_count:     28
    .vgpr_spill_count: 0
    .wavefront_size: 64
  - .agpr_count:     0
    .args:
      - .offset:         0
        .size:           4
        .value_kind:     by_value
      - .offset:         4
        .size:           4
        .value_kind:     by_value
      - .offset:         8
        .size:           4
        .value_kind:     by_value
      - .offset:         12
        .size:           4
        .value_kind:     by_value
      - .offset:         16
        .size:           4
        .value_kind:     by_value
      - .offset:         20
        .size:           8
        .value_kind:     by_value
      - .address_space:  global
        .offset:         32
        .size:           8
        .value_kind:     global_buffer
      - .offset:         40
        .size:           8
        .value_kind:     by_value
      - .offset:         48
        .size:           4
        .value_kind:     by_value
      - .offset:         56
        .size:           8
        .value_kind:     by_value
      - .address_space:  global
        .offset:         64
        .size:           8
        .value_kind:     global_buffer
      - .offset:         72
        .size:           8
        .value_kind:     by_value
      - .offset:         80
        .size:           4
        .value_kind:     by_value
      - .offset:         88
        .size:           8
        .value_kind:     by_value
      - .offset:         96
        .size:           4
        .value_kind:     by_value
      - .offset:         104
        .size:           4
        .value_kind:     hidden_block_count_x
      - .offset:         108
        .size:           4
        .value_kind:     hidden_block_count_y
      - .offset:         112
        .size:           4
        .value_kind:     hidden_block_count_z
      - .offset:         116
        .size:           2
        .value_kind:     hidden_group_size_x
      - .offset:         118
        .size:           2
        .value_kind:     hidden_group_size_y
      - .offset:         120
        .size:           2
        .value_kind:     hidden_group_size_z
      - .offset:         122
        .size:           2
        .value_kind:     hidden_remainder_x
      - .offset:         124
        .size:           2
        .value_kind:     hidden_remainder_y
      - .offset:         126
        .size:           2
        .value_kind:     hidden_remainder_z
      - .offset:         144
        .size:           8
        .value_kind:     hidden_global_offset_x
      - .offset:         152
        .size:           8
        .value_kind:     hidden_global_offset_y
      - .offset:         160
        .size:           8
        .value_kind:     hidden_global_offset_z
      - .offset:         168
        .size:           2
        .value_kind:     hidden_grid_dims
    .group_segment_fixed_size: 4096
    .kernarg_segment_align: 8
    .kernarg_segment_size: 360
    .language:       OpenCL C
    .language_version:
      - 2
      - 0
    .max_flat_workgroup_size: 16
    .name:           _ZL31rocblas_trsm_small_right_deviceI19rocblas_complex_numIfES1_PKPKS1_PKPS1_Li16EEv13rocblas_fill_18rocblas_operation_17rocblas_diagonal_iiT0_T1_lilT2_lili
    .private_segment_fixed_size: 0
    .sgpr_count:     36
    .sgpr_spill_count: 0
    .symbol:         _ZL31rocblas_trsm_small_right_deviceI19rocblas_complex_numIfES1_PKPKS1_PKPS1_Li16EEv13rocblas_fill_18rocblas_operation_17rocblas_diagonal_iiT0_T1_lilT2_lili.kd
    .uniform_work_group_size: 1
    .uses_dynamic_stack: false
    .vgpr_count:     34
    .vgpr_spill_count: 0
    .wavefront_size: 64
  - .agpr_count:     0
    .args:
      - .offset:         0
        .size:           4
        .value_kind:     by_value
      - .offset:         4
        .size:           4
        .value_kind:     by_value
      - .offset:         8
        .size:           4
        .value_kind:     by_value
      - .offset:         12
        .size:           4
        .value_kind:     by_value
      - .offset:         16
        .size:           4
        .value_kind:     by_value
      - .offset:         20
        .size:           8
        .value_kind:     by_value
      - .address_space:  global
        .offset:         32
        .size:           8
        .value_kind:     global_buffer
      - .offset:         40
        .size:           8
        .value_kind:     by_value
      - .offset:         48
        .size:           4
        .value_kind:     by_value
      - .offset:         56
        .size:           8
        .value_kind:     by_value
      - .address_space:  global
        .offset:         64
        .size:           8
        .value_kind:     global_buffer
      - .offset:         72
        .size:           8
        .value_kind:     by_value
      - .offset:         80
        .size:           4
        .value_kind:     by_value
      - .offset:         88
        .size:           8
        .value_kind:     by_value
      - .offset:         96
        .size:           4
        .value_kind:     by_value
      - .offset:         104
        .size:           4
        .value_kind:     hidden_block_count_x
      - .offset:         108
        .size:           4
        .value_kind:     hidden_block_count_y
      - .offset:         112
        .size:           4
        .value_kind:     hidden_block_count_z
      - .offset:         116
        .size:           2
        .value_kind:     hidden_group_size_x
      - .offset:         118
        .size:           2
        .value_kind:     hidden_group_size_y
      - .offset:         120
        .size:           2
        .value_kind:     hidden_group_size_z
      - .offset:         122
        .size:           2
        .value_kind:     hidden_remainder_x
      - .offset:         124
        .size:           2
        .value_kind:     hidden_remainder_y
      - .offset:         126
        .size:           2
        .value_kind:     hidden_remainder_z
      - .offset:         144
        .size:           8
        .value_kind:     hidden_global_offset_x
      - .offset:         152
        .size:           8
        .value_kind:     hidden_global_offset_y
      - .offset:         160
        .size:           8
        .value_kind:     hidden_global_offset_z
      - .offset:         168
        .size:           2
        .value_kind:     hidden_grid_dims
    .group_segment_fixed_size: 6400
    .kernarg_segment_align: 8
    .kernarg_segment_size: 360
    .language:       OpenCL C
    .language_version:
      - 2
      - 0
    .max_flat_workgroup_size: 20
    .name:           _ZL38rocblas_trsm_small_left_device_sharedBILi20ELi20ELb0E19rocblas_complex_numIfES1_PKPKS1_PKPS1_Ev13rocblas_fill_18rocblas_operation_17rocblas_diagonal_iiT3_T4_lilT5_lili
    .private_segment_fixed_size: 176
    .sgpr_count:     43
    .sgpr_spill_count: 0
    .symbol:         _ZL38rocblas_trsm_small_left_device_sharedBILi20ELi20ELb0E19rocblas_complex_numIfES1_PKPKS1_PKPS1_Ev13rocblas_fill_18rocblas_operation_17rocblas_diagonal_iiT3_T4_lilT5_lili.kd
    .uniform_work_group_size: 1
    .uses_dynamic_stack: false
    .vgpr_count:     22
    .vgpr_spill_count: 0
    .wavefront_size: 64
  - .agpr_count:     0
    .args:
      - .offset:         0
        .size:           4
        .value_kind:     by_value
      - .offset:         4
        .size:           4
        .value_kind:     by_value
      - .offset:         8
        .size:           4
        .value_kind:     by_value
      - .offset:         12
        .size:           4
        .value_kind:     by_value
      - .offset:         16
        .size:           4
        .value_kind:     by_value
      - .offset:         20
        .size:           8
        .value_kind:     by_value
      - .address_space:  global
        .offset:         32
        .size:           8
        .value_kind:     global_buffer
      - .offset:         40
        .size:           8
        .value_kind:     by_value
      - .offset:         48
        .size:           4
        .value_kind:     by_value
      - .offset:         56
        .size:           8
        .value_kind:     by_value
      - .address_space:  global
        .offset:         64
        .size:           8
        .value_kind:     global_buffer
      - .offset:         72
        .size:           8
        .value_kind:     by_value
      - .offset:         80
        .size:           4
        .value_kind:     by_value
      - .offset:         88
        .size:           8
        .value_kind:     by_value
      - .offset:         96
        .size:           4
        .value_kind:     by_value
      - .offset:         104
        .size:           4
        .value_kind:     hidden_block_count_x
      - .offset:         108
        .size:           4
        .value_kind:     hidden_block_count_y
      - .offset:         112
        .size:           4
        .value_kind:     hidden_block_count_z
      - .offset:         116
        .size:           2
        .value_kind:     hidden_group_size_x
      - .offset:         118
        .size:           2
        .value_kind:     hidden_group_size_y
      - .offset:         120
        .size:           2
        .value_kind:     hidden_group_size_z
      - .offset:         122
        .size:           2
        .value_kind:     hidden_remainder_x
      - .offset:         124
        .size:           2
        .value_kind:     hidden_remainder_y
      - .offset:         126
        .size:           2
        .value_kind:     hidden_remainder_z
      - .offset:         144
        .size:           8
        .value_kind:     hidden_global_offset_x
      - .offset:         152
        .size:           8
        .value_kind:     hidden_global_offset_y
      - .offset:         160
        .size:           8
        .value_kind:     hidden_global_offset_z
      - .offset:         168
        .size:           2
        .value_kind:     hidden_grid_dims
    .group_segment_fixed_size: 3200
    .kernarg_segment_align: 8
    .kernarg_segment_size: 360
    .language:       OpenCL C
    .language_version:
      - 2
      - 0
    .max_flat_workgroup_size: 20
    .name:           _ZL30rocblas_trsm_small_left_deviceILi20ELi20ELb0E19rocblas_complex_numIfES1_PKPKS1_PKPS1_Ev13rocblas_fill_18rocblas_operation_17rocblas_diagonal_iiT3_T4_lilT5_lili
    .private_segment_fixed_size: 176
    .sgpr_count:     48
    .sgpr_spill_count: 0
    .symbol:         _ZL30rocblas_trsm_small_left_deviceILi20ELi20ELb0E19rocblas_complex_numIfES1_PKPKS1_PKPS1_Ev13rocblas_fill_18rocblas_operation_17rocblas_diagonal_iiT3_T4_lilT5_lili.kd
    .uniform_work_group_size: 1
    .uses_dynamic_stack: false
    .vgpr_count:     24
    .vgpr_spill_count: 0
    .wavefront_size: 64
  - .agpr_count:     0
    .args:
      - .offset:         0
        .size:           4
        .value_kind:     by_value
      - .offset:         4
        .size:           4
        .value_kind:     by_value
      - .offset:         8
        .size:           4
        .value_kind:     by_value
      - .offset:         12
        .size:           4
        .value_kind:     by_value
      - .offset:         16
        .size:           4
        .value_kind:     by_value
      - .offset:         20
        .size:           8
        .value_kind:     by_value
      - .address_space:  global
        .offset:         32
        .size:           8
        .value_kind:     global_buffer
      - .offset:         40
        .size:           8
        .value_kind:     by_value
      - .offset:         48
        .size:           4
        .value_kind:     by_value
      - .offset:         56
        .size:           8
        .value_kind:     by_value
      - .address_space:  global
        .offset:         64
        .size:           8
        .value_kind:     global_buffer
      - .offset:         72
        .size:           8
        .value_kind:     by_value
      - .offset:         80
        .size:           4
        .value_kind:     by_value
      - .offset:         88
        .size:           8
        .value_kind:     by_value
      - .offset:         96
        .size:           4
        .value_kind:     by_value
      - .offset:         104
        .size:           4
        .value_kind:     hidden_block_count_x
      - .offset:         108
        .size:           4
        .value_kind:     hidden_block_count_y
      - .offset:         112
        .size:           4
        .value_kind:     hidden_block_count_z
      - .offset:         116
        .size:           2
        .value_kind:     hidden_group_size_x
      - .offset:         118
        .size:           2
        .value_kind:     hidden_group_size_y
      - .offset:         120
        .size:           2
        .value_kind:     hidden_group_size_z
      - .offset:         122
        .size:           2
        .value_kind:     hidden_remainder_x
      - .offset:         124
        .size:           2
        .value_kind:     hidden_remainder_y
      - .offset:         126
        .size:           2
        .value_kind:     hidden_remainder_z
      - .offset:         144
        .size:           8
        .value_kind:     hidden_global_offset_x
      - .offset:         152
        .size:           8
        .value_kind:     hidden_global_offset_y
      - .offset:         160
        .size:           8
        .value_kind:     hidden_global_offset_z
      - .offset:         168
        .size:           2
        .value_kind:     hidden_grid_dims
    .group_segment_fixed_size: 6400
    .kernarg_segment_align: 8
    .kernarg_segment_size: 360
    .language:       OpenCL C
    .language_version:
      - 2
      - 0
    .max_flat_workgroup_size: 20
    .name:           _ZL38rocblas_trsm_small_left_device_sharedBILi20ELi20ELb1E19rocblas_complex_numIfES1_PKPKS1_PKPS1_Ev13rocblas_fill_18rocblas_operation_17rocblas_diagonal_iiT3_T4_lilT5_lili
    .private_segment_fixed_size: 176
    .sgpr_count:     42
    .sgpr_spill_count: 0
    .symbol:         _ZL38rocblas_trsm_small_left_device_sharedBILi20ELi20ELb1E19rocblas_complex_numIfES1_PKPKS1_PKPS1_Ev13rocblas_fill_18rocblas_operation_17rocblas_diagonal_iiT3_T4_lilT5_lili.kd
    .uniform_work_group_size: 1
    .uses_dynamic_stack: false
    .vgpr_count:     22
    .vgpr_spill_count: 0
    .wavefront_size: 64
  - .agpr_count:     0
    .args:
      - .offset:         0
        .size:           4
        .value_kind:     by_value
      - .offset:         4
        .size:           4
        .value_kind:     by_value
      - .offset:         8
        .size:           4
        .value_kind:     by_value
      - .offset:         12
        .size:           4
        .value_kind:     by_value
      - .offset:         16
        .size:           4
        .value_kind:     by_value
      - .offset:         20
        .size:           8
        .value_kind:     by_value
      - .address_space:  global
        .offset:         32
        .size:           8
        .value_kind:     global_buffer
      - .offset:         40
        .size:           8
        .value_kind:     by_value
      - .offset:         48
        .size:           4
        .value_kind:     by_value
      - .offset:         56
        .size:           8
        .value_kind:     by_value
      - .address_space:  global
        .offset:         64
        .size:           8
        .value_kind:     global_buffer
      - .offset:         72
        .size:           8
        .value_kind:     by_value
      - .offset:         80
        .size:           4
        .value_kind:     by_value
      - .offset:         88
        .size:           8
        .value_kind:     by_value
      - .offset:         96
        .size:           4
        .value_kind:     by_value
      - .offset:         104
        .size:           4
        .value_kind:     hidden_block_count_x
      - .offset:         108
        .size:           4
        .value_kind:     hidden_block_count_y
      - .offset:         112
        .size:           4
        .value_kind:     hidden_block_count_z
      - .offset:         116
        .size:           2
        .value_kind:     hidden_group_size_x
      - .offset:         118
        .size:           2
        .value_kind:     hidden_group_size_y
      - .offset:         120
        .size:           2
        .value_kind:     hidden_group_size_z
      - .offset:         122
        .size:           2
        .value_kind:     hidden_remainder_x
      - .offset:         124
        .size:           2
        .value_kind:     hidden_remainder_y
      - .offset:         126
        .size:           2
        .value_kind:     hidden_remainder_z
      - .offset:         144
        .size:           8
        .value_kind:     hidden_global_offset_x
      - .offset:         152
        .size:           8
        .value_kind:     hidden_global_offset_y
      - .offset:         160
        .size:           8
        .value_kind:     hidden_global_offset_z
      - .offset:         168
        .size:           2
        .value_kind:     hidden_grid_dims
    .group_segment_fixed_size: 3200
    .kernarg_segment_align: 8
    .kernarg_segment_size: 360
    .language:       OpenCL C
    .language_version:
      - 2
      - 0
    .max_flat_workgroup_size: 20
    .name:           _ZL30rocblas_trsm_small_left_deviceILi20ELi20ELb1E19rocblas_complex_numIfES1_PKPKS1_PKPS1_Ev13rocblas_fill_18rocblas_operation_17rocblas_diagonal_iiT3_T4_lilT5_lili
    .private_segment_fixed_size: 176
    .sgpr_count:     51
    .sgpr_spill_count: 0
    .symbol:         _ZL30rocblas_trsm_small_left_deviceILi20ELi20ELb1E19rocblas_complex_numIfES1_PKPKS1_PKPS1_Ev13rocblas_fill_18rocblas_operation_17rocblas_diagonal_iiT3_T4_lilT5_lili.kd
    .uniform_work_group_size: 1
    .uses_dynamic_stack: false
    .vgpr_count:     24
    .vgpr_spill_count: 0
    .wavefront_size: 64
  - .agpr_count:     0
    .args:
      - .offset:         0
        .size:           4
        .value_kind:     by_value
      - .offset:         4
        .size:           4
        .value_kind:     by_value
      - .offset:         8
        .size:           4
        .value_kind:     by_value
      - .offset:         12
        .size:           4
        .value_kind:     by_value
      - .offset:         16
        .size:           4
        .value_kind:     by_value
      - .offset:         20
        .size:           8
        .value_kind:     by_value
      - .address_space:  global
        .offset:         32
        .size:           8
        .value_kind:     global_buffer
      - .offset:         40
        .size:           8
        .value_kind:     by_value
      - .offset:         48
        .size:           4
        .value_kind:     by_value
      - .offset:         56
        .size:           8
        .value_kind:     by_value
      - .address_space:  global
        .offset:         64
        .size:           8
        .value_kind:     global_buffer
      - .offset:         72
        .size:           8
        .value_kind:     by_value
      - .offset:         80
        .size:           4
        .value_kind:     by_value
      - .offset:         88
        .size:           8
        .value_kind:     by_value
      - .offset:         96
        .size:           4
        .value_kind:     by_value
      - .offset:         104
        .size:           4
        .value_kind:     hidden_block_count_x
      - .offset:         108
        .size:           4
        .value_kind:     hidden_block_count_y
      - .offset:         112
        .size:           4
        .value_kind:     hidden_block_count_z
      - .offset:         116
        .size:           2
        .value_kind:     hidden_group_size_x
      - .offset:         118
        .size:           2
        .value_kind:     hidden_group_size_y
      - .offset:         120
        .size:           2
        .value_kind:     hidden_group_size_z
      - .offset:         122
        .size:           2
        .value_kind:     hidden_remainder_x
      - .offset:         124
        .size:           2
        .value_kind:     hidden_remainder_y
      - .offset:         126
        .size:           2
        .value_kind:     hidden_remainder_z
      - .offset:         144
        .size:           8
        .value_kind:     hidden_global_offset_x
      - .offset:         152
        .size:           8
        .value_kind:     hidden_global_offset_y
      - .offset:         160
        .size:           8
        .value_kind:     hidden_global_offset_z
      - .offset:         168
        .size:           2
        .value_kind:     hidden_grid_dims
    .group_segment_fixed_size: 6400
    .kernarg_segment_align: 8
    .kernarg_segment_size: 360
    .language:       OpenCL C
    .language_version:
      - 2
      - 0
    .max_flat_workgroup_size: 20
    .name:           _ZL31rocblas_trsm_small_right_deviceI19rocblas_complex_numIfES1_PKPKS1_PKPS1_Li20EEv13rocblas_fill_18rocblas_operation_17rocblas_diagonal_iiT0_T1_lilT2_lili
    .private_segment_fixed_size: 0
    .sgpr_count:     38
    .sgpr_spill_count: 0
    .symbol:         _ZL31rocblas_trsm_small_right_deviceI19rocblas_complex_numIfES1_PKPKS1_PKPS1_Li20EEv13rocblas_fill_18rocblas_operation_17rocblas_diagonal_iiT0_T1_lilT2_lili.kd
    .uniform_work_group_size: 1
    .uses_dynamic_stack: false
    .vgpr_count:     34
    .vgpr_spill_count: 0
    .wavefront_size: 64
  - .agpr_count:     0
    .args:
      - .offset:         0
        .size:           4
        .value_kind:     by_value
      - .offset:         4
        .size:           4
        .value_kind:     by_value
      - .offset:         8
        .size:           4
        .value_kind:     by_value
      - .offset:         12
        .size:           4
        .value_kind:     by_value
      - .offset:         16
        .size:           4
        .value_kind:     by_value
      - .offset:         20
        .size:           8
        .value_kind:     by_value
      - .address_space:  global
        .offset:         32
        .size:           8
        .value_kind:     global_buffer
      - .offset:         40
        .size:           8
        .value_kind:     by_value
      - .offset:         48
        .size:           4
        .value_kind:     by_value
      - .offset:         56
        .size:           8
        .value_kind:     by_value
      - .address_space:  global
        .offset:         64
        .size:           8
        .value_kind:     global_buffer
      - .offset:         72
        .size:           8
        .value_kind:     by_value
      - .offset:         80
        .size:           4
        .value_kind:     by_value
      - .offset:         88
        .size:           8
        .value_kind:     by_value
      - .offset:         96
        .size:           4
        .value_kind:     by_value
      - .offset:         104
        .size:           4
        .value_kind:     hidden_block_count_x
      - .offset:         108
        .size:           4
        .value_kind:     hidden_block_count_y
      - .offset:         112
        .size:           4
        .value_kind:     hidden_block_count_z
      - .offset:         116
        .size:           2
        .value_kind:     hidden_group_size_x
      - .offset:         118
        .size:           2
        .value_kind:     hidden_group_size_y
      - .offset:         120
        .size:           2
        .value_kind:     hidden_group_size_z
      - .offset:         122
        .size:           2
        .value_kind:     hidden_remainder_x
      - .offset:         124
        .size:           2
        .value_kind:     hidden_remainder_y
      - .offset:         126
        .size:           2
        .value_kind:     hidden_remainder_z
      - .offset:         144
        .size:           8
        .value_kind:     hidden_global_offset_x
      - .offset:         152
        .size:           8
        .value_kind:     hidden_global_offset_y
      - .offset:         160
        .size:           8
        .value_kind:     hidden_global_offset_z
      - .offset:         168
        .size:           2
        .value_kind:     hidden_grid_dims
    .group_segment_fixed_size: 9216
    .kernarg_segment_align: 8
    .kernarg_segment_size: 360
    .language:       OpenCL C
    .language_version:
      - 2
      - 0
    .max_flat_workgroup_size: 24
    .name:           _ZL38rocblas_trsm_small_left_device_sharedBILi24ELi24ELb0E19rocblas_complex_numIfES1_PKPKS1_PKPS1_Ev13rocblas_fill_18rocblas_operation_17rocblas_diagonal_iiT3_T4_lilT5_lili
    .private_segment_fixed_size: 208
    .sgpr_count:     43
    .sgpr_spill_count: 0
    .symbol:         _ZL38rocblas_trsm_small_left_device_sharedBILi24ELi24ELb0E19rocblas_complex_numIfES1_PKPKS1_PKPS1_Ev13rocblas_fill_18rocblas_operation_17rocblas_diagonal_iiT3_T4_lilT5_lili.kd
    .uniform_work_group_size: 1
    .uses_dynamic_stack: false
    .vgpr_count:     22
    .vgpr_spill_count: 0
    .wavefront_size: 64
  - .agpr_count:     0
    .args:
      - .offset:         0
        .size:           4
        .value_kind:     by_value
      - .offset:         4
        .size:           4
        .value_kind:     by_value
      - .offset:         8
        .size:           4
        .value_kind:     by_value
      - .offset:         12
        .size:           4
        .value_kind:     by_value
      - .offset:         16
        .size:           4
        .value_kind:     by_value
      - .offset:         20
        .size:           8
        .value_kind:     by_value
      - .address_space:  global
        .offset:         32
        .size:           8
        .value_kind:     global_buffer
      - .offset:         40
        .size:           8
        .value_kind:     by_value
      - .offset:         48
        .size:           4
        .value_kind:     by_value
      - .offset:         56
        .size:           8
        .value_kind:     by_value
      - .address_space:  global
        .offset:         64
        .size:           8
        .value_kind:     global_buffer
      - .offset:         72
        .size:           8
        .value_kind:     by_value
      - .offset:         80
        .size:           4
        .value_kind:     by_value
      - .offset:         88
        .size:           8
        .value_kind:     by_value
      - .offset:         96
        .size:           4
        .value_kind:     by_value
      - .offset:         104
        .size:           4
        .value_kind:     hidden_block_count_x
      - .offset:         108
        .size:           4
        .value_kind:     hidden_block_count_y
      - .offset:         112
        .size:           4
        .value_kind:     hidden_block_count_z
      - .offset:         116
        .size:           2
        .value_kind:     hidden_group_size_x
      - .offset:         118
        .size:           2
        .value_kind:     hidden_group_size_y
      - .offset:         120
        .size:           2
        .value_kind:     hidden_group_size_z
      - .offset:         122
        .size:           2
        .value_kind:     hidden_remainder_x
      - .offset:         124
        .size:           2
        .value_kind:     hidden_remainder_y
      - .offset:         126
        .size:           2
        .value_kind:     hidden_remainder_z
      - .offset:         144
        .size:           8
        .value_kind:     hidden_global_offset_x
      - .offset:         152
        .size:           8
        .value_kind:     hidden_global_offset_y
      - .offset:         160
        .size:           8
        .value_kind:     hidden_global_offset_z
      - .offset:         168
        .size:           2
        .value_kind:     hidden_grid_dims
    .group_segment_fixed_size: 4608
    .kernarg_segment_align: 8
    .kernarg_segment_size: 360
    .language:       OpenCL C
    .language_version:
      - 2
      - 0
    .max_flat_workgroup_size: 24
    .name:           _ZL30rocblas_trsm_small_left_deviceILi24ELi24ELb0E19rocblas_complex_numIfES1_PKPKS1_PKPS1_Ev13rocblas_fill_18rocblas_operation_17rocblas_diagonal_iiT3_T4_lilT5_lili
    .private_segment_fixed_size: 208
    .sgpr_count:     48
    .sgpr_spill_count: 0
    .symbol:         _ZL30rocblas_trsm_small_left_deviceILi24ELi24ELb0E19rocblas_complex_numIfES1_PKPKS1_PKPS1_Ev13rocblas_fill_18rocblas_operation_17rocblas_diagonal_iiT3_T4_lilT5_lili.kd
    .uniform_work_group_size: 1
    .uses_dynamic_stack: false
    .vgpr_count:     24
    .vgpr_spill_count: 0
    .wavefront_size: 64
  - .agpr_count:     0
    .args:
      - .offset:         0
        .size:           4
        .value_kind:     by_value
      - .offset:         4
        .size:           4
        .value_kind:     by_value
      - .offset:         8
        .size:           4
        .value_kind:     by_value
      - .offset:         12
        .size:           4
        .value_kind:     by_value
      - .offset:         16
        .size:           4
        .value_kind:     by_value
      - .offset:         20
        .size:           8
        .value_kind:     by_value
      - .address_space:  global
        .offset:         32
        .size:           8
        .value_kind:     global_buffer
      - .offset:         40
        .size:           8
        .value_kind:     by_value
      - .offset:         48
        .size:           4
        .value_kind:     by_value
      - .offset:         56
        .size:           8
        .value_kind:     by_value
      - .address_space:  global
        .offset:         64
        .size:           8
        .value_kind:     global_buffer
      - .offset:         72
        .size:           8
        .value_kind:     by_value
      - .offset:         80
        .size:           4
        .value_kind:     by_value
      - .offset:         88
        .size:           8
        .value_kind:     by_value
      - .offset:         96
        .size:           4
        .value_kind:     by_value
      - .offset:         104
        .size:           4
        .value_kind:     hidden_block_count_x
      - .offset:         108
        .size:           4
        .value_kind:     hidden_block_count_y
      - .offset:         112
        .size:           4
        .value_kind:     hidden_block_count_z
      - .offset:         116
        .size:           2
        .value_kind:     hidden_group_size_x
      - .offset:         118
        .size:           2
        .value_kind:     hidden_group_size_y
      - .offset:         120
        .size:           2
        .value_kind:     hidden_group_size_z
      - .offset:         122
        .size:           2
        .value_kind:     hidden_remainder_x
      - .offset:         124
        .size:           2
        .value_kind:     hidden_remainder_y
      - .offset:         126
        .size:           2
        .value_kind:     hidden_remainder_z
      - .offset:         144
        .size:           8
        .value_kind:     hidden_global_offset_x
      - .offset:         152
        .size:           8
        .value_kind:     hidden_global_offset_y
      - .offset:         160
        .size:           8
        .value_kind:     hidden_global_offset_z
      - .offset:         168
        .size:           2
        .value_kind:     hidden_grid_dims
    .group_segment_fixed_size: 9216
    .kernarg_segment_align: 8
    .kernarg_segment_size: 360
    .language:       OpenCL C
    .language_version:
      - 2
      - 0
    .max_flat_workgroup_size: 24
    .name:           _ZL38rocblas_trsm_small_left_device_sharedBILi24ELi24ELb1E19rocblas_complex_numIfES1_PKPKS1_PKPS1_Ev13rocblas_fill_18rocblas_operation_17rocblas_diagonal_iiT3_T4_lilT5_lili
    .private_segment_fixed_size: 208
    .sgpr_count:     42
    .sgpr_spill_count: 0
    .symbol:         _ZL38rocblas_trsm_small_left_device_sharedBILi24ELi24ELb1E19rocblas_complex_numIfES1_PKPKS1_PKPS1_Ev13rocblas_fill_18rocblas_operation_17rocblas_diagonal_iiT3_T4_lilT5_lili.kd
    .uniform_work_group_size: 1
    .uses_dynamic_stack: false
    .vgpr_count:     22
    .vgpr_spill_count: 0
    .wavefront_size: 64
  - .agpr_count:     0
    .args:
      - .offset:         0
        .size:           4
        .value_kind:     by_value
      - .offset:         4
        .size:           4
        .value_kind:     by_value
      - .offset:         8
        .size:           4
        .value_kind:     by_value
      - .offset:         12
        .size:           4
        .value_kind:     by_value
      - .offset:         16
        .size:           4
        .value_kind:     by_value
      - .offset:         20
        .size:           8
        .value_kind:     by_value
      - .address_space:  global
        .offset:         32
        .size:           8
        .value_kind:     global_buffer
      - .offset:         40
        .size:           8
        .value_kind:     by_value
      - .offset:         48
        .size:           4
        .value_kind:     by_value
      - .offset:         56
        .size:           8
        .value_kind:     by_value
      - .address_space:  global
        .offset:         64
        .size:           8
        .value_kind:     global_buffer
      - .offset:         72
        .size:           8
        .value_kind:     by_value
      - .offset:         80
        .size:           4
        .value_kind:     by_value
      - .offset:         88
        .size:           8
        .value_kind:     by_value
      - .offset:         96
        .size:           4
        .value_kind:     by_value
      - .offset:         104
        .size:           4
        .value_kind:     hidden_block_count_x
      - .offset:         108
        .size:           4
        .value_kind:     hidden_block_count_y
      - .offset:         112
        .size:           4
        .value_kind:     hidden_block_count_z
      - .offset:         116
        .size:           2
        .value_kind:     hidden_group_size_x
      - .offset:         118
        .size:           2
        .value_kind:     hidden_group_size_y
      - .offset:         120
        .size:           2
        .value_kind:     hidden_group_size_z
      - .offset:         122
        .size:           2
        .value_kind:     hidden_remainder_x
      - .offset:         124
        .size:           2
        .value_kind:     hidden_remainder_y
      - .offset:         126
        .size:           2
        .value_kind:     hidden_remainder_z
      - .offset:         144
        .size:           8
        .value_kind:     hidden_global_offset_x
      - .offset:         152
        .size:           8
        .value_kind:     hidden_global_offset_y
      - .offset:         160
        .size:           8
        .value_kind:     hidden_global_offset_z
      - .offset:         168
        .size:           2
        .value_kind:     hidden_grid_dims
    .group_segment_fixed_size: 4608
    .kernarg_segment_align: 8
    .kernarg_segment_size: 360
    .language:       OpenCL C
    .language_version:
      - 2
      - 0
    .max_flat_workgroup_size: 24
    .name:           _ZL30rocblas_trsm_small_left_deviceILi24ELi24ELb1E19rocblas_complex_numIfES1_PKPKS1_PKPS1_Ev13rocblas_fill_18rocblas_operation_17rocblas_diagonal_iiT3_T4_lilT5_lili
    .private_segment_fixed_size: 208
    .sgpr_count:     51
    .sgpr_spill_count: 0
    .symbol:         _ZL30rocblas_trsm_small_left_deviceILi24ELi24ELb1E19rocblas_complex_numIfES1_PKPKS1_PKPS1_Ev13rocblas_fill_18rocblas_operation_17rocblas_diagonal_iiT3_T4_lilT5_lili.kd
    .uniform_work_group_size: 1
    .uses_dynamic_stack: false
    .vgpr_count:     24
    .vgpr_spill_count: 0
    .wavefront_size: 64
  - .agpr_count:     0
    .args:
      - .offset:         0
        .size:           4
        .value_kind:     by_value
      - .offset:         4
        .size:           4
        .value_kind:     by_value
      - .offset:         8
        .size:           4
        .value_kind:     by_value
      - .offset:         12
        .size:           4
        .value_kind:     by_value
      - .offset:         16
        .size:           4
        .value_kind:     by_value
      - .offset:         20
        .size:           8
        .value_kind:     by_value
      - .address_space:  global
        .offset:         32
        .size:           8
        .value_kind:     global_buffer
      - .offset:         40
        .size:           8
        .value_kind:     by_value
      - .offset:         48
        .size:           4
        .value_kind:     by_value
      - .offset:         56
        .size:           8
        .value_kind:     by_value
      - .address_space:  global
        .offset:         64
        .size:           8
        .value_kind:     global_buffer
      - .offset:         72
        .size:           8
        .value_kind:     by_value
      - .offset:         80
        .size:           4
        .value_kind:     by_value
      - .offset:         88
        .size:           8
        .value_kind:     by_value
      - .offset:         96
        .size:           4
        .value_kind:     by_value
      - .offset:         104
        .size:           4
        .value_kind:     hidden_block_count_x
      - .offset:         108
        .size:           4
        .value_kind:     hidden_block_count_y
      - .offset:         112
        .size:           4
        .value_kind:     hidden_block_count_z
      - .offset:         116
        .size:           2
        .value_kind:     hidden_group_size_x
      - .offset:         118
        .size:           2
        .value_kind:     hidden_group_size_y
      - .offset:         120
        .size:           2
        .value_kind:     hidden_group_size_z
      - .offset:         122
        .size:           2
        .value_kind:     hidden_remainder_x
      - .offset:         124
        .size:           2
        .value_kind:     hidden_remainder_y
      - .offset:         126
        .size:           2
        .value_kind:     hidden_remainder_z
      - .offset:         144
        .size:           8
        .value_kind:     hidden_global_offset_x
      - .offset:         152
        .size:           8
        .value_kind:     hidden_global_offset_y
      - .offset:         160
        .size:           8
        .value_kind:     hidden_global_offset_z
      - .offset:         168
        .size:           2
        .value_kind:     hidden_grid_dims
    .group_segment_fixed_size: 9216
    .kernarg_segment_align: 8
    .kernarg_segment_size: 360
    .language:       OpenCL C
    .language_version:
      - 2
      - 0
    .max_flat_workgroup_size: 24
    .name:           _ZL31rocblas_trsm_small_right_deviceI19rocblas_complex_numIfES1_PKPKS1_PKPS1_Li24EEv13rocblas_fill_18rocblas_operation_17rocblas_diagonal_iiT0_T1_lilT2_lili
    .private_segment_fixed_size: 0
    .sgpr_count:     38
    .sgpr_spill_count: 0
    .symbol:         _ZL31rocblas_trsm_small_right_deviceI19rocblas_complex_numIfES1_PKPKS1_PKPS1_Li24EEv13rocblas_fill_18rocblas_operation_17rocblas_diagonal_iiT0_T1_lilT2_lili.kd
    .uniform_work_group_size: 1
    .uses_dynamic_stack: false
    .vgpr_count:     34
    .vgpr_spill_count: 0
    .wavefront_size: 64
  - .agpr_count:     0
    .args:
      - .offset:         0
        .size:           4
        .value_kind:     by_value
      - .offset:         4
        .size:           4
        .value_kind:     by_value
      - .offset:         8
        .size:           4
        .value_kind:     by_value
      - .offset:         12
        .size:           4
        .value_kind:     by_value
      - .offset:         16
        .size:           4
        .value_kind:     by_value
      - .offset:         20
        .size:           8
        .value_kind:     by_value
      - .address_space:  global
        .offset:         32
        .size:           8
        .value_kind:     global_buffer
      - .offset:         40
        .size:           8
        .value_kind:     by_value
      - .offset:         48
        .size:           4
        .value_kind:     by_value
      - .offset:         56
        .size:           8
        .value_kind:     by_value
      - .address_space:  global
        .offset:         64
        .size:           8
        .value_kind:     global_buffer
      - .offset:         72
        .size:           8
        .value_kind:     by_value
      - .offset:         80
        .size:           4
        .value_kind:     by_value
      - .offset:         88
        .size:           8
        .value_kind:     by_value
      - .offset:         96
        .size:           4
        .value_kind:     by_value
      - .offset:         104
        .size:           4
        .value_kind:     hidden_block_count_x
      - .offset:         108
        .size:           4
        .value_kind:     hidden_block_count_y
      - .offset:         112
        .size:           4
        .value_kind:     hidden_block_count_z
      - .offset:         116
        .size:           2
        .value_kind:     hidden_group_size_x
      - .offset:         118
        .size:           2
        .value_kind:     hidden_group_size_y
      - .offset:         120
        .size:           2
        .value_kind:     hidden_group_size_z
      - .offset:         122
        .size:           2
        .value_kind:     hidden_remainder_x
      - .offset:         124
        .size:           2
        .value_kind:     hidden_remainder_y
      - .offset:         126
        .size:           2
        .value_kind:     hidden_remainder_z
      - .offset:         144
        .size:           8
        .value_kind:     hidden_global_offset_x
      - .offset:         152
        .size:           8
        .value_kind:     hidden_global_offset_y
      - .offset:         160
        .size:           8
        .value_kind:     hidden_global_offset_z
      - .offset:         168
        .size:           2
        .value_kind:     hidden_grid_dims
    .group_segment_fixed_size: 12544
    .kernarg_segment_align: 8
    .kernarg_segment_size: 360
    .language:       OpenCL C
    .language_version:
      - 2
      - 0
    .max_flat_workgroup_size: 28
    .name:           _ZL38rocblas_trsm_small_left_device_sharedBILi28ELi28ELb0E19rocblas_complex_numIfES1_PKPKS1_PKPS1_Ev13rocblas_fill_18rocblas_operation_17rocblas_diagonal_iiT3_T4_lilT5_lili
    .private_segment_fixed_size: 240
    .sgpr_count:     43
    .sgpr_spill_count: 0
    .symbol:         _ZL38rocblas_trsm_small_left_device_sharedBILi28ELi28ELb0E19rocblas_complex_numIfES1_PKPKS1_PKPS1_Ev13rocblas_fill_18rocblas_operation_17rocblas_diagonal_iiT3_T4_lilT5_lili.kd
    .uniform_work_group_size: 1
    .uses_dynamic_stack: false
    .vgpr_count:     22
    .vgpr_spill_count: 0
    .wavefront_size: 64
  - .agpr_count:     0
    .args:
      - .offset:         0
        .size:           4
        .value_kind:     by_value
      - .offset:         4
        .size:           4
        .value_kind:     by_value
      - .offset:         8
        .size:           4
        .value_kind:     by_value
      - .offset:         12
        .size:           4
        .value_kind:     by_value
      - .offset:         16
        .size:           4
        .value_kind:     by_value
      - .offset:         20
        .size:           8
        .value_kind:     by_value
      - .address_space:  global
        .offset:         32
        .size:           8
        .value_kind:     global_buffer
      - .offset:         40
        .size:           8
        .value_kind:     by_value
      - .offset:         48
        .size:           4
        .value_kind:     by_value
      - .offset:         56
        .size:           8
        .value_kind:     by_value
      - .address_space:  global
        .offset:         64
        .size:           8
        .value_kind:     global_buffer
      - .offset:         72
        .size:           8
        .value_kind:     by_value
      - .offset:         80
        .size:           4
        .value_kind:     by_value
      - .offset:         88
        .size:           8
        .value_kind:     by_value
      - .offset:         96
        .size:           4
        .value_kind:     by_value
      - .offset:         104
        .size:           4
        .value_kind:     hidden_block_count_x
      - .offset:         108
        .size:           4
        .value_kind:     hidden_block_count_y
      - .offset:         112
        .size:           4
        .value_kind:     hidden_block_count_z
      - .offset:         116
        .size:           2
        .value_kind:     hidden_group_size_x
      - .offset:         118
        .size:           2
        .value_kind:     hidden_group_size_y
      - .offset:         120
        .size:           2
        .value_kind:     hidden_group_size_z
      - .offset:         122
        .size:           2
        .value_kind:     hidden_remainder_x
      - .offset:         124
        .size:           2
        .value_kind:     hidden_remainder_y
      - .offset:         126
        .size:           2
        .value_kind:     hidden_remainder_z
      - .offset:         144
        .size:           8
        .value_kind:     hidden_global_offset_x
      - .offset:         152
        .size:           8
        .value_kind:     hidden_global_offset_y
      - .offset:         160
        .size:           8
        .value_kind:     hidden_global_offset_z
      - .offset:         168
        .size:           2
        .value_kind:     hidden_grid_dims
    .group_segment_fixed_size: 6272
    .kernarg_segment_align: 8
    .kernarg_segment_size: 360
    .language:       OpenCL C
    .language_version:
      - 2
      - 0
    .max_flat_workgroup_size: 28
    .name:           _ZL30rocblas_trsm_small_left_deviceILi28ELi28ELb0E19rocblas_complex_numIfES1_PKPKS1_PKPS1_Ev13rocblas_fill_18rocblas_operation_17rocblas_diagonal_iiT3_T4_lilT5_lili
    .private_segment_fixed_size: 240
    .sgpr_count:     48
    .sgpr_spill_count: 0
    .symbol:         _ZL30rocblas_trsm_small_left_deviceILi28ELi28ELb0E19rocblas_complex_numIfES1_PKPKS1_PKPS1_Ev13rocblas_fill_18rocblas_operation_17rocblas_diagonal_iiT3_T4_lilT5_lili.kd
    .uniform_work_group_size: 1
    .uses_dynamic_stack: false
    .vgpr_count:     24
    .vgpr_spill_count: 0
    .wavefront_size: 64
  - .agpr_count:     0
    .args:
      - .offset:         0
        .size:           4
        .value_kind:     by_value
      - .offset:         4
        .size:           4
        .value_kind:     by_value
      - .offset:         8
        .size:           4
        .value_kind:     by_value
      - .offset:         12
        .size:           4
        .value_kind:     by_value
      - .offset:         16
        .size:           4
        .value_kind:     by_value
      - .offset:         20
        .size:           8
        .value_kind:     by_value
      - .address_space:  global
        .offset:         32
        .size:           8
        .value_kind:     global_buffer
      - .offset:         40
        .size:           8
        .value_kind:     by_value
      - .offset:         48
        .size:           4
        .value_kind:     by_value
      - .offset:         56
        .size:           8
        .value_kind:     by_value
      - .address_space:  global
        .offset:         64
        .size:           8
        .value_kind:     global_buffer
      - .offset:         72
        .size:           8
        .value_kind:     by_value
      - .offset:         80
        .size:           4
        .value_kind:     by_value
      - .offset:         88
        .size:           8
        .value_kind:     by_value
      - .offset:         96
        .size:           4
        .value_kind:     by_value
      - .offset:         104
        .size:           4
        .value_kind:     hidden_block_count_x
      - .offset:         108
        .size:           4
        .value_kind:     hidden_block_count_y
      - .offset:         112
        .size:           4
        .value_kind:     hidden_block_count_z
      - .offset:         116
        .size:           2
        .value_kind:     hidden_group_size_x
      - .offset:         118
        .size:           2
        .value_kind:     hidden_group_size_y
      - .offset:         120
        .size:           2
        .value_kind:     hidden_group_size_z
      - .offset:         122
        .size:           2
        .value_kind:     hidden_remainder_x
      - .offset:         124
        .size:           2
        .value_kind:     hidden_remainder_y
      - .offset:         126
        .size:           2
        .value_kind:     hidden_remainder_z
      - .offset:         144
        .size:           8
        .value_kind:     hidden_global_offset_x
      - .offset:         152
        .size:           8
        .value_kind:     hidden_global_offset_y
      - .offset:         160
        .size:           8
        .value_kind:     hidden_global_offset_z
      - .offset:         168
        .size:           2
        .value_kind:     hidden_grid_dims
    .group_segment_fixed_size: 12544
    .kernarg_segment_align: 8
    .kernarg_segment_size: 360
    .language:       OpenCL C
    .language_version:
      - 2
      - 0
    .max_flat_workgroup_size: 28
    .name:           _ZL38rocblas_trsm_small_left_device_sharedBILi28ELi28ELb1E19rocblas_complex_numIfES1_PKPKS1_PKPS1_Ev13rocblas_fill_18rocblas_operation_17rocblas_diagonal_iiT3_T4_lilT5_lili
    .private_segment_fixed_size: 240
    .sgpr_count:     42
    .sgpr_spill_count: 0
    .symbol:         _ZL38rocblas_trsm_small_left_device_sharedBILi28ELi28ELb1E19rocblas_complex_numIfES1_PKPKS1_PKPS1_Ev13rocblas_fill_18rocblas_operation_17rocblas_diagonal_iiT3_T4_lilT5_lili.kd
    .uniform_work_group_size: 1
    .uses_dynamic_stack: false
    .vgpr_count:     22
    .vgpr_spill_count: 0
    .wavefront_size: 64
  - .agpr_count:     0
    .args:
      - .offset:         0
        .size:           4
        .value_kind:     by_value
      - .offset:         4
        .size:           4
        .value_kind:     by_value
      - .offset:         8
        .size:           4
        .value_kind:     by_value
      - .offset:         12
        .size:           4
        .value_kind:     by_value
      - .offset:         16
        .size:           4
        .value_kind:     by_value
      - .offset:         20
        .size:           8
        .value_kind:     by_value
      - .address_space:  global
        .offset:         32
        .size:           8
        .value_kind:     global_buffer
      - .offset:         40
        .size:           8
        .value_kind:     by_value
      - .offset:         48
        .size:           4
        .value_kind:     by_value
      - .offset:         56
        .size:           8
        .value_kind:     by_value
      - .address_space:  global
        .offset:         64
        .size:           8
        .value_kind:     global_buffer
      - .offset:         72
        .size:           8
        .value_kind:     by_value
      - .offset:         80
        .size:           4
        .value_kind:     by_value
      - .offset:         88
        .size:           8
        .value_kind:     by_value
      - .offset:         96
        .size:           4
        .value_kind:     by_value
      - .offset:         104
        .size:           4
        .value_kind:     hidden_block_count_x
      - .offset:         108
        .size:           4
        .value_kind:     hidden_block_count_y
      - .offset:         112
        .size:           4
        .value_kind:     hidden_block_count_z
      - .offset:         116
        .size:           2
        .value_kind:     hidden_group_size_x
      - .offset:         118
        .size:           2
        .value_kind:     hidden_group_size_y
      - .offset:         120
        .size:           2
        .value_kind:     hidden_group_size_z
      - .offset:         122
        .size:           2
        .value_kind:     hidden_remainder_x
      - .offset:         124
        .size:           2
        .value_kind:     hidden_remainder_y
      - .offset:         126
        .size:           2
        .value_kind:     hidden_remainder_z
      - .offset:         144
        .size:           8
        .value_kind:     hidden_global_offset_x
      - .offset:         152
        .size:           8
        .value_kind:     hidden_global_offset_y
      - .offset:         160
        .size:           8
        .value_kind:     hidden_global_offset_z
      - .offset:         168
        .size:           2
        .value_kind:     hidden_grid_dims
    .group_segment_fixed_size: 6272
    .kernarg_segment_align: 8
    .kernarg_segment_size: 360
    .language:       OpenCL C
    .language_version:
      - 2
      - 0
    .max_flat_workgroup_size: 28
    .name:           _ZL30rocblas_trsm_small_left_deviceILi28ELi28ELb1E19rocblas_complex_numIfES1_PKPKS1_PKPS1_Ev13rocblas_fill_18rocblas_operation_17rocblas_diagonal_iiT3_T4_lilT5_lili
    .private_segment_fixed_size: 240
    .sgpr_count:     51
    .sgpr_spill_count: 0
    .symbol:         _ZL30rocblas_trsm_small_left_deviceILi28ELi28ELb1E19rocblas_complex_numIfES1_PKPKS1_PKPS1_Ev13rocblas_fill_18rocblas_operation_17rocblas_diagonal_iiT3_T4_lilT5_lili.kd
    .uniform_work_group_size: 1
    .uses_dynamic_stack: false
    .vgpr_count:     24
    .vgpr_spill_count: 0
    .wavefront_size: 64
  - .agpr_count:     0
    .args:
      - .offset:         0
        .size:           4
        .value_kind:     by_value
      - .offset:         4
        .size:           4
        .value_kind:     by_value
      - .offset:         8
        .size:           4
        .value_kind:     by_value
      - .offset:         12
        .size:           4
        .value_kind:     by_value
      - .offset:         16
        .size:           4
        .value_kind:     by_value
      - .offset:         20
        .size:           8
        .value_kind:     by_value
      - .address_space:  global
        .offset:         32
        .size:           8
        .value_kind:     global_buffer
      - .offset:         40
        .size:           8
        .value_kind:     by_value
      - .offset:         48
        .size:           4
        .value_kind:     by_value
      - .offset:         56
        .size:           8
        .value_kind:     by_value
      - .address_space:  global
        .offset:         64
        .size:           8
        .value_kind:     global_buffer
      - .offset:         72
        .size:           8
        .value_kind:     by_value
      - .offset:         80
        .size:           4
        .value_kind:     by_value
      - .offset:         88
        .size:           8
        .value_kind:     by_value
      - .offset:         96
        .size:           4
        .value_kind:     by_value
      - .offset:         104
        .size:           4
        .value_kind:     hidden_block_count_x
      - .offset:         108
        .size:           4
        .value_kind:     hidden_block_count_y
      - .offset:         112
        .size:           4
        .value_kind:     hidden_block_count_z
      - .offset:         116
        .size:           2
        .value_kind:     hidden_group_size_x
      - .offset:         118
        .size:           2
        .value_kind:     hidden_group_size_y
      - .offset:         120
        .size:           2
        .value_kind:     hidden_group_size_z
      - .offset:         122
        .size:           2
        .value_kind:     hidden_remainder_x
      - .offset:         124
        .size:           2
        .value_kind:     hidden_remainder_y
      - .offset:         126
        .size:           2
        .value_kind:     hidden_remainder_z
      - .offset:         144
        .size:           8
        .value_kind:     hidden_global_offset_x
      - .offset:         152
        .size:           8
        .value_kind:     hidden_global_offset_y
      - .offset:         160
        .size:           8
        .value_kind:     hidden_global_offset_z
      - .offset:         168
        .size:           2
        .value_kind:     hidden_grid_dims
    .group_segment_fixed_size: 12544
    .kernarg_segment_align: 8
    .kernarg_segment_size: 360
    .language:       OpenCL C
    .language_version:
      - 2
      - 0
    .max_flat_workgroup_size: 28
    .name:           _ZL31rocblas_trsm_small_right_deviceI19rocblas_complex_numIfES1_PKPKS1_PKPS1_Li28EEv13rocblas_fill_18rocblas_operation_17rocblas_diagonal_iiT0_T1_lilT2_lili
    .private_segment_fixed_size: 0
    .sgpr_count:     38
    .sgpr_spill_count: 0
    .symbol:         _ZL31rocblas_trsm_small_right_deviceI19rocblas_complex_numIfES1_PKPKS1_PKPS1_Li28EEv13rocblas_fill_18rocblas_operation_17rocblas_diagonal_iiT0_T1_lilT2_lili.kd
    .uniform_work_group_size: 1
    .uses_dynamic_stack: false
    .vgpr_count:     34
    .vgpr_spill_count: 0
    .wavefront_size: 64
  - .agpr_count:     0
    .args:
      - .offset:         0
        .size:           4
        .value_kind:     by_value
      - .offset:         4
        .size:           4
        .value_kind:     by_value
      - .offset:         8
        .size:           4
        .value_kind:     by_value
      - .offset:         12
        .size:           4
        .value_kind:     by_value
      - .offset:         16
        .size:           4
        .value_kind:     by_value
      - .offset:         20
        .size:           8
        .value_kind:     by_value
      - .address_space:  global
        .offset:         32
        .size:           8
        .value_kind:     global_buffer
      - .offset:         40
        .size:           8
        .value_kind:     by_value
      - .offset:         48
        .size:           4
        .value_kind:     by_value
      - .offset:         56
        .size:           8
        .value_kind:     by_value
      - .address_space:  global
        .offset:         64
        .size:           8
        .value_kind:     global_buffer
      - .offset:         72
        .size:           8
        .value_kind:     by_value
      - .offset:         80
        .size:           4
        .value_kind:     by_value
      - .offset:         88
        .size:           8
        .value_kind:     by_value
      - .offset:         96
        .size:           4
        .value_kind:     by_value
      - .offset:         104
        .size:           4
        .value_kind:     hidden_block_count_x
      - .offset:         108
        .size:           4
        .value_kind:     hidden_block_count_y
      - .offset:         112
        .size:           4
        .value_kind:     hidden_block_count_z
      - .offset:         116
        .size:           2
        .value_kind:     hidden_group_size_x
      - .offset:         118
        .size:           2
        .value_kind:     hidden_group_size_y
      - .offset:         120
        .size:           2
        .value_kind:     hidden_group_size_z
      - .offset:         122
        .size:           2
        .value_kind:     hidden_remainder_x
      - .offset:         124
        .size:           2
        .value_kind:     hidden_remainder_y
      - .offset:         126
        .size:           2
        .value_kind:     hidden_remainder_z
      - .offset:         144
        .size:           8
        .value_kind:     hidden_global_offset_x
      - .offset:         152
        .size:           8
        .value_kind:     hidden_global_offset_y
      - .offset:         160
        .size:           8
        .value_kind:     hidden_global_offset_z
      - .offset:         168
        .size:           2
        .value_kind:     hidden_grid_dims
    .group_segment_fixed_size: 16384
    .kernarg_segment_align: 8
    .kernarg_segment_size: 360
    .language:       OpenCL C
    .language_version:
      - 2
      - 0
    .max_flat_workgroup_size: 32
    .name:           _ZL38rocblas_trsm_small_left_device_sharedBILi32ELi32ELb0E19rocblas_complex_numIfES1_PKPKS1_PKPS1_Ev13rocblas_fill_18rocblas_operation_17rocblas_diagonal_iiT3_T4_lilT5_lili
    .private_segment_fixed_size: 192
    .sgpr_count:     47
    .sgpr_spill_count: 0
    .symbol:         _ZL38rocblas_trsm_small_left_device_sharedBILi32ELi32ELb0E19rocblas_complex_numIfES1_PKPKS1_PKPS1_Ev13rocblas_fill_18rocblas_operation_17rocblas_diagonal_iiT3_T4_lilT5_lili.kd
    .uniform_work_group_size: 1
    .uses_dynamic_stack: false
    .vgpr_count:     178
    .vgpr_spill_count: 0
    .wavefront_size: 64
  - .agpr_count:     0
    .args:
      - .offset:         0
        .size:           4
        .value_kind:     by_value
      - .offset:         4
        .size:           4
        .value_kind:     by_value
      - .offset:         8
        .size:           4
        .value_kind:     by_value
      - .offset:         12
        .size:           4
        .value_kind:     by_value
      - .offset:         16
        .size:           4
        .value_kind:     by_value
      - .offset:         20
        .size:           8
        .value_kind:     by_value
      - .address_space:  global
        .offset:         32
        .size:           8
        .value_kind:     global_buffer
      - .offset:         40
        .size:           8
        .value_kind:     by_value
      - .offset:         48
        .size:           4
        .value_kind:     by_value
      - .offset:         56
        .size:           8
        .value_kind:     by_value
      - .address_space:  global
        .offset:         64
        .size:           8
        .value_kind:     global_buffer
      - .offset:         72
        .size:           8
        .value_kind:     by_value
      - .offset:         80
        .size:           4
        .value_kind:     by_value
      - .offset:         88
        .size:           8
        .value_kind:     by_value
      - .offset:         96
        .size:           4
        .value_kind:     by_value
      - .offset:         104
        .size:           4
        .value_kind:     hidden_block_count_x
      - .offset:         108
        .size:           4
        .value_kind:     hidden_block_count_y
      - .offset:         112
        .size:           4
        .value_kind:     hidden_block_count_z
      - .offset:         116
        .size:           2
        .value_kind:     hidden_group_size_x
      - .offset:         118
        .size:           2
        .value_kind:     hidden_group_size_y
      - .offset:         120
        .size:           2
        .value_kind:     hidden_group_size_z
      - .offset:         122
        .size:           2
        .value_kind:     hidden_remainder_x
      - .offset:         124
        .size:           2
        .value_kind:     hidden_remainder_y
      - .offset:         126
        .size:           2
        .value_kind:     hidden_remainder_z
      - .offset:         144
        .size:           8
        .value_kind:     hidden_global_offset_x
      - .offset:         152
        .size:           8
        .value_kind:     hidden_global_offset_y
      - .offset:         160
        .size:           8
        .value_kind:     hidden_global_offset_z
      - .offset:         168
        .size:           2
        .value_kind:     hidden_grid_dims
    .group_segment_fixed_size: 8192
    .kernarg_segment_align: 8
    .kernarg_segment_size: 360
    .language:       OpenCL C
    .language_version:
      - 2
      - 0
    .max_flat_workgroup_size: 32
    .name:           _ZL30rocblas_trsm_small_left_deviceILi32ELi32ELb0E19rocblas_complex_numIfES1_PKPKS1_PKPS1_Ev13rocblas_fill_18rocblas_operation_17rocblas_diagonal_iiT3_T4_lilT5_lili
    .private_segment_fixed_size: 272
    .sgpr_count:     48
    .sgpr_spill_count: 0
    .symbol:         _ZL30rocblas_trsm_small_left_deviceILi32ELi32ELb0E19rocblas_complex_numIfES1_PKPKS1_PKPS1_Ev13rocblas_fill_18rocblas_operation_17rocblas_diagonal_iiT3_T4_lilT5_lili.kd
    .uniform_work_group_size: 1
    .uses_dynamic_stack: false
    .vgpr_count:     24
    .vgpr_spill_count: 0
    .wavefront_size: 64
  - .agpr_count:     0
    .args:
      - .offset:         0
        .size:           4
        .value_kind:     by_value
      - .offset:         4
        .size:           4
        .value_kind:     by_value
      - .offset:         8
        .size:           4
        .value_kind:     by_value
      - .offset:         12
        .size:           4
        .value_kind:     by_value
      - .offset:         16
        .size:           4
        .value_kind:     by_value
      - .offset:         20
        .size:           8
        .value_kind:     by_value
      - .address_space:  global
        .offset:         32
        .size:           8
        .value_kind:     global_buffer
      - .offset:         40
        .size:           8
        .value_kind:     by_value
      - .offset:         48
        .size:           4
        .value_kind:     by_value
      - .offset:         56
        .size:           8
        .value_kind:     by_value
      - .address_space:  global
        .offset:         64
        .size:           8
        .value_kind:     global_buffer
      - .offset:         72
        .size:           8
        .value_kind:     by_value
      - .offset:         80
        .size:           4
        .value_kind:     by_value
      - .offset:         88
        .size:           8
        .value_kind:     by_value
      - .offset:         96
        .size:           4
        .value_kind:     by_value
      - .offset:         104
        .size:           4
        .value_kind:     hidden_block_count_x
      - .offset:         108
        .size:           4
        .value_kind:     hidden_block_count_y
      - .offset:         112
        .size:           4
        .value_kind:     hidden_block_count_z
      - .offset:         116
        .size:           2
        .value_kind:     hidden_group_size_x
      - .offset:         118
        .size:           2
        .value_kind:     hidden_group_size_y
      - .offset:         120
        .size:           2
        .value_kind:     hidden_group_size_z
      - .offset:         122
        .size:           2
        .value_kind:     hidden_remainder_x
      - .offset:         124
        .size:           2
        .value_kind:     hidden_remainder_y
      - .offset:         126
        .size:           2
        .value_kind:     hidden_remainder_z
      - .offset:         144
        .size:           8
        .value_kind:     hidden_global_offset_x
      - .offset:         152
        .size:           8
        .value_kind:     hidden_global_offset_y
      - .offset:         160
        .size:           8
        .value_kind:     hidden_global_offset_z
      - .offset:         168
        .size:           2
        .value_kind:     hidden_grid_dims
    .group_segment_fixed_size: 16384
    .kernarg_segment_align: 8
    .kernarg_segment_size: 360
    .language:       OpenCL C
    .language_version:
      - 2
      - 0
    .max_flat_workgroup_size: 32
    .name:           _ZL38rocblas_trsm_small_left_device_sharedBILi32ELi32ELb1E19rocblas_complex_numIfES1_PKPKS1_PKPS1_Ev13rocblas_fill_18rocblas_operation_17rocblas_diagonal_iiT3_T4_lilT5_lili
    .private_segment_fixed_size: 192
    .sgpr_count:     36
    .sgpr_spill_count: 0
    .symbol:         _ZL38rocblas_trsm_small_left_device_sharedBILi32ELi32ELb1E19rocblas_complex_numIfES1_PKPKS1_PKPS1_Ev13rocblas_fill_18rocblas_operation_17rocblas_diagonal_iiT3_T4_lilT5_lili.kd
    .uniform_work_group_size: 1
    .uses_dynamic_stack: false
    .vgpr_count:     180
    .vgpr_spill_count: 0
    .wavefront_size: 64
  - .agpr_count:     0
    .args:
      - .offset:         0
        .size:           4
        .value_kind:     by_value
      - .offset:         4
        .size:           4
        .value_kind:     by_value
      - .offset:         8
        .size:           4
        .value_kind:     by_value
      - .offset:         12
        .size:           4
        .value_kind:     by_value
      - .offset:         16
        .size:           4
        .value_kind:     by_value
      - .offset:         20
        .size:           8
        .value_kind:     by_value
      - .address_space:  global
        .offset:         32
        .size:           8
        .value_kind:     global_buffer
      - .offset:         40
        .size:           8
        .value_kind:     by_value
      - .offset:         48
        .size:           4
        .value_kind:     by_value
      - .offset:         56
        .size:           8
        .value_kind:     by_value
      - .address_space:  global
        .offset:         64
        .size:           8
        .value_kind:     global_buffer
      - .offset:         72
        .size:           8
        .value_kind:     by_value
      - .offset:         80
        .size:           4
        .value_kind:     by_value
      - .offset:         88
        .size:           8
        .value_kind:     by_value
      - .offset:         96
        .size:           4
        .value_kind:     by_value
      - .offset:         104
        .size:           4
        .value_kind:     hidden_block_count_x
      - .offset:         108
        .size:           4
        .value_kind:     hidden_block_count_y
      - .offset:         112
        .size:           4
        .value_kind:     hidden_block_count_z
      - .offset:         116
        .size:           2
        .value_kind:     hidden_group_size_x
      - .offset:         118
        .size:           2
        .value_kind:     hidden_group_size_y
      - .offset:         120
        .size:           2
        .value_kind:     hidden_group_size_z
      - .offset:         122
        .size:           2
        .value_kind:     hidden_remainder_x
      - .offset:         124
        .size:           2
        .value_kind:     hidden_remainder_y
      - .offset:         126
        .size:           2
        .value_kind:     hidden_remainder_z
      - .offset:         144
        .size:           8
        .value_kind:     hidden_global_offset_x
      - .offset:         152
        .size:           8
        .value_kind:     hidden_global_offset_y
      - .offset:         160
        .size:           8
        .value_kind:     hidden_global_offset_z
      - .offset:         168
        .size:           2
        .value_kind:     hidden_grid_dims
    .group_segment_fixed_size: 8192
    .kernarg_segment_align: 8
    .kernarg_segment_size: 360
    .language:       OpenCL C
    .language_version:
      - 2
      - 0
    .max_flat_workgroup_size: 32
    .name:           _ZL30rocblas_trsm_small_left_deviceILi32ELi32ELb1E19rocblas_complex_numIfES1_PKPKS1_PKPS1_Ev13rocblas_fill_18rocblas_operation_17rocblas_diagonal_iiT3_T4_lilT5_lili
    .private_segment_fixed_size: 272
    .sgpr_count:     51
    .sgpr_spill_count: 0
    .symbol:         _ZL30rocblas_trsm_small_left_deviceILi32ELi32ELb1E19rocblas_complex_numIfES1_PKPKS1_PKPS1_Ev13rocblas_fill_18rocblas_operation_17rocblas_diagonal_iiT3_T4_lilT5_lili.kd
    .uniform_work_group_size: 1
    .uses_dynamic_stack: false
    .vgpr_count:     24
    .vgpr_spill_count: 0
    .wavefront_size: 64
  - .agpr_count:     0
    .args:
      - .offset:         0
        .size:           4
        .value_kind:     by_value
      - .offset:         4
        .size:           4
        .value_kind:     by_value
      - .offset:         8
        .size:           4
        .value_kind:     by_value
      - .offset:         12
        .size:           4
        .value_kind:     by_value
      - .offset:         16
        .size:           4
        .value_kind:     by_value
      - .offset:         20
        .size:           8
        .value_kind:     by_value
      - .address_space:  global
        .offset:         32
        .size:           8
        .value_kind:     global_buffer
      - .offset:         40
        .size:           8
        .value_kind:     by_value
      - .offset:         48
        .size:           4
        .value_kind:     by_value
      - .offset:         56
        .size:           8
        .value_kind:     by_value
      - .address_space:  global
        .offset:         64
        .size:           8
        .value_kind:     global_buffer
      - .offset:         72
        .size:           8
        .value_kind:     by_value
      - .offset:         80
        .size:           4
        .value_kind:     by_value
      - .offset:         88
        .size:           8
        .value_kind:     by_value
      - .offset:         96
        .size:           4
        .value_kind:     by_value
      - .offset:         104
        .size:           4
        .value_kind:     hidden_block_count_x
      - .offset:         108
        .size:           4
        .value_kind:     hidden_block_count_y
      - .offset:         112
        .size:           4
        .value_kind:     hidden_block_count_z
      - .offset:         116
        .size:           2
        .value_kind:     hidden_group_size_x
      - .offset:         118
        .size:           2
        .value_kind:     hidden_group_size_y
      - .offset:         120
        .size:           2
        .value_kind:     hidden_group_size_z
      - .offset:         122
        .size:           2
        .value_kind:     hidden_remainder_x
      - .offset:         124
        .size:           2
        .value_kind:     hidden_remainder_y
      - .offset:         126
        .size:           2
        .value_kind:     hidden_remainder_z
      - .offset:         144
        .size:           8
        .value_kind:     hidden_global_offset_x
      - .offset:         152
        .size:           8
        .value_kind:     hidden_global_offset_y
      - .offset:         160
        .size:           8
        .value_kind:     hidden_global_offset_z
      - .offset:         168
        .size:           2
        .value_kind:     hidden_grid_dims
    .group_segment_fixed_size: 16384
    .kernarg_segment_align: 8
    .kernarg_segment_size: 360
    .language:       OpenCL C
    .language_version:
      - 2
      - 0
    .max_flat_workgroup_size: 32
    .name:           _ZL31rocblas_trsm_small_right_deviceI19rocblas_complex_numIfES1_PKPKS1_PKPS1_Li32EEv13rocblas_fill_18rocblas_operation_17rocblas_diagonal_iiT0_T1_lilT2_lili
    .private_segment_fixed_size: 0
    .sgpr_count:     36
    .sgpr_spill_count: 0
    .symbol:         _ZL31rocblas_trsm_small_right_deviceI19rocblas_complex_numIfES1_PKPKS1_PKPS1_Li32EEv13rocblas_fill_18rocblas_operation_17rocblas_diagonal_iiT0_T1_lilT2_lili.kd
    .uniform_work_group_size: 1
    .uses_dynamic_stack: false
    .vgpr_count:     34
    .vgpr_spill_count: 0
    .wavefront_size: 64
  - .agpr_count:     0
    .args:
      - .offset:         0
        .size:           4
        .value_kind:     by_value
      - .offset:         4
        .size:           4
        .value_kind:     by_value
      - .offset:         8
        .size:           4
        .value_kind:     by_value
      - .offset:         12
        .size:           4
        .value_kind:     by_value
      - .offset:         16
        .size:           4
        .value_kind:     by_value
      - .offset:         20
        .size:           8
        .value_kind:     by_value
      - .address_space:  global
        .offset:         32
        .size:           8
        .value_kind:     global_buffer
      - .offset:         40
        .size:           8
        .value_kind:     by_value
      - .offset:         48
        .size:           4
        .value_kind:     by_value
      - .offset:         56
        .size:           8
        .value_kind:     by_value
      - .address_space:  global
        .offset:         64
        .size:           8
        .value_kind:     global_buffer
      - .offset:         72
        .size:           8
        .value_kind:     by_value
      - .offset:         80
        .size:           4
        .value_kind:     by_value
      - .offset:         88
        .size:           8
        .value_kind:     by_value
      - .offset:         96
        .size:           4
        .value_kind:     by_value
      - .offset:         104
        .size:           4
        .value_kind:     hidden_block_count_x
      - .offset:         108
        .size:           4
        .value_kind:     hidden_block_count_y
      - .offset:         112
        .size:           4
        .value_kind:     hidden_block_count_z
      - .offset:         116
        .size:           2
        .value_kind:     hidden_group_size_x
      - .offset:         118
        .size:           2
        .value_kind:     hidden_group_size_y
      - .offset:         120
        .size:           2
        .value_kind:     hidden_group_size_z
      - .offset:         122
        .size:           2
        .value_kind:     hidden_remainder_x
      - .offset:         124
        .size:           2
        .value_kind:     hidden_remainder_y
      - .offset:         126
        .size:           2
        .value_kind:     hidden_remainder_z
      - .offset:         144
        .size:           8
        .value_kind:     hidden_global_offset_x
      - .offset:         152
        .size:           8
        .value_kind:     hidden_global_offset_y
      - .offset:         160
        .size:           8
        .value_kind:     hidden_global_offset_z
      - .offset:         168
        .size:           2
        .value_kind:     hidden_grid_dims
    .group_segment_fixed_size: 65536
    .kernarg_segment_align: 8
    .kernarg_segment_size: 360
    .language:       OpenCL C
    .language_version:
      - 2
      - 0
    .max_flat_workgroup_size: 64
    .name:           _ZL38rocblas_trsm_small_left_device_sharedBILi64ELi32ELb0E19rocblas_complex_numIfES1_PKPKS1_PKPS1_Ev13rocblas_fill_18rocblas_operation_17rocblas_diagonal_iiT3_T4_lilT5_lili
    .private_segment_fixed_size: 192
    .sgpr_count:     52
    .sgpr_spill_count: 0
    .symbol:         _ZL38rocblas_trsm_small_left_device_sharedBILi64ELi32ELb0E19rocblas_complex_numIfES1_PKPKS1_PKPS1_Ev13rocblas_fill_18rocblas_operation_17rocblas_diagonal_iiT3_T4_lilT5_lili.kd
    .uniform_work_group_size: 1
    .uses_dynamic_stack: false
    .vgpr_count:     220
    .vgpr_spill_count: 0
    .wavefront_size: 64
  - .agpr_count:     0
    .args:
      - .offset:         0
        .size:           4
        .value_kind:     by_value
      - .offset:         4
        .size:           4
        .value_kind:     by_value
      - .offset:         8
        .size:           4
        .value_kind:     by_value
      - .offset:         12
        .size:           4
        .value_kind:     by_value
      - .offset:         16
        .size:           4
        .value_kind:     by_value
      - .offset:         20
        .size:           8
        .value_kind:     by_value
      - .address_space:  global
        .offset:         32
        .size:           8
        .value_kind:     global_buffer
      - .offset:         40
        .size:           8
        .value_kind:     by_value
      - .offset:         48
        .size:           4
        .value_kind:     by_value
      - .offset:         56
        .size:           8
        .value_kind:     by_value
      - .address_space:  global
        .offset:         64
        .size:           8
        .value_kind:     global_buffer
      - .offset:         72
        .size:           8
        .value_kind:     by_value
      - .offset:         80
        .size:           4
        .value_kind:     by_value
      - .offset:         88
        .size:           8
        .value_kind:     by_value
      - .offset:         96
        .size:           4
        .value_kind:     by_value
      - .offset:         104
        .size:           4
        .value_kind:     hidden_block_count_x
      - .offset:         108
        .size:           4
        .value_kind:     hidden_block_count_y
      - .offset:         112
        .size:           4
        .value_kind:     hidden_block_count_z
      - .offset:         116
        .size:           2
        .value_kind:     hidden_group_size_x
      - .offset:         118
        .size:           2
        .value_kind:     hidden_group_size_y
      - .offset:         120
        .size:           2
        .value_kind:     hidden_group_size_z
      - .offset:         122
        .size:           2
        .value_kind:     hidden_remainder_x
      - .offset:         124
        .size:           2
        .value_kind:     hidden_remainder_y
      - .offset:         126
        .size:           2
        .value_kind:     hidden_remainder_z
      - .offset:         144
        .size:           8
        .value_kind:     hidden_global_offset_x
      - .offset:         152
        .size:           8
        .value_kind:     hidden_global_offset_y
      - .offset:         160
        .size:           8
        .value_kind:     hidden_global_offset_z
      - .offset:         168
        .size:           2
        .value_kind:     hidden_grid_dims
    .group_segment_fixed_size: 32768
    .kernarg_segment_align: 8
    .kernarg_segment_size: 360
    .language:       OpenCL C
    .language_version:
      - 2
      - 0
    .max_flat_workgroup_size: 64
    .name:           _ZL30rocblas_trsm_small_left_deviceILi64ELi32ELb0E19rocblas_complex_numIfES1_PKPKS1_PKPS1_Ev13rocblas_fill_18rocblas_operation_17rocblas_diagonal_iiT3_T4_lilT5_lili
    .private_segment_fixed_size: 272
    .sgpr_count:     48
    .sgpr_spill_count: 0
    .symbol:         _ZL30rocblas_trsm_small_left_deviceILi64ELi32ELb0E19rocblas_complex_numIfES1_PKPKS1_PKPS1_Ev13rocblas_fill_18rocblas_operation_17rocblas_diagonal_iiT3_T4_lilT5_lili.kd
    .uniform_work_group_size: 1
    .uses_dynamic_stack: false
    .vgpr_count:     24
    .vgpr_spill_count: 0
    .wavefront_size: 64
  - .agpr_count:     0
    .args:
      - .offset:         0
        .size:           4
        .value_kind:     by_value
      - .offset:         4
        .size:           4
        .value_kind:     by_value
      - .offset:         8
        .size:           4
        .value_kind:     by_value
      - .offset:         12
        .size:           4
        .value_kind:     by_value
      - .offset:         16
        .size:           4
        .value_kind:     by_value
      - .offset:         20
        .size:           8
        .value_kind:     by_value
      - .address_space:  global
        .offset:         32
        .size:           8
        .value_kind:     global_buffer
      - .offset:         40
        .size:           8
        .value_kind:     by_value
      - .offset:         48
        .size:           4
        .value_kind:     by_value
      - .offset:         56
        .size:           8
        .value_kind:     by_value
      - .address_space:  global
        .offset:         64
        .size:           8
        .value_kind:     global_buffer
      - .offset:         72
        .size:           8
        .value_kind:     by_value
      - .offset:         80
        .size:           4
        .value_kind:     by_value
      - .offset:         88
        .size:           8
        .value_kind:     by_value
      - .offset:         96
        .size:           4
        .value_kind:     by_value
      - .offset:         104
        .size:           4
        .value_kind:     hidden_block_count_x
      - .offset:         108
        .size:           4
        .value_kind:     hidden_block_count_y
      - .offset:         112
        .size:           4
        .value_kind:     hidden_block_count_z
      - .offset:         116
        .size:           2
        .value_kind:     hidden_group_size_x
      - .offset:         118
        .size:           2
        .value_kind:     hidden_group_size_y
      - .offset:         120
        .size:           2
        .value_kind:     hidden_group_size_z
      - .offset:         122
        .size:           2
        .value_kind:     hidden_remainder_x
      - .offset:         124
        .size:           2
        .value_kind:     hidden_remainder_y
      - .offset:         126
        .size:           2
        .value_kind:     hidden_remainder_z
      - .offset:         144
        .size:           8
        .value_kind:     hidden_global_offset_x
      - .offset:         152
        .size:           8
        .value_kind:     hidden_global_offset_y
      - .offset:         160
        .size:           8
        .value_kind:     hidden_global_offset_z
      - .offset:         168
        .size:           2
        .value_kind:     hidden_grid_dims
    .group_segment_fixed_size: 65536
    .kernarg_segment_align: 8
    .kernarg_segment_size: 360
    .language:       OpenCL C
    .language_version:
      - 2
      - 0
    .max_flat_workgroup_size: 64
    .name:           _ZL38rocblas_trsm_small_left_device_sharedBILi64ELi32ELb1E19rocblas_complex_numIfES1_PKPKS1_PKPS1_Ev13rocblas_fill_18rocblas_operation_17rocblas_diagonal_iiT3_T4_lilT5_lili
    .private_segment_fixed_size: 192
    .sgpr_count:     41
    .sgpr_spill_count: 0
    .symbol:         _ZL38rocblas_trsm_small_left_device_sharedBILi64ELi32ELb1E19rocblas_complex_numIfES1_PKPKS1_PKPS1_Ev13rocblas_fill_18rocblas_operation_17rocblas_diagonal_iiT3_T4_lilT5_lili.kd
    .uniform_work_group_size: 1
    .uses_dynamic_stack: false
    .vgpr_count:     222
    .vgpr_spill_count: 0
    .wavefront_size: 64
  - .agpr_count:     0
    .args:
      - .offset:         0
        .size:           4
        .value_kind:     by_value
      - .offset:         4
        .size:           4
        .value_kind:     by_value
      - .offset:         8
        .size:           4
        .value_kind:     by_value
      - .offset:         12
        .size:           4
        .value_kind:     by_value
      - .offset:         16
        .size:           4
        .value_kind:     by_value
      - .offset:         20
        .size:           8
        .value_kind:     by_value
      - .address_space:  global
        .offset:         32
        .size:           8
        .value_kind:     global_buffer
      - .offset:         40
        .size:           8
        .value_kind:     by_value
      - .offset:         48
        .size:           4
        .value_kind:     by_value
      - .offset:         56
        .size:           8
        .value_kind:     by_value
      - .address_space:  global
        .offset:         64
        .size:           8
        .value_kind:     global_buffer
      - .offset:         72
        .size:           8
        .value_kind:     by_value
      - .offset:         80
        .size:           4
        .value_kind:     by_value
      - .offset:         88
        .size:           8
        .value_kind:     by_value
      - .offset:         96
        .size:           4
        .value_kind:     by_value
      - .offset:         104
        .size:           4
        .value_kind:     hidden_block_count_x
      - .offset:         108
        .size:           4
        .value_kind:     hidden_block_count_y
      - .offset:         112
        .size:           4
        .value_kind:     hidden_block_count_z
      - .offset:         116
        .size:           2
        .value_kind:     hidden_group_size_x
      - .offset:         118
        .size:           2
        .value_kind:     hidden_group_size_y
      - .offset:         120
        .size:           2
        .value_kind:     hidden_group_size_z
      - .offset:         122
        .size:           2
        .value_kind:     hidden_remainder_x
      - .offset:         124
        .size:           2
        .value_kind:     hidden_remainder_y
      - .offset:         126
        .size:           2
        .value_kind:     hidden_remainder_z
      - .offset:         144
        .size:           8
        .value_kind:     hidden_global_offset_x
      - .offset:         152
        .size:           8
        .value_kind:     hidden_global_offset_y
      - .offset:         160
        .size:           8
        .value_kind:     hidden_global_offset_z
      - .offset:         168
        .size:           2
        .value_kind:     hidden_grid_dims
    .group_segment_fixed_size: 32768
    .kernarg_segment_align: 8
    .kernarg_segment_size: 360
    .language:       OpenCL C
    .language_version:
      - 2
      - 0
    .max_flat_workgroup_size: 64
    .name:           _ZL30rocblas_trsm_small_left_deviceILi64ELi32ELb1E19rocblas_complex_numIfES1_PKPKS1_PKPS1_Ev13rocblas_fill_18rocblas_operation_17rocblas_diagonal_iiT3_T4_lilT5_lili
    .private_segment_fixed_size: 272
    .sgpr_count:     51
    .sgpr_spill_count: 0
    .symbol:         _ZL30rocblas_trsm_small_left_deviceILi64ELi32ELb1E19rocblas_complex_numIfES1_PKPKS1_PKPS1_Ev13rocblas_fill_18rocblas_operation_17rocblas_diagonal_iiT3_T4_lilT5_lili.kd
    .uniform_work_group_size: 1
    .uses_dynamic_stack: false
    .vgpr_count:     24
    .vgpr_spill_count: 0
    .wavefront_size: 64
  - .agpr_count:     0
    .args:
      - .offset:         0
        .size:           4
        .value_kind:     by_value
      - .offset:         4
        .size:           4
        .value_kind:     by_value
      - .offset:         8
        .size:           4
        .value_kind:     by_value
      - .offset:         12
        .size:           4
        .value_kind:     by_value
      - .offset:         16
        .size:           4
        .value_kind:     by_value
      - .offset:         20
        .size:           8
        .value_kind:     by_value
      - .address_space:  global
        .offset:         32
        .size:           8
        .value_kind:     global_buffer
      - .offset:         40
        .size:           8
        .value_kind:     by_value
      - .offset:         48
        .size:           4
        .value_kind:     by_value
      - .offset:         56
        .size:           8
        .value_kind:     by_value
      - .address_space:  global
        .offset:         64
        .size:           8
        .value_kind:     global_buffer
      - .offset:         72
        .size:           8
        .value_kind:     by_value
      - .offset:         80
        .size:           4
        .value_kind:     by_value
      - .offset:         88
        .size:           8
        .value_kind:     by_value
      - .offset:         96
        .size:           4
        .value_kind:     by_value
      - .offset:         104
        .size:           4
        .value_kind:     hidden_block_count_x
      - .offset:         108
        .size:           4
        .value_kind:     hidden_block_count_y
      - .offset:         112
        .size:           4
        .value_kind:     hidden_block_count_z
      - .offset:         116
        .size:           2
        .value_kind:     hidden_group_size_x
      - .offset:         118
        .size:           2
        .value_kind:     hidden_group_size_y
      - .offset:         120
        .size:           2
        .value_kind:     hidden_group_size_z
      - .offset:         122
        .size:           2
        .value_kind:     hidden_remainder_x
      - .offset:         124
        .size:           2
        .value_kind:     hidden_remainder_y
      - .offset:         126
        .size:           2
        .value_kind:     hidden_remainder_z
      - .offset:         144
        .size:           8
        .value_kind:     hidden_global_offset_x
      - .offset:         152
        .size:           8
        .value_kind:     hidden_global_offset_y
      - .offset:         160
        .size:           8
        .value_kind:     hidden_global_offset_z
      - .offset:         168
        .size:           2
        .value_kind:     hidden_grid_dims
    .group_segment_fixed_size: 65536
    .kernarg_segment_align: 8
    .kernarg_segment_size: 360
    .language:       OpenCL C
    .language_version:
      - 2
      - 0
    .max_flat_workgroup_size: 64
    .name:           _ZL31rocblas_trsm_small_right_deviceI19rocblas_complex_numIfES1_PKPKS1_PKPS1_Li64EEv13rocblas_fill_18rocblas_operation_17rocblas_diagonal_iiT0_T1_lilT2_lili
    .private_segment_fixed_size: 0
    .sgpr_count:     36
    .sgpr_spill_count: 0
    .symbol:         _ZL31rocblas_trsm_small_right_deviceI19rocblas_complex_numIfES1_PKPKS1_PKPS1_Li64EEv13rocblas_fill_18rocblas_operation_17rocblas_diagonal_iiT0_T1_lilT2_lili.kd
    .uniform_work_group_size: 1
    .uses_dynamic_stack: false
    .vgpr_count:     34
    .vgpr_spill_count: 0
    .wavefront_size: 64
  - .agpr_count:     0
    .args:
      - .offset:         0
        .size:           4
        .value_kind:     by_value
      - .offset:         8
        .size:           8
        .value_kind:     by_value
      - .offset:         16
        .size:           8
        .value_kind:     by_value
      - .offset:         24
        .size:           8
        .value_kind:     by_value
      - .address_space:  global
        .offset:         32
        .size:           8
        .value_kind:     global_buffer
      - .offset:         40
        .size:           8
        .value_kind:     by_value
      - .offset:         48
        .size:           8
        .value_kind:     by_value
      - .offset:         56
        .size:           8
        .value_kind:     by_value
      - .address_space:  global
        .offset:         64
        .size:           8
        .value_kind:     global_buffer
      - .offset:         72
        .size:           8
        .value_kind:     by_value
      - .offset:         80
        .size:           8
        .value_kind:     by_value
      - .offset:         88
        .size:           8
        .value_kind:     by_value
      - .offset:         96
        .size:           4
        .value_kind:     by_value
      - .offset:         100
        .size:           1
        .value_kind:     by_value
      - .offset:         104
        .size:           4
        .value_kind:     hidden_block_count_x
      - .offset:         108
        .size:           4
        .value_kind:     hidden_block_count_y
      - .offset:         112
        .size:           4
        .value_kind:     hidden_block_count_z
      - .offset:         116
        .size:           2
        .value_kind:     hidden_group_size_x
      - .offset:         118
        .size:           2
        .value_kind:     hidden_group_size_y
      - .offset:         120
        .size:           2
        .value_kind:     hidden_group_size_z
      - .offset:         122
        .size:           2
        .value_kind:     hidden_remainder_x
      - .offset:         124
        .size:           2
        .value_kind:     hidden_remainder_y
      - .offset:         126
        .size:           2
        .value_kind:     hidden_remainder_z
      - .offset:         144
        .size:           8
        .value_kind:     hidden_global_offset_x
      - .offset:         152
        .size:           8
        .value_kind:     hidden_global_offset_y
      - .offset:         160
        .size:           8
        .value_kind:     hidden_global_offset_z
      - .offset:         168
        .size:           2
        .value_kind:     hidden_grid_dims
      - .offset:         224
        .size:           4
        .value_kind:     hidden_dynamic_lds_size
    .group_segment_fixed_size: 0
    .kernarg_segment_align: 8
    .kernarg_segment_size: 360
    .language:       OpenCL C
    .language_version:
      - 2
      - 0
    .max_flat_workgroup_size: 1024
    .name:           _ZL39rocblas_trsm_block_forward_substitutionI19rocblas_complex_numIfES1_PKPKS1_PKPS1_Lb0ELb0ELb0EEv18rocblas_operation_llT0_T1_lllT2_lllib
    .private_segment_fixed_size: 0
    .sgpr_count:     38
    .sgpr_spill_count: 0
    .symbol:         _ZL39rocblas_trsm_block_forward_substitutionI19rocblas_complex_numIfES1_PKPKS1_PKPS1_Lb0ELb0ELb0EEv18rocblas_operation_llT0_T1_lllT2_lllib.kd
    .uniform_work_group_size: 1
    .uses_dynamic_stack: false
    .vgpr_count:     20
    .vgpr_spill_count: 0
    .wavefront_size: 64
  - .agpr_count:     0
    .args:
      - .offset:         0
        .size:           4
        .value_kind:     by_value
      - .offset:         8
        .size:           8
        .value_kind:     by_value
      - .offset:         16
        .size:           8
        .value_kind:     by_value
      - .offset:         24
        .size:           8
        .value_kind:     by_value
      - .address_space:  global
        .offset:         32
        .size:           8
        .value_kind:     global_buffer
      - .offset:         40
        .size:           8
        .value_kind:     by_value
      - .offset:         48
        .size:           8
        .value_kind:     by_value
      - .offset:         56
        .size:           8
        .value_kind:     by_value
      - .address_space:  global
        .offset:         64
        .size:           8
        .value_kind:     global_buffer
      - .offset:         72
        .size:           8
        .value_kind:     by_value
      - .offset:         80
        .size:           8
        .value_kind:     by_value
      - .offset:         88
        .size:           8
        .value_kind:     by_value
      - .offset:         96
        .size:           4
        .value_kind:     by_value
      - .offset:         100
        .size:           1
        .value_kind:     by_value
      - .offset:         104
        .size:           4
        .value_kind:     hidden_block_count_x
      - .offset:         108
        .size:           4
        .value_kind:     hidden_block_count_y
      - .offset:         112
        .size:           4
        .value_kind:     hidden_block_count_z
      - .offset:         116
        .size:           2
        .value_kind:     hidden_group_size_x
      - .offset:         118
        .size:           2
        .value_kind:     hidden_group_size_y
      - .offset:         120
        .size:           2
        .value_kind:     hidden_group_size_z
      - .offset:         122
        .size:           2
        .value_kind:     hidden_remainder_x
      - .offset:         124
        .size:           2
        .value_kind:     hidden_remainder_y
      - .offset:         126
        .size:           2
        .value_kind:     hidden_remainder_z
      - .offset:         144
        .size:           8
        .value_kind:     hidden_global_offset_x
      - .offset:         152
        .size:           8
        .value_kind:     hidden_global_offset_y
      - .offset:         160
        .size:           8
        .value_kind:     hidden_global_offset_z
      - .offset:         168
        .size:           2
        .value_kind:     hidden_grid_dims
      - .offset:         224
        .size:           4
        .value_kind:     hidden_dynamic_lds_size
    .group_segment_fixed_size: 0
    .kernarg_segment_align: 8
    .kernarg_segment_size: 360
    .language:       OpenCL C
    .language_version:
      - 2
      - 0
    .max_flat_workgroup_size: 1024
    .name:           _ZL40rocblas_trsm_block_backward_substitutionI19rocblas_complex_numIfES1_PKPKS1_PKPS1_Lb0ELb0ELb0EEv18rocblas_operation_llT0_T1_lllT2_lllib
    .private_segment_fixed_size: 0
    .sgpr_count:     44
    .sgpr_spill_count: 0
    .symbol:         _ZL40rocblas_trsm_block_backward_substitutionI19rocblas_complex_numIfES1_PKPKS1_PKPS1_Lb0ELb0ELb0EEv18rocblas_operation_llT0_T1_lllT2_lllib.kd
    .uniform_work_group_size: 1
    .uses_dynamic_stack: false
    .vgpr_count:     20
    .vgpr_spill_count: 0
    .wavefront_size: 64
  - .agpr_count:     0
    .args:
      - .offset:         0
        .size:           4
        .value_kind:     by_value
      - .offset:         8
        .size:           8
        .value_kind:     by_value
      - .offset:         16
        .size:           8
        .value_kind:     by_value
      - .offset:         24
        .size:           8
        .value_kind:     by_value
      - .address_space:  global
        .offset:         32
        .size:           8
        .value_kind:     global_buffer
      - .offset:         40
        .size:           8
        .value_kind:     by_value
      - .offset:         48
        .size:           8
        .value_kind:     by_value
      - .offset:         56
        .size:           8
        .value_kind:     by_value
      - .address_space:  global
        .offset:         64
        .size:           8
        .value_kind:     global_buffer
      - .offset:         72
        .size:           8
        .value_kind:     by_value
      - .offset:         80
        .size:           8
        .value_kind:     by_value
      - .offset:         88
        .size:           8
        .value_kind:     by_value
      - .offset:         96
        .size:           4
        .value_kind:     by_value
      - .offset:         100
        .size:           1
        .value_kind:     by_value
      - .offset:         104
        .size:           4
        .value_kind:     hidden_block_count_x
      - .offset:         108
        .size:           4
        .value_kind:     hidden_block_count_y
      - .offset:         112
        .size:           4
        .value_kind:     hidden_block_count_z
      - .offset:         116
        .size:           2
        .value_kind:     hidden_group_size_x
      - .offset:         118
        .size:           2
        .value_kind:     hidden_group_size_y
      - .offset:         120
        .size:           2
        .value_kind:     hidden_group_size_z
      - .offset:         122
        .size:           2
        .value_kind:     hidden_remainder_x
      - .offset:         124
        .size:           2
        .value_kind:     hidden_remainder_y
      - .offset:         126
        .size:           2
        .value_kind:     hidden_remainder_z
      - .offset:         144
        .size:           8
        .value_kind:     hidden_global_offset_x
      - .offset:         152
        .size:           8
        .value_kind:     hidden_global_offset_y
      - .offset:         160
        .size:           8
        .value_kind:     hidden_global_offset_z
      - .offset:         168
        .size:           2
        .value_kind:     hidden_grid_dims
      - .offset:         224
        .size:           4
        .value_kind:     hidden_dynamic_lds_size
    .group_segment_fixed_size: 0
    .kernarg_segment_align: 8
    .kernarg_segment_size: 360
    .language:       OpenCL C
    .language_version:
      - 2
      - 0
    .max_flat_workgroup_size: 1024
    .name:           _ZL39rocblas_trsm_block_forward_substitutionI19rocblas_complex_numIfES1_PKPKS1_PKPS1_Lb0ELb0ELb1EEv18rocblas_operation_llT0_T1_lllT2_lllib
    .private_segment_fixed_size: 0
    .sgpr_count:     32
    .sgpr_spill_count: 0
    .symbol:         _ZL39rocblas_trsm_block_forward_substitutionI19rocblas_complex_numIfES1_PKPKS1_PKPS1_Lb0ELb0ELb1EEv18rocblas_operation_llT0_T1_lllT2_lllib.kd
    .uniform_work_group_size: 1
    .uses_dynamic_stack: false
    .vgpr_count:     18
    .vgpr_spill_count: 0
    .wavefront_size: 64
  - .agpr_count:     0
    .args:
      - .offset:         0
        .size:           4
        .value_kind:     by_value
      - .offset:         8
        .size:           8
        .value_kind:     by_value
      - .offset:         16
        .size:           8
        .value_kind:     by_value
      - .offset:         24
        .size:           8
        .value_kind:     by_value
      - .address_space:  global
        .offset:         32
        .size:           8
        .value_kind:     global_buffer
      - .offset:         40
        .size:           8
        .value_kind:     by_value
      - .offset:         48
        .size:           8
        .value_kind:     by_value
      - .offset:         56
        .size:           8
        .value_kind:     by_value
      - .address_space:  global
        .offset:         64
        .size:           8
        .value_kind:     global_buffer
      - .offset:         72
        .size:           8
        .value_kind:     by_value
      - .offset:         80
        .size:           8
        .value_kind:     by_value
      - .offset:         88
        .size:           8
        .value_kind:     by_value
      - .offset:         96
        .size:           4
        .value_kind:     by_value
      - .offset:         100
        .size:           1
        .value_kind:     by_value
      - .offset:         104
        .size:           4
        .value_kind:     hidden_block_count_x
      - .offset:         108
        .size:           4
        .value_kind:     hidden_block_count_y
      - .offset:         112
        .size:           4
        .value_kind:     hidden_block_count_z
      - .offset:         116
        .size:           2
        .value_kind:     hidden_group_size_x
      - .offset:         118
        .size:           2
        .value_kind:     hidden_group_size_y
      - .offset:         120
        .size:           2
        .value_kind:     hidden_group_size_z
      - .offset:         122
        .size:           2
        .value_kind:     hidden_remainder_x
      - .offset:         124
        .size:           2
        .value_kind:     hidden_remainder_y
      - .offset:         126
        .size:           2
        .value_kind:     hidden_remainder_z
      - .offset:         144
        .size:           8
        .value_kind:     hidden_global_offset_x
      - .offset:         152
        .size:           8
        .value_kind:     hidden_global_offset_y
      - .offset:         160
        .size:           8
        .value_kind:     hidden_global_offset_z
      - .offset:         168
        .size:           2
        .value_kind:     hidden_grid_dims
      - .offset:         224
        .size:           4
        .value_kind:     hidden_dynamic_lds_size
    .group_segment_fixed_size: 0
    .kernarg_segment_align: 8
    .kernarg_segment_size: 360
    .language:       OpenCL C
    .language_version:
      - 2
      - 0
    .max_flat_workgroup_size: 1024
    .name:           _ZL40rocblas_trsm_block_backward_substitutionI19rocblas_complex_numIfES1_PKPKS1_PKPS1_Lb0ELb0ELb1EEv18rocblas_operation_llT0_T1_lllT2_lllib
    .private_segment_fixed_size: 0
    .sgpr_count:     34
    .sgpr_spill_count: 0
    .symbol:         _ZL40rocblas_trsm_block_backward_substitutionI19rocblas_complex_numIfES1_PKPKS1_PKPS1_Lb0ELb0ELb1EEv18rocblas_operation_llT0_T1_lllT2_lllib.kd
    .uniform_work_group_size: 1
    .uses_dynamic_stack: false
    .vgpr_count:     18
    .vgpr_spill_count: 0
    .wavefront_size: 64
  - .agpr_count:     0
    .args:
      - .offset:         0
        .size:           4
        .value_kind:     by_value
      - .offset:         8
        .size:           8
        .value_kind:     by_value
      - .offset:         16
        .size:           8
        .value_kind:     by_value
      - .offset:         24
        .size:           8
        .value_kind:     by_value
      - .address_space:  global
        .offset:         32
        .size:           8
        .value_kind:     global_buffer
      - .offset:         40
        .size:           8
        .value_kind:     by_value
      - .offset:         48
        .size:           8
        .value_kind:     by_value
      - .offset:         56
        .size:           8
        .value_kind:     by_value
      - .address_space:  global
        .offset:         64
        .size:           8
        .value_kind:     global_buffer
      - .offset:         72
        .size:           8
        .value_kind:     by_value
      - .offset:         80
        .size:           8
        .value_kind:     by_value
      - .offset:         88
        .size:           8
        .value_kind:     by_value
      - .offset:         96
        .size:           4
        .value_kind:     by_value
      - .offset:         100
        .size:           1
        .value_kind:     by_value
      - .offset:         104
        .size:           4
        .value_kind:     hidden_block_count_x
      - .offset:         108
        .size:           4
        .value_kind:     hidden_block_count_y
      - .offset:         112
        .size:           4
        .value_kind:     hidden_block_count_z
      - .offset:         116
        .size:           2
        .value_kind:     hidden_group_size_x
      - .offset:         118
        .size:           2
        .value_kind:     hidden_group_size_y
      - .offset:         120
        .size:           2
        .value_kind:     hidden_group_size_z
      - .offset:         122
        .size:           2
        .value_kind:     hidden_remainder_x
      - .offset:         124
        .size:           2
        .value_kind:     hidden_remainder_y
      - .offset:         126
        .size:           2
        .value_kind:     hidden_remainder_z
      - .offset:         144
        .size:           8
        .value_kind:     hidden_global_offset_x
      - .offset:         152
        .size:           8
        .value_kind:     hidden_global_offset_y
      - .offset:         160
        .size:           8
        .value_kind:     hidden_global_offset_z
      - .offset:         168
        .size:           2
        .value_kind:     hidden_grid_dims
      - .offset:         224
        .size:           4
        .value_kind:     hidden_dynamic_lds_size
    .group_segment_fixed_size: 0
    .kernarg_segment_align: 8
    .kernarg_segment_size: 360
    .language:       OpenCL C
    .language_version:
      - 2
      - 0
    .max_flat_workgroup_size: 1024
    .name:           _ZL39rocblas_trsm_block_forward_substitutionI19rocblas_complex_numIfES1_PKPKS1_PKPS1_Lb0ELb1ELb0EEv18rocblas_operation_llT0_T1_lllT2_lllib
    .private_segment_fixed_size: 0
    .sgpr_count:     38
    .sgpr_spill_count: 0
    .symbol:         _ZL39rocblas_trsm_block_forward_substitutionI19rocblas_complex_numIfES1_PKPKS1_PKPS1_Lb0ELb1ELb0EEv18rocblas_operation_llT0_T1_lllT2_lllib.kd
    .uniform_work_group_size: 1
    .uses_dynamic_stack: false
    .vgpr_count:     20
    .vgpr_spill_count: 0
    .wavefront_size: 64
  - .agpr_count:     0
    .args:
      - .offset:         0
        .size:           4
        .value_kind:     by_value
      - .offset:         8
        .size:           8
        .value_kind:     by_value
      - .offset:         16
        .size:           8
        .value_kind:     by_value
      - .offset:         24
        .size:           8
        .value_kind:     by_value
      - .address_space:  global
        .offset:         32
        .size:           8
        .value_kind:     global_buffer
      - .offset:         40
        .size:           8
        .value_kind:     by_value
      - .offset:         48
        .size:           8
        .value_kind:     by_value
      - .offset:         56
        .size:           8
        .value_kind:     by_value
      - .address_space:  global
        .offset:         64
        .size:           8
        .value_kind:     global_buffer
      - .offset:         72
        .size:           8
        .value_kind:     by_value
      - .offset:         80
        .size:           8
        .value_kind:     by_value
      - .offset:         88
        .size:           8
        .value_kind:     by_value
      - .offset:         96
        .size:           4
        .value_kind:     by_value
      - .offset:         100
        .size:           1
        .value_kind:     by_value
      - .offset:         104
        .size:           4
        .value_kind:     hidden_block_count_x
      - .offset:         108
        .size:           4
        .value_kind:     hidden_block_count_y
      - .offset:         112
        .size:           4
        .value_kind:     hidden_block_count_z
      - .offset:         116
        .size:           2
        .value_kind:     hidden_group_size_x
      - .offset:         118
        .size:           2
        .value_kind:     hidden_group_size_y
      - .offset:         120
        .size:           2
        .value_kind:     hidden_group_size_z
      - .offset:         122
        .size:           2
        .value_kind:     hidden_remainder_x
      - .offset:         124
        .size:           2
        .value_kind:     hidden_remainder_y
      - .offset:         126
        .size:           2
        .value_kind:     hidden_remainder_z
      - .offset:         144
        .size:           8
        .value_kind:     hidden_global_offset_x
      - .offset:         152
        .size:           8
        .value_kind:     hidden_global_offset_y
      - .offset:         160
        .size:           8
        .value_kind:     hidden_global_offset_z
      - .offset:         168
        .size:           2
        .value_kind:     hidden_grid_dims
      - .offset:         224
        .size:           4
        .value_kind:     hidden_dynamic_lds_size
    .group_segment_fixed_size: 0
    .kernarg_segment_align: 8
    .kernarg_segment_size: 360
    .language:       OpenCL C
    .language_version:
      - 2
      - 0
    .max_flat_workgroup_size: 1024
    .name:           _ZL40rocblas_trsm_block_backward_substitutionI19rocblas_complex_numIfES1_PKPKS1_PKPS1_Lb0ELb1ELb0EEv18rocblas_operation_llT0_T1_lllT2_lllib
    .private_segment_fixed_size: 0
    .sgpr_count:     44
    .sgpr_spill_count: 0
    .symbol:         _ZL40rocblas_trsm_block_backward_substitutionI19rocblas_complex_numIfES1_PKPKS1_PKPS1_Lb0ELb1ELb0EEv18rocblas_operation_llT0_T1_lllT2_lllib.kd
    .uniform_work_group_size: 1
    .uses_dynamic_stack: false
    .vgpr_count:     20
    .vgpr_spill_count: 0
    .wavefront_size: 64
  - .agpr_count:     0
    .args:
      - .offset:         0
        .size:           4
        .value_kind:     by_value
      - .offset:         8
        .size:           8
        .value_kind:     by_value
      - .offset:         16
        .size:           8
        .value_kind:     by_value
      - .offset:         24
        .size:           8
        .value_kind:     by_value
      - .address_space:  global
        .offset:         32
        .size:           8
        .value_kind:     global_buffer
      - .offset:         40
        .size:           8
        .value_kind:     by_value
      - .offset:         48
        .size:           8
        .value_kind:     by_value
      - .offset:         56
        .size:           8
        .value_kind:     by_value
      - .address_space:  global
        .offset:         64
        .size:           8
        .value_kind:     global_buffer
      - .offset:         72
        .size:           8
        .value_kind:     by_value
      - .offset:         80
        .size:           8
        .value_kind:     by_value
      - .offset:         88
        .size:           8
        .value_kind:     by_value
      - .offset:         96
        .size:           4
        .value_kind:     by_value
      - .offset:         100
        .size:           1
        .value_kind:     by_value
      - .offset:         104
        .size:           4
        .value_kind:     hidden_block_count_x
      - .offset:         108
        .size:           4
        .value_kind:     hidden_block_count_y
      - .offset:         112
        .size:           4
        .value_kind:     hidden_block_count_z
      - .offset:         116
        .size:           2
        .value_kind:     hidden_group_size_x
      - .offset:         118
        .size:           2
        .value_kind:     hidden_group_size_y
      - .offset:         120
        .size:           2
        .value_kind:     hidden_group_size_z
      - .offset:         122
        .size:           2
        .value_kind:     hidden_remainder_x
      - .offset:         124
        .size:           2
        .value_kind:     hidden_remainder_y
      - .offset:         126
        .size:           2
        .value_kind:     hidden_remainder_z
      - .offset:         144
        .size:           8
        .value_kind:     hidden_global_offset_x
      - .offset:         152
        .size:           8
        .value_kind:     hidden_global_offset_y
      - .offset:         160
        .size:           8
        .value_kind:     hidden_global_offset_z
      - .offset:         168
        .size:           2
        .value_kind:     hidden_grid_dims
      - .offset:         224
        .size:           4
        .value_kind:     hidden_dynamic_lds_size
    .group_segment_fixed_size: 0
    .kernarg_segment_align: 8
    .kernarg_segment_size: 360
    .language:       OpenCL C
    .language_version:
      - 2
      - 0
    .max_flat_workgroup_size: 1024
    .name:           _ZL39rocblas_trsm_block_forward_substitutionI19rocblas_complex_numIfES1_PKPKS1_PKPS1_Lb0ELb1ELb1EEv18rocblas_operation_llT0_T1_lllT2_lllib
    .private_segment_fixed_size: 0
    .sgpr_count:     32
    .sgpr_spill_count: 0
    .symbol:         _ZL39rocblas_trsm_block_forward_substitutionI19rocblas_complex_numIfES1_PKPKS1_PKPS1_Lb0ELb1ELb1EEv18rocblas_operation_llT0_T1_lllT2_lllib.kd
    .uniform_work_group_size: 1
    .uses_dynamic_stack: false
    .vgpr_count:     18
    .vgpr_spill_count: 0
    .wavefront_size: 64
  - .agpr_count:     0
    .args:
      - .offset:         0
        .size:           4
        .value_kind:     by_value
      - .offset:         8
        .size:           8
        .value_kind:     by_value
      - .offset:         16
        .size:           8
        .value_kind:     by_value
      - .offset:         24
        .size:           8
        .value_kind:     by_value
      - .address_space:  global
        .offset:         32
        .size:           8
        .value_kind:     global_buffer
      - .offset:         40
        .size:           8
        .value_kind:     by_value
      - .offset:         48
        .size:           8
        .value_kind:     by_value
      - .offset:         56
        .size:           8
        .value_kind:     by_value
      - .address_space:  global
        .offset:         64
        .size:           8
        .value_kind:     global_buffer
      - .offset:         72
        .size:           8
        .value_kind:     by_value
      - .offset:         80
        .size:           8
        .value_kind:     by_value
      - .offset:         88
        .size:           8
        .value_kind:     by_value
      - .offset:         96
        .size:           4
        .value_kind:     by_value
      - .offset:         100
        .size:           1
        .value_kind:     by_value
      - .offset:         104
        .size:           4
        .value_kind:     hidden_block_count_x
      - .offset:         108
        .size:           4
        .value_kind:     hidden_block_count_y
      - .offset:         112
        .size:           4
        .value_kind:     hidden_block_count_z
      - .offset:         116
        .size:           2
        .value_kind:     hidden_group_size_x
      - .offset:         118
        .size:           2
        .value_kind:     hidden_group_size_y
      - .offset:         120
        .size:           2
        .value_kind:     hidden_group_size_z
      - .offset:         122
        .size:           2
        .value_kind:     hidden_remainder_x
      - .offset:         124
        .size:           2
        .value_kind:     hidden_remainder_y
      - .offset:         126
        .size:           2
        .value_kind:     hidden_remainder_z
      - .offset:         144
        .size:           8
        .value_kind:     hidden_global_offset_x
      - .offset:         152
        .size:           8
        .value_kind:     hidden_global_offset_y
      - .offset:         160
        .size:           8
        .value_kind:     hidden_global_offset_z
      - .offset:         168
        .size:           2
        .value_kind:     hidden_grid_dims
      - .offset:         224
        .size:           4
        .value_kind:     hidden_dynamic_lds_size
    .group_segment_fixed_size: 0
    .kernarg_segment_align: 8
    .kernarg_segment_size: 360
    .language:       OpenCL C
    .language_version:
      - 2
      - 0
    .max_flat_workgroup_size: 1024
    .name:           _ZL40rocblas_trsm_block_backward_substitutionI19rocblas_complex_numIfES1_PKPKS1_PKPS1_Lb0ELb1ELb1EEv18rocblas_operation_llT0_T1_lllT2_lllib
    .private_segment_fixed_size: 0
    .sgpr_count:     34
    .sgpr_spill_count: 0
    .symbol:         _ZL40rocblas_trsm_block_backward_substitutionI19rocblas_complex_numIfES1_PKPKS1_PKPS1_Lb0ELb1ELb1EEv18rocblas_operation_llT0_T1_lllT2_lllib.kd
    .uniform_work_group_size: 1
    .uses_dynamic_stack: false
    .vgpr_count:     18
    .vgpr_spill_count: 0
    .wavefront_size: 64
  - .agpr_count:     0
    .args:
      - .offset:         0
        .size:           4
        .value_kind:     by_value
      - .offset:         8
        .size:           8
        .value_kind:     by_value
      - .offset:         16
        .size:           8
        .value_kind:     by_value
      - .offset:         24
        .size:           8
        .value_kind:     by_value
      - .address_space:  global
        .offset:         32
        .size:           8
        .value_kind:     global_buffer
      - .offset:         40
        .size:           8
        .value_kind:     by_value
      - .offset:         48
        .size:           8
        .value_kind:     by_value
      - .offset:         56
        .size:           8
        .value_kind:     by_value
      - .address_space:  global
        .offset:         64
        .size:           8
        .value_kind:     global_buffer
      - .offset:         72
        .size:           8
        .value_kind:     by_value
      - .offset:         80
        .size:           8
        .value_kind:     by_value
      - .offset:         88
        .size:           8
        .value_kind:     by_value
      - .offset:         96
        .size:           4
        .value_kind:     by_value
      - .offset:         100
        .size:           1
        .value_kind:     by_value
      - .offset:         104
        .size:           4
        .value_kind:     hidden_block_count_x
      - .offset:         108
        .size:           4
        .value_kind:     hidden_block_count_y
      - .offset:         112
        .size:           4
        .value_kind:     hidden_block_count_z
      - .offset:         116
        .size:           2
        .value_kind:     hidden_group_size_x
      - .offset:         118
        .size:           2
        .value_kind:     hidden_group_size_y
      - .offset:         120
        .size:           2
        .value_kind:     hidden_group_size_z
      - .offset:         122
        .size:           2
        .value_kind:     hidden_remainder_x
      - .offset:         124
        .size:           2
        .value_kind:     hidden_remainder_y
      - .offset:         126
        .size:           2
        .value_kind:     hidden_remainder_z
      - .offset:         144
        .size:           8
        .value_kind:     hidden_global_offset_x
      - .offset:         152
        .size:           8
        .value_kind:     hidden_global_offset_y
      - .offset:         160
        .size:           8
        .value_kind:     hidden_global_offset_z
      - .offset:         168
        .size:           2
        .value_kind:     hidden_grid_dims
      - .offset:         224
        .size:           4
        .value_kind:     hidden_dynamic_lds_size
    .group_segment_fixed_size: 0
    .kernarg_segment_align: 8
    .kernarg_segment_size: 360
    .language:       OpenCL C
    .language_version:
      - 2
      - 0
    .max_flat_workgroup_size: 1024
    .name:           _ZL39rocblas_trsm_block_forward_substitutionI19rocblas_complex_numIfES1_PKPKS1_PKPS1_Lb1ELb1ELb0EEv18rocblas_operation_llT0_T1_lllT2_lllib
    .private_segment_fixed_size: 0
    .sgpr_count:     38
    .sgpr_spill_count: 0
    .symbol:         _ZL39rocblas_trsm_block_forward_substitutionI19rocblas_complex_numIfES1_PKPKS1_PKPS1_Lb1ELb1ELb0EEv18rocblas_operation_llT0_T1_lllT2_lllib.kd
    .uniform_work_group_size: 1
    .uses_dynamic_stack: false
    .vgpr_count:     20
    .vgpr_spill_count: 0
    .wavefront_size: 64
  - .agpr_count:     0
    .args:
      - .offset:         0
        .size:           4
        .value_kind:     by_value
      - .offset:         8
        .size:           8
        .value_kind:     by_value
      - .offset:         16
        .size:           8
        .value_kind:     by_value
      - .offset:         24
        .size:           8
        .value_kind:     by_value
      - .address_space:  global
        .offset:         32
        .size:           8
        .value_kind:     global_buffer
      - .offset:         40
        .size:           8
        .value_kind:     by_value
      - .offset:         48
        .size:           8
        .value_kind:     by_value
      - .offset:         56
        .size:           8
        .value_kind:     by_value
      - .address_space:  global
        .offset:         64
        .size:           8
        .value_kind:     global_buffer
      - .offset:         72
        .size:           8
        .value_kind:     by_value
      - .offset:         80
        .size:           8
        .value_kind:     by_value
      - .offset:         88
        .size:           8
        .value_kind:     by_value
      - .offset:         96
        .size:           4
        .value_kind:     by_value
      - .offset:         100
        .size:           1
        .value_kind:     by_value
      - .offset:         104
        .size:           4
        .value_kind:     hidden_block_count_x
      - .offset:         108
        .size:           4
        .value_kind:     hidden_block_count_y
      - .offset:         112
        .size:           4
        .value_kind:     hidden_block_count_z
      - .offset:         116
        .size:           2
        .value_kind:     hidden_group_size_x
      - .offset:         118
        .size:           2
        .value_kind:     hidden_group_size_y
      - .offset:         120
        .size:           2
        .value_kind:     hidden_group_size_z
      - .offset:         122
        .size:           2
        .value_kind:     hidden_remainder_x
      - .offset:         124
        .size:           2
        .value_kind:     hidden_remainder_y
      - .offset:         126
        .size:           2
        .value_kind:     hidden_remainder_z
      - .offset:         144
        .size:           8
        .value_kind:     hidden_global_offset_x
      - .offset:         152
        .size:           8
        .value_kind:     hidden_global_offset_y
      - .offset:         160
        .size:           8
        .value_kind:     hidden_global_offset_z
      - .offset:         168
        .size:           2
        .value_kind:     hidden_grid_dims
      - .offset:         224
        .size:           4
        .value_kind:     hidden_dynamic_lds_size
    .group_segment_fixed_size: 0
    .kernarg_segment_align: 8
    .kernarg_segment_size: 360
    .language:       OpenCL C
    .language_version:
      - 2
      - 0
    .max_flat_workgroup_size: 1024
    .name:           _ZL40rocblas_trsm_block_backward_substitutionI19rocblas_complex_numIfES1_PKPKS1_PKPS1_Lb1ELb1ELb0EEv18rocblas_operation_llT0_T1_lllT2_lllib
    .private_segment_fixed_size: 0
    .sgpr_count:     44
    .sgpr_spill_count: 0
    .symbol:         _ZL40rocblas_trsm_block_backward_substitutionI19rocblas_complex_numIfES1_PKPKS1_PKPS1_Lb1ELb1ELb0EEv18rocblas_operation_llT0_T1_lllT2_lllib.kd
    .uniform_work_group_size: 1
    .uses_dynamic_stack: false
    .vgpr_count:     20
    .vgpr_spill_count: 0
    .wavefront_size: 64
  - .agpr_count:     0
    .args:
      - .offset:         0
        .size:           4
        .value_kind:     by_value
      - .offset:         8
        .size:           8
        .value_kind:     by_value
      - .offset:         16
        .size:           8
        .value_kind:     by_value
      - .offset:         24
        .size:           8
        .value_kind:     by_value
      - .address_space:  global
        .offset:         32
        .size:           8
        .value_kind:     global_buffer
      - .offset:         40
        .size:           8
        .value_kind:     by_value
      - .offset:         48
        .size:           8
        .value_kind:     by_value
      - .offset:         56
        .size:           8
        .value_kind:     by_value
      - .address_space:  global
        .offset:         64
        .size:           8
        .value_kind:     global_buffer
      - .offset:         72
        .size:           8
        .value_kind:     by_value
      - .offset:         80
        .size:           8
        .value_kind:     by_value
      - .offset:         88
        .size:           8
        .value_kind:     by_value
      - .offset:         96
        .size:           4
        .value_kind:     by_value
      - .offset:         100
        .size:           1
        .value_kind:     by_value
      - .offset:         104
        .size:           4
        .value_kind:     hidden_block_count_x
      - .offset:         108
        .size:           4
        .value_kind:     hidden_block_count_y
      - .offset:         112
        .size:           4
        .value_kind:     hidden_block_count_z
      - .offset:         116
        .size:           2
        .value_kind:     hidden_group_size_x
      - .offset:         118
        .size:           2
        .value_kind:     hidden_group_size_y
      - .offset:         120
        .size:           2
        .value_kind:     hidden_group_size_z
      - .offset:         122
        .size:           2
        .value_kind:     hidden_remainder_x
      - .offset:         124
        .size:           2
        .value_kind:     hidden_remainder_y
      - .offset:         126
        .size:           2
        .value_kind:     hidden_remainder_z
      - .offset:         144
        .size:           8
        .value_kind:     hidden_global_offset_x
      - .offset:         152
        .size:           8
        .value_kind:     hidden_global_offset_y
      - .offset:         160
        .size:           8
        .value_kind:     hidden_global_offset_z
      - .offset:         168
        .size:           2
        .value_kind:     hidden_grid_dims
      - .offset:         224
        .size:           4
        .value_kind:     hidden_dynamic_lds_size
    .group_segment_fixed_size: 0
    .kernarg_segment_align: 8
    .kernarg_segment_size: 360
    .language:       OpenCL C
    .language_version:
      - 2
      - 0
    .max_flat_workgroup_size: 1024
    .name:           _ZL39rocblas_trsm_block_forward_substitutionI19rocblas_complex_numIfES1_PKPKS1_PKPS1_Lb1ELb1ELb1EEv18rocblas_operation_llT0_T1_lllT2_lllib
    .private_segment_fixed_size: 0
    .sgpr_count:     34
    .sgpr_spill_count: 0
    .symbol:         _ZL39rocblas_trsm_block_forward_substitutionI19rocblas_complex_numIfES1_PKPKS1_PKPS1_Lb1ELb1ELb1EEv18rocblas_operation_llT0_T1_lllT2_lllib.kd
    .uniform_work_group_size: 1
    .uses_dynamic_stack: false
    .vgpr_count:     18
    .vgpr_spill_count: 0
    .wavefront_size: 64
  - .agpr_count:     0
    .args:
      - .offset:         0
        .size:           4
        .value_kind:     by_value
      - .offset:         8
        .size:           8
        .value_kind:     by_value
      - .offset:         16
        .size:           8
        .value_kind:     by_value
      - .offset:         24
        .size:           8
        .value_kind:     by_value
      - .address_space:  global
        .offset:         32
        .size:           8
        .value_kind:     global_buffer
      - .offset:         40
        .size:           8
        .value_kind:     by_value
      - .offset:         48
        .size:           8
        .value_kind:     by_value
      - .offset:         56
        .size:           8
        .value_kind:     by_value
      - .address_space:  global
        .offset:         64
        .size:           8
        .value_kind:     global_buffer
      - .offset:         72
        .size:           8
        .value_kind:     by_value
      - .offset:         80
        .size:           8
        .value_kind:     by_value
      - .offset:         88
        .size:           8
        .value_kind:     by_value
      - .offset:         96
        .size:           4
        .value_kind:     by_value
      - .offset:         100
        .size:           1
        .value_kind:     by_value
      - .offset:         104
        .size:           4
        .value_kind:     hidden_block_count_x
      - .offset:         108
        .size:           4
        .value_kind:     hidden_block_count_y
      - .offset:         112
        .size:           4
        .value_kind:     hidden_block_count_z
      - .offset:         116
        .size:           2
        .value_kind:     hidden_group_size_x
      - .offset:         118
        .size:           2
        .value_kind:     hidden_group_size_y
      - .offset:         120
        .size:           2
        .value_kind:     hidden_group_size_z
      - .offset:         122
        .size:           2
        .value_kind:     hidden_remainder_x
      - .offset:         124
        .size:           2
        .value_kind:     hidden_remainder_y
      - .offset:         126
        .size:           2
        .value_kind:     hidden_remainder_z
      - .offset:         144
        .size:           8
        .value_kind:     hidden_global_offset_x
      - .offset:         152
        .size:           8
        .value_kind:     hidden_global_offset_y
      - .offset:         160
        .size:           8
        .value_kind:     hidden_global_offset_z
      - .offset:         168
        .size:           2
        .value_kind:     hidden_grid_dims
      - .offset:         224
        .size:           4
        .value_kind:     hidden_dynamic_lds_size
    .group_segment_fixed_size: 0
    .kernarg_segment_align: 8
    .kernarg_segment_size: 360
    .language:       OpenCL C
    .language_version:
      - 2
      - 0
    .max_flat_workgroup_size: 1024
    .name:           _ZL40rocblas_trsm_block_backward_substitutionI19rocblas_complex_numIfES1_PKPKS1_PKPS1_Lb1ELb1ELb1EEv18rocblas_operation_llT0_T1_lllT2_lllib
    .private_segment_fixed_size: 0
    .sgpr_count:     32
    .sgpr_spill_count: 0
    .symbol:         _ZL40rocblas_trsm_block_backward_substitutionI19rocblas_complex_numIfES1_PKPKS1_PKPS1_Lb1ELb1ELb1EEv18rocblas_operation_llT0_T1_lllT2_lllib.kd
    .uniform_work_group_size: 1
    .uses_dynamic_stack: false
    .vgpr_count:     18
    .vgpr_spill_count: 0
    .wavefront_size: 64
  - .agpr_count:     0
    .args:
      - .offset:         0
        .size:           4
        .value_kind:     by_value
      - .offset:         8
        .size:           8
        .value_kind:     by_value
      - .offset:         16
        .size:           8
        .value_kind:     by_value
      - .offset:         24
        .size:           8
        .value_kind:     by_value
      - .address_space:  global
        .offset:         32
        .size:           8
        .value_kind:     global_buffer
      - .offset:         40
        .size:           8
        .value_kind:     by_value
      - .offset:         48
        .size:           8
        .value_kind:     by_value
      - .offset:         56
        .size:           8
        .value_kind:     by_value
      - .address_space:  global
        .offset:         64
        .size:           8
        .value_kind:     global_buffer
      - .offset:         72
        .size:           8
        .value_kind:     by_value
      - .offset:         80
        .size:           8
        .value_kind:     by_value
      - .offset:         88
        .size:           8
        .value_kind:     by_value
      - .offset:         96
        .size:           4
        .value_kind:     by_value
      - .offset:         100
        .size:           1
        .value_kind:     by_value
      - .offset:         104
        .size:           4
        .value_kind:     hidden_block_count_x
      - .offset:         108
        .size:           4
        .value_kind:     hidden_block_count_y
      - .offset:         112
        .size:           4
        .value_kind:     hidden_block_count_z
      - .offset:         116
        .size:           2
        .value_kind:     hidden_group_size_x
      - .offset:         118
        .size:           2
        .value_kind:     hidden_group_size_y
      - .offset:         120
        .size:           2
        .value_kind:     hidden_group_size_z
      - .offset:         122
        .size:           2
        .value_kind:     hidden_remainder_x
      - .offset:         124
        .size:           2
        .value_kind:     hidden_remainder_y
      - .offset:         126
        .size:           2
        .value_kind:     hidden_remainder_z
      - .offset:         144
        .size:           8
        .value_kind:     hidden_global_offset_x
      - .offset:         152
        .size:           8
        .value_kind:     hidden_global_offset_y
      - .offset:         160
        .size:           8
        .value_kind:     hidden_global_offset_z
      - .offset:         168
        .size:           2
        .value_kind:     hidden_grid_dims
      - .offset:         224
        .size:           4
        .value_kind:     hidden_dynamic_lds_size
    .group_segment_fixed_size: 0
    .kernarg_segment_align: 8
    .kernarg_segment_size: 360
    .language:       OpenCL C
    .language_version:
      - 2
      - 0
    .max_flat_workgroup_size: 1024
    .name:           _ZL39rocblas_trsm_block_forward_substitutionI19rocblas_complex_numIfES1_PKPKS1_PKPS1_Lb1ELb0ELb0EEv18rocblas_operation_llT0_T1_lllT2_lllib
    .private_segment_fixed_size: 0
    .sgpr_count:     38
    .sgpr_spill_count: 0
    .symbol:         _ZL39rocblas_trsm_block_forward_substitutionI19rocblas_complex_numIfES1_PKPKS1_PKPS1_Lb1ELb0ELb0EEv18rocblas_operation_llT0_T1_lllT2_lllib.kd
    .uniform_work_group_size: 1
    .uses_dynamic_stack: false
    .vgpr_count:     20
    .vgpr_spill_count: 0
    .wavefront_size: 64
  - .agpr_count:     0
    .args:
      - .offset:         0
        .size:           4
        .value_kind:     by_value
      - .offset:         8
        .size:           8
        .value_kind:     by_value
      - .offset:         16
        .size:           8
        .value_kind:     by_value
      - .offset:         24
        .size:           8
        .value_kind:     by_value
      - .address_space:  global
        .offset:         32
        .size:           8
        .value_kind:     global_buffer
      - .offset:         40
        .size:           8
        .value_kind:     by_value
      - .offset:         48
        .size:           8
        .value_kind:     by_value
      - .offset:         56
        .size:           8
        .value_kind:     by_value
      - .address_space:  global
        .offset:         64
        .size:           8
        .value_kind:     global_buffer
      - .offset:         72
        .size:           8
        .value_kind:     by_value
      - .offset:         80
        .size:           8
        .value_kind:     by_value
      - .offset:         88
        .size:           8
        .value_kind:     by_value
      - .offset:         96
        .size:           4
        .value_kind:     by_value
      - .offset:         100
        .size:           1
        .value_kind:     by_value
      - .offset:         104
        .size:           4
        .value_kind:     hidden_block_count_x
      - .offset:         108
        .size:           4
        .value_kind:     hidden_block_count_y
      - .offset:         112
        .size:           4
        .value_kind:     hidden_block_count_z
      - .offset:         116
        .size:           2
        .value_kind:     hidden_group_size_x
      - .offset:         118
        .size:           2
        .value_kind:     hidden_group_size_y
      - .offset:         120
        .size:           2
        .value_kind:     hidden_group_size_z
      - .offset:         122
        .size:           2
        .value_kind:     hidden_remainder_x
      - .offset:         124
        .size:           2
        .value_kind:     hidden_remainder_y
      - .offset:         126
        .size:           2
        .value_kind:     hidden_remainder_z
      - .offset:         144
        .size:           8
        .value_kind:     hidden_global_offset_x
      - .offset:         152
        .size:           8
        .value_kind:     hidden_global_offset_y
      - .offset:         160
        .size:           8
        .value_kind:     hidden_global_offset_z
      - .offset:         168
        .size:           2
        .value_kind:     hidden_grid_dims
      - .offset:         224
        .size:           4
        .value_kind:     hidden_dynamic_lds_size
    .group_segment_fixed_size: 0
    .kernarg_segment_align: 8
    .kernarg_segment_size: 360
    .language:       OpenCL C
    .language_version:
      - 2
      - 0
    .max_flat_workgroup_size: 1024
    .name:           _ZL40rocblas_trsm_block_backward_substitutionI19rocblas_complex_numIfES1_PKPKS1_PKPS1_Lb1ELb0ELb0EEv18rocblas_operation_llT0_T1_lllT2_lllib
    .private_segment_fixed_size: 0
    .sgpr_count:     44
    .sgpr_spill_count: 0
    .symbol:         _ZL40rocblas_trsm_block_backward_substitutionI19rocblas_complex_numIfES1_PKPKS1_PKPS1_Lb1ELb0ELb0EEv18rocblas_operation_llT0_T1_lllT2_lllib.kd
    .uniform_work_group_size: 1
    .uses_dynamic_stack: false
    .vgpr_count:     20
    .vgpr_spill_count: 0
    .wavefront_size: 64
  - .agpr_count:     0
    .args:
      - .offset:         0
        .size:           4
        .value_kind:     by_value
      - .offset:         8
        .size:           8
        .value_kind:     by_value
      - .offset:         16
        .size:           8
        .value_kind:     by_value
      - .offset:         24
        .size:           8
        .value_kind:     by_value
      - .address_space:  global
        .offset:         32
        .size:           8
        .value_kind:     global_buffer
      - .offset:         40
        .size:           8
        .value_kind:     by_value
      - .offset:         48
        .size:           8
        .value_kind:     by_value
      - .offset:         56
        .size:           8
        .value_kind:     by_value
      - .address_space:  global
        .offset:         64
        .size:           8
        .value_kind:     global_buffer
      - .offset:         72
        .size:           8
        .value_kind:     by_value
      - .offset:         80
        .size:           8
        .value_kind:     by_value
      - .offset:         88
        .size:           8
        .value_kind:     by_value
      - .offset:         96
        .size:           4
        .value_kind:     by_value
      - .offset:         100
        .size:           1
        .value_kind:     by_value
      - .offset:         104
        .size:           4
        .value_kind:     hidden_block_count_x
      - .offset:         108
        .size:           4
        .value_kind:     hidden_block_count_y
      - .offset:         112
        .size:           4
        .value_kind:     hidden_block_count_z
      - .offset:         116
        .size:           2
        .value_kind:     hidden_group_size_x
      - .offset:         118
        .size:           2
        .value_kind:     hidden_group_size_y
      - .offset:         120
        .size:           2
        .value_kind:     hidden_group_size_z
      - .offset:         122
        .size:           2
        .value_kind:     hidden_remainder_x
      - .offset:         124
        .size:           2
        .value_kind:     hidden_remainder_y
      - .offset:         126
        .size:           2
        .value_kind:     hidden_remainder_z
      - .offset:         144
        .size:           8
        .value_kind:     hidden_global_offset_x
      - .offset:         152
        .size:           8
        .value_kind:     hidden_global_offset_y
      - .offset:         160
        .size:           8
        .value_kind:     hidden_global_offset_z
      - .offset:         168
        .size:           2
        .value_kind:     hidden_grid_dims
      - .offset:         224
        .size:           4
        .value_kind:     hidden_dynamic_lds_size
    .group_segment_fixed_size: 0
    .kernarg_segment_align: 8
    .kernarg_segment_size: 360
    .language:       OpenCL C
    .language_version:
      - 2
      - 0
    .max_flat_workgroup_size: 1024
    .name:           _ZL39rocblas_trsm_block_forward_substitutionI19rocblas_complex_numIfES1_PKPKS1_PKPS1_Lb1ELb0ELb1EEv18rocblas_operation_llT0_T1_lllT2_lllib
    .private_segment_fixed_size: 0
    .sgpr_count:     34
    .sgpr_spill_count: 0
    .symbol:         _ZL39rocblas_trsm_block_forward_substitutionI19rocblas_complex_numIfES1_PKPKS1_PKPS1_Lb1ELb0ELb1EEv18rocblas_operation_llT0_T1_lllT2_lllib.kd
    .uniform_work_group_size: 1
    .uses_dynamic_stack: false
    .vgpr_count:     18
    .vgpr_spill_count: 0
    .wavefront_size: 64
  - .agpr_count:     0
    .args:
      - .offset:         0
        .size:           4
        .value_kind:     by_value
      - .offset:         8
        .size:           8
        .value_kind:     by_value
      - .offset:         16
        .size:           8
        .value_kind:     by_value
      - .offset:         24
        .size:           8
        .value_kind:     by_value
      - .address_space:  global
        .offset:         32
        .size:           8
        .value_kind:     global_buffer
      - .offset:         40
        .size:           8
        .value_kind:     by_value
      - .offset:         48
        .size:           8
        .value_kind:     by_value
      - .offset:         56
        .size:           8
        .value_kind:     by_value
      - .address_space:  global
        .offset:         64
        .size:           8
        .value_kind:     global_buffer
      - .offset:         72
        .size:           8
        .value_kind:     by_value
      - .offset:         80
        .size:           8
        .value_kind:     by_value
      - .offset:         88
        .size:           8
        .value_kind:     by_value
      - .offset:         96
        .size:           4
        .value_kind:     by_value
      - .offset:         100
        .size:           1
        .value_kind:     by_value
      - .offset:         104
        .size:           4
        .value_kind:     hidden_block_count_x
      - .offset:         108
        .size:           4
        .value_kind:     hidden_block_count_y
      - .offset:         112
        .size:           4
        .value_kind:     hidden_block_count_z
      - .offset:         116
        .size:           2
        .value_kind:     hidden_group_size_x
      - .offset:         118
        .size:           2
        .value_kind:     hidden_group_size_y
      - .offset:         120
        .size:           2
        .value_kind:     hidden_group_size_z
      - .offset:         122
        .size:           2
        .value_kind:     hidden_remainder_x
      - .offset:         124
        .size:           2
        .value_kind:     hidden_remainder_y
      - .offset:         126
        .size:           2
        .value_kind:     hidden_remainder_z
      - .offset:         144
        .size:           8
        .value_kind:     hidden_global_offset_x
      - .offset:         152
        .size:           8
        .value_kind:     hidden_global_offset_y
      - .offset:         160
        .size:           8
        .value_kind:     hidden_global_offset_z
      - .offset:         168
        .size:           2
        .value_kind:     hidden_grid_dims
      - .offset:         224
        .size:           4
        .value_kind:     hidden_dynamic_lds_size
    .group_segment_fixed_size: 0
    .kernarg_segment_align: 8
    .kernarg_segment_size: 360
    .language:       OpenCL C
    .language_version:
      - 2
      - 0
    .max_flat_workgroup_size: 1024
    .name:           _ZL40rocblas_trsm_block_backward_substitutionI19rocblas_complex_numIfES1_PKPKS1_PKPS1_Lb1ELb0ELb1EEv18rocblas_operation_llT0_T1_lllT2_lllib
    .private_segment_fixed_size: 0
    .sgpr_count:     32
    .sgpr_spill_count: 0
    .symbol:         _ZL40rocblas_trsm_block_backward_substitutionI19rocblas_complex_numIfES1_PKPKS1_PKPS1_Lb1ELb0ELb1EEv18rocblas_operation_llT0_T1_lllT2_lllib.kd
    .uniform_work_group_size: 1
    .uses_dynamic_stack: false
    .vgpr_count:     18
    .vgpr_spill_count: 0
    .wavefront_size: 64
  - .agpr_count:     0
    .args:
      - .address_space:  global
        .offset:         0
        .size:           8
        .value_kind:     global_buffer
      - .offset:         8
        .size:           8
        .value_kind:     by_value
      - .address_space:  global
        .offset:         16
        .size:           8
        .value_kind:     global_buffer
    .group_segment_fixed_size: 0
    .kernarg_segment_align: 8
    .kernarg_segment_size: 24
    .language:       OpenCL C
    .language_version:
      - 2
      - 0
    .max_flat_workgroup_size: 128
    .name:           _ZL26setup_batched_array_kernelILi128E19rocblas_complex_numIfEEvPT0_lPS3_
    .private_segment_fixed_size: 0
    .sgpr_count:     15
    .sgpr_spill_count: 0
    .symbol:         _ZL26setup_batched_array_kernelILi128E19rocblas_complex_numIfEEvPT0_lPS3_.kd
    .uniform_work_group_size: 1
    .uses_dynamic_stack: false
    .vgpr_count:     4
    .vgpr_spill_count: 0
    .wavefront_size: 64
  - .agpr_count:     0
    .args:
      - .offset:         0
        .size:           4
        .value_kind:     by_value
      - .offset:         4
        .size:           4
        .value_kind:     by_value
      - .address_space:  global
        .offset:         8
        .size:           8
        .value_kind:     global_buffer
      - .offset:         16
        .size:           8
        .value_kind:     by_value
      - .offset:         24
        .size:           4
        .value_kind:     by_value
      - .offset:         32
        .size:           8
        .value_kind:     by_value
      - .address_space:  global
        .offset:         40
        .size:           8
        .value_kind:     global_buffer
      - .offset:         48
        .size:           8
        .value_kind:     by_value
      - .offset:         56
        .size:           8
        .value_kind:     by_value
      - .offset:         64
        .size:           4
        .value_kind:     by_value
    .group_segment_fixed_size: 8192
    .kernarg_segment_align: 8
    .kernarg_segment_size: 68
    .language:       OpenCL C
    .language_version:
      - 2
      - 0
    .max_flat_workgroup_size: 256
    .name:           _ZL25rocblas_trtri_trsm_kernelILi128ELi16ELi8E19rocblas_complex_numIfEPKPKS1_PKPS1_Ev13rocblas_fill_17rocblas_diagonal_T3_lilT4_lli
    .private_segment_fixed_size: 0
    .sgpr_count:     32
    .sgpr_spill_count: 0
    .symbol:         _ZL25rocblas_trtri_trsm_kernelILi128ELi16ELi8E19rocblas_complex_numIfEPKPKS1_PKPS1_Ev13rocblas_fill_17rocblas_diagonal_T3_lilT4_lli.kd
    .uniform_work_group_size: 1
    .uses_dynamic_stack: false
    .vgpr_count:     22
    .vgpr_spill_count: 0
    .wavefront_size: 64
  - .agpr_count:     0
    .args:
      - .address_space:  global
        .offset:         0
        .size:           8
        .value_kind:     global_buffer
      - .offset:         8
        .size:           4
        .value_kind:     by_value
      - .offset:         12
        .size:           4
        .value_kind:     by_value
      - .offset:         16
        .size:           8
        .value_kind:     by_value
      - .offset:         24
        .size:           4
        .value_kind:     by_value
      - .offset:         32
        .size:           8
        .value_kind:     by_value
      - .address_space:  global
        .offset:         40
        .size:           8
        .value_kind:     global_buffer
      - .offset:         48
        .size:           8
        .value_kind:     by_value
      - .offset:         56
        .size:           8
        .value_kind:     by_value
      - .offset:         64
        .size:           4
        .value_kind:     by_value
      - .offset:         68
        .size:           4
        .value_kind:     by_value
      - .offset:         72
        .size:           4
        .value_kind:     hidden_block_count_x
      - .offset:         76
        .size:           4
        .value_kind:     hidden_block_count_y
      - .offset:         80
        .size:           4
        .value_kind:     hidden_block_count_z
      - .offset:         84
        .size:           2
        .value_kind:     hidden_group_size_x
      - .offset:         86
        .size:           2
        .value_kind:     hidden_group_size_y
      - .offset:         88
        .size:           2
        .value_kind:     hidden_group_size_z
      - .offset:         90
        .size:           2
        .value_kind:     hidden_remainder_x
      - .offset:         92
        .size:           2
        .value_kind:     hidden_remainder_y
      - .offset:         94
        .size:           2
        .value_kind:     hidden_remainder_z
      - .offset:         112
        .size:           8
        .value_kind:     hidden_global_offset_x
      - .offset:         120
        .size:           8
        .value_kind:     hidden_global_offset_y
      - .offset:         128
        .size:           8
        .value_kind:     hidden_global_offset_z
      - .offset:         136
        .size:           2
        .value_kind:     hidden_grid_dims
    .group_segment_fixed_size: 0
    .kernarg_segment_align: 8
    .kernarg_segment_size: 328
    .language:       OpenCL C
    .language_version:
      - 2
      - 0
    .max_flat_workgroup_size: 128
    .name:           _ZL18rocblas_trtri_fillILi128E19rocblas_complex_numIfEPKPS1_EvP15_rocblas_handle13rocblas_fill_ililT1_llii
    .private_segment_fixed_size: 0
    .sgpr_count:     43
    .sgpr_spill_count: 0
    .symbol:         _ZL18rocblas_trtri_fillILi128E19rocblas_complex_numIfEPKPS1_EvP15_rocblas_handle13rocblas_fill_ililT1_llii.kd
    .uniform_work_group_size: 1
    .uses_dynamic_stack: false
    .vgpr_count:     27
    .vgpr_spill_count: 0
    .wavefront_size: 64
  - .agpr_count:     0
    .args:
      - .offset:         0
        .size:           4
        .value_kind:     by_value
      - .offset:         4
        .size:           4
        .value_kind:     by_value
      - .offset:         8
        .size:           4
        .value_kind:     by_value
      - .address_space:  global
        .offset:         16
        .size:           8
        .value_kind:     global_buffer
      - .offset:         24
        .size:           4
        .value_kind:     by_value
      - .offset:         32
        .size:           8
        .value_kind:     by_value
      - .address_space:  global
        .offset:         40
        .size:           8
        .value_kind:     global_buffer
      - .offset:         48
        .size:           4
        .value_kind:     by_value
      - .offset:         56
        .size:           8
        .value_kind:     by_value
      - .offset:         64
        .size:           8
        .value_kind:     by_value
      - .offset:         72
        .size:           8
        .value_kind:     by_value
      - .offset:         80
        .size:           4
        .value_kind:     by_value
      - .offset:         88
        .size:           4
        .value_kind:     hidden_block_count_x
      - .offset:         92
        .size:           4
        .value_kind:     hidden_block_count_y
      - .offset:         96
        .size:           4
        .value_kind:     hidden_block_count_z
      - .offset:         100
        .size:           2
        .value_kind:     hidden_group_size_x
      - .offset:         102
        .size:           2
        .value_kind:     hidden_group_size_y
      - .offset:         104
        .size:           2
        .value_kind:     hidden_group_size_z
      - .offset:         106
        .size:           2
        .value_kind:     hidden_remainder_x
      - .offset:         108
        .size:           2
        .value_kind:     hidden_remainder_y
      - .offset:         110
        .size:           2
        .value_kind:     hidden_remainder_z
      - .offset:         128
        .size:           8
        .value_kind:     hidden_global_offset_x
      - .offset:         136
        .size:           8
        .value_kind:     hidden_global_offset_y
      - .offset:         144
        .size:           8
        .value_kind:     hidden_global_offset_z
      - .offset:         152
        .size:           2
        .value_kind:     hidden_grid_dims
    .group_segment_fixed_size: 0
    .kernarg_segment_align: 8
    .kernarg_segment_size: 344
    .language:       OpenCL C
    .language_version:
      - 2
      - 0
    .max_flat_workgroup_size: 1024
    .name:           _ZL24rocblas_copy_matrix_trsmILi128ELi8E19rocblas_complex_numIfEPKPKS1_PKPS1_EviiiT2_ilT3_illli
    .private_segment_fixed_size: 0
    .sgpr_count:     28
    .sgpr_spill_count: 0
    .symbol:         _ZL24rocblas_copy_matrix_trsmILi128ELi8E19rocblas_complex_numIfEPKPKS1_PKPS1_EviiiT2_ilT3_illli.kd
    .uniform_work_group_size: 1
    .uses_dynamic_stack: false
    .vgpr_count:     10
    .vgpr_spill_count: 0
    .wavefront_size: 64
  - .agpr_count:     0
    .args:
      - .offset:         0
        .size:           8
        .value_kind:     by_value
      - .offset:         8
        .size:           8
        .value_kind:     by_value
      - .offset:         16
        .size:           4
        .value_kind:     by_value
      - .address_space:  global
        .offset:         24
        .size:           8
        .value_kind:     global_buffer
      - .offset:         32
        .size:           8
        .value_kind:     by_value
      - .offset:         40
        .size:           8
        .value_kind:     by_value
      - .offset:         48
        .size:           16
        .value_kind:     by_value
      - .offset:         64
        .size:           8
        .value_kind:     by_value
      - .offset:         72
        .size:           4
        .value_kind:     by_value
    .group_segment_fixed_size: 0
    .kernarg_segment_align: 8
    .kernarg_segment_size: 76
    .language:       OpenCL C
    .language_version:
      - 2
      - 0
    .max_flat_workgroup_size: 1024
    .name:           _ZL23rocblas_set_matrix_trsmILi128ELi8E19rocblas_complex_numIdEPKPS1_EvlliT2_llT1_li
    .private_segment_fixed_size: 0
    .sgpr_count:     18
    .sgpr_spill_count: 0
    .symbol:         _ZL23rocblas_set_matrix_trsmILi128ELi8E19rocblas_complex_numIdEPKPS1_EvlliT2_llT1_li.kd
    .uniform_work_group_size: 1
    .uses_dynamic_stack: false
    .vgpr_count:     8
    .vgpr_spill_count: 0
    .wavefront_size: 64
  - .agpr_count:     0
    .args:
      - .offset:         0
        .size:           4
        .value_kind:     by_value
      - .offset:         4
        .size:           4
        .value_kind:     by_value
      - .offset:         8
        .size:           4
        .value_kind:     by_value
      - .offset:         12
        .size:           4
        .value_kind:     by_value
      - .offset:         16
        .size:           4
        .value_kind:     by_value
      - .offset:         24
        .size:           16
        .value_kind:     by_value
      - .address_space:  global
        .offset:         40
        .size:           8
        .value_kind:     global_buffer
      - .offset:         48
        .size:           8
        .value_kind:     by_value
      - .offset:         56
        .size:           4
        .value_kind:     by_value
      - .offset:         64
        .size:           8
        .value_kind:     by_value
      - .address_space:  global
        .offset:         72
        .size:           8
        .value_kind:     global_buffer
      - .offset:         80
        .size:           8
        .value_kind:     by_value
      - .offset:         88
        .size:           4
        .value_kind:     by_value
      - .offset:         96
        .size:           8
        .value_kind:     by_value
      - .offset:         104
        .size:           4
        .value_kind:     by_value
      - .offset:         112
        .size:           4
        .value_kind:     hidden_block_count_x
      - .offset:         116
        .size:           4
        .value_kind:     hidden_block_count_y
      - .offset:         120
        .size:           4
        .value_kind:     hidden_block_count_z
      - .offset:         124
        .size:           2
        .value_kind:     hidden_group_size_x
      - .offset:         126
        .size:           2
        .value_kind:     hidden_group_size_y
      - .offset:         128
        .size:           2
        .value_kind:     hidden_group_size_z
      - .offset:         130
        .size:           2
        .value_kind:     hidden_remainder_x
      - .offset:         132
        .size:           2
        .value_kind:     hidden_remainder_y
      - .offset:         134
        .size:           2
        .value_kind:     hidden_remainder_z
      - .offset:         152
        .size:           8
        .value_kind:     hidden_global_offset_x
      - .offset:         160
        .size:           8
        .value_kind:     hidden_global_offset_y
      - .offset:         168
        .size:           8
        .value_kind:     hidden_global_offset_z
      - .offset:         176
        .size:           2
        .value_kind:     hidden_grid_dims
    .group_segment_fixed_size: 512
    .kernarg_segment_align: 8
    .kernarg_segment_size: 368
    .language:       OpenCL C
    .language_version:
      - 2
      - 0
    .max_flat_workgroup_size: 4
    .name:           _ZL38rocblas_trsm_small_left_device_sharedBILi4ELi4ELb0E19rocblas_complex_numIdES1_PKPKS1_PKPS1_Ev13rocblas_fill_18rocblas_operation_17rocblas_diagonal_iiT3_T4_lilT5_lili
    .private_segment_fixed_size: 0
    .sgpr_count:     34
    .sgpr_spill_count: 0
    .symbol:         _ZL38rocblas_trsm_small_left_device_sharedBILi4ELi4ELb0E19rocblas_complex_numIdES1_PKPKS1_PKPS1_Ev13rocblas_fill_18rocblas_operation_17rocblas_diagonal_iiT3_T4_lilT5_lili.kd
    .uniform_work_group_size: 1
    .uses_dynamic_stack: false
    .vgpr_count:     33
    .vgpr_spill_count: 0
    .wavefront_size: 64
  - .agpr_count:     0
    .args:
      - .offset:         0
        .size:           4
        .value_kind:     by_value
      - .offset:         4
        .size:           4
        .value_kind:     by_value
      - .offset:         8
        .size:           4
        .value_kind:     by_value
      - .offset:         12
        .size:           4
        .value_kind:     by_value
      - .offset:         16
        .size:           4
        .value_kind:     by_value
      - .offset:         24
        .size:           16
        .value_kind:     by_value
      - .address_space:  global
        .offset:         40
        .size:           8
        .value_kind:     global_buffer
      - .offset:         48
        .size:           8
        .value_kind:     by_value
      - .offset:         56
        .size:           4
        .value_kind:     by_value
      - .offset:         64
        .size:           8
        .value_kind:     by_value
      - .address_space:  global
        .offset:         72
        .size:           8
        .value_kind:     global_buffer
      - .offset:         80
        .size:           8
        .value_kind:     by_value
      - .offset:         88
        .size:           4
        .value_kind:     by_value
      - .offset:         96
        .size:           8
        .value_kind:     by_value
      - .offset:         104
        .size:           4
        .value_kind:     by_value
      - .offset:         112
        .size:           4
        .value_kind:     hidden_block_count_x
      - .offset:         116
        .size:           4
        .value_kind:     hidden_block_count_y
      - .offset:         120
        .size:           4
        .value_kind:     hidden_block_count_z
      - .offset:         124
        .size:           2
        .value_kind:     hidden_group_size_x
      - .offset:         126
        .size:           2
        .value_kind:     hidden_group_size_y
      - .offset:         128
        .size:           2
        .value_kind:     hidden_group_size_z
      - .offset:         130
        .size:           2
        .value_kind:     hidden_remainder_x
      - .offset:         132
        .size:           2
        .value_kind:     hidden_remainder_y
      - .offset:         134
        .size:           2
        .value_kind:     hidden_remainder_z
      - .offset:         152
        .size:           8
        .value_kind:     hidden_global_offset_x
      - .offset:         160
        .size:           8
        .value_kind:     hidden_global_offset_y
      - .offset:         168
        .size:           8
        .value_kind:     hidden_global_offset_z
      - .offset:         176
        .size:           2
        .value_kind:     hidden_grid_dims
    .group_segment_fixed_size: 512
    .kernarg_segment_align: 8
    .kernarg_segment_size: 368
    .language:       OpenCL C
    .language_version:
      - 2
      - 0
    .max_flat_workgroup_size: 4
    .name:           _ZL30rocblas_trsm_small_left_deviceILi4ELi4ELb0E19rocblas_complex_numIdES1_PKPKS1_PKPS1_Ev13rocblas_fill_18rocblas_operation_17rocblas_diagonal_iiT3_T4_lilT5_lili
    .private_segment_fixed_size: 0
    .sgpr_count:     36
    .sgpr_spill_count: 0
    .symbol:         _ZL30rocblas_trsm_small_left_deviceILi4ELi4ELb0E19rocblas_complex_numIdES1_PKPKS1_PKPS1_Ev13rocblas_fill_18rocblas_operation_17rocblas_diagonal_iiT3_T4_lilT5_lili.kd
    .uniform_work_group_size: 1
    .uses_dynamic_stack: false
    .vgpr_count:     26
    .vgpr_spill_count: 0
    .wavefront_size: 64
  - .agpr_count:     0
    .args:
      - .offset:         0
        .size:           4
        .value_kind:     by_value
      - .offset:         4
        .size:           4
        .value_kind:     by_value
      - .offset:         8
        .size:           4
        .value_kind:     by_value
      - .offset:         12
        .size:           4
        .value_kind:     by_value
      - .offset:         16
        .size:           4
        .value_kind:     by_value
      - .offset:         24
        .size:           16
        .value_kind:     by_value
      - .address_space:  global
        .offset:         40
        .size:           8
        .value_kind:     global_buffer
      - .offset:         48
        .size:           8
        .value_kind:     by_value
      - .offset:         56
        .size:           4
        .value_kind:     by_value
      - .offset:         64
        .size:           8
        .value_kind:     by_value
      - .address_space:  global
        .offset:         72
        .size:           8
        .value_kind:     global_buffer
      - .offset:         80
        .size:           8
        .value_kind:     by_value
      - .offset:         88
        .size:           4
        .value_kind:     by_value
      - .offset:         96
        .size:           8
        .value_kind:     by_value
      - .offset:         104
        .size:           4
        .value_kind:     by_value
      - .offset:         112
        .size:           4
        .value_kind:     hidden_block_count_x
      - .offset:         116
        .size:           4
        .value_kind:     hidden_block_count_y
      - .offset:         120
        .size:           4
        .value_kind:     hidden_block_count_z
      - .offset:         124
        .size:           2
        .value_kind:     hidden_group_size_x
      - .offset:         126
        .size:           2
        .value_kind:     hidden_group_size_y
      - .offset:         128
        .size:           2
        .value_kind:     hidden_group_size_z
      - .offset:         130
        .size:           2
        .value_kind:     hidden_remainder_x
      - .offset:         132
        .size:           2
        .value_kind:     hidden_remainder_y
      - .offset:         134
        .size:           2
        .value_kind:     hidden_remainder_z
      - .offset:         152
        .size:           8
        .value_kind:     hidden_global_offset_x
      - .offset:         160
        .size:           8
        .value_kind:     hidden_global_offset_y
      - .offset:         168
        .size:           8
        .value_kind:     hidden_global_offset_z
      - .offset:         176
        .size:           2
        .value_kind:     hidden_grid_dims
    .group_segment_fixed_size: 512
    .kernarg_segment_align: 8
    .kernarg_segment_size: 368
    .language:       OpenCL C
    .language_version:
      - 2
      - 0
    .max_flat_workgroup_size: 4
    .name:           _ZL38rocblas_trsm_small_left_device_sharedBILi4ELi4ELb1E19rocblas_complex_numIdES1_PKPKS1_PKPS1_Ev13rocblas_fill_18rocblas_operation_17rocblas_diagonal_iiT3_T4_lilT5_lili
    .private_segment_fixed_size: 0
    .sgpr_count:     34
    .sgpr_spill_count: 0
    .symbol:         _ZL38rocblas_trsm_small_left_device_sharedBILi4ELi4ELb1E19rocblas_complex_numIdES1_PKPKS1_PKPS1_Ev13rocblas_fill_18rocblas_operation_17rocblas_diagonal_iiT3_T4_lilT5_lili.kd
    .uniform_work_group_size: 1
    .uses_dynamic_stack: false
    .vgpr_count:     39
    .vgpr_spill_count: 0
    .wavefront_size: 64
  - .agpr_count:     0
    .args:
      - .offset:         0
        .size:           4
        .value_kind:     by_value
      - .offset:         4
        .size:           4
        .value_kind:     by_value
      - .offset:         8
        .size:           4
        .value_kind:     by_value
      - .offset:         12
        .size:           4
        .value_kind:     by_value
      - .offset:         16
        .size:           4
        .value_kind:     by_value
      - .offset:         24
        .size:           16
        .value_kind:     by_value
      - .address_space:  global
        .offset:         40
        .size:           8
        .value_kind:     global_buffer
      - .offset:         48
        .size:           8
        .value_kind:     by_value
      - .offset:         56
        .size:           4
        .value_kind:     by_value
      - .offset:         64
        .size:           8
        .value_kind:     by_value
      - .address_space:  global
        .offset:         72
        .size:           8
        .value_kind:     global_buffer
      - .offset:         80
        .size:           8
        .value_kind:     by_value
      - .offset:         88
        .size:           4
        .value_kind:     by_value
      - .offset:         96
        .size:           8
        .value_kind:     by_value
      - .offset:         104
        .size:           4
        .value_kind:     by_value
      - .offset:         112
        .size:           4
        .value_kind:     hidden_block_count_x
      - .offset:         116
        .size:           4
        .value_kind:     hidden_block_count_y
      - .offset:         120
        .size:           4
        .value_kind:     hidden_block_count_z
      - .offset:         124
        .size:           2
        .value_kind:     hidden_group_size_x
      - .offset:         126
        .size:           2
        .value_kind:     hidden_group_size_y
      - .offset:         128
        .size:           2
        .value_kind:     hidden_group_size_z
      - .offset:         130
        .size:           2
        .value_kind:     hidden_remainder_x
      - .offset:         132
        .size:           2
        .value_kind:     hidden_remainder_y
      - .offset:         134
        .size:           2
        .value_kind:     hidden_remainder_z
      - .offset:         152
        .size:           8
        .value_kind:     hidden_global_offset_x
      - .offset:         160
        .size:           8
        .value_kind:     hidden_global_offset_y
      - .offset:         168
        .size:           8
        .value_kind:     hidden_global_offset_z
      - .offset:         176
        .size:           2
        .value_kind:     hidden_grid_dims
    .group_segment_fixed_size: 512
    .kernarg_segment_align: 8
    .kernarg_segment_size: 368
    .language:       OpenCL C
    .language_version:
      - 2
      - 0
    .max_flat_workgroup_size: 4
    .name:           _ZL30rocblas_trsm_small_left_deviceILi4ELi4ELb1E19rocblas_complex_numIdES1_PKPKS1_PKPS1_Ev13rocblas_fill_18rocblas_operation_17rocblas_diagonal_iiT3_T4_lilT5_lili
    .private_segment_fixed_size: 0
    .sgpr_count:     36
    .sgpr_spill_count: 0
    .symbol:         _ZL30rocblas_trsm_small_left_deviceILi4ELi4ELb1E19rocblas_complex_numIdES1_PKPKS1_PKPS1_Ev13rocblas_fill_18rocblas_operation_17rocblas_diagonal_iiT3_T4_lilT5_lili.kd
    .uniform_work_group_size: 1
    .uses_dynamic_stack: false
    .vgpr_count:     24
    .vgpr_spill_count: 0
    .wavefront_size: 64
  - .agpr_count:     0
    .args:
      - .offset:         0
        .size:           4
        .value_kind:     by_value
      - .offset:         4
        .size:           4
        .value_kind:     by_value
      - .offset:         8
        .size:           4
        .value_kind:     by_value
      - .offset:         12
        .size:           4
        .value_kind:     by_value
      - .offset:         16
        .size:           4
        .value_kind:     by_value
      - .offset:         24
        .size:           16
        .value_kind:     by_value
      - .address_space:  global
        .offset:         40
        .size:           8
        .value_kind:     global_buffer
      - .offset:         48
        .size:           8
        .value_kind:     by_value
      - .offset:         56
        .size:           4
        .value_kind:     by_value
      - .offset:         64
        .size:           8
        .value_kind:     by_value
      - .address_space:  global
        .offset:         72
        .size:           8
        .value_kind:     global_buffer
      - .offset:         80
        .size:           8
        .value_kind:     by_value
      - .offset:         88
        .size:           4
        .value_kind:     by_value
      - .offset:         96
        .size:           8
        .value_kind:     by_value
      - .offset:         104
        .size:           4
        .value_kind:     by_value
      - .offset:         112
        .size:           4
        .value_kind:     hidden_block_count_x
      - .offset:         116
        .size:           4
        .value_kind:     hidden_block_count_y
      - .offset:         120
        .size:           4
        .value_kind:     hidden_block_count_z
      - .offset:         124
        .size:           2
        .value_kind:     hidden_group_size_x
      - .offset:         126
        .size:           2
        .value_kind:     hidden_group_size_y
      - .offset:         128
        .size:           2
        .value_kind:     hidden_group_size_z
      - .offset:         130
        .size:           2
        .value_kind:     hidden_remainder_x
      - .offset:         132
        .size:           2
        .value_kind:     hidden_remainder_y
      - .offset:         134
        .size:           2
        .value_kind:     hidden_remainder_z
      - .offset:         152
        .size:           8
        .value_kind:     hidden_global_offset_x
      - .offset:         160
        .size:           8
        .value_kind:     hidden_global_offset_y
      - .offset:         168
        .size:           8
        .value_kind:     hidden_global_offset_z
      - .offset:         176
        .size:           2
        .value_kind:     hidden_grid_dims
    .group_segment_fixed_size: 512
    .kernarg_segment_align: 8
    .kernarg_segment_size: 368
    .language:       OpenCL C
    .language_version:
      - 2
      - 0
    .max_flat_workgroup_size: 4
    .name:           _ZL31rocblas_trsm_small_right_deviceI19rocblas_complex_numIdES1_PKPKS1_PKPS1_Li4EEv13rocblas_fill_18rocblas_operation_17rocblas_diagonal_iiT0_T1_lilT2_lili
    .private_segment_fixed_size: 0
    .sgpr_count:     34
    .sgpr_spill_count: 0
    .symbol:         _ZL31rocblas_trsm_small_right_deviceI19rocblas_complex_numIdES1_PKPKS1_PKPS1_Li4EEv13rocblas_fill_18rocblas_operation_17rocblas_diagonal_iiT0_T1_lilT2_lili.kd
    .uniform_work_group_size: 1
    .uses_dynamic_stack: false
    .vgpr_count:     38
    .vgpr_spill_count: 0
    .wavefront_size: 64
  - .agpr_count:     0
    .args:
      - .offset:         0
        .size:           4
        .value_kind:     by_value
      - .offset:         4
        .size:           4
        .value_kind:     by_value
      - .offset:         8
        .size:           4
        .value_kind:     by_value
      - .offset:         12
        .size:           4
        .value_kind:     by_value
      - .offset:         16
        .size:           4
        .value_kind:     by_value
      - .offset:         24
        .size:           16
        .value_kind:     by_value
      - .address_space:  global
        .offset:         40
        .size:           8
        .value_kind:     global_buffer
      - .offset:         48
        .size:           8
        .value_kind:     by_value
      - .offset:         56
        .size:           4
        .value_kind:     by_value
      - .offset:         64
        .size:           8
        .value_kind:     by_value
      - .address_space:  global
        .offset:         72
        .size:           8
        .value_kind:     global_buffer
      - .offset:         80
        .size:           8
        .value_kind:     by_value
      - .offset:         88
        .size:           4
        .value_kind:     by_value
      - .offset:         96
        .size:           8
        .value_kind:     by_value
      - .offset:         104
        .size:           4
        .value_kind:     by_value
      - .offset:         112
        .size:           4
        .value_kind:     hidden_block_count_x
      - .offset:         116
        .size:           4
        .value_kind:     hidden_block_count_y
      - .offset:         120
        .size:           4
        .value_kind:     hidden_block_count_z
      - .offset:         124
        .size:           2
        .value_kind:     hidden_group_size_x
      - .offset:         126
        .size:           2
        .value_kind:     hidden_group_size_y
      - .offset:         128
        .size:           2
        .value_kind:     hidden_group_size_z
      - .offset:         130
        .size:           2
        .value_kind:     hidden_remainder_x
      - .offset:         132
        .size:           2
        .value_kind:     hidden_remainder_y
      - .offset:         134
        .size:           2
        .value_kind:     hidden_remainder_z
      - .offset:         152
        .size:           8
        .value_kind:     hidden_global_offset_x
      - .offset:         160
        .size:           8
        .value_kind:     hidden_global_offset_y
      - .offset:         168
        .size:           8
        .value_kind:     hidden_global_offset_z
      - .offset:         176
        .size:           2
        .value_kind:     hidden_grid_dims
    .group_segment_fixed_size: 2048
    .kernarg_segment_align: 8
    .kernarg_segment_size: 368
    .language:       OpenCL C
    .language_version:
      - 2
      - 0
    .max_flat_workgroup_size: 8
    .name:           _ZL38rocblas_trsm_small_left_device_sharedBILi8ELi8ELb0E19rocblas_complex_numIdES1_PKPKS1_PKPS1_Ev13rocblas_fill_18rocblas_operation_17rocblas_diagonal_iiT3_T4_lilT5_lili
    .private_segment_fixed_size: 0
    .sgpr_count:     34
    .sgpr_spill_count: 0
    .symbol:         _ZL38rocblas_trsm_small_left_device_sharedBILi8ELi8ELb0E19rocblas_complex_numIdES1_PKPKS1_PKPS1_Ev13rocblas_fill_18rocblas_operation_17rocblas_diagonal_iiT3_T4_lilT5_lili.kd
    .uniform_work_group_size: 1
    .uses_dynamic_stack: false
    .vgpr_count:     54
    .vgpr_spill_count: 0
    .wavefront_size: 64
  - .agpr_count:     0
    .args:
      - .offset:         0
        .size:           4
        .value_kind:     by_value
      - .offset:         4
        .size:           4
        .value_kind:     by_value
      - .offset:         8
        .size:           4
        .value_kind:     by_value
      - .offset:         12
        .size:           4
        .value_kind:     by_value
      - .offset:         16
        .size:           4
        .value_kind:     by_value
      - .offset:         24
        .size:           16
        .value_kind:     by_value
      - .address_space:  global
        .offset:         40
        .size:           8
        .value_kind:     global_buffer
      - .offset:         48
        .size:           8
        .value_kind:     by_value
      - .offset:         56
        .size:           4
        .value_kind:     by_value
      - .offset:         64
        .size:           8
        .value_kind:     by_value
      - .address_space:  global
        .offset:         72
        .size:           8
        .value_kind:     global_buffer
      - .offset:         80
        .size:           8
        .value_kind:     by_value
      - .offset:         88
        .size:           4
        .value_kind:     by_value
      - .offset:         96
        .size:           8
        .value_kind:     by_value
      - .offset:         104
        .size:           4
        .value_kind:     by_value
      - .offset:         112
        .size:           4
        .value_kind:     hidden_block_count_x
      - .offset:         116
        .size:           4
        .value_kind:     hidden_block_count_y
      - .offset:         120
        .size:           4
        .value_kind:     hidden_block_count_z
      - .offset:         124
        .size:           2
        .value_kind:     hidden_group_size_x
      - .offset:         126
        .size:           2
        .value_kind:     hidden_group_size_y
      - .offset:         128
        .size:           2
        .value_kind:     hidden_group_size_z
      - .offset:         130
        .size:           2
        .value_kind:     hidden_remainder_x
      - .offset:         132
        .size:           2
        .value_kind:     hidden_remainder_y
      - .offset:         134
        .size:           2
        .value_kind:     hidden_remainder_z
      - .offset:         152
        .size:           8
        .value_kind:     hidden_global_offset_x
      - .offset:         160
        .size:           8
        .value_kind:     hidden_global_offset_y
      - .offset:         168
        .size:           8
        .value_kind:     hidden_global_offset_z
      - .offset:         176
        .size:           2
        .value_kind:     hidden_grid_dims
    .group_segment_fixed_size: 2048
    .kernarg_segment_align: 8
    .kernarg_segment_size: 368
    .language:       OpenCL C
    .language_version:
      - 2
      - 0
    .max_flat_workgroup_size: 8
    .name:           _ZL30rocblas_trsm_small_left_deviceILi8ELi8ELb0E19rocblas_complex_numIdES1_PKPKS1_PKPS1_Ev13rocblas_fill_18rocblas_operation_17rocblas_diagonal_iiT3_T4_lilT5_lili
    .private_segment_fixed_size: 0
    .sgpr_count:     36
    .sgpr_spill_count: 0
    .symbol:         _ZL30rocblas_trsm_small_left_deviceILi8ELi8ELb0E19rocblas_complex_numIdES1_PKPKS1_PKPS1_Ev13rocblas_fill_18rocblas_operation_17rocblas_diagonal_iiT3_T4_lilT5_lili.kd
    .uniform_work_group_size: 1
    .uses_dynamic_stack: false
    .vgpr_count:     26
    .vgpr_spill_count: 0
    .wavefront_size: 64
  - .agpr_count:     0
    .args:
      - .offset:         0
        .size:           4
        .value_kind:     by_value
      - .offset:         4
        .size:           4
        .value_kind:     by_value
      - .offset:         8
        .size:           4
        .value_kind:     by_value
      - .offset:         12
        .size:           4
        .value_kind:     by_value
      - .offset:         16
        .size:           4
        .value_kind:     by_value
      - .offset:         24
        .size:           16
        .value_kind:     by_value
      - .address_space:  global
        .offset:         40
        .size:           8
        .value_kind:     global_buffer
      - .offset:         48
        .size:           8
        .value_kind:     by_value
      - .offset:         56
        .size:           4
        .value_kind:     by_value
      - .offset:         64
        .size:           8
        .value_kind:     by_value
      - .address_space:  global
        .offset:         72
        .size:           8
        .value_kind:     global_buffer
      - .offset:         80
        .size:           8
        .value_kind:     by_value
      - .offset:         88
        .size:           4
        .value_kind:     by_value
      - .offset:         96
        .size:           8
        .value_kind:     by_value
      - .offset:         104
        .size:           4
        .value_kind:     by_value
      - .offset:         112
        .size:           4
        .value_kind:     hidden_block_count_x
      - .offset:         116
        .size:           4
        .value_kind:     hidden_block_count_y
      - .offset:         120
        .size:           4
        .value_kind:     hidden_block_count_z
      - .offset:         124
        .size:           2
        .value_kind:     hidden_group_size_x
      - .offset:         126
        .size:           2
        .value_kind:     hidden_group_size_y
      - .offset:         128
        .size:           2
        .value_kind:     hidden_group_size_z
      - .offset:         130
        .size:           2
        .value_kind:     hidden_remainder_x
      - .offset:         132
        .size:           2
        .value_kind:     hidden_remainder_y
      - .offset:         134
        .size:           2
        .value_kind:     hidden_remainder_z
      - .offset:         152
        .size:           8
        .value_kind:     hidden_global_offset_x
      - .offset:         160
        .size:           8
        .value_kind:     hidden_global_offset_y
      - .offset:         168
        .size:           8
        .value_kind:     hidden_global_offset_z
      - .offset:         176
        .size:           2
        .value_kind:     hidden_grid_dims
    .group_segment_fixed_size: 2048
    .kernarg_segment_align: 8
    .kernarg_segment_size: 368
    .language:       OpenCL C
    .language_version:
      - 2
      - 0
    .max_flat_workgroup_size: 8
    .name:           _ZL38rocblas_trsm_small_left_device_sharedBILi8ELi8ELb1E19rocblas_complex_numIdES1_PKPKS1_PKPS1_Ev13rocblas_fill_18rocblas_operation_17rocblas_diagonal_iiT3_T4_lilT5_lili
    .private_segment_fixed_size: 0
    .sgpr_count:     34
    .sgpr_spill_count: 0
    .symbol:         _ZL38rocblas_trsm_small_left_device_sharedBILi8ELi8ELb1E19rocblas_complex_numIdES1_PKPKS1_PKPS1_Ev13rocblas_fill_18rocblas_operation_17rocblas_diagonal_iiT3_T4_lilT5_lili.kd
    .uniform_work_group_size: 1
    .uses_dynamic_stack: false
    .vgpr_count:     53
    .vgpr_spill_count: 0
    .wavefront_size: 64
  - .agpr_count:     0
    .args:
      - .offset:         0
        .size:           4
        .value_kind:     by_value
      - .offset:         4
        .size:           4
        .value_kind:     by_value
      - .offset:         8
        .size:           4
        .value_kind:     by_value
      - .offset:         12
        .size:           4
        .value_kind:     by_value
      - .offset:         16
        .size:           4
        .value_kind:     by_value
      - .offset:         24
        .size:           16
        .value_kind:     by_value
      - .address_space:  global
        .offset:         40
        .size:           8
        .value_kind:     global_buffer
      - .offset:         48
        .size:           8
        .value_kind:     by_value
      - .offset:         56
        .size:           4
        .value_kind:     by_value
      - .offset:         64
        .size:           8
        .value_kind:     by_value
      - .address_space:  global
        .offset:         72
        .size:           8
        .value_kind:     global_buffer
      - .offset:         80
        .size:           8
        .value_kind:     by_value
      - .offset:         88
        .size:           4
        .value_kind:     by_value
      - .offset:         96
        .size:           8
        .value_kind:     by_value
      - .offset:         104
        .size:           4
        .value_kind:     by_value
      - .offset:         112
        .size:           4
        .value_kind:     hidden_block_count_x
      - .offset:         116
        .size:           4
        .value_kind:     hidden_block_count_y
      - .offset:         120
        .size:           4
        .value_kind:     hidden_block_count_z
      - .offset:         124
        .size:           2
        .value_kind:     hidden_group_size_x
      - .offset:         126
        .size:           2
        .value_kind:     hidden_group_size_y
      - .offset:         128
        .size:           2
        .value_kind:     hidden_group_size_z
      - .offset:         130
        .size:           2
        .value_kind:     hidden_remainder_x
      - .offset:         132
        .size:           2
        .value_kind:     hidden_remainder_y
      - .offset:         134
        .size:           2
        .value_kind:     hidden_remainder_z
      - .offset:         152
        .size:           8
        .value_kind:     hidden_global_offset_x
      - .offset:         160
        .size:           8
        .value_kind:     hidden_global_offset_y
      - .offset:         168
        .size:           8
        .value_kind:     hidden_global_offset_z
      - .offset:         176
        .size:           2
        .value_kind:     hidden_grid_dims
    .group_segment_fixed_size: 2048
    .kernarg_segment_align: 8
    .kernarg_segment_size: 368
    .language:       OpenCL C
    .language_version:
      - 2
      - 0
    .max_flat_workgroup_size: 8
    .name:           _ZL30rocblas_trsm_small_left_deviceILi8ELi8ELb1E19rocblas_complex_numIdES1_PKPKS1_PKPS1_Ev13rocblas_fill_18rocblas_operation_17rocblas_diagonal_iiT3_T4_lilT5_lili
    .private_segment_fixed_size: 0
    .sgpr_count:     36
    .sgpr_spill_count: 0
    .symbol:         _ZL30rocblas_trsm_small_left_deviceILi8ELi8ELb1E19rocblas_complex_numIdES1_PKPKS1_PKPS1_Ev13rocblas_fill_18rocblas_operation_17rocblas_diagonal_iiT3_T4_lilT5_lili.kd
    .uniform_work_group_size: 1
    .uses_dynamic_stack: false
    .vgpr_count:     24
    .vgpr_spill_count: 0
    .wavefront_size: 64
  - .agpr_count:     0
    .args:
      - .offset:         0
        .size:           4
        .value_kind:     by_value
      - .offset:         4
        .size:           4
        .value_kind:     by_value
      - .offset:         8
        .size:           4
        .value_kind:     by_value
      - .offset:         12
        .size:           4
        .value_kind:     by_value
      - .offset:         16
        .size:           4
        .value_kind:     by_value
      - .offset:         24
        .size:           16
        .value_kind:     by_value
      - .address_space:  global
        .offset:         40
        .size:           8
        .value_kind:     global_buffer
      - .offset:         48
        .size:           8
        .value_kind:     by_value
      - .offset:         56
        .size:           4
        .value_kind:     by_value
      - .offset:         64
        .size:           8
        .value_kind:     by_value
      - .address_space:  global
        .offset:         72
        .size:           8
        .value_kind:     global_buffer
      - .offset:         80
        .size:           8
        .value_kind:     by_value
      - .offset:         88
        .size:           4
        .value_kind:     by_value
      - .offset:         96
        .size:           8
        .value_kind:     by_value
      - .offset:         104
        .size:           4
        .value_kind:     by_value
      - .offset:         112
        .size:           4
        .value_kind:     hidden_block_count_x
      - .offset:         116
        .size:           4
        .value_kind:     hidden_block_count_y
      - .offset:         120
        .size:           4
        .value_kind:     hidden_block_count_z
      - .offset:         124
        .size:           2
        .value_kind:     hidden_group_size_x
      - .offset:         126
        .size:           2
        .value_kind:     hidden_group_size_y
      - .offset:         128
        .size:           2
        .value_kind:     hidden_group_size_z
      - .offset:         130
        .size:           2
        .value_kind:     hidden_remainder_x
      - .offset:         132
        .size:           2
        .value_kind:     hidden_remainder_y
      - .offset:         134
        .size:           2
        .value_kind:     hidden_remainder_z
      - .offset:         152
        .size:           8
        .value_kind:     hidden_global_offset_x
      - .offset:         160
        .size:           8
        .value_kind:     hidden_global_offset_y
      - .offset:         168
        .size:           8
        .value_kind:     hidden_global_offset_z
      - .offset:         176
        .size:           2
        .value_kind:     hidden_grid_dims
    .group_segment_fixed_size: 2048
    .kernarg_segment_align: 8
    .kernarg_segment_size: 368
    .language:       OpenCL C
    .language_version:
      - 2
      - 0
    .max_flat_workgroup_size: 8
    .name:           _ZL31rocblas_trsm_small_right_deviceI19rocblas_complex_numIdES1_PKPKS1_PKPS1_Li8EEv13rocblas_fill_18rocblas_operation_17rocblas_diagonal_iiT0_T1_lilT2_lili
    .private_segment_fixed_size: 0
    .sgpr_count:     34
    .sgpr_spill_count: 0
    .symbol:         _ZL31rocblas_trsm_small_right_deviceI19rocblas_complex_numIdES1_PKPKS1_PKPS1_Li8EEv13rocblas_fill_18rocblas_operation_17rocblas_diagonal_iiT0_T1_lilT2_lili.kd
    .uniform_work_group_size: 1
    .uses_dynamic_stack: false
    .vgpr_count:     54
    .vgpr_spill_count: 0
    .wavefront_size: 64
  - .agpr_count:     0
    .args:
      - .offset:         0
        .size:           4
        .value_kind:     by_value
      - .offset:         4
        .size:           4
        .value_kind:     by_value
      - .offset:         8
        .size:           4
        .value_kind:     by_value
      - .offset:         12
        .size:           4
        .value_kind:     by_value
      - .offset:         16
        .size:           4
        .value_kind:     by_value
      - .offset:         24
        .size:           16
        .value_kind:     by_value
      - .address_space:  global
        .offset:         40
        .size:           8
        .value_kind:     global_buffer
      - .offset:         48
        .size:           8
        .value_kind:     by_value
      - .offset:         56
        .size:           4
        .value_kind:     by_value
      - .offset:         64
        .size:           8
        .value_kind:     by_value
      - .address_space:  global
        .offset:         72
        .size:           8
        .value_kind:     global_buffer
      - .offset:         80
        .size:           8
        .value_kind:     by_value
      - .offset:         88
        .size:           4
        .value_kind:     by_value
      - .offset:         96
        .size:           8
        .value_kind:     by_value
      - .offset:         104
        .size:           4
        .value_kind:     by_value
      - .offset:         112
        .size:           4
        .value_kind:     hidden_block_count_x
      - .offset:         116
        .size:           4
        .value_kind:     hidden_block_count_y
      - .offset:         120
        .size:           4
        .value_kind:     hidden_block_count_z
      - .offset:         124
        .size:           2
        .value_kind:     hidden_group_size_x
      - .offset:         126
        .size:           2
        .value_kind:     hidden_group_size_y
      - .offset:         128
        .size:           2
        .value_kind:     hidden_group_size_z
      - .offset:         130
        .size:           2
        .value_kind:     hidden_remainder_x
      - .offset:         132
        .size:           2
        .value_kind:     hidden_remainder_y
      - .offset:         134
        .size:           2
        .value_kind:     hidden_remainder_z
      - .offset:         152
        .size:           8
        .value_kind:     hidden_global_offset_x
      - .offset:         160
        .size:           8
        .value_kind:     hidden_global_offset_y
      - .offset:         168
        .size:           8
        .value_kind:     hidden_global_offset_z
      - .offset:         176
        .size:           2
        .value_kind:     hidden_grid_dims
    .group_segment_fixed_size: 4608
    .kernarg_segment_align: 8
    .kernarg_segment_size: 368
    .language:       OpenCL C
    .language_version:
      - 2
      - 0
    .max_flat_workgroup_size: 12
    .name:           _ZL38rocblas_trsm_small_left_device_sharedBILi12ELi12ELb0E19rocblas_complex_numIdES1_PKPKS1_PKPS1_Ev13rocblas_fill_18rocblas_operation_17rocblas_diagonal_iiT3_T4_lilT5_lili
    .private_segment_fixed_size: 208
    .sgpr_count:     34
    .sgpr_spill_count: 0
    .symbol:         _ZL38rocblas_trsm_small_left_device_sharedBILi12ELi12ELb0E19rocblas_complex_numIdES1_PKPKS1_PKPS1_Ev13rocblas_fill_18rocblas_operation_17rocblas_diagonal_iiT3_T4_lilT5_lili.kd
    .uniform_work_group_size: 1
    .uses_dynamic_stack: false
    .vgpr_count:     18
    .vgpr_spill_count: 0
    .wavefront_size: 64
  - .agpr_count:     0
    .args:
      - .offset:         0
        .size:           4
        .value_kind:     by_value
      - .offset:         4
        .size:           4
        .value_kind:     by_value
      - .offset:         8
        .size:           4
        .value_kind:     by_value
      - .offset:         12
        .size:           4
        .value_kind:     by_value
      - .offset:         16
        .size:           4
        .value_kind:     by_value
      - .offset:         24
        .size:           16
        .value_kind:     by_value
      - .address_space:  global
        .offset:         40
        .size:           8
        .value_kind:     global_buffer
      - .offset:         48
        .size:           8
        .value_kind:     by_value
      - .offset:         56
        .size:           4
        .value_kind:     by_value
      - .offset:         64
        .size:           8
        .value_kind:     by_value
      - .address_space:  global
        .offset:         72
        .size:           8
        .value_kind:     global_buffer
      - .offset:         80
        .size:           8
        .value_kind:     by_value
      - .offset:         88
        .size:           4
        .value_kind:     by_value
      - .offset:         96
        .size:           8
        .value_kind:     by_value
      - .offset:         104
        .size:           4
        .value_kind:     by_value
      - .offset:         112
        .size:           4
        .value_kind:     hidden_block_count_x
      - .offset:         116
        .size:           4
        .value_kind:     hidden_block_count_y
      - .offset:         120
        .size:           4
        .value_kind:     hidden_block_count_z
      - .offset:         124
        .size:           2
        .value_kind:     hidden_group_size_x
      - .offset:         126
        .size:           2
        .value_kind:     hidden_group_size_y
      - .offset:         128
        .size:           2
        .value_kind:     hidden_group_size_z
      - .offset:         130
        .size:           2
        .value_kind:     hidden_remainder_x
      - .offset:         132
        .size:           2
        .value_kind:     hidden_remainder_y
      - .offset:         134
        .size:           2
        .value_kind:     hidden_remainder_z
      - .offset:         152
        .size:           8
        .value_kind:     hidden_global_offset_x
      - .offset:         160
        .size:           8
        .value_kind:     hidden_global_offset_y
      - .offset:         168
        .size:           8
        .value_kind:     hidden_global_offset_z
      - .offset:         176
        .size:           2
        .value_kind:     hidden_grid_dims
    .group_segment_fixed_size: 4608
    .kernarg_segment_align: 8
    .kernarg_segment_size: 368
    .language:       OpenCL C
    .language_version:
      - 2
      - 0
    .max_flat_workgroup_size: 12
    .name:           _ZL30rocblas_trsm_small_left_deviceILi12ELi12ELb0E19rocblas_complex_numIdES1_PKPKS1_PKPS1_Ev13rocblas_fill_18rocblas_operation_17rocblas_diagonal_iiT3_T4_lilT5_lili
    .private_segment_fixed_size: 0
    .sgpr_count:     36
    .sgpr_spill_count: 0
    .symbol:         _ZL30rocblas_trsm_small_left_deviceILi12ELi12ELb0E19rocblas_complex_numIdES1_PKPKS1_PKPS1_Ev13rocblas_fill_18rocblas_operation_17rocblas_diagonal_iiT3_T4_lilT5_lili.kd
    .uniform_work_group_size: 1
    .uses_dynamic_stack: false
    .vgpr_count:     26
    .vgpr_spill_count: 0
    .wavefront_size: 64
  - .agpr_count:     0
    .args:
      - .offset:         0
        .size:           4
        .value_kind:     by_value
      - .offset:         4
        .size:           4
        .value_kind:     by_value
      - .offset:         8
        .size:           4
        .value_kind:     by_value
      - .offset:         12
        .size:           4
        .value_kind:     by_value
      - .offset:         16
        .size:           4
        .value_kind:     by_value
      - .offset:         24
        .size:           16
        .value_kind:     by_value
      - .address_space:  global
        .offset:         40
        .size:           8
        .value_kind:     global_buffer
      - .offset:         48
        .size:           8
        .value_kind:     by_value
      - .offset:         56
        .size:           4
        .value_kind:     by_value
      - .offset:         64
        .size:           8
        .value_kind:     by_value
      - .address_space:  global
        .offset:         72
        .size:           8
        .value_kind:     global_buffer
      - .offset:         80
        .size:           8
        .value_kind:     by_value
      - .offset:         88
        .size:           4
        .value_kind:     by_value
      - .offset:         96
        .size:           8
        .value_kind:     by_value
      - .offset:         104
        .size:           4
        .value_kind:     by_value
      - .offset:         112
        .size:           4
        .value_kind:     hidden_block_count_x
      - .offset:         116
        .size:           4
        .value_kind:     hidden_block_count_y
      - .offset:         120
        .size:           4
        .value_kind:     hidden_block_count_z
      - .offset:         124
        .size:           2
        .value_kind:     hidden_group_size_x
      - .offset:         126
        .size:           2
        .value_kind:     hidden_group_size_y
      - .offset:         128
        .size:           2
        .value_kind:     hidden_group_size_z
      - .offset:         130
        .size:           2
        .value_kind:     hidden_remainder_x
      - .offset:         132
        .size:           2
        .value_kind:     hidden_remainder_y
      - .offset:         134
        .size:           2
        .value_kind:     hidden_remainder_z
      - .offset:         152
        .size:           8
        .value_kind:     hidden_global_offset_x
      - .offset:         160
        .size:           8
        .value_kind:     hidden_global_offset_y
      - .offset:         168
        .size:           8
        .value_kind:     hidden_global_offset_z
      - .offset:         176
        .size:           2
        .value_kind:     hidden_grid_dims
    .group_segment_fixed_size: 4608
    .kernarg_segment_align: 8
    .kernarg_segment_size: 368
    .language:       OpenCL C
    .language_version:
      - 2
      - 0
    .max_flat_workgroup_size: 12
    .name:           _ZL38rocblas_trsm_small_left_device_sharedBILi12ELi12ELb1E19rocblas_complex_numIdES1_PKPKS1_PKPS1_Ev13rocblas_fill_18rocblas_operation_17rocblas_diagonal_iiT3_T4_lilT5_lili
    .private_segment_fixed_size: 208
    .sgpr_count:     35
    .sgpr_spill_count: 0
    .symbol:         _ZL38rocblas_trsm_small_left_device_sharedBILi12ELi12ELb1E19rocblas_complex_numIdES1_PKPKS1_PKPS1_Ev13rocblas_fill_18rocblas_operation_17rocblas_diagonal_iiT3_T4_lilT5_lili.kd
    .uniform_work_group_size: 1
    .uses_dynamic_stack: false
    .vgpr_count:     18
    .vgpr_spill_count: 0
    .wavefront_size: 64
  - .agpr_count:     0
    .args:
      - .offset:         0
        .size:           4
        .value_kind:     by_value
      - .offset:         4
        .size:           4
        .value_kind:     by_value
      - .offset:         8
        .size:           4
        .value_kind:     by_value
      - .offset:         12
        .size:           4
        .value_kind:     by_value
      - .offset:         16
        .size:           4
        .value_kind:     by_value
      - .offset:         24
        .size:           16
        .value_kind:     by_value
      - .address_space:  global
        .offset:         40
        .size:           8
        .value_kind:     global_buffer
      - .offset:         48
        .size:           8
        .value_kind:     by_value
      - .offset:         56
        .size:           4
        .value_kind:     by_value
      - .offset:         64
        .size:           8
        .value_kind:     by_value
      - .address_space:  global
        .offset:         72
        .size:           8
        .value_kind:     global_buffer
      - .offset:         80
        .size:           8
        .value_kind:     by_value
      - .offset:         88
        .size:           4
        .value_kind:     by_value
      - .offset:         96
        .size:           8
        .value_kind:     by_value
      - .offset:         104
        .size:           4
        .value_kind:     by_value
      - .offset:         112
        .size:           4
        .value_kind:     hidden_block_count_x
      - .offset:         116
        .size:           4
        .value_kind:     hidden_block_count_y
      - .offset:         120
        .size:           4
        .value_kind:     hidden_block_count_z
      - .offset:         124
        .size:           2
        .value_kind:     hidden_group_size_x
      - .offset:         126
        .size:           2
        .value_kind:     hidden_group_size_y
      - .offset:         128
        .size:           2
        .value_kind:     hidden_group_size_z
      - .offset:         130
        .size:           2
        .value_kind:     hidden_remainder_x
      - .offset:         132
        .size:           2
        .value_kind:     hidden_remainder_y
      - .offset:         134
        .size:           2
        .value_kind:     hidden_remainder_z
      - .offset:         152
        .size:           8
        .value_kind:     hidden_global_offset_x
      - .offset:         160
        .size:           8
        .value_kind:     hidden_global_offset_y
      - .offset:         168
        .size:           8
        .value_kind:     hidden_global_offset_z
      - .offset:         176
        .size:           2
        .value_kind:     hidden_grid_dims
    .group_segment_fixed_size: 4608
    .kernarg_segment_align: 8
    .kernarg_segment_size: 368
    .language:       OpenCL C
    .language_version:
      - 2
      - 0
    .max_flat_workgroup_size: 12
    .name:           _ZL30rocblas_trsm_small_left_deviceILi12ELi12ELb1E19rocblas_complex_numIdES1_PKPKS1_PKPS1_Ev13rocblas_fill_18rocblas_operation_17rocblas_diagonal_iiT3_T4_lilT5_lili
    .private_segment_fixed_size: 0
    .sgpr_count:     36
    .sgpr_spill_count: 0
    .symbol:         _ZL30rocblas_trsm_small_left_deviceILi12ELi12ELb1E19rocblas_complex_numIdES1_PKPKS1_PKPS1_Ev13rocblas_fill_18rocblas_operation_17rocblas_diagonal_iiT3_T4_lilT5_lili.kd
    .uniform_work_group_size: 1
    .uses_dynamic_stack: false
    .vgpr_count:     24
    .vgpr_spill_count: 0
    .wavefront_size: 64
  - .agpr_count:     0
    .args:
      - .offset:         0
        .size:           4
        .value_kind:     by_value
      - .offset:         4
        .size:           4
        .value_kind:     by_value
      - .offset:         8
        .size:           4
        .value_kind:     by_value
      - .offset:         12
        .size:           4
        .value_kind:     by_value
      - .offset:         16
        .size:           4
        .value_kind:     by_value
      - .offset:         24
        .size:           16
        .value_kind:     by_value
      - .address_space:  global
        .offset:         40
        .size:           8
        .value_kind:     global_buffer
      - .offset:         48
        .size:           8
        .value_kind:     by_value
      - .offset:         56
        .size:           4
        .value_kind:     by_value
      - .offset:         64
        .size:           8
        .value_kind:     by_value
      - .address_space:  global
        .offset:         72
        .size:           8
        .value_kind:     global_buffer
      - .offset:         80
        .size:           8
        .value_kind:     by_value
      - .offset:         88
        .size:           4
        .value_kind:     by_value
      - .offset:         96
        .size:           8
        .value_kind:     by_value
      - .offset:         104
        .size:           4
        .value_kind:     by_value
      - .offset:         112
        .size:           4
        .value_kind:     hidden_block_count_x
      - .offset:         116
        .size:           4
        .value_kind:     hidden_block_count_y
      - .offset:         120
        .size:           4
        .value_kind:     hidden_block_count_z
      - .offset:         124
        .size:           2
        .value_kind:     hidden_group_size_x
      - .offset:         126
        .size:           2
        .value_kind:     hidden_group_size_y
      - .offset:         128
        .size:           2
        .value_kind:     hidden_group_size_z
      - .offset:         130
        .size:           2
        .value_kind:     hidden_remainder_x
      - .offset:         132
        .size:           2
        .value_kind:     hidden_remainder_y
      - .offset:         134
        .size:           2
        .value_kind:     hidden_remainder_z
      - .offset:         152
        .size:           8
        .value_kind:     hidden_global_offset_x
      - .offset:         160
        .size:           8
        .value_kind:     hidden_global_offset_y
      - .offset:         168
        .size:           8
        .value_kind:     hidden_global_offset_z
      - .offset:         176
        .size:           2
        .value_kind:     hidden_grid_dims
    .group_segment_fixed_size: 4608
    .kernarg_segment_align: 8
    .kernarg_segment_size: 368
    .language:       OpenCL C
    .language_version:
      - 2
      - 0
    .max_flat_workgroup_size: 12
    .name:           _ZL31rocblas_trsm_small_right_deviceI19rocblas_complex_numIdES1_PKPKS1_PKPS1_Li12EEv13rocblas_fill_18rocblas_operation_17rocblas_diagonal_iiT0_T1_lilT2_lili
    .private_segment_fixed_size: 0
    .sgpr_count:     34
    .sgpr_spill_count: 0
    .symbol:         _ZL31rocblas_trsm_small_right_deviceI19rocblas_complex_numIdES1_PKPKS1_PKPS1_Li12EEv13rocblas_fill_18rocblas_operation_17rocblas_diagonal_iiT0_T1_lilT2_lili.kd
    .uniform_work_group_size: 1
    .uses_dynamic_stack: false
    .vgpr_count:     54
    .vgpr_spill_count: 0
    .wavefront_size: 64
  - .agpr_count:     0
    .args:
      - .offset:         0
        .size:           4
        .value_kind:     by_value
      - .offset:         4
        .size:           4
        .value_kind:     by_value
      - .offset:         8
        .size:           4
        .value_kind:     by_value
      - .offset:         12
        .size:           4
        .value_kind:     by_value
      - .offset:         16
        .size:           4
        .value_kind:     by_value
      - .offset:         24
        .size:           16
        .value_kind:     by_value
      - .address_space:  global
        .offset:         40
        .size:           8
        .value_kind:     global_buffer
      - .offset:         48
        .size:           8
        .value_kind:     by_value
      - .offset:         56
        .size:           4
        .value_kind:     by_value
      - .offset:         64
        .size:           8
        .value_kind:     by_value
      - .address_space:  global
        .offset:         72
        .size:           8
        .value_kind:     global_buffer
      - .offset:         80
        .size:           8
        .value_kind:     by_value
      - .offset:         88
        .size:           4
        .value_kind:     by_value
      - .offset:         96
        .size:           8
        .value_kind:     by_value
      - .offset:         104
        .size:           4
        .value_kind:     by_value
      - .offset:         112
        .size:           4
        .value_kind:     hidden_block_count_x
      - .offset:         116
        .size:           4
        .value_kind:     hidden_block_count_y
      - .offset:         120
        .size:           4
        .value_kind:     hidden_block_count_z
      - .offset:         124
        .size:           2
        .value_kind:     hidden_group_size_x
      - .offset:         126
        .size:           2
        .value_kind:     hidden_group_size_y
      - .offset:         128
        .size:           2
        .value_kind:     hidden_group_size_z
      - .offset:         130
        .size:           2
        .value_kind:     hidden_remainder_x
      - .offset:         132
        .size:           2
        .value_kind:     hidden_remainder_y
      - .offset:         134
        .size:           2
        .value_kind:     hidden_remainder_z
      - .offset:         152
        .size:           8
        .value_kind:     hidden_global_offset_x
      - .offset:         160
        .size:           8
        .value_kind:     hidden_global_offset_y
      - .offset:         168
        .size:           8
        .value_kind:     hidden_global_offset_z
      - .offset:         176
        .size:           2
        .value_kind:     hidden_grid_dims
    .group_segment_fixed_size: 8192
    .kernarg_segment_align: 8
    .kernarg_segment_size: 368
    .language:       OpenCL C
    .language_version:
      - 2
      - 0
    .max_flat_workgroup_size: 16
    .name:           _ZL38rocblas_trsm_small_left_device_sharedBILi16ELi16ELb0E19rocblas_complex_numIdES1_PKPKS1_PKPS1_Ev13rocblas_fill_18rocblas_operation_17rocblas_diagonal_iiT3_T4_lilT5_lili
    .private_segment_fixed_size: 0
    .sgpr_count:     34
    .sgpr_spill_count: 0
    .symbol:         _ZL38rocblas_trsm_small_left_device_sharedBILi16ELi16ELb0E19rocblas_complex_numIdES1_PKPKS1_PKPS1_Ev13rocblas_fill_18rocblas_operation_17rocblas_diagonal_iiT3_T4_lilT5_lili.kd
    .uniform_work_group_size: 1
    .uses_dynamic_stack: false
    .vgpr_count:     86
    .vgpr_spill_count: 0
    .wavefront_size: 64
  - .agpr_count:     0
    .args:
      - .offset:         0
        .size:           4
        .value_kind:     by_value
      - .offset:         4
        .size:           4
        .value_kind:     by_value
      - .offset:         8
        .size:           4
        .value_kind:     by_value
      - .offset:         12
        .size:           4
        .value_kind:     by_value
      - .offset:         16
        .size:           4
        .value_kind:     by_value
      - .offset:         24
        .size:           16
        .value_kind:     by_value
      - .address_space:  global
        .offset:         40
        .size:           8
        .value_kind:     global_buffer
      - .offset:         48
        .size:           8
        .value_kind:     by_value
      - .offset:         56
        .size:           4
        .value_kind:     by_value
      - .offset:         64
        .size:           8
        .value_kind:     by_value
      - .address_space:  global
        .offset:         72
        .size:           8
        .value_kind:     global_buffer
      - .offset:         80
        .size:           8
        .value_kind:     by_value
      - .offset:         88
        .size:           4
        .value_kind:     by_value
      - .offset:         96
        .size:           8
        .value_kind:     by_value
      - .offset:         104
        .size:           4
        .value_kind:     by_value
      - .offset:         112
        .size:           4
        .value_kind:     hidden_block_count_x
      - .offset:         116
        .size:           4
        .value_kind:     hidden_block_count_y
      - .offset:         120
        .size:           4
        .value_kind:     hidden_block_count_z
      - .offset:         124
        .size:           2
        .value_kind:     hidden_group_size_x
      - .offset:         126
        .size:           2
        .value_kind:     hidden_group_size_y
      - .offset:         128
        .size:           2
        .value_kind:     hidden_group_size_z
      - .offset:         130
        .size:           2
        .value_kind:     hidden_remainder_x
      - .offset:         132
        .size:           2
        .value_kind:     hidden_remainder_y
      - .offset:         134
        .size:           2
        .value_kind:     hidden_remainder_z
      - .offset:         152
        .size:           8
        .value_kind:     hidden_global_offset_x
      - .offset:         160
        .size:           8
        .value_kind:     hidden_global_offset_y
      - .offset:         168
        .size:           8
        .value_kind:     hidden_global_offset_z
      - .offset:         176
        .size:           2
        .value_kind:     hidden_grid_dims
    .group_segment_fixed_size: 4096
    .kernarg_segment_align: 8
    .kernarg_segment_size: 368
    .language:       OpenCL C
    .language_version:
      - 2
      - 0
    .max_flat_workgroup_size: 16
    .name:           _ZL30rocblas_trsm_small_left_deviceILi16ELi16ELb0E19rocblas_complex_numIdES1_PKPKS1_PKPS1_Ev13rocblas_fill_18rocblas_operation_17rocblas_diagonal_iiT3_T4_lilT5_lili
    .private_segment_fixed_size: 272
    .sgpr_count:     34
    .sgpr_spill_count: 0
    .symbol:         _ZL30rocblas_trsm_small_left_deviceILi16ELi16ELb0E19rocblas_complex_numIdES1_PKPKS1_PKPS1_Ev13rocblas_fill_18rocblas_operation_17rocblas_diagonal_iiT3_T4_lilT5_lili.kd
    .uniform_work_group_size: 1
    .uses_dynamic_stack: false
    .vgpr_count:     22
    .vgpr_spill_count: 0
    .wavefront_size: 64
  - .agpr_count:     0
    .args:
      - .offset:         0
        .size:           4
        .value_kind:     by_value
      - .offset:         4
        .size:           4
        .value_kind:     by_value
      - .offset:         8
        .size:           4
        .value_kind:     by_value
      - .offset:         12
        .size:           4
        .value_kind:     by_value
      - .offset:         16
        .size:           4
        .value_kind:     by_value
      - .offset:         24
        .size:           16
        .value_kind:     by_value
      - .address_space:  global
        .offset:         40
        .size:           8
        .value_kind:     global_buffer
      - .offset:         48
        .size:           8
        .value_kind:     by_value
      - .offset:         56
        .size:           4
        .value_kind:     by_value
      - .offset:         64
        .size:           8
        .value_kind:     by_value
      - .address_space:  global
        .offset:         72
        .size:           8
        .value_kind:     global_buffer
      - .offset:         80
        .size:           8
        .value_kind:     by_value
      - .offset:         88
        .size:           4
        .value_kind:     by_value
      - .offset:         96
        .size:           8
        .value_kind:     by_value
      - .offset:         104
        .size:           4
        .value_kind:     by_value
      - .offset:         112
        .size:           4
        .value_kind:     hidden_block_count_x
      - .offset:         116
        .size:           4
        .value_kind:     hidden_block_count_y
      - .offset:         120
        .size:           4
        .value_kind:     hidden_block_count_z
      - .offset:         124
        .size:           2
        .value_kind:     hidden_group_size_x
      - .offset:         126
        .size:           2
        .value_kind:     hidden_group_size_y
      - .offset:         128
        .size:           2
        .value_kind:     hidden_group_size_z
      - .offset:         130
        .size:           2
        .value_kind:     hidden_remainder_x
      - .offset:         132
        .size:           2
        .value_kind:     hidden_remainder_y
      - .offset:         134
        .size:           2
        .value_kind:     hidden_remainder_z
      - .offset:         152
        .size:           8
        .value_kind:     hidden_global_offset_x
      - .offset:         160
        .size:           8
        .value_kind:     hidden_global_offset_y
      - .offset:         168
        .size:           8
        .value_kind:     hidden_global_offset_z
      - .offset:         176
        .size:           2
        .value_kind:     hidden_grid_dims
    .group_segment_fixed_size: 8192
    .kernarg_segment_align: 8
    .kernarg_segment_size: 368
    .language:       OpenCL C
    .language_version:
      - 2
      - 0
    .max_flat_workgroup_size: 16
    .name:           _ZL38rocblas_trsm_small_left_device_sharedBILi16ELi16ELb1E19rocblas_complex_numIdES1_PKPKS1_PKPS1_Ev13rocblas_fill_18rocblas_operation_17rocblas_diagonal_iiT3_T4_lilT5_lili
    .private_segment_fixed_size: 0
    .sgpr_count:     34
    .sgpr_spill_count: 0
    .symbol:         _ZL38rocblas_trsm_small_left_device_sharedBILi16ELi16ELb1E19rocblas_complex_numIdES1_PKPKS1_PKPS1_Ev13rocblas_fill_18rocblas_operation_17rocblas_diagonal_iiT3_T4_lilT5_lili.kd
    .uniform_work_group_size: 1
    .uses_dynamic_stack: false
    .vgpr_count:     126
    .vgpr_spill_count: 0
    .wavefront_size: 64
  - .agpr_count:     0
    .args:
      - .offset:         0
        .size:           4
        .value_kind:     by_value
      - .offset:         4
        .size:           4
        .value_kind:     by_value
      - .offset:         8
        .size:           4
        .value_kind:     by_value
      - .offset:         12
        .size:           4
        .value_kind:     by_value
      - .offset:         16
        .size:           4
        .value_kind:     by_value
      - .offset:         24
        .size:           16
        .value_kind:     by_value
      - .address_space:  global
        .offset:         40
        .size:           8
        .value_kind:     global_buffer
      - .offset:         48
        .size:           8
        .value_kind:     by_value
      - .offset:         56
        .size:           4
        .value_kind:     by_value
      - .offset:         64
        .size:           8
        .value_kind:     by_value
      - .address_space:  global
        .offset:         72
        .size:           8
        .value_kind:     global_buffer
      - .offset:         80
        .size:           8
        .value_kind:     by_value
      - .offset:         88
        .size:           4
        .value_kind:     by_value
      - .offset:         96
        .size:           8
        .value_kind:     by_value
      - .offset:         104
        .size:           4
        .value_kind:     by_value
      - .offset:         112
        .size:           4
        .value_kind:     hidden_block_count_x
      - .offset:         116
        .size:           4
        .value_kind:     hidden_block_count_y
      - .offset:         120
        .size:           4
        .value_kind:     hidden_block_count_z
      - .offset:         124
        .size:           2
        .value_kind:     hidden_group_size_x
      - .offset:         126
        .size:           2
        .value_kind:     hidden_group_size_y
      - .offset:         128
        .size:           2
        .value_kind:     hidden_group_size_z
      - .offset:         130
        .size:           2
        .value_kind:     hidden_remainder_x
      - .offset:         132
        .size:           2
        .value_kind:     hidden_remainder_y
      - .offset:         134
        .size:           2
        .value_kind:     hidden_remainder_z
      - .offset:         152
        .size:           8
        .value_kind:     hidden_global_offset_x
      - .offset:         160
        .size:           8
        .value_kind:     hidden_global_offset_y
      - .offset:         168
        .size:           8
        .value_kind:     hidden_global_offset_z
      - .offset:         176
        .size:           2
        .value_kind:     hidden_grid_dims
    .group_segment_fixed_size: 4096
    .kernarg_segment_align: 8
    .kernarg_segment_size: 368
    .language:       OpenCL C
    .language_version:
      - 2
      - 0
    .max_flat_workgroup_size: 16
    .name:           _ZL30rocblas_trsm_small_left_deviceILi16ELi16ELb1E19rocblas_complex_numIdES1_PKPKS1_PKPS1_Ev13rocblas_fill_18rocblas_operation_17rocblas_diagonal_iiT3_T4_lilT5_lili
    .private_segment_fixed_size: 272
    .sgpr_count:     36
    .sgpr_spill_count: 0
    .symbol:         _ZL30rocblas_trsm_small_left_deviceILi16ELi16ELb1E19rocblas_complex_numIdES1_PKPKS1_PKPS1_Ev13rocblas_fill_18rocblas_operation_17rocblas_diagonal_iiT3_T4_lilT5_lili.kd
    .uniform_work_group_size: 1
    .uses_dynamic_stack: false
    .vgpr_count:     20
    .vgpr_spill_count: 0
    .wavefront_size: 64
  - .agpr_count:     0
    .args:
      - .offset:         0
        .size:           4
        .value_kind:     by_value
      - .offset:         4
        .size:           4
        .value_kind:     by_value
      - .offset:         8
        .size:           4
        .value_kind:     by_value
      - .offset:         12
        .size:           4
        .value_kind:     by_value
      - .offset:         16
        .size:           4
        .value_kind:     by_value
      - .offset:         24
        .size:           16
        .value_kind:     by_value
      - .address_space:  global
        .offset:         40
        .size:           8
        .value_kind:     global_buffer
      - .offset:         48
        .size:           8
        .value_kind:     by_value
      - .offset:         56
        .size:           4
        .value_kind:     by_value
      - .offset:         64
        .size:           8
        .value_kind:     by_value
      - .address_space:  global
        .offset:         72
        .size:           8
        .value_kind:     global_buffer
      - .offset:         80
        .size:           8
        .value_kind:     by_value
      - .offset:         88
        .size:           4
        .value_kind:     by_value
      - .offset:         96
        .size:           8
        .value_kind:     by_value
      - .offset:         104
        .size:           4
        .value_kind:     by_value
      - .offset:         112
        .size:           4
        .value_kind:     hidden_block_count_x
      - .offset:         116
        .size:           4
        .value_kind:     hidden_block_count_y
      - .offset:         120
        .size:           4
        .value_kind:     hidden_block_count_z
      - .offset:         124
        .size:           2
        .value_kind:     hidden_group_size_x
      - .offset:         126
        .size:           2
        .value_kind:     hidden_group_size_y
      - .offset:         128
        .size:           2
        .value_kind:     hidden_group_size_z
      - .offset:         130
        .size:           2
        .value_kind:     hidden_remainder_x
      - .offset:         132
        .size:           2
        .value_kind:     hidden_remainder_y
      - .offset:         134
        .size:           2
        .value_kind:     hidden_remainder_z
      - .offset:         152
        .size:           8
        .value_kind:     hidden_global_offset_x
      - .offset:         160
        .size:           8
        .value_kind:     hidden_global_offset_y
      - .offset:         168
        .size:           8
        .value_kind:     hidden_global_offset_z
      - .offset:         176
        .size:           2
        .value_kind:     hidden_grid_dims
    .group_segment_fixed_size: 8192
    .kernarg_segment_align: 8
    .kernarg_segment_size: 368
    .language:       OpenCL C
    .language_version:
      - 2
      - 0
    .max_flat_workgroup_size: 16
    .name:           _ZL31rocblas_trsm_small_right_deviceI19rocblas_complex_numIdES1_PKPKS1_PKPS1_Li16EEv13rocblas_fill_18rocblas_operation_17rocblas_diagonal_iiT0_T1_lilT2_lili
    .private_segment_fixed_size: 0
    .sgpr_count:     34
    .sgpr_spill_count: 0
    .symbol:         _ZL31rocblas_trsm_small_right_deviceI19rocblas_complex_numIdES1_PKPKS1_PKPS1_Li16EEv13rocblas_fill_18rocblas_operation_17rocblas_diagonal_iiT0_T1_lilT2_lili.kd
    .uniform_work_group_size: 1
    .uses_dynamic_stack: false
    .vgpr_count:     54
    .vgpr_spill_count: 0
    .wavefront_size: 64
  - .agpr_count:     0
    .args:
      - .offset:         0
        .size:           4
        .value_kind:     by_value
      - .offset:         4
        .size:           4
        .value_kind:     by_value
      - .offset:         8
        .size:           4
        .value_kind:     by_value
      - .offset:         12
        .size:           4
        .value_kind:     by_value
      - .offset:         16
        .size:           4
        .value_kind:     by_value
      - .offset:         24
        .size:           16
        .value_kind:     by_value
      - .address_space:  global
        .offset:         40
        .size:           8
        .value_kind:     global_buffer
      - .offset:         48
        .size:           8
        .value_kind:     by_value
      - .offset:         56
        .size:           4
        .value_kind:     by_value
      - .offset:         64
        .size:           8
        .value_kind:     by_value
      - .address_space:  global
        .offset:         72
        .size:           8
        .value_kind:     global_buffer
      - .offset:         80
        .size:           8
        .value_kind:     by_value
      - .offset:         88
        .size:           4
        .value_kind:     by_value
      - .offset:         96
        .size:           8
        .value_kind:     by_value
      - .offset:         104
        .size:           4
        .value_kind:     by_value
      - .offset:         112
        .size:           4
        .value_kind:     hidden_block_count_x
      - .offset:         116
        .size:           4
        .value_kind:     hidden_block_count_y
      - .offset:         120
        .size:           4
        .value_kind:     hidden_block_count_z
      - .offset:         124
        .size:           2
        .value_kind:     hidden_group_size_x
      - .offset:         126
        .size:           2
        .value_kind:     hidden_group_size_y
      - .offset:         128
        .size:           2
        .value_kind:     hidden_group_size_z
      - .offset:         130
        .size:           2
        .value_kind:     hidden_remainder_x
      - .offset:         132
        .size:           2
        .value_kind:     hidden_remainder_y
      - .offset:         134
        .size:           2
        .value_kind:     hidden_remainder_z
      - .offset:         152
        .size:           8
        .value_kind:     hidden_global_offset_x
      - .offset:         160
        .size:           8
        .value_kind:     hidden_global_offset_y
      - .offset:         168
        .size:           8
        .value_kind:     hidden_global_offset_z
      - .offset:         176
        .size:           2
        .value_kind:     hidden_grid_dims
    .group_segment_fixed_size: 12800
    .kernarg_segment_align: 8
    .kernarg_segment_size: 368
    .language:       OpenCL C
    .language_version:
      - 2
      - 0
    .max_flat_workgroup_size: 20
    .name:           _ZL38rocblas_trsm_small_left_device_sharedBILi20ELi20ELb0E19rocblas_complex_numIdES1_PKPKS1_PKPS1_Ev13rocblas_fill_18rocblas_operation_17rocblas_diagonal_iiT3_T4_lilT5_lili
    .private_segment_fixed_size: 336
    .sgpr_count:     34
    .sgpr_spill_count: 0
    .symbol:         _ZL38rocblas_trsm_small_left_device_sharedBILi20ELi20ELb0E19rocblas_complex_numIdES1_PKPKS1_PKPS1_Ev13rocblas_fill_18rocblas_operation_17rocblas_diagonal_iiT3_T4_lilT5_lili.kd
    .uniform_work_group_size: 1
    .uses_dynamic_stack: false
    .vgpr_count:     18
    .vgpr_spill_count: 0
    .wavefront_size: 64
  - .agpr_count:     0
    .args:
      - .offset:         0
        .size:           4
        .value_kind:     by_value
      - .offset:         4
        .size:           4
        .value_kind:     by_value
      - .offset:         8
        .size:           4
        .value_kind:     by_value
      - .offset:         12
        .size:           4
        .value_kind:     by_value
      - .offset:         16
        .size:           4
        .value_kind:     by_value
      - .offset:         24
        .size:           16
        .value_kind:     by_value
      - .address_space:  global
        .offset:         40
        .size:           8
        .value_kind:     global_buffer
      - .offset:         48
        .size:           8
        .value_kind:     by_value
      - .offset:         56
        .size:           4
        .value_kind:     by_value
      - .offset:         64
        .size:           8
        .value_kind:     by_value
      - .address_space:  global
        .offset:         72
        .size:           8
        .value_kind:     global_buffer
      - .offset:         80
        .size:           8
        .value_kind:     by_value
      - .offset:         88
        .size:           4
        .value_kind:     by_value
      - .offset:         96
        .size:           8
        .value_kind:     by_value
      - .offset:         104
        .size:           4
        .value_kind:     by_value
      - .offset:         112
        .size:           4
        .value_kind:     hidden_block_count_x
      - .offset:         116
        .size:           4
        .value_kind:     hidden_block_count_y
      - .offset:         120
        .size:           4
        .value_kind:     hidden_block_count_z
      - .offset:         124
        .size:           2
        .value_kind:     hidden_group_size_x
      - .offset:         126
        .size:           2
        .value_kind:     hidden_group_size_y
      - .offset:         128
        .size:           2
        .value_kind:     hidden_group_size_z
      - .offset:         130
        .size:           2
        .value_kind:     hidden_remainder_x
      - .offset:         132
        .size:           2
        .value_kind:     hidden_remainder_y
      - .offset:         134
        .size:           2
        .value_kind:     hidden_remainder_z
      - .offset:         152
        .size:           8
        .value_kind:     hidden_global_offset_x
      - .offset:         160
        .size:           8
        .value_kind:     hidden_global_offset_y
      - .offset:         168
        .size:           8
        .value_kind:     hidden_global_offset_z
      - .offset:         176
        .size:           2
        .value_kind:     hidden_grid_dims
    .group_segment_fixed_size: 6400
    .kernarg_segment_align: 8
    .kernarg_segment_size: 368
    .language:       OpenCL C
    .language_version:
      - 2
      - 0
    .max_flat_workgroup_size: 20
    .name:           _ZL30rocblas_trsm_small_left_deviceILi20ELi20ELb0E19rocblas_complex_numIdES1_PKPKS1_PKPS1_Ev13rocblas_fill_18rocblas_operation_17rocblas_diagonal_iiT3_T4_lilT5_lili
    .private_segment_fixed_size: 336
    .sgpr_count:     34
    .sgpr_spill_count: 0
    .symbol:         _ZL30rocblas_trsm_small_left_deviceILi20ELi20ELb0E19rocblas_complex_numIdES1_PKPKS1_PKPS1_Ev13rocblas_fill_18rocblas_operation_17rocblas_diagonal_iiT3_T4_lilT5_lili.kd
    .uniform_work_group_size: 1
    .uses_dynamic_stack: false
    .vgpr_count:     22
    .vgpr_spill_count: 0
    .wavefront_size: 64
  - .agpr_count:     0
    .args:
      - .offset:         0
        .size:           4
        .value_kind:     by_value
      - .offset:         4
        .size:           4
        .value_kind:     by_value
      - .offset:         8
        .size:           4
        .value_kind:     by_value
      - .offset:         12
        .size:           4
        .value_kind:     by_value
      - .offset:         16
        .size:           4
        .value_kind:     by_value
      - .offset:         24
        .size:           16
        .value_kind:     by_value
      - .address_space:  global
        .offset:         40
        .size:           8
        .value_kind:     global_buffer
      - .offset:         48
        .size:           8
        .value_kind:     by_value
      - .offset:         56
        .size:           4
        .value_kind:     by_value
      - .offset:         64
        .size:           8
        .value_kind:     by_value
      - .address_space:  global
        .offset:         72
        .size:           8
        .value_kind:     global_buffer
      - .offset:         80
        .size:           8
        .value_kind:     by_value
      - .offset:         88
        .size:           4
        .value_kind:     by_value
      - .offset:         96
        .size:           8
        .value_kind:     by_value
      - .offset:         104
        .size:           4
        .value_kind:     by_value
      - .offset:         112
        .size:           4
        .value_kind:     hidden_block_count_x
      - .offset:         116
        .size:           4
        .value_kind:     hidden_block_count_y
      - .offset:         120
        .size:           4
        .value_kind:     hidden_block_count_z
      - .offset:         124
        .size:           2
        .value_kind:     hidden_group_size_x
      - .offset:         126
        .size:           2
        .value_kind:     hidden_group_size_y
      - .offset:         128
        .size:           2
        .value_kind:     hidden_group_size_z
      - .offset:         130
        .size:           2
        .value_kind:     hidden_remainder_x
      - .offset:         132
        .size:           2
        .value_kind:     hidden_remainder_y
      - .offset:         134
        .size:           2
        .value_kind:     hidden_remainder_z
      - .offset:         152
        .size:           8
        .value_kind:     hidden_global_offset_x
      - .offset:         160
        .size:           8
        .value_kind:     hidden_global_offset_y
      - .offset:         168
        .size:           8
        .value_kind:     hidden_global_offset_z
      - .offset:         176
        .size:           2
        .value_kind:     hidden_grid_dims
    .group_segment_fixed_size: 12800
    .kernarg_segment_align: 8
    .kernarg_segment_size: 368
    .language:       OpenCL C
    .language_version:
      - 2
      - 0
    .max_flat_workgroup_size: 20
    .name:           _ZL38rocblas_trsm_small_left_device_sharedBILi20ELi20ELb1E19rocblas_complex_numIdES1_PKPKS1_PKPS1_Ev13rocblas_fill_18rocblas_operation_17rocblas_diagonal_iiT3_T4_lilT5_lili
    .private_segment_fixed_size: 336
    .sgpr_count:     35
    .sgpr_spill_count: 0
    .symbol:         _ZL38rocblas_trsm_small_left_device_sharedBILi20ELi20ELb1E19rocblas_complex_numIdES1_PKPKS1_PKPS1_Ev13rocblas_fill_18rocblas_operation_17rocblas_diagonal_iiT3_T4_lilT5_lili.kd
    .uniform_work_group_size: 1
    .uses_dynamic_stack: false
    .vgpr_count:     18
    .vgpr_spill_count: 0
    .wavefront_size: 64
  - .agpr_count:     0
    .args:
      - .offset:         0
        .size:           4
        .value_kind:     by_value
      - .offset:         4
        .size:           4
        .value_kind:     by_value
      - .offset:         8
        .size:           4
        .value_kind:     by_value
      - .offset:         12
        .size:           4
        .value_kind:     by_value
      - .offset:         16
        .size:           4
        .value_kind:     by_value
      - .offset:         24
        .size:           16
        .value_kind:     by_value
      - .address_space:  global
        .offset:         40
        .size:           8
        .value_kind:     global_buffer
      - .offset:         48
        .size:           8
        .value_kind:     by_value
      - .offset:         56
        .size:           4
        .value_kind:     by_value
      - .offset:         64
        .size:           8
        .value_kind:     by_value
      - .address_space:  global
        .offset:         72
        .size:           8
        .value_kind:     global_buffer
      - .offset:         80
        .size:           8
        .value_kind:     by_value
      - .offset:         88
        .size:           4
        .value_kind:     by_value
      - .offset:         96
        .size:           8
        .value_kind:     by_value
      - .offset:         104
        .size:           4
        .value_kind:     by_value
      - .offset:         112
        .size:           4
        .value_kind:     hidden_block_count_x
      - .offset:         116
        .size:           4
        .value_kind:     hidden_block_count_y
      - .offset:         120
        .size:           4
        .value_kind:     hidden_block_count_z
      - .offset:         124
        .size:           2
        .value_kind:     hidden_group_size_x
      - .offset:         126
        .size:           2
        .value_kind:     hidden_group_size_y
      - .offset:         128
        .size:           2
        .value_kind:     hidden_group_size_z
      - .offset:         130
        .size:           2
        .value_kind:     hidden_remainder_x
      - .offset:         132
        .size:           2
        .value_kind:     hidden_remainder_y
      - .offset:         134
        .size:           2
        .value_kind:     hidden_remainder_z
      - .offset:         152
        .size:           8
        .value_kind:     hidden_global_offset_x
      - .offset:         160
        .size:           8
        .value_kind:     hidden_global_offset_y
      - .offset:         168
        .size:           8
        .value_kind:     hidden_global_offset_z
      - .offset:         176
        .size:           2
        .value_kind:     hidden_grid_dims
    .group_segment_fixed_size: 6400
    .kernarg_segment_align: 8
    .kernarg_segment_size: 368
    .language:       OpenCL C
    .language_version:
      - 2
      - 0
    .max_flat_workgroup_size: 20
    .name:           _ZL30rocblas_trsm_small_left_deviceILi20ELi20ELb1E19rocblas_complex_numIdES1_PKPKS1_PKPS1_Ev13rocblas_fill_18rocblas_operation_17rocblas_diagonal_iiT3_T4_lilT5_lili
    .private_segment_fixed_size: 336
    .sgpr_count:     36
    .sgpr_spill_count: 0
    .symbol:         _ZL30rocblas_trsm_small_left_deviceILi20ELi20ELb1E19rocblas_complex_numIdES1_PKPKS1_PKPS1_Ev13rocblas_fill_18rocblas_operation_17rocblas_diagonal_iiT3_T4_lilT5_lili.kd
    .uniform_work_group_size: 1
    .uses_dynamic_stack: false
    .vgpr_count:     20
    .vgpr_spill_count: 0
    .wavefront_size: 64
  - .agpr_count:     0
    .args:
      - .offset:         0
        .size:           4
        .value_kind:     by_value
      - .offset:         4
        .size:           4
        .value_kind:     by_value
      - .offset:         8
        .size:           4
        .value_kind:     by_value
      - .offset:         12
        .size:           4
        .value_kind:     by_value
      - .offset:         16
        .size:           4
        .value_kind:     by_value
      - .offset:         24
        .size:           16
        .value_kind:     by_value
      - .address_space:  global
        .offset:         40
        .size:           8
        .value_kind:     global_buffer
      - .offset:         48
        .size:           8
        .value_kind:     by_value
      - .offset:         56
        .size:           4
        .value_kind:     by_value
      - .offset:         64
        .size:           8
        .value_kind:     by_value
      - .address_space:  global
        .offset:         72
        .size:           8
        .value_kind:     global_buffer
      - .offset:         80
        .size:           8
        .value_kind:     by_value
      - .offset:         88
        .size:           4
        .value_kind:     by_value
      - .offset:         96
        .size:           8
        .value_kind:     by_value
      - .offset:         104
        .size:           4
        .value_kind:     by_value
      - .offset:         112
        .size:           4
        .value_kind:     hidden_block_count_x
      - .offset:         116
        .size:           4
        .value_kind:     hidden_block_count_y
      - .offset:         120
        .size:           4
        .value_kind:     hidden_block_count_z
      - .offset:         124
        .size:           2
        .value_kind:     hidden_group_size_x
      - .offset:         126
        .size:           2
        .value_kind:     hidden_group_size_y
      - .offset:         128
        .size:           2
        .value_kind:     hidden_group_size_z
      - .offset:         130
        .size:           2
        .value_kind:     hidden_remainder_x
      - .offset:         132
        .size:           2
        .value_kind:     hidden_remainder_y
      - .offset:         134
        .size:           2
        .value_kind:     hidden_remainder_z
      - .offset:         152
        .size:           8
        .value_kind:     hidden_global_offset_x
      - .offset:         160
        .size:           8
        .value_kind:     hidden_global_offset_y
      - .offset:         168
        .size:           8
        .value_kind:     hidden_global_offset_z
      - .offset:         176
        .size:           2
        .value_kind:     hidden_grid_dims
    .group_segment_fixed_size: 12800
    .kernarg_segment_align: 8
    .kernarg_segment_size: 368
    .language:       OpenCL C
    .language_version:
      - 2
      - 0
    .max_flat_workgroup_size: 20
    .name:           _ZL31rocblas_trsm_small_right_deviceI19rocblas_complex_numIdES1_PKPKS1_PKPS1_Li20EEv13rocblas_fill_18rocblas_operation_17rocblas_diagonal_iiT0_T1_lilT2_lili
    .private_segment_fixed_size: 0
    .sgpr_count:     34
    .sgpr_spill_count: 0
    .symbol:         _ZL31rocblas_trsm_small_right_deviceI19rocblas_complex_numIdES1_PKPKS1_PKPS1_Li20EEv13rocblas_fill_18rocblas_operation_17rocblas_diagonal_iiT0_T1_lilT2_lili.kd
    .uniform_work_group_size: 1
    .uses_dynamic_stack: false
    .vgpr_count:     54
    .vgpr_spill_count: 0
    .wavefront_size: 64
  - .agpr_count:     0
    .args:
      - .offset:         0
        .size:           4
        .value_kind:     by_value
      - .offset:         4
        .size:           4
        .value_kind:     by_value
      - .offset:         8
        .size:           4
        .value_kind:     by_value
      - .offset:         12
        .size:           4
        .value_kind:     by_value
      - .offset:         16
        .size:           4
        .value_kind:     by_value
      - .offset:         24
        .size:           16
        .value_kind:     by_value
      - .address_space:  global
        .offset:         40
        .size:           8
        .value_kind:     global_buffer
      - .offset:         48
        .size:           8
        .value_kind:     by_value
      - .offset:         56
        .size:           4
        .value_kind:     by_value
      - .offset:         64
        .size:           8
        .value_kind:     by_value
      - .address_space:  global
        .offset:         72
        .size:           8
        .value_kind:     global_buffer
      - .offset:         80
        .size:           8
        .value_kind:     by_value
      - .offset:         88
        .size:           4
        .value_kind:     by_value
      - .offset:         96
        .size:           8
        .value_kind:     by_value
      - .offset:         104
        .size:           4
        .value_kind:     by_value
      - .offset:         112
        .size:           4
        .value_kind:     hidden_block_count_x
      - .offset:         116
        .size:           4
        .value_kind:     hidden_block_count_y
      - .offset:         120
        .size:           4
        .value_kind:     hidden_block_count_z
      - .offset:         124
        .size:           2
        .value_kind:     hidden_group_size_x
      - .offset:         126
        .size:           2
        .value_kind:     hidden_group_size_y
      - .offset:         128
        .size:           2
        .value_kind:     hidden_group_size_z
      - .offset:         130
        .size:           2
        .value_kind:     hidden_remainder_x
      - .offset:         132
        .size:           2
        .value_kind:     hidden_remainder_y
      - .offset:         134
        .size:           2
        .value_kind:     hidden_remainder_z
      - .offset:         152
        .size:           8
        .value_kind:     hidden_global_offset_x
      - .offset:         160
        .size:           8
        .value_kind:     hidden_global_offset_y
      - .offset:         168
        .size:           8
        .value_kind:     hidden_global_offset_z
      - .offset:         176
        .size:           2
        .value_kind:     hidden_grid_dims
    .group_segment_fixed_size: 18432
    .kernarg_segment_align: 8
    .kernarg_segment_size: 368
    .language:       OpenCL C
    .language_version:
      - 2
      - 0
    .max_flat_workgroup_size: 24
    .name:           _ZL38rocblas_trsm_small_left_device_sharedBILi24ELi24ELb0E19rocblas_complex_numIdES1_PKPKS1_PKPS1_Ev13rocblas_fill_18rocblas_operation_17rocblas_diagonal_iiT3_T4_lilT5_lili
    .private_segment_fixed_size: 400
    .sgpr_count:     34
    .sgpr_spill_count: 0
    .symbol:         _ZL38rocblas_trsm_small_left_device_sharedBILi24ELi24ELb0E19rocblas_complex_numIdES1_PKPKS1_PKPS1_Ev13rocblas_fill_18rocblas_operation_17rocblas_diagonal_iiT3_T4_lilT5_lili.kd
    .uniform_work_group_size: 1
    .uses_dynamic_stack: false
    .vgpr_count:     18
    .vgpr_spill_count: 0
    .wavefront_size: 64
  - .agpr_count:     0
    .args:
      - .offset:         0
        .size:           4
        .value_kind:     by_value
      - .offset:         4
        .size:           4
        .value_kind:     by_value
      - .offset:         8
        .size:           4
        .value_kind:     by_value
      - .offset:         12
        .size:           4
        .value_kind:     by_value
      - .offset:         16
        .size:           4
        .value_kind:     by_value
      - .offset:         24
        .size:           16
        .value_kind:     by_value
      - .address_space:  global
        .offset:         40
        .size:           8
        .value_kind:     global_buffer
      - .offset:         48
        .size:           8
        .value_kind:     by_value
      - .offset:         56
        .size:           4
        .value_kind:     by_value
      - .offset:         64
        .size:           8
        .value_kind:     by_value
      - .address_space:  global
        .offset:         72
        .size:           8
        .value_kind:     global_buffer
      - .offset:         80
        .size:           8
        .value_kind:     by_value
      - .offset:         88
        .size:           4
        .value_kind:     by_value
      - .offset:         96
        .size:           8
        .value_kind:     by_value
      - .offset:         104
        .size:           4
        .value_kind:     by_value
      - .offset:         112
        .size:           4
        .value_kind:     hidden_block_count_x
      - .offset:         116
        .size:           4
        .value_kind:     hidden_block_count_y
      - .offset:         120
        .size:           4
        .value_kind:     hidden_block_count_z
      - .offset:         124
        .size:           2
        .value_kind:     hidden_group_size_x
      - .offset:         126
        .size:           2
        .value_kind:     hidden_group_size_y
      - .offset:         128
        .size:           2
        .value_kind:     hidden_group_size_z
      - .offset:         130
        .size:           2
        .value_kind:     hidden_remainder_x
      - .offset:         132
        .size:           2
        .value_kind:     hidden_remainder_y
      - .offset:         134
        .size:           2
        .value_kind:     hidden_remainder_z
      - .offset:         152
        .size:           8
        .value_kind:     hidden_global_offset_x
      - .offset:         160
        .size:           8
        .value_kind:     hidden_global_offset_y
      - .offset:         168
        .size:           8
        .value_kind:     hidden_global_offset_z
      - .offset:         176
        .size:           2
        .value_kind:     hidden_grid_dims
    .group_segment_fixed_size: 9216
    .kernarg_segment_align: 8
    .kernarg_segment_size: 368
    .language:       OpenCL C
    .language_version:
      - 2
      - 0
    .max_flat_workgroup_size: 24
    .name:           _ZL30rocblas_trsm_small_left_deviceILi24ELi24ELb0E19rocblas_complex_numIdES1_PKPKS1_PKPS1_Ev13rocblas_fill_18rocblas_operation_17rocblas_diagonal_iiT3_T4_lilT5_lili
    .private_segment_fixed_size: 400
    .sgpr_count:     34
    .sgpr_spill_count: 0
    .symbol:         _ZL30rocblas_trsm_small_left_deviceILi24ELi24ELb0E19rocblas_complex_numIdES1_PKPKS1_PKPS1_Ev13rocblas_fill_18rocblas_operation_17rocblas_diagonal_iiT3_T4_lilT5_lili.kd
    .uniform_work_group_size: 1
    .uses_dynamic_stack: false
    .vgpr_count:     22
    .vgpr_spill_count: 0
    .wavefront_size: 64
  - .agpr_count:     0
    .args:
      - .offset:         0
        .size:           4
        .value_kind:     by_value
      - .offset:         4
        .size:           4
        .value_kind:     by_value
      - .offset:         8
        .size:           4
        .value_kind:     by_value
      - .offset:         12
        .size:           4
        .value_kind:     by_value
      - .offset:         16
        .size:           4
        .value_kind:     by_value
      - .offset:         24
        .size:           16
        .value_kind:     by_value
      - .address_space:  global
        .offset:         40
        .size:           8
        .value_kind:     global_buffer
      - .offset:         48
        .size:           8
        .value_kind:     by_value
      - .offset:         56
        .size:           4
        .value_kind:     by_value
      - .offset:         64
        .size:           8
        .value_kind:     by_value
      - .address_space:  global
        .offset:         72
        .size:           8
        .value_kind:     global_buffer
      - .offset:         80
        .size:           8
        .value_kind:     by_value
      - .offset:         88
        .size:           4
        .value_kind:     by_value
      - .offset:         96
        .size:           8
        .value_kind:     by_value
      - .offset:         104
        .size:           4
        .value_kind:     by_value
      - .offset:         112
        .size:           4
        .value_kind:     hidden_block_count_x
      - .offset:         116
        .size:           4
        .value_kind:     hidden_block_count_y
      - .offset:         120
        .size:           4
        .value_kind:     hidden_block_count_z
      - .offset:         124
        .size:           2
        .value_kind:     hidden_group_size_x
      - .offset:         126
        .size:           2
        .value_kind:     hidden_group_size_y
      - .offset:         128
        .size:           2
        .value_kind:     hidden_group_size_z
      - .offset:         130
        .size:           2
        .value_kind:     hidden_remainder_x
      - .offset:         132
        .size:           2
        .value_kind:     hidden_remainder_y
      - .offset:         134
        .size:           2
        .value_kind:     hidden_remainder_z
      - .offset:         152
        .size:           8
        .value_kind:     hidden_global_offset_x
      - .offset:         160
        .size:           8
        .value_kind:     hidden_global_offset_y
      - .offset:         168
        .size:           8
        .value_kind:     hidden_global_offset_z
      - .offset:         176
        .size:           2
        .value_kind:     hidden_grid_dims
    .group_segment_fixed_size: 18432
    .kernarg_segment_align: 8
    .kernarg_segment_size: 368
    .language:       OpenCL C
    .language_version:
      - 2
      - 0
    .max_flat_workgroup_size: 24
    .name:           _ZL38rocblas_trsm_small_left_device_sharedBILi24ELi24ELb1E19rocblas_complex_numIdES1_PKPKS1_PKPS1_Ev13rocblas_fill_18rocblas_operation_17rocblas_diagonal_iiT3_T4_lilT5_lili
    .private_segment_fixed_size: 400
    .sgpr_count:     35
    .sgpr_spill_count: 0
    .symbol:         _ZL38rocblas_trsm_small_left_device_sharedBILi24ELi24ELb1E19rocblas_complex_numIdES1_PKPKS1_PKPS1_Ev13rocblas_fill_18rocblas_operation_17rocblas_diagonal_iiT3_T4_lilT5_lili.kd
    .uniform_work_group_size: 1
    .uses_dynamic_stack: false
    .vgpr_count:     18
    .vgpr_spill_count: 0
    .wavefront_size: 64
  - .agpr_count:     0
    .args:
      - .offset:         0
        .size:           4
        .value_kind:     by_value
      - .offset:         4
        .size:           4
        .value_kind:     by_value
      - .offset:         8
        .size:           4
        .value_kind:     by_value
      - .offset:         12
        .size:           4
        .value_kind:     by_value
      - .offset:         16
        .size:           4
        .value_kind:     by_value
      - .offset:         24
        .size:           16
        .value_kind:     by_value
      - .address_space:  global
        .offset:         40
        .size:           8
        .value_kind:     global_buffer
      - .offset:         48
        .size:           8
        .value_kind:     by_value
      - .offset:         56
        .size:           4
        .value_kind:     by_value
      - .offset:         64
        .size:           8
        .value_kind:     by_value
      - .address_space:  global
        .offset:         72
        .size:           8
        .value_kind:     global_buffer
      - .offset:         80
        .size:           8
        .value_kind:     by_value
      - .offset:         88
        .size:           4
        .value_kind:     by_value
      - .offset:         96
        .size:           8
        .value_kind:     by_value
      - .offset:         104
        .size:           4
        .value_kind:     by_value
      - .offset:         112
        .size:           4
        .value_kind:     hidden_block_count_x
      - .offset:         116
        .size:           4
        .value_kind:     hidden_block_count_y
      - .offset:         120
        .size:           4
        .value_kind:     hidden_block_count_z
      - .offset:         124
        .size:           2
        .value_kind:     hidden_group_size_x
      - .offset:         126
        .size:           2
        .value_kind:     hidden_group_size_y
      - .offset:         128
        .size:           2
        .value_kind:     hidden_group_size_z
      - .offset:         130
        .size:           2
        .value_kind:     hidden_remainder_x
      - .offset:         132
        .size:           2
        .value_kind:     hidden_remainder_y
      - .offset:         134
        .size:           2
        .value_kind:     hidden_remainder_z
      - .offset:         152
        .size:           8
        .value_kind:     hidden_global_offset_x
      - .offset:         160
        .size:           8
        .value_kind:     hidden_global_offset_y
      - .offset:         168
        .size:           8
        .value_kind:     hidden_global_offset_z
      - .offset:         176
        .size:           2
        .value_kind:     hidden_grid_dims
    .group_segment_fixed_size: 9216
    .kernarg_segment_align: 8
    .kernarg_segment_size: 368
    .language:       OpenCL C
    .language_version:
      - 2
      - 0
    .max_flat_workgroup_size: 24
    .name:           _ZL30rocblas_trsm_small_left_deviceILi24ELi24ELb1E19rocblas_complex_numIdES1_PKPKS1_PKPS1_Ev13rocblas_fill_18rocblas_operation_17rocblas_diagonal_iiT3_T4_lilT5_lili
    .private_segment_fixed_size: 400
    .sgpr_count:     36
    .sgpr_spill_count: 0
    .symbol:         _ZL30rocblas_trsm_small_left_deviceILi24ELi24ELb1E19rocblas_complex_numIdES1_PKPKS1_PKPS1_Ev13rocblas_fill_18rocblas_operation_17rocblas_diagonal_iiT3_T4_lilT5_lili.kd
    .uniform_work_group_size: 1
    .uses_dynamic_stack: false
    .vgpr_count:     20
    .vgpr_spill_count: 0
    .wavefront_size: 64
  - .agpr_count:     0
    .args:
      - .offset:         0
        .size:           4
        .value_kind:     by_value
      - .offset:         4
        .size:           4
        .value_kind:     by_value
      - .offset:         8
        .size:           4
        .value_kind:     by_value
      - .offset:         12
        .size:           4
        .value_kind:     by_value
      - .offset:         16
        .size:           4
        .value_kind:     by_value
      - .offset:         24
        .size:           16
        .value_kind:     by_value
      - .address_space:  global
        .offset:         40
        .size:           8
        .value_kind:     global_buffer
      - .offset:         48
        .size:           8
        .value_kind:     by_value
      - .offset:         56
        .size:           4
        .value_kind:     by_value
      - .offset:         64
        .size:           8
        .value_kind:     by_value
      - .address_space:  global
        .offset:         72
        .size:           8
        .value_kind:     global_buffer
      - .offset:         80
        .size:           8
        .value_kind:     by_value
      - .offset:         88
        .size:           4
        .value_kind:     by_value
      - .offset:         96
        .size:           8
        .value_kind:     by_value
      - .offset:         104
        .size:           4
        .value_kind:     by_value
      - .offset:         112
        .size:           4
        .value_kind:     hidden_block_count_x
      - .offset:         116
        .size:           4
        .value_kind:     hidden_block_count_y
      - .offset:         120
        .size:           4
        .value_kind:     hidden_block_count_z
      - .offset:         124
        .size:           2
        .value_kind:     hidden_group_size_x
      - .offset:         126
        .size:           2
        .value_kind:     hidden_group_size_y
      - .offset:         128
        .size:           2
        .value_kind:     hidden_group_size_z
      - .offset:         130
        .size:           2
        .value_kind:     hidden_remainder_x
      - .offset:         132
        .size:           2
        .value_kind:     hidden_remainder_y
      - .offset:         134
        .size:           2
        .value_kind:     hidden_remainder_z
      - .offset:         152
        .size:           8
        .value_kind:     hidden_global_offset_x
      - .offset:         160
        .size:           8
        .value_kind:     hidden_global_offset_y
      - .offset:         168
        .size:           8
        .value_kind:     hidden_global_offset_z
      - .offset:         176
        .size:           2
        .value_kind:     hidden_grid_dims
    .group_segment_fixed_size: 18432
    .kernarg_segment_align: 8
    .kernarg_segment_size: 368
    .language:       OpenCL C
    .language_version:
      - 2
      - 0
    .max_flat_workgroup_size: 24
    .name:           _ZL31rocblas_trsm_small_right_deviceI19rocblas_complex_numIdES1_PKPKS1_PKPS1_Li24EEv13rocblas_fill_18rocblas_operation_17rocblas_diagonal_iiT0_T1_lilT2_lili
    .private_segment_fixed_size: 0
    .sgpr_count:     34
    .sgpr_spill_count: 0
    .symbol:         _ZL31rocblas_trsm_small_right_deviceI19rocblas_complex_numIdES1_PKPKS1_PKPS1_Li24EEv13rocblas_fill_18rocblas_operation_17rocblas_diagonal_iiT0_T1_lilT2_lili.kd
    .uniform_work_group_size: 1
    .uses_dynamic_stack: false
    .vgpr_count:     54
    .vgpr_spill_count: 0
    .wavefront_size: 64
  - .agpr_count:     0
    .args:
      - .offset:         0
        .size:           4
        .value_kind:     by_value
      - .offset:         4
        .size:           4
        .value_kind:     by_value
      - .offset:         8
        .size:           4
        .value_kind:     by_value
      - .offset:         12
        .size:           4
        .value_kind:     by_value
      - .offset:         16
        .size:           4
        .value_kind:     by_value
      - .offset:         24
        .size:           16
        .value_kind:     by_value
      - .address_space:  global
        .offset:         40
        .size:           8
        .value_kind:     global_buffer
      - .offset:         48
        .size:           8
        .value_kind:     by_value
      - .offset:         56
        .size:           4
        .value_kind:     by_value
      - .offset:         64
        .size:           8
        .value_kind:     by_value
      - .address_space:  global
        .offset:         72
        .size:           8
        .value_kind:     global_buffer
      - .offset:         80
        .size:           8
        .value_kind:     by_value
      - .offset:         88
        .size:           4
        .value_kind:     by_value
      - .offset:         96
        .size:           8
        .value_kind:     by_value
      - .offset:         104
        .size:           4
        .value_kind:     by_value
      - .offset:         112
        .size:           4
        .value_kind:     hidden_block_count_x
      - .offset:         116
        .size:           4
        .value_kind:     hidden_block_count_y
      - .offset:         120
        .size:           4
        .value_kind:     hidden_block_count_z
      - .offset:         124
        .size:           2
        .value_kind:     hidden_group_size_x
      - .offset:         126
        .size:           2
        .value_kind:     hidden_group_size_y
      - .offset:         128
        .size:           2
        .value_kind:     hidden_group_size_z
      - .offset:         130
        .size:           2
        .value_kind:     hidden_remainder_x
      - .offset:         132
        .size:           2
        .value_kind:     hidden_remainder_y
      - .offset:         134
        .size:           2
        .value_kind:     hidden_remainder_z
      - .offset:         152
        .size:           8
        .value_kind:     hidden_global_offset_x
      - .offset:         160
        .size:           8
        .value_kind:     hidden_global_offset_y
      - .offset:         168
        .size:           8
        .value_kind:     hidden_global_offset_z
      - .offset:         176
        .size:           2
        .value_kind:     hidden_grid_dims
    .group_segment_fixed_size: 25088
    .kernarg_segment_align: 8
    .kernarg_segment_size: 368
    .language:       OpenCL C
    .language_version:
      - 2
      - 0
    .max_flat_workgroup_size: 28
    .name:           _ZL38rocblas_trsm_small_left_device_sharedBILi28ELi28ELb0E19rocblas_complex_numIdES1_PKPKS1_PKPS1_Ev13rocblas_fill_18rocblas_operation_17rocblas_diagonal_iiT3_T4_lilT5_lili
    .private_segment_fixed_size: 464
    .sgpr_count:     34
    .sgpr_spill_count: 0
    .symbol:         _ZL38rocblas_trsm_small_left_device_sharedBILi28ELi28ELb0E19rocblas_complex_numIdES1_PKPKS1_PKPS1_Ev13rocblas_fill_18rocblas_operation_17rocblas_diagonal_iiT3_T4_lilT5_lili.kd
    .uniform_work_group_size: 1
    .uses_dynamic_stack: false
    .vgpr_count:     18
    .vgpr_spill_count: 0
    .wavefront_size: 64
  - .agpr_count:     0
    .args:
      - .offset:         0
        .size:           4
        .value_kind:     by_value
      - .offset:         4
        .size:           4
        .value_kind:     by_value
      - .offset:         8
        .size:           4
        .value_kind:     by_value
      - .offset:         12
        .size:           4
        .value_kind:     by_value
      - .offset:         16
        .size:           4
        .value_kind:     by_value
      - .offset:         24
        .size:           16
        .value_kind:     by_value
      - .address_space:  global
        .offset:         40
        .size:           8
        .value_kind:     global_buffer
      - .offset:         48
        .size:           8
        .value_kind:     by_value
      - .offset:         56
        .size:           4
        .value_kind:     by_value
      - .offset:         64
        .size:           8
        .value_kind:     by_value
      - .address_space:  global
        .offset:         72
        .size:           8
        .value_kind:     global_buffer
      - .offset:         80
        .size:           8
        .value_kind:     by_value
      - .offset:         88
        .size:           4
        .value_kind:     by_value
      - .offset:         96
        .size:           8
        .value_kind:     by_value
      - .offset:         104
        .size:           4
        .value_kind:     by_value
      - .offset:         112
        .size:           4
        .value_kind:     hidden_block_count_x
      - .offset:         116
        .size:           4
        .value_kind:     hidden_block_count_y
      - .offset:         120
        .size:           4
        .value_kind:     hidden_block_count_z
      - .offset:         124
        .size:           2
        .value_kind:     hidden_group_size_x
      - .offset:         126
        .size:           2
        .value_kind:     hidden_group_size_y
      - .offset:         128
        .size:           2
        .value_kind:     hidden_group_size_z
      - .offset:         130
        .size:           2
        .value_kind:     hidden_remainder_x
      - .offset:         132
        .size:           2
        .value_kind:     hidden_remainder_y
      - .offset:         134
        .size:           2
        .value_kind:     hidden_remainder_z
      - .offset:         152
        .size:           8
        .value_kind:     hidden_global_offset_x
      - .offset:         160
        .size:           8
        .value_kind:     hidden_global_offset_y
      - .offset:         168
        .size:           8
        .value_kind:     hidden_global_offset_z
      - .offset:         176
        .size:           2
        .value_kind:     hidden_grid_dims
    .group_segment_fixed_size: 12544
    .kernarg_segment_align: 8
    .kernarg_segment_size: 368
    .language:       OpenCL C
    .language_version:
      - 2
      - 0
    .max_flat_workgroup_size: 28
    .name:           _ZL30rocblas_trsm_small_left_deviceILi28ELi28ELb0E19rocblas_complex_numIdES1_PKPKS1_PKPS1_Ev13rocblas_fill_18rocblas_operation_17rocblas_diagonal_iiT3_T4_lilT5_lili
    .private_segment_fixed_size: 464
    .sgpr_count:     34
    .sgpr_spill_count: 0
    .symbol:         _ZL30rocblas_trsm_small_left_deviceILi28ELi28ELb0E19rocblas_complex_numIdES1_PKPKS1_PKPS1_Ev13rocblas_fill_18rocblas_operation_17rocblas_diagonal_iiT3_T4_lilT5_lili.kd
    .uniform_work_group_size: 1
    .uses_dynamic_stack: false
    .vgpr_count:     22
    .vgpr_spill_count: 0
    .wavefront_size: 64
  - .agpr_count:     0
    .args:
      - .offset:         0
        .size:           4
        .value_kind:     by_value
      - .offset:         4
        .size:           4
        .value_kind:     by_value
      - .offset:         8
        .size:           4
        .value_kind:     by_value
      - .offset:         12
        .size:           4
        .value_kind:     by_value
      - .offset:         16
        .size:           4
        .value_kind:     by_value
      - .offset:         24
        .size:           16
        .value_kind:     by_value
      - .address_space:  global
        .offset:         40
        .size:           8
        .value_kind:     global_buffer
      - .offset:         48
        .size:           8
        .value_kind:     by_value
      - .offset:         56
        .size:           4
        .value_kind:     by_value
      - .offset:         64
        .size:           8
        .value_kind:     by_value
      - .address_space:  global
        .offset:         72
        .size:           8
        .value_kind:     global_buffer
      - .offset:         80
        .size:           8
        .value_kind:     by_value
      - .offset:         88
        .size:           4
        .value_kind:     by_value
      - .offset:         96
        .size:           8
        .value_kind:     by_value
      - .offset:         104
        .size:           4
        .value_kind:     by_value
      - .offset:         112
        .size:           4
        .value_kind:     hidden_block_count_x
      - .offset:         116
        .size:           4
        .value_kind:     hidden_block_count_y
      - .offset:         120
        .size:           4
        .value_kind:     hidden_block_count_z
      - .offset:         124
        .size:           2
        .value_kind:     hidden_group_size_x
      - .offset:         126
        .size:           2
        .value_kind:     hidden_group_size_y
      - .offset:         128
        .size:           2
        .value_kind:     hidden_group_size_z
      - .offset:         130
        .size:           2
        .value_kind:     hidden_remainder_x
      - .offset:         132
        .size:           2
        .value_kind:     hidden_remainder_y
      - .offset:         134
        .size:           2
        .value_kind:     hidden_remainder_z
      - .offset:         152
        .size:           8
        .value_kind:     hidden_global_offset_x
      - .offset:         160
        .size:           8
        .value_kind:     hidden_global_offset_y
      - .offset:         168
        .size:           8
        .value_kind:     hidden_global_offset_z
      - .offset:         176
        .size:           2
        .value_kind:     hidden_grid_dims
    .group_segment_fixed_size: 25088
    .kernarg_segment_align: 8
    .kernarg_segment_size: 368
    .language:       OpenCL C
    .language_version:
      - 2
      - 0
    .max_flat_workgroup_size: 28
    .name:           _ZL38rocblas_trsm_small_left_device_sharedBILi28ELi28ELb1E19rocblas_complex_numIdES1_PKPKS1_PKPS1_Ev13rocblas_fill_18rocblas_operation_17rocblas_diagonal_iiT3_T4_lilT5_lili
    .private_segment_fixed_size: 464
    .sgpr_count:     35
    .sgpr_spill_count: 0
    .symbol:         _ZL38rocblas_trsm_small_left_device_sharedBILi28ELi28ELb1E19rocblas_complex_numIdES1_PKPKS1_PKPS1_Ev13rocblas_fill_18rocblas_operation_17rocblas_diagonal_iiT3_T4_lilT5_lili.kd
    .uniform_work_group_size: 1
    .uses_dynamic_stack: false
    .vgpr_count:     18
    .vgpr_spill_count: 0
    .wavefront_size: 64
  - .agpr_count:     0
    .args:
      - .offset:         0
        .size:           4
        .value_kind:     by_value
      - .offset:         4
        .size:           4
        .value_kind:     by_value
      - .offset:         8
        .size:           4
        .value_kind:     by_value
      - .offset:         12
        .size:           4
        .value_kind:     by_value
      - .offset:         16
        .size:           4
        .value_kind:     by_value
      - .offset:         24
        .size:           16
        .value_kind:     by_value
      - .address_space:  global
        .offset:         40
        .size:           8
        .value_kind:     global_buffer
      - .offset:         48
        .size:           8
        .value_kind:     by_value
      - .offset:         56
        .size:           4
        .value_kind:     by_value
      - .offset:         64
        .size:           8
        .value_kind:     by_value
      - .address_space:  global
        .offset:         72
        .size:           8
        .value_kind:     global_buffer
      - .offset:         80
        .size:           8
        .value_kind:     by_value
      - .offset:         88
        .size:           4
        .value_kind:     by_value
      - .offset:         96
        .size:           8
        .value_kind:     by_value
      - .offset:         104
        .size:           4
        .value_kind:     by_value
      - .offset:         112
        .size:           4
        .value_kind:     hidden_block_count_x
      - .offset:         116
        .size:           4
        .value_kind:     hidden_block_count_y
      - .offset:         120
        .size:           4
        .value_kind:     hidden_block_count_z
      - .offset:         124
        .size:           2
        .value_kind:     hidden_group_size_x
      - .offset:         126
        .size:           2
        .value_kind:     hidden_group_size_y
      - .offset:         128
        .size:           2
        .value_kind:     hidden_group_size_z
      - .offset:         130
        .size:           2
        .value_kind:     hidden_remainder_x
      - .offset:         132
        .size:           2
        .value_kind:     hidden_remainder_y
      - .offset:         134
        .size:           2
        .value_kind:     hidden_remainder_z
      - .offset:         152
        .size:           8
        .value_kind:     hidden_global_offset_x
      - .offset:         160
        .size:           8
        .value_kind:     hidden_global_offset_y
      - .offset:         168
        .size:           8
        .value_kind:     hidden_global_offset_z
      - .offset:         176
        .size:           2
        .value_kind:     hidden_grid_dims
    .group_segment_fixed_size: 12544
    .kernarg_segment_align: 8
    .kernarg_segment_size: 368
    .language:       OpenCL C
    .language_version:
      - 2
      - 0
    .max_flat_workgroup_size: 28
    .name:           _ZL30rocblas_trsm_small_left_deviceILi28ELi28ELb1E19rocblas_complex_numIdES1_PKPKS1_PKPS1_Ev13rocblas_fill_18rocblas_operation_17rocblas_diagonal_iiT3_T4_lilT5_lili
    .private_segment_fixed_size: 464
    .sgpr_count:     36
    .sgpr_spill_count: 0
    .symbol:         _ZL30rocblas_trsm_small_left_deviceILi28ELi28ELb1E19rocblas_complex_numIdES1_PKPKS1_PKPS1_Ev13rocblas_fill_18rocblas_operation_17rocblas_diagonal_iiT3_T4_lilT5_lili.kd
    .uniform_work_group_size: 1
    .uses_dynamic_stack: false
    .vgpr_count:     20
    .vgpr_spill_count: 0
    .wavefront_size: 64
  - .agpr_count:     0
    .args:
      - .offset:         0
        .size:           4
        .value_kind:     by_value
      - .offset:         4
        .size:           4
        .value_kind:     by_value
      - .offset:         8
        .size:           4
        .value_kind:     by_value
      - .offset:         12
        .size:           4
        .value_kind:     by_value
      - .offset:         16
        .size:           4
        .value_kind:     by_value
      - .offset:         24
        .size:           16
        .value_kind:     by_value
      - .address_space:  global
        .offset:         40
        .size:           8
        .value_kind:     global_buffer
      - .offset:         48
        .size:           8
        .value_kind:     by_value
      - .offset:         56
        .size:           4
        .value_kind:     by_value
      - .offset:         64
        .size:           8
        .value_kind:     by_value
      - .address_space:  global
        .offset:         72
        .size:           8
        .value_kind:     global_buffer
      - .offset:         80
        .size:           8
        .value_kind:     by_value
      - .offset:         88
        .size:           4
        .value_kind:     by_value
      - .offset:         96
        .size:           8
        .value_kind:     by_value
      - .offset:         104
        .size:           4
        .value_kind:     by_value
      - .offset:         112
        .size:           4
        .value_kind:     hidden_block_count_x
      - .offset:         116
        .size:           4
        .value_kind:     hidden_block_count_y
      - .offset:         120
        .size:           4
        .value_kind:     hidden_block_count_z
      - .offset:         124
        .size:           2
        .value_kind:     hidden_group_size_x
      - .offset:         126
        .size:           2
        .value_kind:     hidden_group_size_y
      - .offset:         128
        .size:           2
        .value_kind:     hidden_group_size_z
      - .offset:         130
        .size:           2
        .value_kind:     hidden_remainder_x
      - .offset:         132
        .size:           2
        .value_kind:     hidden_remainder_y
      - .offset:         134
        .size:           2
        .value_kind:     hidden_remainder_z
      - .offset:         152
        .size:           8
        .value_kind:     hidden_global_offset_x
      - .offset:         160
        .size:           8
        .value_kind:     hidden_global_offset_y
      - .offset:         168
        .size:           8
        .value_kind:     hidden_global_offset_z
      - .offset:         176
        .size:           2
        .value_kind:     hidden_grid_dims
    .group_segment_fixed_size: 25088
    .kernarg_segment_align: 8
    .kernarg_segment_size: 368
    .language:       OpenCL C
    .language_version:
      - 2
      - 0
    .max_flat_workgroup_size: 28
    .name:           _ZL31rocblas_trsm_small_right_deviceI19rocblas_complex_numIdES1_PKPKS1_PKPS1_Li28EEv13rocblas_fill_18rocblas_operation_17rocblas_diagonal_iiT0_T1_lilT2_lili
    .private_segment_fixed_size: 0
    .sgpr_count:     34
    .sgpr_spill_count: 0
    .symbol:         _ZL31rocblas_trsm_small_right_deviceI19rocblas_complex_numIdES1_PKPKS1_PKPS1_Li28EEv13rocblas_fill_18rocblas_operation_17rocblas_diagonal_iiT0_T1_lilT2_lili.kd
    .uniform_work_group_size: 1
    .uses_dynamic_stack: false
    .vgpr_count:     54
    .vgpr_spill_count: 0
    .wavefront_size: 64
  - .agpr_count:     0
    .args:
      - .offset:         0
        .size:           4
        .value_kind:     by_value
      - .offset:         4
        .size:           4
        .value_kind:     by_value
      - .offset:         8
        .size:           4
        .value_kind:     by_value
      - .offset:         12
        .size:           4
        .value_kind:     by_value
      - .offset:         16
        .size:           4
        .value_kind:     by_value
      - .offset:         24
        .size:           16
        .value_kind:     by_value
      - .address_space:  global
        .offset:         40
        .size:           8
        .value_kind:     global_buffer
      - .offset:         48
        .size:           8
        .value_kind:     by_value
      - .offset:         56
        .size:           4
        .value_kind:     by_value
      - .offset:         64
        .size:           8
        .value_kind:     by_value
      - .address_space:  global
        .offset:         72
        .size:           8
        .value_kind:     global_buffer
      - .offset:         80
        .size:           8
        .value_kind:     by_value
      - .offset:         88
        .size:           4
        .value_kind:     by_value
      - .offset:         96
        .size:           8
        .value_kind:     by_value
      - .offset:         104
        .size:           4
        .value_kind:     by_value
      - .offset:         112
        .size:           4
        .value_kind:     hidden_block_count_x
      - .offset:         116
        .size:           4
        .value_kind:     hidden_block_count_y
      - .offset:         120
        .size:           4
        .value_kind:     hidden_block_count_z
      - .offset:         124
        .size:           2
        .value_kind:     hidden_group_size_x
      - .offset:         126
        .size:           2
        .value_kind:     hidden_group_size_y
      - .offset:         128
        .size:           2
        .value_kind:     hidden_group_size_z
      - .offset:         130
        .size:           2
        .value_kind:     hidden_remainder_x
      - .offset:         132
        .size:           2
        .value_kind:     hidden_remainder_y
      - .offset:         134
        .size:           2
        .value_kind:     hidden_remainder_z
      - .offset:         152
        .size:           8
        .value_kind:     hidden_global_offset_x
      - .offset:         160
        .size:           8
        .value_kind:     hidden_global_offset_y
      - .offset:         168
        .size:           8
        .value_kind:     hidden_global_offset_z
      - .offset:         176
        .size:           2
        .value_kind:     hidden_grid_dims
    .group_segment_fixed_size: 32768
    .kernarg_segment_align: 8
    .kernarg_segment_size: 368
    .language:       OpenCL C
    .language_version:
      - 2
      - 0
    .max_flat_workgroup_size: 32
    .name:           _ZL38rocblas_trsm_small_left_device_sharedBILi32ELi32ELb0E19rocblas_complex_numIdES1_PKPKS1_PKPS1_Ev13rocblas_fill_18rocblas_operation_17rocblas_diagonal_iiT3_T4_lilT5_lili
    .private_segment_fixed_size: 0
    .sgpr_count:     47
    .sgpr_spill_count: 0
    .symbol:         _ZL38rocblas_trsm_small_left_device_sharedBILi32ELi32ELb0E19rocblas_complex_numIdES1_PKPKS1_PKPS1_Ev13rocblas_fill_18rocblas_operation_17rocblas_diagonal_iiT3_T4_lilT5_lili.kd
    .uniform_work_group_size: 1
    .uses_dynamic_stack: false
    .vgpr_count:     246
    .vgpr_spill_count: 0
    .wavefront_size: 64
  - .agpr_count:     0
    .args:
      - .offset:         0
        .size:           4
        .value_kind:     by_value
      - .offset:         4
        .size:           4
        .value_kind:     by_value
      - .offset:         8
        .size:           4
        .value_kind:     by_value
      - .offset:         12
        .size:           4
        .value_kind:     by_value
      - .offset:         16
        .size:           4
        .value_kind:     by_value
      - .offset:         24
        .size:           16
        .value_kind:     by_value
      - .address_space:  global
        .offset:         40
        .size:           8
        .value_kind:     global_buffer
      - .offset:         48
        .size:           8
        .value_kind:     by_value
      - .offset:         56
        .size:           4
        .value_kind:     by_value
      - .offset:         64
        .size:           8
        .value_kind:     by_value
      - .address_space:  global
        .offset:         72
        .size:           8
        .value_kind:     global_buffer
      - .offset:         80
        .size:           8
        .value_kind:     by_value
      - .offset:         88
        .size:           4
        .value_kind:     by_value
      - .offset:         96
        .size:           8
        .value_kind:     by_value
      - .offset:         104
        .size:           4
        .value_kind:     by_value
      - .offset:         112
        .size:           4
        .value_kind:     hidden_block_count_x
      - .offset:         116
        .size:           4
        .value_kind:     hidden_block_count_y
      - .offset:         120
        .size:           4
        .value_kind:     hidden_block_count_z
      - .offset:         124
        .size:           2
        .value_kind:     hidden_group_size_x
      - .offset:         126
        .size:           2
        .value_kind:     hidden_group_size_y
      - .offset:         128
        .size:           2
        .value_kind:     hidden_group_size_z
      - .offset:         130
        .size:           2
        .value_kind:     hidden_remainder_x
      - .offset:         132
        .size:           2
        .value_kind:     hidden_remainder_y
      - .offset:         134
        .size:           2
        .value_kind:     hidden_remainder_z
      - .offset:         152
        .size:           8
        .value_kind:     hidden_global_offset_x
      - .offset:         160
        .size:           8
        .value_kind:     hidden_global_offset_y
      - .offset:         168
        .size:           8
        .value_kind:     hidden_global_offset_z
      - .offset:         176
        .size:           2
        .value_kind:     hidden_grid_dims
    .group_segment_fixed_size: 16384
    .kernarg_segment_align: 8
    .kernarg_segment_size: 368
    .language:       OpenCL C
    .language_version:
      - 2
      - 0
    .max_flat_workgroup_size: 32
    .name:           _ZL30rocblas_trsm_small_left_deviceILi32ELi32ELb0E19rocblas_complex_numIdES1_PKPKS1_PKPS1_Ev13rocblas_fill_18rocblas_operation_17rocblas_diagonal_iiT3_T4_lilT5_lili
    .private_segment_fixed_size: 528
    .sgpr_count:     34
    .sgpr_spill_count: 0
    .symbol:         _ZL30rocblas_trsm_small_left_deviceILi32ELi32ELb0E19rocblas_complex_numIdES1_PKPKS1_PKPS1_Ev13rocblas_fill_18rocblas_operation_17rocblas_diagonal_iiT3_T4_lilT5_lili.kd
    .uniform_work_group_size: 1
    .uses_dynamic_stack: false
    .vgpr_count:     22
    .vgpr_spill_count: 0
    .wavefront_size: 64
  - .agpr_count:     0
    .args:
      - .offset:         0
        .size:           4
        .value_kind:     by_value
      - .offset:         4
        .size:           4
        .value_kind:     by_value
      - .offset:         8
        .size:           4
        .value_kind:     by_value
      - .offset:         12
        .size:           4
        .value_kind:     by_value
      - .offset:         16
        .size:           4
        .value_kind:     by_value
      - .offset:         24
        .size:           16
        .value_kind:     by_value
      - .address_space:  global
        .offset:         40
        .size:           8
        .value_kind:     global_buffer
      - .offset:         48
        .size:           8
        .value_kind:     by_value
      - .offset:         56
        .size:           4
        .value_kind:     by_value
      - .offset:         64
        .size:           8
        .value_kind:     by_value
      - .address_space:  global
        .offset:         72
        .size:           8
        .value_kind:     global_buffer
      - .offset:         80
        .size:           8
        .value_kind:     by_value
      - .offset:         88
        .size:           4
        .value_kind:     by_value
      - .offset:         96
        .size:           8
        .value_kind:     by_value
      - .offset:         104
        .size:           4
        .value_kind:     by_value
      - .offset:         112
        .size:           4
        .value_kind:     hidden_block_count_x
      - .offset:         116
        .size:           4
        .value_kind:     hidden_block_count_y
      - .offset:         120
        .size:           4
        .value_kind:     hidden_block_count_z
      - .offset:         124
        .size:           2
        .value_kind:     hidden_group_size_x
      - .offset:         126
        .size:           2
        .value_kind:     hidden_group_size_y
      - .offset:         128
        .size:           2
        .value_kind:     hidden_group_size_z
      - .offset:         130
        .size:           2
        .value_kind:     hidden_remainder_x
      - .offset:         132
        .size:           2
        .value_kind:     hidden_remainder_y
      - .offset:         134
        .size:           2
        .value_kind:     hidden_remainder_z
      - .offset:         152
        .size:           8
        .value_kind:     hidden_global_offset_x
      - .offset:         160
        .size:           8
        .value_kind:     hidden_global_offset_y
      - .offset:         168
        .size:           8
        .value_kind:     hidden_global_offset_z
      - .offset:         176
        .size:           2
        .value_kind:     hidden_grid_dims
    .group_segment_fixed_size: 32768
    .kernarg_segment_align: 8
    .kernarg_segment_size: 368
    .language:       OpenCL C
    .language_version:
      - 2
      - 0
    .max_flat_workgroup_size: 32
    .name:           _ZL38rocblas_trsm_small_left_device_sharedBILi32ELi32ELb1E19rocblas_complex_numIdES1_PKPKS1_PKPS1_Ev13rocblas_fill_18rocblas_operation_17rocblas_diagonal_iiT3_T4_lilT5_lili
    .private_segment_fixed_size: 0
    .sgpr_count:     34
    .sgpr_spill_count: 0
    .symbol:         _ZL38rocblas_trsm_small_left_device_sharedBILi32ELi32ELb1E19rocblas_complex_numIdES1_PKPKS1_PKPS1_Ev13rocblas_fill_18rocblas_operation_17rocblas_diagonal_iiT3_T4_lilT5_lili.kd
    .uniform_work_group_size: 1
    .uses_dynamic_stack: false
    .vgpr_count:     255
    .vgpr_spill_count: 0
    .wavefront_size: 64
  - .agpr_count:     0
    .args:
      - .offset:         0
        .size:           4
        .value_kind:     by_value
      - .offset:         4
        .size:           4
        .value_kind:     by_value
      - .offset:         8
        .size:           4
        .value_kind:     by_value
      - .offset:         12
        .size:           4
        .value_kind:     by_value
      - .offset:         16
        .size:           4
        .value_kind:     by_value
      - .offset:         24
        .size:           16
        .value_kind:     by_value
      - .address_space:  global
        .offset:         40
        .size:           8
        .value_kind:     global_buffer
      - .offset:         48
        .size:           8
        .value_kind:     by_value
      - .offset:         56
        .size:           4
        .value_kind:     by_value
      - .offset:         64
        .size:           8
        .value_kind:     by_value
      - .address_space:  global
        .offset:         72
        .size:           8
        .value_kind:     global_buffer
      - .offset:         80
        .size:           8
        .value_kind:     by_value
      - .offset:         88
        .size:           4
        .value_kind:     by_value
      - .offset:         96
        .size:           8
        .value_kind:     by_value
      - .offset:         104
        .size:           4
        .value_kind:     by_value
      - .offset:         112
        .size:           4
        .value_kind:     hidden_block_count_x
      - .offset:         116
        .size:           4
        .value_kind:     hidden_block_count_y
      - .offset:         120
        .size:           4
        .value_kind:     hidden_block_count_z
      - .offset:         124
        .size:           2
        .value_kind:     hidden_group_size_x
      - .offset:         126
        .size:           2
        .value_kind:     hidden_group_size_y
      - .offset:         128
        .size:           2
        .value_kind:     hidden_group_size_z
      - .offset:         130
        .size:           2
        .value_kind:     hidden_remainder_x
      - .offset:         132
        .size:           2
        .value_kind:     hidden_remainder_y
      - .offset:         134
        .size:           2
        .value_kind:     hidden_remainder_z
      - .offset:         152
        .size:           8
        .value_kind:     hidden_global_offset_x
      - .offset:         160
        .size:           8
        .value_kind:     hidden_global_offset_y
      - .offset:         168
        .size:           8
        .value_kind:     hidden_global_offset_z
      - .offset:         176
        .size:           2
        .value_kind:     hidden_grid_dims
    .group_segment_fixed_size: 16384
    .kernarg_segment_align: 8
    .kernarg_segment_size: 368
    .language:       OpenCL C
    .language_version:
      - 2
      - 0
    .max_flat_workgroup_size: 32
    .name:           _ZL30rocblas_trsm_small_left_deviceILi32ELi32ELb1E19rocblas_complex_numIdES1_PKPKS1_PKPS1_Ev13rocblas_fill_18rocblas_operation_17rocblas_diagonal_iiT3_T4_lilT5_lili
    .private_segment_fixed_size: 528
    .sgpr_count:     36
    .sgpr_spill_count: 0
    .symbol:         _ZL30rocblas_trsm_small_left_deviceILi32ELi32ELb1E19rocblas_complex_numIdES1_PKPKS1_PKPS1_Ev13rocblas_fill_18rocblas_operation_17rocblas_diagonal_iiT3_T4_lilT5_lili.kd
    .uniform_work_group_size: 1
    .uses_dynamic_stack: false
    .vgpr_count:     20
    .vgpr_spill_count: 0
    .wavefront_size: 64
  - .agpr_count:     0
    .args:
      - .offset:         0
        .size:           4
        .value_kind:     by_value
      - .offset:         4
        .size:           4
        .value_kind:     by_value
      - .offset:         8
        .size:           4
        .value_kind:     by_value
      - .offset:         12
        .size:           4
        .value_kind:     by_value
      - .offset:         16
        .size:           4
        .value_kind:     by_value
      - .offset:         24
        .size:           16
        .value_kind:     by_value
      - .address_space:  global
        .offset:         40
        .size:           8
        .value_kind:     global_buffer
      - .offset:         48
        .size:           8
        .value_kind:     by_value
      - .offset:         56
        .size:           4
        .value_kind:     by_value
      - .offset:         64
        .size:           8
        .value_kind:     by_value
      - .address_space:  global
        .offset:         72
        .size:           8
        .value_kind:     global_buffer
      - .offset:         80
        .size:           8
        .value_kind:     by_value
      - .offset:         88
        .size:           4
        .value_kind:     by_value
      - .offset:         96
        .size:           8
        .value_kind:     by_value
      - .offset:         104
        .size:           4
        .value_kind:     by_value
      - .offset:         112
        .size:           4
        .value_kind:     hidden_block_count_x
      - .offset:         116
        .size:           4
        .value_kind:     hidden_block_count_y
      - .offset:         120
        .size:           4
        .value_kind:     hidden_block_count_z
      - .offset:         124
        .size:           2
        .value_kind:     hidden_group_size_x
      - .offset:         126
        .size:           2
        .value_kind:     hidden_group_size_y
      - .offset:         128
        .size:           2
        .value_kind:     hidden_group_size_z
      - .offset:         130
        .size:           2
        .value_kind:     hidden_remainder_x
      - .offset:         132
        .size:           2
        .value_kind:     hidden_remainder_y
      - .offset:         134
        .size:           2
        .value_kind:     hidden_remainder_z
      - .offset:         152
        .size:           8
        .value_kind:     hidden_global_offset_x
      - .offset:         160
        .size:           8
        .value_kind:     hidden_global_offset_y
      - .offset:         168
        .size:           8
        .value_kind:     hidden_global_offset_z
      - .offset:         176
        .size:           2
        .value_kind:     hidden_grid_dims
    .group_segment_fixed_size: 32768
    .kernarg_segment_align: 8
    .kernarg_segment_size: 368
    .language:       OpenCL C
    .language_version:
      - 2
      - 0
    .max_flat_workgroup_size: 32
    .name:           _ZL31rocblas_trsm_small_right_deviceI19rocblas_complex_numIdES1_PKPKS1_PKPS1_Li32EEv13rocblas_fill_18rocblas_operation_17rocblas_diagonal_iiT0_T1_lilT2_lili
    .private_segment_fixed_size: 0
    .sgpr_count:     34
    .sgpr_spill_count: 0
    .symbol:         _ZL31rocblas_trsm_small_right_deviceI19rocblas_complex_numIdES1_PKPKS1_PKPS1_Li32EEv13rocblas_fill_18rocblas_operation_17rocblas_diagonal_iiT0_T1_lilT2_lili.kd
    .uniform_work_group_size: 1
    .uses_dynamic_stack: false
    .vgpr_count:     54
    .vgpr_spill_count: 0
    .wavefront_size: 64
  - .agpr_count:     0
    .args:
      - .offset:         0
        .size:           4
        .value_kind:     by_value
      - .offset:         4
        .size:           4
        .value_kind:     by_value
      - .offset:         8
        .size:           4
        .value_kind:     by_value
      - .offset:         12
        .size:           4
        .value_kind:     by_value
      - .offset:         16
        .size:           4
        .value_kind:     by_value
      - .offset:         24
        .size:           16
        .value_kind:     by_value
      - .address_space:  global
        .offset:         40
        .size:           8
        .value_kind:     global_buffer
      - .offset:         48
        .size:           8
        .value_kind:     by_value
      - .offset:         56
        .size:           4
        .value_kind:     by_value
      - .offset:         64
        .size:           8
        .value_kind:     by_value
      - .address_space:  global
        .offset:         72
        .size:           8
        .value_kind:     global_buffer
      - .offset:         80
        .size:           8
        .value_kind:     by_value
      - .offset:         88
        .size:           4
        .value_kind:     by_value
      - .offset:         96
        .size:           8
        .value_kind:     by_value
      - .offset:         104
        .size:           4
        .value_kind:     by_value
      - .offset:         112
        .size:           4
        .value_kind:     hidden_block_count_x
      - .offset:         116
        .size:           4
        .value_kind:     hidden_block_count_y
      - .offset:         120
        .size:           4
        .value_kind:     hidden_block_count_z
      - .offset:         124
        .size:           2
        .value_kind:     hidden_group_size_x
      - .offset:         126
        .size:           2
        .value_kind:     hidden_group_size_y
      - .offset:         128
        .size:           2
        .value_kind:     hidden_group_size_z
      - .offset:         130
        .size:           2
        .value_kind:     hidden_remainder_x
      - .offset:         132
        .size:           2
        .value_kind:     hidden_remainder_y
      - .offset:         134
        .size:           2
        .value_kind:     hidden_remainder_z
      - .offset:         152
        .size:           8
        .value_kind:     hidden_global_offset_x
      - .offset:         160
        .size:           8
        .value_kind:     hidden_global_offset_y
      - .offset:         168
        .size:           8
        .value_kind:     hidden_global_offset_z
      - .offset:         176
        .size:           2
        .value_kind:     hidden_grid_dims
    .group_segment_fixed_size: 65536
    .kernarg_segment_align: 8
    .kernarg_segment_size: 368
    .language:       OpenCL C
    .language_version:
      - 2
      - 0
    .max_flat_workgroup_size: 64
    .name:           _ZL33rocblas_trsm_small_64_left_deviceI19rocblas_complex_numIdES1_PKPKS1_PKPS1_Li64EEv13rocblas_fill_18rocblas_operation_17rocblas_diagonal_iiT0_T1_lilT2_lili
    .private_segment_fixed_size: 0
    .sgpr_count:     36
    .sgpr_spill_count: 0
    .symbol:         _ZL33rocblas_trsm_small_64_left_deviceI19rocblas_complex_numIdES1_PKPKS1_PKPS1_Li64EEv13rocblas_fill_18rocblas_operation_17rocblas_diagonal_iiT0_T1_lilT2_lili.kd
    .uniform_work_group_size: 1
    .uses_dynamic_stack: false
    .vgpr_count:     20
    .vgpr_spill_count: 0
    .wavefront_size: 64
  - .agpr_count:     0
    .args:
      - .offset:         0
        .size:           4
        .value_kind:     by_value
      - .offset:         4
        .size:           4
        .value_kind:     by_value
      - .offset:         8
        .size:           4
        .value_kind:     by_value
      - .offset:         12
        .size:           4
        .value_kind:     by_value
      - .offset:         16
        .size:           4
        .value_kind:     by_value
      - .offset:         24
        .size:           16
        .value_kind:     by_value
      - .address_space:  global
        .offset:         40
        .size:           8
        .value_kind:     global_buffer
      - .offset:         48
        .size:           8
        .value_kind:     by_value
      - .offset:         56
        .size:           4
        .value_kind:     by_value
      - .offset:         64
        .size:           8
        .value_kind:     by_value
      - .address_space:  global
        .offset:         72
        .size:           8
        .value_kind:     global_buffer
      - .offset:         80
        .size:           8
        .value_kind:     by_value
      - .offset:         88
        .size:           4
        .value_kind:     by_value
      - .offset:         96
        .size:           8
        .value_kind:     by_value
      - .offset:         104
        .size:           4
        .value_kind:     by_value
      - .offset:         112
        .size:           4
        .value_kind:     hidden_block_count_x
      - .offset:         116
        .size:           4
        .value_kind:     hidden_block_count_y
      - .offset:         120
        .size:           4
        .value_kind:     hidden_block_count_z
      - .offset:         124
        .size:           2
        .value_kind:     hidden_group_size_x
      - .offset:         126
        .size:           2
        .value_kind:     hidden_group_size_y
      - .offset:         128
        .size:           2
        .value_kind:     hidden_group_size_z
      - .offset:         130
        .size:           2
        .value_kind:     hidden_remainder_x
      - .offset:         132
        .size:           2
        .value_kind:     hidden_remainder_y
      - .offset:         134
        .size:           2
        .value_kind:     hidden_remainder_z
      - .offset:         152
        .size:           8
        .value_kind:     hidden_global_offset_x
      - .offset:         160
        .size:           8
        .value_kind:     hidden_global_offset_y
      - .offset:         168
        .size:           8
        .value_kind:     hidden_global_offset_z
      - .offset:         176
        .size:           2
        .value_kind:     hidden_grid_dims
    .group_segment_fixed_size: 65536
    .kernarg_segment_align: 8
    .kernarg_segment_size: 368
    .language:       OpenCL C
    .language_version:
      - 2
      - 0
    .max_flat_workgroup_size: 64
    .name:           _ZL34rocblas_trsm_small_64_right_deviceI19rocblas_complex_numIdES1_PKPKS1_PKPS1_Li64EEv13rocblas_fill_18rocblas_operation_17rocblas_diagonal_iiT0_T1_lilT2_lili
    .private_segment_fixed_size: 0
    .sgpr_count:     36
    .sgpr_spill_count: 0
    .symbol:         _ZL34rocblas_trsm_small_64_right_deviceI19rocblas_complex_numIdES1_PKPKS1_PKPS1_Li64EEv13rocblas_fill_18rocblas_operation_17rocblas_diagonal_iiT0_T1_lilT2_lili.kd
    .uniform_work_group_size: 1
    .uses_dynamic_stack: false
    .vgpr_count:     20
    .vgpr_spill_count: 0
    .wavefront_size: 64
  - .agpr_count:     0
    .args:
      - .offset:         0
        .size:           4
        .value_kind:     by_value
      - .offset:         8
        .size:           8
        .value_kind:     by_value
      - .offset:         16
        .size:           8
        .value_kind:     by_value
      - .offset:         24
        .size:           16
        .value_kind:     by_value
      - .address_space:  global
        .offset:         40
        .size:           8
        .value_kind:     global_buffer
      - .offset:         48
        .size:           8
        .value_kind:     by_value
      - .offset:         56
        .size:           8
        .value_kind:     by_value
      - .offset:         64
        .size:           8
        .value_kind:     by_value
      - .address_space:  global
        .offset:         72
        .size:           8
        .value_kind:     global_buffer
      - .offset:         80
        .size:           8
        .value_kind:     by_value
      - .offset:         88
        .size:           8
        .value_kind:     by_value
      - .offset:         96
        .size:           8
        .value_kind:     by_value
      - .offset:         104
        .size:           4
        .value_kind:     by_value
      - .offset:         108
        .size:           1
        .value_kind:     by_value
      - .offset:         112
        .size:           4
        .value_kind:     hidden_block_count_x
      - .offset:         116
        .size:           4
        .value_kind:     hidden_block_count_y
      - .offset:         120
        .size:           4
        .value_kind:     hidden_block_count_z
      - .offset:         124
        .size:           2
        .value_kind:     hidden_group_size_x
      - .offset:         126
        .size:           2
        .value_kind:     hidden_group_size_y
      - .offset:         128
        .size:           2
        .value_kind:     hidden_group_size_z
      - .offset:         130
        .size:           2
        .value_kind:     hidden_remainder_x
      - .offset:         132
        .size:           2
        .value_kind:     hidden_remainder_y
      - .offset:         134
        .size:           2
        .value_kind:     hidden_remainder_z
      - .offset:         152
        .size:           8
        .value_kind:     hidden_global_offset_x
      - .offset:         160
        .size:           8
        .value_kind:     hidden_global_offset_y
      - .offset:         168
        .size:           8
        .value_kind:     hidden_global_offset_z
      - .offset:         176
        .size:           2
        .value_kind:     hidden_grid_dims
      - .offset:         232
        .size:           4
        .value_kind:     hidden_dynamic_lds_size
    .group_segment_fixed_size: 0
    .kernarg_segment_align: 8
    .kernarg_segment_size: 368
    .language:       OpenCL C
    .language_version:
      - 2
      - 0
    .max_flat_workgroup_size: 1024
    .name:           _ZL39rocblas_trsm_block_forward_substitutionI19rocblas_complex_numIdES1_PKPKS1_PKPS1_Lb0ELb0ELb0EEv18rocblas_operation_llT0_T1_lllT2_lllib
    .private_segment_fixed_size: 0
    .sgpr_count:     44
    .sgpr_spill_count: 0
    .symbol:         _ZL39rocblas_trsm_block_forward_substitutionI19rocblas_complex_numIdES1_PKPKS1_PKPS1_Lb0ELb0ELb0EEv18rocblas_operation_llT0_T1_lllT2_lllib.kd
    .uniform_work_group_size: 1
    .uses_dynamic_stack: false
    .vgpr_count:     26
    .vgpr_spill_count: 0
    .wavefront_size: 64
  - .agpr_count:     0
    .args:
      - .offset:         0
        .size:           4
        .value_kind:     by_value
      - .offset:         8
        .size:           8
        .value_kind:     by_value
      - .offset:         16
        .size:           8
        .value_kind:     by_value
      - .offset:         24
        .size:           16
        .value_kind:     by_value
      - .address_space:  global
        .offset:         40
        .size:           8
        .value_kind:     global_buffer
      - .offset:         48
        .size:           8
        .value_kind:     by_value
      - .offset:         56
        .size:           8
        .value_kind:     by_value
      - .offset:         64
        .size:           8
        .value_kind:     by_value
      - .address_space:  global
        .offset:         72
        .size:           8
        .value_kind:     global_buffer
      - .offset:         80
        .size:           8
        .value_kind:     by_value
      - .offset:         88
        .size:           8
        .value_kind:     by_value
      - .offset:         96
        .size:           8
        .value_kind:     by_value
      - .offset:         104
        .size:           4
        .value_kind:     by_value
      - .offset:         108
        .size:           1
        .value_kind:     by_value
      - .offset:         112
        .size:           4
        .value_kind:     hidden_block_count_x
      - .offset:         116
        .size:           4
        .value_kind:     hidden_block_count_y
      - .offset:         120
        .size:           4
        .value_kind:     hidden_block_count_z
      - .offset:         124
        .size:           2
        .value_kind:     hidden_group_size_x
      - .offset:         126
        .size:           2
        .value_kind:     hidden_group_size_y
      - .offset:         128
        .size:           2
        .value_kind:     hidden_group_size_z
      - .offset:         130
        .size:           2
        .value_kind:     hidden_remainder_x
      - .offset:         132
        .size:           2
        .value_kind:     hidden_remainder_y
      - .offset:         134
        .size:           2
        .value_kind:     hidden_remainder_z
      - .offset:         152
        .size:           8
        .value_kind:     hidden_global_offset_x
      - .offset:         160
        .size:           8
        .value_kind:     hidden_global_offset_y
      - .offset:         168
        .size:           8
        .value_kind:     hidden_global_offset_z
      - .offset:         176
        .size:           2
        .value_kind:     hidden_grid_dims
      - .offset:         232
        .size:           4
        .value_kind:     hidden_dynamic_lds_size
    .group_segment_fixed_size: 0
    .kernarg_segment_align: 8
    .kernarg_segment_size: 368
    .language:       OpenCL C
    .language_version:
      - 2
      - 0
    .max_flat_workgroup_size: 1024
    .name:           _ZL40rocblas_trsm_block_backward_substitutionI19rocblas_complex_numIdES1_PKPKS1_PKPS1_Lb0ELb0ELb0EEv18rocblas_operation_llT0_T1_lllT2_lllib
    .private_segment_fixed_size: 0
    .sgpr_count:     48
    .sgpr_spill_count: 0
    .symbol:         _ZL40rocblas_trsm_block_backward_substitutionI19rocblas_complex_numIdES1_PKPKS1_PKPS1_Lb0ELb0ELb0EEv18rocblas_operation_llT0_T1_lllT2_lllib.kd
    .uniform_work_group_size: 1
    .uses_dynamic_stack: false
    .vgpr_count:     26
    .vgpr_spill_count: 0
    .wavefront_size: 64
  - .agpr_count:     0
    .args:
      - .offset:         0
        .size:           4
        .value_kind:     by_value
      - .offset:         8
        .size:           8
        .value_kind:     by_value
      - .offset:         16
        .size:           8
        .value_kind:     by_value
      - .offset:         24
        .size:           16
        .value_kind:     by_value
      - .address_space:  global
        .offset:         40
        .size:           8
        .value_kind:     global_buffer
      - .offset:         48
        .size:           8
        .value_kind:     by_value
      - .offset:         56
        .size:           8
        .value_kind:     by_value
      - .offset:         64
        .size:           8
        .value_kind:     by_value
      - .address_space:  global
        .offset:         72
        .size:           8
        .value_kind:     global_buffer
      - .offset:         80
        .size:           8
        .value_kind:     by_value
      - .offset:         88
        .size:           8
        .value_kind:     by_value
      - .offset:         96
        .size:           8
        .value_kind:     by_value
      - .offset:         104
        .size:           4
        .value_kind:     by_value
      - .offset:         108
        .size:           1
        .value_kind:     by_value
      - .offset:         112
        .size:           4
        .value_kind:     hidden_block_count_x
      - .offset:         116
        .size:           4
        .value_kind:     hidden_block_count_y
      - .offset:         120
        .size:           4
        .value_kind:     hidden_block_count_z
      - .offset:         124
        .size:           2
        .value_kind:     hidden_group_size_x
      - .offset:         126
        .size:           2
        .value_kind:     hidden_group_size_y
      - .offset:         128
        .size:           2
        .value_kind:     hidden_group_size_z
      - .offset:         130
        .size:           2
        .value_kind:     hidden_remainder_x
      - .offset:         132
        .size:           2
        .value_kind:     hidden_remainder_y
      - .offset:         134
        .size:           2
        .value_kind:     hidden_remainder_z
      - .offset:         152
        .size:           8
        .value_kind:     hidden_global_offset_x
      - .offset:         160
        .size:           8
        .value_kind:     hidden_global_offset_y
      - .offset:         168
        .size:           8
        .value_kind:     hidden_global_offset_z
      - .offset:         176
        .size:           2
        .value_kind:     hidden_grid_dims
      - .offset:         232
        .size:           4
        .value_kind:     hidden_dynamic_lds_size
    .group_segment_fixed_size: 0
    .kernarg_segment_align: 8
    .kernarg_segment_size: 368
    .language:       OpenCL C
    .language_version:
      - 2
      - 0
    .max_flat_workgroup_size: 1024
    .name:           _ZL39rocblas_trsm_block_forward_substitutionI19rocblas_complex_numIdES1_PKPKS1_PKPS1_Lb0ELb0ELb1EEv18rocblas_operation_llT0_T1_lllT2_lllib
    .private_segment_fixed_size: 0
    .sgpr_count:     36
    .sgpr_spill_count: 0
    .symbol:         _ZL39rocblas_trsm_block_forward_substitutionI19rocblas_complex_numIdES1_PKPKS1_PKPS1_Lb0ELb0ELb1EEv18rocblas_operation_llT0_T1_lllT2_lllib.kd
    .uniform_work_group_size: 1
    .uses_dynamic_stack: false
    .vgpr_count:     22
    .vgpr_spill_count: 0
    .wavefront_size: 64
  - .agpr_count:     0
    .args:
      - .offset:         0
        .size:           4
        .value_kind:     by_value
      - .offset:         8
        .size:           8
        .value_kind:     by_value
      - .offset:         16
        .size:           8
        .value_kind:     by_value
      - .offset:         24
        .size:           16
        .value_kind:     by_value
      - .address_space:  global
        .offset:         40
        .size:           8
        .value_kind:     global_buffer
      - .offset:         48
        .size:           8
        .value_kind:     by_value
      - .offset:         56
        .size:           8
        .value_kind:     by_value
      - .offset:         64
        .size:           8
        .value_kind:     by_value
      - .address_space:  global
        .offset:         72
        .size:           8
        .value_kind:     global_buffer
      - .offset:         80
        .size:           8
        .value_kind:     by_value
      - .offset:         88
        .size:           8
        .value_kind:     by_value
      - .offset:         96
        .size:           8
        .value_kind:     by_value
      - .offset:         104
        .size:           4
        .value_kind:     by_value
      - .offset:         108
        .size:           1
        .value_kind:     by_value
      - .offset:         112
        .size:           4
        .value_kind:     hidden_block_count_x
      - .offset:         116
        .size:           4
        .value_kind:     hidden_block_count_y
      - .offset:         120
        .size:           4
        .value_kind:     hidden_block_count_z
      - .offset:         124
        .size:           2
        .value_kind:     hidden_group_size_x
      - .offset:         126
        .size:           2
        .value_kind:     hidden_group_size_y
      - .offset:         128
        .size:           2
        .value_kind:     hidden_group_size_z
      - .offset:         130
        .size:           2
        .value_kind:     hidden_remainder_x
      - .offset:         132
        .size:           2
        .value_kind:     hidden_remainder_y
      - .offset:         134
        .size:           2
        .value_kind:     hidden_remainder_z
      - .offset:         152
        .size:           8
        .value_kind:     hidden_global_offset_x
      - .offset:         160
        .size:           8
        .value_kind:     hidden_global_offset_y
      - .offset:         168
        .size:           8
        .value_kind:     hidden_global_offset_z
      - .offset:         176
        .size:           2
        .value_kind:     hidden_grid_dims
      - .offset:         232
        .size:           4
        .value_kind:     hidden_dynamic_lds_size
    .group_segment_fixed_size: 0
    .kernarg_segment_align: 8
    .kernarg_segment_size: 368
    .language:       OpenCL C
    .language_version:
      - 2
      - 0
    .max_flat_workgroup_size: 1024
    .name:           _ZL40rocblas_trsm_block_backward_substitutionI19rocblas_complex_numIdES1_PKPKS1_PKPS1_Lb0ELb0ELb1EEv18rocblas_operation_llT0_T1_lllT2_lllib
    .private_segment_fixed_size: 0
    .sgpr_count:     38
    .sgpr_spill_count: 0
    .symbol:         _ZL40rocblas_trsm_block_backward_substitutionI19rocblas_complex_numIdES1_PKPKS1_PKPS1_Lb0ELb0ELb1EEv18rocblas_operation_llT0_T1_lllT2_lllib.kd
    .uniform_work_group_size: 1
    .uses_dynamic_stack: false
    .vgpr_count:     22
    .vgpr_spill_count: 0
    .wavefront_size: 64
  - .agpr_count:     0
    .args:
      - .offset:         0
        .size:           4
        .value_kind:     by_value
      - .offset:         8
        .size:           8
        .value_kind:     by_value
      - .offset:         16
        .size:           8
        .value_kind:     by_value
      - .offset:         24
        .size:           16
        .value_kind:     by_value
      - .address_space:  global
        .offset:         40
        .size:           8
        .value_kind:     global_buffer
      - .offset:         48
        .size:           8
        .value_kind:     by_value
      - .offset:         56
        .size:           8
        .value_kind:     by_value
      - .offset:         64
        .size:           8
        .value_kind:     by_value
      - .address_space:  global
        .offset:         72
        .size:           8
        .value_kind:     global_buffer
      - .offset:         80
        .size:           8
        .value_kind:     by_value
      - .offset:         88
        .size:           8
        .value_kind:     by_value
      - .offset:         96
        .size:           8
        .value_kind:     by_value
      - .offset:         104
        .size:           4
        .value_kind:     by_value
      - .offset:         108
        .size:           1
        .value_kind:     by_value
      - .offset:         112
        .size:           4
        .value_kind:     hidden_block_count_x
      - .offset:         116
        .size:           4
        .value_kind:     hidden_block_count_y
      - .offset:         120
        .size:           4
        .value_kind:     hidden_block_count_z
      - .offset:         124
        .size:           2
        .value_kind:     hidden_group_size_x
      - .offset:         126
        .size:           2
        .value_kind:     hidden_group_size_y
      - .offset:         128
        .size:           2
        .value_kind:     hidden_group_size_z
      - .offset:         130
        .size:           2
        .value_kind:     hidden_remainder_x
      - .offset:         132
        .size:           2
        .value_kind:     hidden_remainder_y
      - .offset:         134
        .size:           2
        .value_kind:     hidden_remainder_z
      - .offset:         152
        .size:           8
        .value_kind:     hidden_global_offset_x
      - .offset:         160
        .size:           8
        .value_kind:     hidden_global_offset_y
      - .offset:         168
        .size:           8
        .value_kind:     hidden_global_offset_z
      - .offset:         176
        .size:           2
        .value_kind:     hidden_grid_dims
      - .offset:         232
        .size:           4
        .value_kind:     hidden_dynamic_lds_size
    .group_segment_fixed_size: 0
    .kernarg_segment_align: 8
    .kernarg_segment_size: 368
    .language:       OpenCL C
    .language_version:
      - 2
      - 0
    .max_flat_workgroup_size: 1024
    .name:           _ZL39rocblas_trsm_block_forward_substitutionI19rocblas_complex_numIdES1_PKPKS1_PKPS1_Lb0ELb1ELb0EEv18rocblas_operation_llT0_T1_lllT2_lllib
    .private_segment_fixed_size: 0
    .sgpr_count:     44
    .sgpr_spill_count: 0
    .symbol:         _ZL39rocblas_trsm_block_forward_substitutionI19rocblas_complex_numIdES1_PKPKS1_PKPS1_Lb0ELb1ELb0EEv18rocblas_operation_llT0_T1_lllT2_lllib.kd
    .uniform_work_group_size: 1
    .uses_dynamic_stack: false
    .vgpr_count:     26
    .vgpr_spill_count: 0
    .wavefront_size: 64
  - .agpr_count:     0
    .args:
      - .offset:         0
        .size:           4
        .value_kind:     by_value
      - .offset:         8
        .size:           8
        .value_kind:     by_value
      - .offset:         16
        .size:           8
        .value_kind:     by_value
      - .offset:         24
        .size:           16
        .value_kind:     by_value
      - .address_space:  global
        .offset:         40
        .size:           8
        .value_kind:     global_buffer
      - .offset:         48
        .size:           8
        .value_kind:     by_value
      - .offset:         56
        .size:           8
        .value_kind:     by_value
      - .offset:         64
        .size:           8
        .value_kind:     by_value
      - .address_space:  global
        .offset:         72
        .size:           8
        .value_kind:     global_buffer
      - .offset:         80
        .size:           8
        .value_kind:     by_value
      - .offset:         88
        .size:           8
        .value_kind:     by_value
      - .offset:         96
        .size:           8
        .value_kind:     by_value
      - .offset:         104
        .size:           4
        .value_kind:     by_value
      - .offset:         108
        .size:           1
        .value_kind:     by_value
      - .offset:         112
        .size:           4
        .value_kind:     hidden_block_count_x
      - .offset:         116
        .size:           4
        .value_kind:     hidden_block_count_y
      - .offset:         120
        .size:           4
        .value_kind:     hidden_block_count_z
      - .offset:         124
        .size:           2
        .value_kind:     hidden_group_size_x
      - .offset:         126
        .size:           2
        .value_kind:     hidden_group_size_y
      - .offset:         128
        .size:           2
        .value_kind:     hidden_group_size_z
      - .offset:         130
        .size:           2
        .value_kind:     hidden_remainder_x
      - .offset:         132
        .size:           2
        .value_kind:     hidden_remainder_y
      - .offset:         134
        .size:           2
        .value_kind:     hidden_remainder_z
      - .offset:         152
        .size:           8
        .value_kind:     hidden_global_offset_x
      - .offset:         160
        .size:           8
        .value_kind:     hidden_global_offset_y
      - .offset:         168
        .size:           8
        .value_kind:     hidden_global_offset_z
      - .offset:         176
        .size:           2
        .value_kind:     hidden_grid_dims
      - .offset:         232
        .size:           4
        .value_kind:     hidden_dynamic_lds_size
    .group_segment_fixed_size: 0
    .kernarg_segment_align: 8
    .kernarg_segment_size: 368
    .language:       OpenCL C
    .language_version:
      - 2
      - 0
    .max_flat_workgroup_size: 1024
    .name:           _ZL40rocblas_trsm_block_backward_substitutionI19rocblas_complex_numIdES1_PKPKS1_PKPS1_Lb0ELb1ELb0EEv18rocblas_operation_llT0_T1_lllT2_lllib
    .private_segment_fixed_size: 0
    .sgpr_count:     48
    .sgpr_spill_count: 0
    .symbol:         _ZL40rocblas_trsm_block_backward_substitutionI19rocblas_complex_numIdES1_PKPKS1_PKPS1_Lb0ELb1ELb0EEv18rocblas_operation_llT0_T1_lllT2_lllib.kd
    .uniform_work_group_size: 1
    .uses_dynamic_stack: false
    .vgpr_count:     26
    .vgpr_spill_count: 0
    .wavefront_size: 64
  - .agpr_count:     0
    .args:
      - .offset:         0
        .size:           4
        .value_kind:     by_value
      - .offset:         8
        .size:           8
        .value_kind:     by_value
      - .offset:         16
        .size:           8
        .value_kind:     by_value
      - .offset:         24
        .size:           16
        .value_kind:     by_value
      - .address_space:  global
        .offset:         40
        .size:           8
        .value_kind:     global_buffer
      - .offset:         48
        .size:           8
        .value_kind:     by_value
      - .offset:         56
        .size:           8
        .value_kind:     by_value
      - .offset:         64
        .size:           8
        .value_kind:     by_value
      - .address_space:  global
        .offset:         72
        .size:           8
        .value_kind:     global_buffer
      - .offset:         80
        .size:           8
        .value_kind:     by_value
      - .offset:         88
        .size:           8
        .value_kind:     by_value
      - .offset:         96
        .size:           8
        .value_kind:     by_value
      - .offset:         104
        .size:           4
        .value_kind:     by_value
      - .offset:         108
        .size:           1
        .value_kind:     by_value
      - .offset:         112
        .size:           4
        .value_kind:     hidden_block_count_x
      - .offset:         116
        .size:           4
        .value_kind:     hidden_block_count_y
      - .offset:         120
        .size:           4
        .value_kind:     hidden_block_count_z
      - .offset:         124
        .size:           2
        .value_kind:     hidden_group_size_x
      - .offset:         126
        .size:           2
        .value_kind:     hidden_group_size_y
      - .offset:         128
        .size:           2
        .value_kind:     hidden_group_size_z
      - .offset:         130
        .size:           2
        .value_kind:     hidden_remainder_x
      - .offset:         132
        .size:           2
        .value_kind:     hidden_remainder_y
      - .offset:         134
        .size:           2
        .value_kind:     hidden_remainder_z
      - .offset:         152
        .size:           8
        .value_kind:     hidden_global_offset_x
      - .offset:         160
        .size:           8
        .value_kind:     hidden_global_offset_y
      - .offset:         168
        .size:           8
        .value_kind:     hidden_global_offset_z
      - .offset:         176
        .size:           2
        .value_kind:     hidden_grid_dims
      - .offset:         232
        .size:           4
        .value_kind:     hidden_dynamic_lds_size
    .group_segment_fixed_size: 0
    .kernarg_segment_align: 8
    .kernarg_segment_size: 368
    .language:       OpenCL C
    .language_version:
      - 2
      - 0
    .max_flat_workgroup_size: 1024
    .name:           _ZL39rocblas_trsm_block_forward_substitutionI19rocblas_complex_numIdES1_PKPKS1_PKPS1_Lb0ELb1ELb1EEv18rocblas_operation_llT0_T1_lllT2_lllib
    .private_segment_fixed_size: 0
    .sgpr_count:     36
    .sgpr_spill_count: 0
    .symbol:         _ZL39rocblas_trsm_block_forward_substitutionI19rocblas_complex_numIdES1_PKPKS1_PKPS1_Lb0ELb1ELb1EEv18rocblas_operation_llT0_T1_lllT2_lllib.kd
    .uniform_work_group_size: 1
    .uses_dynamic_stack: false
    .vgpr_count:     22
    .vgpr_spill_count: 0
    .wavefront_size: 64
  - .agpr_count:     0
    .args:
      - .offset:         0
        .size:           4
        .value_kind:     by_value
      - .offset:         8
        .size:           8
        .value_kind:     by_value
      - .offset:         16
        .size:           8
        .value_kind:     by_value
      - .offset:         24
        .size:           16
        .value_kind:     by_value
      - .address_space:  global
        .offset:         40
        .size:           8
        .value_kind:     global_buffer
      - .offset:         48
        .size:           8
        .value_kind:     by_value
      - .offset:         56
        .size:           8
        .value_kind:     by_value
      - .offset:         64
        .size:           8
        .value_kind:     by_value
      - .address_space:  global
        .offset:         72
        .size:           8
        .value_kind:     global_buffer
      - .offset:         80
        .size:           8
        .value_kind:     by_value
      - .offset:         88
        .size:           8
        .value_kind:     by_value
      - .offset:         96
        .size:           8
        .value_kind:     by_value
      - .offset:         104
        .size:           4
        .value_kind:     by_value
      - .offset:         108
        .size:           1
        .value_kind:     by_value
      - .offset:         112
        .size:           4
        .value_kind:     hidden_block_count_x
      - .offset:         116
        .size:           4
        .value_kind:     hidden_block_count_y
      - .offset:         120
        .size:           4
        .value_kind:     hidden_block_count_z
      - .offset:         124
        .size:           2
        .value_kind:     hidden_group_size_x
      - .offset:         126
        .size:           2
        .value_kind:     hidden_group_size_y
      - .offset:         128
        .size:           2
        .value_kind:     hidden_group_size_z
      - .offset:         130
        .size:           2
        .value_kind:     hidden_remainder_x
      - .offset:         132
        .size:           2
        .value_kind:     hidden_remainder_y
      - .offset:         134
        .size:           2
        .value_kind:     hidden_remainder_z
      - .offset:         152
        .size:           8
        .value_kind:     hidden_global_offset_x
      - .offset:         160
        .size:           8
        .value_kind:     hidden_global_offset_y
      - .offset:         168
        .size:           8
        .value_kind:     hidden_global_offset_z
      - .offset:         176
        .size:           2
        .value_kind:     hidden_grid_dims
      - .offset:         232
        .size:           4
        .value_kind:     hidden_dynamic_lds_size
    .group_segment_fixed_size: 0
    .kernarg_segment_align: 8
    .kernarg_segment_size: 368
    .language:       OpenCL C
    .language_version:
      - 2
      - 0
    .max_flat_workgroup_size: 1024
    .name:           _ZL40rocblas_trsm_block_backward_substitutionI19rocblas_complex_numIdES1_PKPKS1_PKPS1_Lb0ELb1ELb1EEv18rocblas_operation_llT0_T1_lllT2_lllib
    .private_segment_fixed_size: 0
    .sgpr_count:     38
    .sgpr_spill_count: 0
    .symbol:         _ZL40rocblas_trsm_block_backward_substitutionI19rocblas_complex_numIdES1_PKPKS1_PKPS1_Lb0ELb1ELb1EEv18rocblas_operation_llT0_T1_lllT2_lllib.kd
    .uniform_work_group_size: 1
    .uses_dynamic_stack: false
    .vgpr_count:     22
    .vgpr_spill_count: 0
    .wavefront_size: 64
  - .agpr_count:     0
    .args:
      - .offset:         0
        .size:           4
        .value_kind:     by_value
      - .offset:         8
        .size:           8
        .value_kind:     by_value
      - .offset:         16
        .size:           8
        .value_kind:     by_value
      - .offset:         24
        .size:           16
        .value_kind:     by_value
      - .address_space:  global
        .offset:         40
        .size:           8
        .value_kind:     global_buffer
      - .offset:         48
        .size:           8
        .value_kind:     by_value
      - .offset:         56
        .size:           8
        .value_kind:     by_value
      - .offset:         64
        .size:           8
        .value_kind:     by_value
      - .address_space:  global
        .offset:         72
        .size:           8
        .value_kind:     global_buffer
      - .offset:         80
        .size:           8
        .value_kind:     by_value
      - .offset:         88
        .size:           8
        .value_kind:     by_value
      - .offset:         96
        .size:           8
        .value_kind:     by_value
      - .offset:         104
        .size:           4
        .value_kind:     by_value
      - .offset:         108
        .size:           1
        .value_kind:     by_value
      - .offset:         112
        .size:           4
        .value_kind:     hidden_block_count_x
      - .offset:         116
        .size:           4
        .value_kind:     hidden_block_count_y
      - .offset:         120
        .size:           4
        .value_kind:     hidden_block_count_z
      - .offset:         124
        .size:           2
        .value_kind:     hidden_group_size_x
      - .offset:         126
        .size:           2
        .value_kind:     hidden_group_size_y
      - .offset:         128
        .size:           2
        .value_kind:     hidden_group_size_z
      - .offset:         130
        .size:           2
        .value_kind:     hidden_remainder_x
      - .offset:         132
        .size:           2
        .value_kind:     hidden_remainder_y
      - .offset:         134
        .size:           2
        .value_kind:     hidden_remainder_z
      - .offset:         152
        .size:           8
        .value_kind:     hidden_global_offset_x
      - .offset:         160
        .size:           8
        .value_kind:     hidden_global_offset_y
      - .offset:         168
        .size:           8
        .value_kind:     hidden_global_offset_z
      - .offset:         176
        .size:           2
        .value_kind:     hidden_grid_dims
      - .offset:         232
        .size:           4
        .value_kind:     hidden_dynamic_lds_size
    .group_segment_fixed_size: 0
    .kernarg_segment_align: 8
    .kernarg_segment_size: 368
    .language:       OpenCL C
    .language_version:
      - 2
      - 0
    .max_flat_workgroup_size: 1024
    .name:           _ZL39rocblas_trsm_block_forward_substitutionI19rocblas_complex_numIdES1_PKPKS1_PKPS1_Lb1ELb1ELb0EEv18rocblas_operation_llT0_T1_lllT2_lllib
    .private_segment_fixed_size: 0
    .sgpr_count:     44
    .sgpr_spill_count: 0
    .symbol:         _ZL39rocblas_trsm_block_forward_substitutionI19rocblas_complex_numIdES1_PKPKS1_PKPS1_Lb1ELb1ELb0EEv18rocblas_operation_llT0_T1_lllT2_lllib.kd
    .uniform_work_group_size: 1
    .uses_dynamic_stack: false
    .vgpr_count:     26
    .vgpr_spill_count: 0
    .wavefront_size: 64
  - .agpr_count:     0
    .args:
      - .offset:         0
        .size:           4
        .value_kind:     by_value
      - .offset:         8
        .size:           8
        .value_kind:     by_value
      - .offset:         16
        .size:           8
        .value_kind:     by_value
      - .offset:         24
        .size:           16
        .value_kind:     by_value
      - .address_space:  global
        .offset:         40
        .size:           8
        .value_kind:     global_buffer
      - .offset:         48
        .size:           8
        .value_kind:     by_value
      - .offset:         56
        .size:           8
        .value_kind:     by_value
      - .offset:         64
        .size:           8
        .value_kind:     by_value
      - .address_space:  global
        .offset:         72
        .size:           8
        .value_kind:     global_buffer
      - .offset:         80
        .size:           8
        .value_kind:     by_value
      - .offset:         88
        .size:           8
        .value_kind:     by_value
      - .offset:         96
        .size:           8
        .value_kind:     by_value
      - .offset:         104
        .size:           4
        .value_kind:     by_value
      - .offset:         108
        .size:           1
        .value_kind:     by_value
      - .offset:         112
        .size:           4
        .value_kind:     hidden_block_count_x
      - .offset:         116
        .size:           4
        .value_kind:     hidden_block_count_y
      - .offset:         120
        .size:           4
        .value_kind:     hidden_block_count_z
      - .offset:         124
        .size:           2
        .value_kind:     hidden_group_size_x
      - .offset:         126
        .size:           2
        .value_kind:     hidden_group_size_y
      - .offset:         128
        .size:           2
        .value_kind:     hidden_group_size_z
      - .offset:         130
        .size:           2
        .value_kind:     hidden_remainder_x
      - .offset:         132
        .size:           2
        .value_kind:     hidden_remainder_y
      - .offset:         134
        .size:           2
        .value_kind:     hidden_remainder_z
      - .offset:         152
        .size:           8
        .value_kind:     hidden_global_offset_x
      - .offset:         160
        .size:           8
        .value_kind:     hidden_global_offset_y
      - .offset:         168
        .size:           8
        .value_kind:     hidden_global_offset_z
      - .offset:         176
        .size:           2
        .value_kind:     hidden_grid_dims
      - .offset:         232
        .size:           4
        .value_kind:     hidden_dynamic_lds_size
    .group_segment_fixed_size: 0
    .kernarg_segment_align: 8
    .kernarg_segment_size: 368
    .language:       OpenCL C
    .language_version:
      - 2
      - 0
    .max_flat_workgroup_size: 1024
    .name:           _ZL40rocblas_trsm_block_backward_substitutionI19rocblas_complex_numIdES1_PKPKS1_PKPS1_Lb1ELb1ELb0EEv18rocblas_operation_llT0_T1_lllT2_lllib
    .private_segment_fixed_size: 0
    .sgpr_count:     48
    .sgpr_spill_count: 0
    .symbol:         _ZL40rocblas_trsm_block_backward_substitutionI19rocblas_complex_numIdES1_PKPKS1_PKPS1_Lb1ELb1ELb0EEv18rocblas_operation_llT0_T1_lllT2_lllib.kd
    .uniform_work_group_size: 1
    .uses_dynamic_stack: false
    .vgpr_count:     26
    .vgpr_spill_count: 0
    .wavefront_size: 64
  - .agpr_count:     0
    .args:
      - .offset:         0
        .size:           4
        .value_kind:     by_value
      - .offset:         8
        .size:           8
        .value_kind:     by_value
      - .offset:         16
        .size:           8
        .value_kind:     by_value
      - .offset:         24
        .size:           16
        .value_kind:     by_value
      - .address_space:  global
        .offset:         40
        .size:           8
        .value_kind:     global_buffer
      - .offset:         48
        .size:           8
        .value_kind:     by_value
      - .offset:         56
        .size:           8
        .value_kind:     by_value
      - .offset:         64
        .size:           8
        .value_kind:     by_value
      - .address_space:  global
        .offset:         72
        .size:           8
        .value_kind:     global_buffer
      - .offset:         80
        .size:           8
        .value_kind:     by_value
      - .offset:         88
        .size:           8
        .value_kind:     by_value
      - .offset:         96
        .size:           8
        .value_kind:     by_value
      - .offset:         104
        .size:           4
        .value_kind:     by_value
      - .offset:         108
        .size:           1
        .value_kind:     by_value
      - .offset:         112
        .size:           4
        .value_kind:     hidden_block_count_x
      - .offset:         116
        .size:           4
        .value_kind:     hidden_block_count_y
      - .offset:         120
        .size:           4
        .value_kind:     hidden_block_count_z
      - .offset:         124
        .size:           2
        .value_kind:     hidden_group_size_x
      - .offset:         126
        .size:           2
        .value_kind:     hidden_group_size_y
      - .offset:         128
        .size:           2
        .value_kind:     hidden_group_size_z
      - .offset:         130
        .size:           2
        .value_kind:     hidden_remainder_x
      - .offset:         132
        .size:           2
        .value_kind:     hidden_remainder_y
      - .offset:         134
        .size:           2
        .value_kind:     hidden_remainder_z
      - .offset:         152
        .size:           8
        .value_kind:     hidden_global_offset_x
      - .offset:         160
        .size:           8
        .value_kind:     hidden_global_offset_y
      - .offset:         168
        .size:           8
        .value_kind:     hidden_global_offset_z
      - .offset:         176
        .size:           2
        .value_kind:     hidden_grid_dims
      - .offset:         232
        .size:           4
        .value_kind:     hidden_dynamic_lds_size
    .group_segment_fixed_size: 0
    .kernarg_segment_align: 8
    .kernarg_segment_size: 368
    .language:       OpenCL C
    .language_version:
      - 2
      - 0
    .max_flat_workgroup_size: 1024
    .name:           _ZL39rocblas_trsm_block_forward_substitutionI19rocblas_complex_numIdES1_PKPKS1_PKPS1_Lb1ELb1ELb1EEv18rocblas_operation_llT0_T1_lllT2_lllib
    .private_segment_fixed_size: 0
    .sgpr_count:     38
    .sgpr_spill_count: 0
    .symbol:         _ZL39rocblas_trsm_block_forward_substitutionI19rocblas_complex_numIdES1_PKPKS1_PKPS1_Lb1ELb1ELb1EEv18rocblas_operation_llT0_T1_lllT2_lllib.kd
    .uniform_work_group_size: 1
    .uses_dynamic_stack: false
    .vgpr_count:     22
    .vgpr_spill_count: 0
    .wavefront_size: 64
  - .agpr_count:     0
    .args:
      - .offset:         0
        .size:           4
        .value_kind:     by_value
      - .offset:         8
        .size:           8
        .value_kind:     by_value
      - .offset:         16
        .size:           8
        .value_kind:     by_value
      - .offset:         24
        .size:           16
        .value_kind:     by_value
      - .address_space:  global
        .offset:         40
        .size:           8
        .value_kind:     global_buffer
      - .offset:         48
        .size:           8
        .value_kind:     by_value
      - .offset:         56
        .size:           8
        .value_kind:     by_value
      - .offset:         64
        .size:           8
        .value_kind:     by_value
      - .address_space:  global
        .offset:         72
        .size:           8
        .value_kind:     global_buffer
      - .offset:         80
        .size:           8
        .value_kind:     by_value
      - .offset:         88
        .size:           8
        .value_kind:     by_value
      - .offset:         96
        .size:           8
        .value_kind:     by_value
      - .offset:         104
        .size:           4
        .value_kind:     by_value
      - .offset:         108
        .size:           1
        .value_kind:     by_value
      - .offset:         112
        .size:           4
        .value_kind:     hidden_block_count_x
      - .offset:         116
        .size:           4
        .value_kind:     hidden_block_count_y
      - .offset:         120
        .size:           4
        .value_kind:     hidden_block_count_z
      - .offset:         124
        .size:           2
        .value_kind:     hidden_group_size_x
      - .offset:         126
        .size:           2
        .value_kind:     hidden_group_size_y
      - .offset:         128
        .size:           2
        .value_kind:     hidden_group_size_z
      - .offset:         130
        .size:           2
        .value_kind:     hidden_remainder_x
      - .offset:         132
        .size:           2
        .value_kind:     hidden_remainder_y
      - .offset:         134
        .size:           2
        .value_kind:     hidden_remainder_z
      - .offset:         152
        .size:           8
        .value_kind:     hidden_global_offset_x
      - .offset:         160
        .size:           8
        .value_kind:     hidden_global_offset_y
      - .offset:         168
        .size:           8
        .value_kind:     hidden_global_offset_z
      - .offset:         176
        .size:           2
        .value_kind:     hidden_grid_dims
      - .offset:         232
        .size:           4
        .value_kind:     hidden_dynamic_lds_size
    .group_segment_fixed_size: 0
    .kernarg_segment_align: 8
    .kernarg_segment_size: 368
    .language:       OpenCL C
    .language_version:
      - 2
      - 0
    .max_flat_workgroup_size: 1024
    .name:           _ZL40rocblas_trsm_block_backward_substitutionI19rocblas_complex_numIdES1_PKPKS1_PKPS1_Lb1ELb1ELb1EEv18rocblas_operation_llT0_T1_lllT2_lllib
    .private_segment_fixed_size: 0
    .sgpr_count:     36
    .sgpr_spill_count: 0
    .symbol:         _ZL40rocblas_trsm_block_backward_substitutionI19rocblas_complex_numIdES1_PKPKS1_PKPS1_Lb1ELb1ELb1EEv18rocblas_operation_llT0_T1_lllT2_lllib.kd
    .uniform_work_group_size: 1
    .uses_dynamic_stack: false
    .vgpr_count:     22
    .vgpr_spill_count: 0
    .wavefront_size: 64
  - .agpr_count:     0
    .args:
      - .offset:         0
        .size:           4
        .value_kind:     by_value
      - .offset:         8
        .size:           8
        .value_kind:     by_value
      - .offset:         16
        .size:           8
        .value_kind:     by_value
      - .offset:         24
        .size:           16
        .value_kind:     by_value
      - .address_space:  global
        .offset:         40
        .size:           8
        .value_kind:     global_buffer
      - .offset:         48
        .size:           8
        .value_kind:     by_value
      - .offset:         56
        .size:           8
        .value_kind:     by_value
      - .offset:         64
        .size:           8
        .value_kind:     by_value
      - .address_space:  global
        .offset:         72
        .size:           8
        .value_kind:     global_buffer
      - .offset:         80
        .size:           8
        .value_kind:     by_value
      - .offset:         88
        .size:           8
        .value_kind:     by_value
      - .offset:         96
        .size:           8
        .value_kind:     by_value
      - .offset:         104
        .size:           4
        .value_kind:     by_value
      - .offset:         108
        .size:           1
        .value_kind:     by_value
      - .offset:         112
        .size:           4
        .value_kind:     hidden_block_count_x
      - .offset:         116
        .size:           4
        .value_kind:     hidden_block_count_y
      - .offset:         120
        .size:           4
        .value_kind:     hidden_block_count_z
      - .offset:         124
        .size:           2
        .value_kind:     hidden_group_size_x
      - .offset:         126
        .size:           2
        .value_kind:     hidden_group_size_y
      - .offset:         128
        .size:           2
        .value_kind:     hidden_group_size_z
      - .offset:         130
        .size:           2
        .value_kind:     hidden_remainder_x
      - .offset:         132
        .size:           2
        .value_kind:     hidden_remainder_y
      - .offset:         134
        .size:           2
        .value_kind:     hidden_remainder_z
      - .offset:         152
        .size:           8
        .value_kind:     hidden_global_offset_x
      - .offset:         160
        .size:           8
        .value_kind:     hidden_global_offset_y
      - .offset:         168
        .size:           8
        .value_kind:     hidden_global_offset_z
      - .offset:         176
        .size:           2
        .value_kind:     hidden_grid_dims
      - .offset:         232
        .size:           4
        .value_kind:     hidden_dynamic_lds_size
    .group_segment_fixed_size: 0
    .kernarg_segment_align: 8
    .kernarg_segment_size: 368
    .language:       OpenCL C
    .language_version:
      - 2
      - 0
    .max_flat_workgroup_size: 1024
    .name:           _ZL39rocblas_trsm_block_forward_substitutionI19rocblas_complex_numIdES1_PKPKS1_PKPS1_Lb1ELb0ELb0EEv18rocblas_operation_llT0_T1_lllT2_lllib
    .private_segment_fixed_size: 0
    .sgpr_count:     44
    .sgpr_spill_count: 0
    .symbol:         _ZL39rocblas_trsm_block_forward_substitutionI19rocblas_complex_numIdES1_PKPKS1_PKPS1_Lb1ELb0ELb0EEv18rocblas_operation_llT0_T1_lllT2_lllib.kd
    .uniform_work_group_size: 1
    .uses_dynamic_stack: false
    .vgpr_count:     26
    .vgpr_spill_count: 0
    .wavefront_size: 64
  - .agpr_count:     0
    .args:
      - .offset:         0
        .size:           4
        .value_kind:     by_value
      - .offset:         8
        .size:           8
        .value_kind:     by_value
      - .offset:         16
        .size:           8
        .value_kind:     by_value
      - .offset:         24
        .size:           16
        .value_kind:     by_value
      - .address_space:  global
        .offset:         40
        .size:           8
        .value_kind:     global_buffer
      - .offset:         48
        .size:           8
        .value_kind:     by_value
      - .offset:         56
        .size:           8
        .value_kind:     by_value
      - .offset:         64
        .size:           8
        .value_kind:     by_value
      - .address_space:  global
        .offset:         72
        .size:           8
        .value_kind:     global_buffer
      - .offset:         80
        .size:           8
        .value_kind:     by_value
      - .offset:         88
        .size:           8
        .value_kind:     by_value
      - .offset:         96
        .size:           8
        .value_kind:     by_value
      - .offset:         104
        .size:           4
        .value_kind:     by_value
      - .offset:         108
        .size:           1
        .value_kind:     by_value
      - .offset:         112
        .size:           4
        .value_kind:     hidden_block_count_x
      - .offset:         116
        .size:           4
        .value_kind:     hidden_block_count_y
      - .offset:         120
        .size:           4
        .value_kind:     hidden_block_count_z
      - .offset:         124
        .size:           2
        .value_kind:     hidden_group_size_x
      - .offset:         126
        .size:           2
        .value_kind:     hidden_group_size_y
      - .offset:         128
        .size:           2
        .value_kind:     hidden_group_size_z
      - .offset:         130
        .size:           2
        .value_kind:     hidden_remainder_x
      - .offset:         132
        .size:           2
        .value_kind:     hidden_remainder_y
      - .offset:         134
        .size:           2
        .value_kind:     hidden_remainder_z
      - .offset:         152
        .size:           8
        .value_kind:     hidden_global_offset_x
      - .offset:         160
        .size:           8
        .value_kind:     hidden_global_offset_y
      - .offset:         168
        .size:           8
        .value_kind:     hidden_global_offset_z
      - .offset:         176
        .size:           2
        .value_kind:     hidden_grid_dims
      - .offset:         232
        .size:           4
        .value_kind:     hidden_dynamic_lds_size
    .group_segment_fixed_size: 0
    .kernarg_segment_align: 8
    .kernarg_segment_size: 368
    .language:       OpenCL C
    .language_version:
      - 2
      - 0
    .max_flat_workgroup_size: 1024
    .name:           _ZL40rocblas_trsm_block_backward_substitutionI19rocblas_complex_numIdES1_PKPKS1_PKPS1_Lb1ELb0ELb0EEv18rocblas_operation_llT0_T1_lllT2_lllib
    .private_segment_fixed_size: 0
    .sgpr_count:     48
    .sgpr_spill_count: 0
    .symbol:         _ZL40rocblas_trsm_block_backward_substitutionI19rocblas_complex_numIdES1_PKPKS1_PKPS1_Lb1ELb0ELb0EEv18rocblas_operation_llT0_T1_lllT2_lllib.kd
    .uniform_work_group_size: 1
    .uses_dynamic_stack: false
    .vgpr_count:     26
    .vgpr_spill_count: 0
    .wavefront_size: 64
  - .agpr_count:     0
    .args:
      - .offset:         0
        .size:           4
        .value_kind:     by_value
      - .offset:         8
        .size:           8
        .value_kind:     by_value
      - .offset:         16
        .size:           8
        .value_kind:     by_value
      - .offset:         24
        .size:           16
        .value_kind:     by_value
      - .address_space:  global
        .offset:         40
        .size:           8
        .value_kind:     global_buffer
      - .offset:         48
        .size:           8
        .value_kind:     by_value
      - .offset:         56
        .size:           8
        .value_kind:     by_value
      - .offset:         64
        .size:           8
        .value_kind:     by_value
      - .address_space:  global
        .offset:         72
        .size:           8
        .value_kind:     global_buffer
      - .offset:         80
        .size:           8
        .value_kind:     by_value
      - .offset:         88
        .size:           8
        .value_kind:     by_value
      - .offset:         96
        .size:           8
        .value_kind:     by_value
      - .offset:         104
        .size:           4
        .value_kind:     by_value
      - .offset:         108
        .size:           1
        .value_kind:     by_value
      - .offset:         112
        .size:           4
        .value_kind:     hidden_block_count_x
      - .offset:         116
        .size:           4
        .value_kind:     hidden_block_count_y
      - .offset:         120
        .size:           4
        .value_kind:     hidden_block_count_z
      - .offset:         124
        .size:           2
        .value_kind:     hidden_group_size_x
      - .offset:         126
        .size:           2
        .value_kind:     hidden_group_size_y
      - .offset:         128
        .size:           2
        .value_kind:     hidden_group_size_z
      - .offset:         130
        .size:           2
        .value_kind:     hidden_remainder_x
      - .offset:         132
        .size:           2
        .value_kind:     hidden_remainder_y
      - .offset:         134
        .size:           2
        .value_kind:     hidden_remainder_z
      - .offset:         152
        .size:           8
        .value_kind:     hidden_global_offset_x
      - .offset:         160
        .size:           8
        .value_kind:     hidden_global_offset_y
      - .offset:         168
        .size:           8
        .value_kind:     hidden_global_offset_z
      - .offset:         176
        .size:           2
        .value_kind:     hidden_grid_dims
      - .offset:         232
        .size:           4
        .value_kind:     hidden_dynamic_lds_size
    .group_segment_fixed_size: 0
    .kernarg_segment_align: 8
    .kernarg_segment_size: 368
    .language:       OpenCL C
    .language_version:
      - 2
      - 0
    .max_flat_workgroup_size: 1024
    .name:           _ZL39rocblas_trsm_block_forward_substitutionI19rocblas_complex_numIdES1_PKPKS1_PKPS1_Lb1ELb0ELb1EEv18rocblas_operation_llT0_T1_lllT2_lllib
    .private_segment_fixed_size: 0
    .sgpr_count:     38
    .sgpr_spill_count: 0
    .symbol:         _ZL39rocblas_trsm_block_forward_substitutionI19rocblas_complex_numIdES1_PKPKS1_PKPS1_Lb1ELb0ELb1EEv18rocblas_operation_llT0_T1_lllT2_lllib.kd
    .uniform_work_group_size: 1
    .uses_dynamic_stack: false
    .vgpr_count:     22
    .vgpr_spill_count: 0
    .wavefront_size: 64
  - .agpr_count:     0
    .args:
      - .offset:         0
        .size:           4
        .value_kind:     by_value
      - .offset:         8
        .size:           8
        .value_kind:     by_value
      - .offset:         16
        .size:           8
        .value_kind:     by_value
      - .offset:         24
        .size:           16
        .value_kind:     by_value
      - .address_space:  global
        .offset:         40
        .size:           8
        .value_kind:     global_buffer
      - .offset:         48
        .size:           8
        .value_kind:     by_value
      - .offset:         56
        .size:           8
        .value_kind:     by_value
      - .offset:         64
        .size:           8
        .value_kind:     by_value
      - .address_space:  global
        .offset:         72
        .size:           8
        .value_kind:     global_buffer
      - .offset:         80
        .size:           8
        .value_kind:     by_value
      - .offset:         88
        .size:           8
        .value_kind:     by_value
      - .offset:         96
        .size:           8
        .value_kind:     by_value
      - .offset:         104
        .size:           4
        .value_kind:     by_value
      - .offset:         108
        .size:           1
        .value_kind:     by_value
      - .offset:         112
        .size:           4
        .value_kind:     hidden_block_count_x
      - .offset:         116
        .size:           4
        .value_kind:     hidden_block_count_y
      - .offset:         120
        .size:           4
        .value_kind:     hidden_block_count_z
      - .offset:         124
        .size:           2
        .value_kind:     hidden_group_size_x
      - .offset:         126
        .size:           2
        .value_kind:     hidden_group_size_y
      - .offset:         128
        .size:           2
        .value_kind:     hidden_group_size_z
      - .offset:         130
        .size:           2
        .value_kind:     hidden_remainder_x
      - .offset:         132
        .size:           2
        .value_kind:     hidden_remainder_y
      - .offset:         134
        .size:           2
        .value_kind:     hidden_remainder_z
      - .offset:         152
        .size:           8
        .value_kind:     hidden_global_offset_x
      - .offset:         160
        .size:           8
        .value_kind:     hidden_global_offset_y
      - .offset:         168
        .size:           8
        .value_kind:     hidden_global_offset_z
      - .offset:         176
        .size:           2
        .value_kind:     hidden_grid_dims
      - .offset:         232
        .size:           4
        .value_kind:     hidden_dynamic_lds_size
    .group_segment_fixed_size: 0
    .kernarg_segment_align: 8
    .kernarg_segment_size: 368
    .language:       OpenCL C
    .language_version:
      - 2
      - 0
    .max_flat_workgroup_size: 1024
    .name:           _ZL40rocblas_trsm_block_backward_substitutionI19rocblas_complex_numIdES1_PKPKS1_PKPS1_Lb1ELb0ELb1EEv18rocblas_operation_llT0_T1_lllT2_lllib
    .private_segment_fixed_size: 0
    .sgpr_count:     36
    .sgpr_spill_count: 0
    .symbol:         _ZL40rocblas_trsm_block_backward_substitutionI19rocblas_complex_numIdES1_PKPKS1_PKPS1_Lb1ELb0ELb1EEv18rocblas_operation_llT0_T1_lllT2_lllib.kd
    .uniform_work_group_size: 1
    .uses_dynamic_stack: false
    .vgpr_count:     22
    .vgpr_spill_count: 0
    .wavefront_size: 64
  - .agpr_count:     0
    .args:
      - .address_space:  global
        .offset:         0
        .size:           8
        .value_kind:     global_buffer
      - .offset:         8
        .size:           8
        .value_kind:     by_value
      - .address_space:  global
        .offset:         16
        .size:           8
        .value_kind:     global_buffer
    .group_segment_fixed_size: 0
    .kernarg_segment_align: 8
    .kernarg_segment_size: 24
    .language:       OpenCL C
    .language_version:
      - 2
      - 0
    .max_flat_workgroup_size: 128
    .name:           _ZL26setup_batched_array_kernelILi128E19rocblas_complex_numIdEEvPT0_lPS3_
    .private_segment_fixed_size: 0
    .sgpr_count:     15
    .sgpr_spill_count: 0
    .symbol:         _ZL26setup_batched_array_kernelILi128E19rocblas_complex_numIdEEvPT0_lPS3_.kd
    .uniform_work_group_size: 1
    .uses_dynamic_stack: false
    .vgpr_count:     4
    .vgpr_spill_count: 0
    .wavefront_size: 64
  - .agpr_count:     0
    .args:
      - .offset:         0
        .size:           4
        .value_kind:     by_value
      - .offset:         4
        .size:           4
        .value_kind:     by_value
      - .address_space:  global
        .offset:         8
        .size:           8
        .value_kind:     global_buffer
      - .offset:         16
        .size:           8
        .value_kind:     by_value
      - .offset:         24
        .size:           4
        .value_kind:     by_value
      - .offset:         32
        .size:           8
        .value_kind:     by_value
      - .address_space:  global
        .offset:         40
        .size:           8
        .value_kind:     global_buffer
      - .offset:         48
        .size:           8
        .value_kind:     by_value
      - .offset:         56
        .size:           8
        .value_kind:     by_value
      - .offset:         64
        .size:           4
        .value_kind:     by_value
    .group_segment_fixed_size: 16384
    .kernarg_segment_align: 8
    .kernarg_segment_size: 68
    .language:       OpenCL C
    .language_version:
      - 2
      - 0
    .max_flat_workgroup_size: 256
    .name:           _ZL25rocblas_trtri_trsm_kernelILi128ELi16ELi8E19rocblas_complex_numIdEPKPKS1_PKPS1_Ev13rocblas_fill_17rocblas_diagonal_T3_lilT4_lli
    .private_segment_fixed_size: 0
    .sgpr_count:     32
    .sgpr_spill_count: 0
    .symbol:         _ZL25rocblas_trtri_trsm_kernelILi128ELi16ELi8E19rocblas_complex_numIdEPKPKS1_PKPS1_Ev13rocblas_fill_17rocblas_diagonal_T3_lilT4_lli.kd
    .uniform_work_group_size: 1
    .uses_dynamic_stack: false
    .vgpr_count:     26
    .vgpr_spill_count: 0
    .wavefront_size: 64
  - .agpr_count:     0
    .args:
      - .address_space:  global
        .offset:         0
        .size:           8
        .value_kind:     global_buffer
      - .offset:         8
        .size:           4
        .value_kind:     by_value
      - .offset:         12
        .size:           4
        .value_kind:     by_value
      - .offset:         16
        .size:           8
        .value_kind:     by_value
      - .offset:         24
        .size:           4
        .value_kind:     by_value
      - .offset:         32
        .size:           8
        .value_kind:     by_value
      - .address_space:  global
        .offset:         40
        .size:           8
        .value_kind:     global_buffer
      - .offset:         48
        .size:           8
        .value_kind:     by_value
      - .offset:         56
        .size:           8
        .value_kind:     by_value
      - .offset:         64
        .size:           4
        .value_kind:     by_value
      - .offset:         68
        .size:           4
        .value_kind:     by_value
      - .offset:         72
        .size:           4
        .value_kind:     hidden_block_count_x
      - .offset:         76
        .size:           4
        .value_kind:     hidden_block_count_y
      - .offset:         80
        .size:           4
        .value_kind:     hidden_block_count_z
      - .offset:         84
        .size:           2
        .value_kind:     hidden_group_size_x
      - .offset:         86
        .size:           2
        .value_kind:     hidden_group_size_y
      - .offset:         88
        .size:           2
        .value_kind:     hidden_group_size_z
      - .offset:         90
        .size:           2
        .value_kind:     hidden_remainder_x
      - .offset:         92
        .size:           2
        .value_kind:     hidden_remainder_y
      - .offset:         94
        .size:           2
        .value_kind:     hidden_remainder_z
      - .offset:         112
        .size:           8
        .value_kind:     hidden_global_offset_x
      - .offset:         120
        .size:           8
        .value_kind:     hidden_global_offset_y
      - .offset:         128
        .size:           8
        .value_kind:     hidden_global_offset_z
      - .offset:         136
        .size:           2
        .value_kind:     hidden_grid_dims
    .group_segment_fixed_size: 0
    .kernarg_segment_align: 8
    .kernarg_segment_size: 328
    .language:       OpenCL C
    .language_version:
      - 2
      - 0
    .max_flat_workgroup_size: 128
    .name:           _ZL18rocblas_trtri_fillILi128E19rocblas_complex_numIdEPKPS1_EvP15_rocblas_handle13rocblas_fill_ililT1_llii
    .private_segment_fixed_size: 0
    .sgpr_count:     43
    .sgpr_spill_count: 0
    .symbol:         _ZL18rocblas_trtri_fillILi128E19rocblas_complex_numIdEPKPS1_EvP15_rocblas_handle13rocblas_fill_ililT1_llii.kd
    .uniform_work_group_size: 1
    .uses_dynamic_stack: false
    .vgpr_count:     29
    .vgpr_spill_count: 0
    .wavefront_size: 64
  - .agpr_count:     0
    .args:
      - .offset:         0
        .size:           4
        .value_kind:     by_value
      - .offset:         4
        .size:           4
        .value_kind:     by_value
      - .offset:         8
        .size:           4
        .value_kind:     by_value
      - .address_space:  global
        .offset:         16
        .size:           8
        .value_kind:     global_buffer
      - .offset:         24
        .size:           4
        .value_kind:     by_value
      - .offset:         32
        .size:           8
        .value_kind:     by_value
      - .address_space:  global
        .offset:         40
        .size:           8
        .value_kind:     global_buffer
      - .offset:         48
        .size:           4
        .value_kind:     by_value
      - .offset:         56
        .size:           8
        .value_kind:     by_value
      - .offset:         64
        .size:           8
        .value_kind:     by_value
      - .offset:         72
        .size:           8
        .value_kind:     by_value
      - .offset:         80
        .size:           4
        .value_kind:     by_value
      - .offset:         88
        .size:           4
        .value_kind:     hidden_block_count_x
      - .offset:         92
        .size:           4
        .value_kind:     hidden_block_count_y
      - .offset:         96
        .size:           4
        .value_kind:     hidden_block_count_z
      - .offset:         100
        .size:           2
        .value_kind:     hidden_group_size_x
      - .offset:         102
        .size:           2
        .value_kind:     hidden_group_size_y
      - .offset:         104
        .size:           2
        .value_kind:     hidden_group_size_z
      - .offset:         106
        .size:           2
        .value_kind:     hidden_remainder_x
      - .offset:         108
        .size:           2
        .value_kind:     hidden_remainder_y
      - .offset:         110
        .size:           2
        .value_kind:     hidden_remainder_z
      - .offset:         128
        .size:           8
        .value_kind:     hidden_global_offset_x
      - .offset:         136
        .size:           8
        .value_kind:     hidden_global_offset_y
      - .offset:         144
        .size:           8
        .value_kind:     hidden_global_offset_z
      - .offset:         152
        .size:           2
        .value_kind:     hidden_grid_dims
    .group_segment_fixed_size: 0
    .kernarg_segment_align: 8
    .kernarg_segment_size: 344
    .language:       OpenCL C
    .language_version:
      - 2
      - 0
    .max_flat_workgroup_size: 1024
    .name:           _ZL24rocblas_copy_matrix_trsmILi128ELi8E19rocblas_complex_numIdEPKPKS1_PKPS1_EviiiT2_ilT3_illli
    .private_segment_fixed_size: 0
    .sgpr_count:     28
    .sgpr_spill_count: 0
    .symbol:         _ZL24rocblas_copy_matrix_trsmILi128ELi8E19rocblas_complex_numIdEPKPKS1_PKPS1_EviiiT2_ilT3_illli.kd
    .uniform_work_group_size: 1
    .uses_dynamic_stack: false
    .vgpr_count:     10
    .vgpr_spill_count: 0
    .wavefront_size: 64
amdhsa.target:   amdgcn-amd-amdhsa--gfx950
amdhsa.version:
  - 1
  - 2
...

	.end_amdgpu_metadata
